;; amdgpu-corpus repo=pytorch/pytorch kind=compiled arch=gfx1250 opt=O3
	.amdgcn_target "amdgcn-amd-amdhsa--gfx1250"
	.amdhsa_code_object_version 6
	.section	.text._ZN2at6native29vectorized_elementwise_kernelILi16EZZZNS0_15gcd_kernel_cudaERNS_18TensorIteratorBaseEENKUlvE_clEvENKUlvE_clEvEUlhhE_St5arrayIPcLm3EEEEviT0_T1_,"axG",@progbits,_ZN2at6native29vectorized_elementwise_kernelILi16EZZZNS0_15gcd_kernel_cudaERNS_18TensorIteratorBaseEENKUlvE_clEvENKUlvE_clEvEUlhhE_St5arrayIPcLm3EEEEviT0_T1_,comdat
	.globl	_ZN2at6native29vectorized_elementwise_kernelILi16EZZZNS0_15gcd_kernel_cudaERNS_18TensorIteratorBaseEENKUlvE_clEvENKUlvE_clEvEUlhhE_St5arrayIPcLm3EEEEviT0_T1_ ; -- Begin function _ZN2at6native29vectorized_elementwise_kernelILi16EZZZNS0_15gcd_kernel_cudaERNS_18TensorIteratorBaseEENKUlvE_clEvENKUlvE_clEvEUlhhE_St5arrayIPcLm3EEEEviT0_T1_
	.p2align	8
	.type	_ZN2at6native29vectorized_elementwise_kernelILi16EZZZNS0_15gcd_kernel_cudaERNS_18TensorIteratorBaseEENKUlvE_clEvENKUlvE_clEvEUlhhE_St5arrayIPcLm3EEEEviT0_T1_,@function
_ZN2at6native29vectorized_elementwise_kernelILi16EZZZNS0_15gcd_kernel_cudaERNS_18TensorIteratorBaseEENKUlvE_clEvENKUlvE_clEvEUlhhE_St5arrayIPcLm3EEEEviT0_T1_: ; @_ZN2at6native29vectorized_elementwise_kernelILi16EZZZNS0_15gcd_kernel_cudaERNS_18TensorIteratorBaseEENKUlvE_clEvENKUlvE_clEvEUlhhE_St5arrayIPcLm3EEEEviT0_T1_
; %bb.0:
	s_clause 0x2
	s_load_b32 s4, s[0:1], 0x0
	s_load_b128 s[16:19], s[0:1], 0x8
	s_load_b64 s[2:3], s[0:1], 0x18
	s_wait_xcnt 0x0
	s_bfe_u32 s0, ttmp6, 0x4000c
	s_and_b32 s1, ttmp6, 15
	s_add_co_i32 s0, s0, 1
	s_getreg_b32 s5, hwreg(HW_REG_IB_STS2, 6, 4)
	s_mul_i32 s0, ttmp9, s0
	s_delay_alu instid0(SALU_CYCLE_1) | instskip(SKIP_2) | instid1(SALU_CYCLE_1)
	s_add_co_i32 s1, s1, s0
	s_cmp_eq_u32 s5, 0
	s_cselect_b32 s0, ttmp9, s1
	s_lshl_b32 s14, s0, 12
	s_mov_b32 s0, -1
	s_wait_kmcnt 0x0
	s_sub_co_i32 s13, s4, s14
	s_delay_alu instid0(SALU_CYCLE_1)
	s_cmp_gt_i32 s13, 0xfff
	s_cbranch_scc0 .LBB0_54
; %bb.1:
	s_ashr_i32 s15, s14, 31
	s_delay_alu instid0(SALU_CYCLE_1)
	s_add_nc_u64 s[0:1], s[18:19], s[14:15]
	global_load_b128 v[2:5], v0, s[0:1] scale_offset
	s_wait_xcnt 0x0
	s_add_nc_u64 s[0:1], s[2:3], s[14:15]
	global_load_b128 v[6:9], v0, s[0:1] scale_offset
	s_wait_loadcnt 0x1
	v_and_b32_e32 v1, 0xff, v2
	s_delay_alu instid0(VALU_DEP_1)
	v_cmp_ne_u16_e32 vcc_lo, 0, v1
	s_wait_loadcnt 0x0
	v_mov_b32_e32 v1, v6
	s_and_saveexec_b32 s0, vcc_lo
	s_cbranch_execz .LBB0_5
; %bb.2:
	v_dual_mov_b32 v11, v2 :: v_dual_mov_b32 v10, v6
	s_mov_b32 s1, 0
.LBB0_3:                                ; =>This Inner Loop Header: Depth=1
	s_delay_alu instid0(VALU_DEP_1) | instskip(NEXT) | instid1(VALU_DEP_2)
	v_cvt_f32_ubyte0_e32 v13, v10
	v_mov_b32_e32 v1, v11
	s_delay_alu instid0(VALU_DEP_1) | instskip(NEXT) | instid1(VALU_DEP_1)
	v_cvt_f32_ubyte0_e32 v11, v1
	v_rcp_iflag_f32_e32 v12, v11
	v_nop
	s_delay_alu instid0(TRANS32_DEP_1) | instskip(NEXT) | instid1(VALU_DEP_1)
	v_mul_f32_e32 v12, v13, v12
	v_trunc_f32_e32 v12, v12
	s_delay_alu instid0(VALU_DEP_1) | instskip(SKIP_1) | instid1(VALU_DEP_2)
	v_fma_f32 v13, -v12, v11, v13
	v_cvt_u32_f32_e32 v12, v12
	v_cmp_ge_f32_e64 vcc_lo, |v13|, v11
	s_delay_alu instid0(VALU_DEP_1) | instskip(NEXT) | instid1(VALU_DEP_1)
	v_add_co_ci_u32_e64 v11, null, 0, v12, vcc_lo
	v_mul_lo_u32 v11, v11, v1
	s_delay_alu instid0(VALU_DEP_1) | instskip(NEXT) | instid1(VALU_DEP_1)
	v_sub_nc_u32_e32 v10, v10, v11
	v_and_b32_e32 v11, 0xff, v10
	v_mov_b32_e32 v10, v1
	s_delay_alu instid0(VALU_DEP_2) | instskip(SKIP_1) | instid1(SALU_CYCLE_1)
	v_cmp_eq_u16_e32 vcc_lo, 0, v11
	s_or_b32 s1, vcc_lo, s1
	s_and_not1_b32 exec_lo, exec_lo, s1
	s_cbranch_execnz .LBB0_3
; %bb.4:
	s_or_b32 exec_lo, exec_lo, s1
.LBB0_5:
	s_delay_alu instid0(SALU_CYCLE_1) | instskip(SKIP_4) | instid1(VALU_DEP_2)
	s_or_b32 exec_lo, exec_lo, s0
	v_lshrrev_b32_e32 v10, 8, v2
	v_lshrrev_b32_e32 v14, 8, v6
	s_mov_b32 s1, 0
	s_mov_b32 s0, exec_lo
	v_and_b32_e32 v11, 0xff, v10
	s_delay_alu instid0(VALU_DEP_1)
	v_cmpx_ne_u16_e32 0, v11
	s_cbranch_execz .LBB0_8
.LBB0_6:                                ; =>This Inner Loop Header: Depth=1
	v_cvt_f32_ubyte0_e32 v13, v14
	v_mov_b32_e32 v11, v10
	s_delay_alu instid0(VALU_DEP_1) | instskip(NEXT) | instid1(VALU_DEP_1)
	v_cvt_f32_ubyte0_e32 v10, v11
	v_rcp_iflag_f32_e32 v12, v10
	v_nop
	s_delay_alu instid0(TRANS32_DEP_1) | instskip(NEXT) | instid1(VALU_DEP_1)
	v_mul_f32_e32 v12, v13, v12
	v_trunc_f32_e32 v12, v12
	s_delay_alu instid0(VALU_DEP_1) | instskip(SKIP_1) | instid1(VALU_DEP_2)
	v_fma_f32 v13, -v12, v10, v13
	v_cvt_u32_f32_e32 v12, v12
	v_cmp_ge_f32_e64 vcc_lo, |v13|, v10
	s_delay_alu instid0(VALU_DEP_1) | instskip(NEXT) | instid1(VALU_DEP_1)
	v_add_co_ci_u32_e64 v10, null, 0, v12, vcc_lo
	v_mul_lo_u32 v10, v10, v11
	s_delay_alu instid0(VALU_DEP_1) | instskip(NEXT) | instid1(VALU_DEP_1)
	v_dual_sub_nc_u32 v10, v14, v10 :: v_dual_mov_b32 v14, v11
	v_and_b32_e32 v10, 0xff, v10
	s_delay_alu instid0(VALU_DEP_1) | instskip(SKIP_1) | instid1(SALU_CYCLE_1)
	v_cmp_eq_u16_e32 vcc_lo, 0, v10
	s_or_b32 s1, vcc_lo, s1
	s_and_not1_b32 exec_lo, exec_lo, s1
	s_cbranch_execnz .LBB0_6
; %bb.7:
	s_or_b32 exec_lo, exec_lo, s1
	v_mov_b32_e32 v14, v11
.LBB0_8:
	s_or_b32 exec_lo, exec_lo, s0
	v_lshrrev_b32_e32 v10, 16, v2
	v_lshrrev_b32_e32 v15, 16, v6
	s_mov_b32 s1, 0
	s_mov_b32 s0, exec_lo
	s_delay_alu instid0(VALU_DEP_2) | instskip(NEXT) | instid1(VALU_DEP_1)
	v_and_b32_e32 v11, 0xff, v10
	v_cmpx_ne_u16_e32 0, v11
	s_cbranch_execz .LBB0_11
.LBB0_9:                                ; =>This Inner Loop Header: Depth=1
	v_cvt_f32_ubyte0_e32 v13, v15
	v_mov_b32_e32 v11, v10
	s_delay_alu instid0(VALU_DEP_1) | instskip(NEXT) | instid1(VALU_DEP_1)
	v_cvt_f32_ubyte0_e32 v10, v11
	v_rcp_iflag_f32_e32 v12, v10
	v_nop
	s_delay_alu instid0(TRANS32_DEP_1) | instskip(NEXT) | instid1(VALU_DEP_1)
	v_mul_f32_e32 v12, v13, v12
	v_trunc_f32_e32 v12, v12
	s_delay_alu instid0(VALU_DEP_1) | instskip(SKIP_1) | instid1(VALU_DEP_2)
	v_fma_f32 v13, -v12, v10, v13
	v_cvt_u32_f32_e32 v12, v12
	v_cmp_ge_f32_e64 vcc_lo, |v13|, v10
	s_delay_alu instid0(VALU_DEP_1) | instskip(NEXT) | instid1(VALU_DEP_1)
	v_add_co_ci_u32_e64 v10, null, 0, v12, vcc_lo
	v_mul_lo_u32 v10, v10, v11
	s_delay_alu instid0(VALU_DEP_1) | instskip(SKIP_1) | instid1(VALU_DEP_2)
	v_sub_nc_u32_e32 v10, v15, v10
	v_mov_b32_e32 v15, v11
	v_and_b32_e32 v10, 0xff, v10
	s_delay_alu instid0(VALU_DEP_1) | instskip(SKIP_1) | instid1(SALU_CYCLE_1)
	v_cmp_eq_u16_e32 vcc_lo, 0, v10
	s_or_b32 s1, vcc_lo, s1
	s_and_not1_b32 exec_lo, exec_lo, s1
	s_cbranch_execnz .LBB0_9
; %bb.10:
	s_or_b32 exec_lo, exec_lo, s1
	v_mov_b32_e32 v15, v11
.LBB0_11:
	s_or_b32 exec_lo, exec_lo, s0
	v_lshrrev_b64 v[12:13], 24, v[2:3]
	v_lshrrev_b64 v[10:11], 24, v[6:7]
	s_mov_b32 s1, 0
	s_mov_b32 s0, exec_lo
	s_delay_alu instid0(VALU_DEP_2) | instskip(NEXT) | instid1(VALU_DEP_1)
	v_and_b32_e32 v2, 0xff, v12
	v_cmpx_ne_u16_e32 0, v2
	s_cbranch_execz .LBB0_14
.LBB0_12:                               ; =>This Inner Loop Header: Depth=1
	v_mov_b32_e32 v2, v12
	v_cvt_f32_ubyte0_e32 v12, v10
	s_delay_alu instid0(VALU_DEP_2) | instskip(NEXT) | instid1(VALU_DEP_1)
	v_cvt_f32_ubyte0_e32 v6, v2
	v_rcp_iflag_f32_e32 v11, v6
	v_nop
	s_delay_alu instid0(TRANS32_DEP_1) | instskip(NEXT) | instid1(VALU_DEP_1)
	v_mul_f32_e32 v11, v12, v11
	v_trunc_f32_e32 v11, v11
	s_delay_alu instid0(VALU_DEP_1) | instskip(SKIP_1) | instid1(VALU_DEP_2)
	v_fma_f32 v12, -v11, v6, v12
	v_cvt_u32_f32_e32 v11, v11
	v_cmp_ge_f32_e64 vcc_lo, |v12|, v6
	s_delay_alu instid0(VALU_DEP_1) | instskip(NEXT) | instid1(VALU_DEP_1)
	v_add_co_ci_u32_e64 v6, null, 0, v11, vcc_lo
	v_mul_lo_u32 v6, v6, v2
	s_delay_alu instid0(VALU_DEP_1) | instskip(SKIP_1) | instid1(VALU_DEP_2)
	v_sub_nc_u32_e32 v6, v10, v6
	v_mov_b32_e32 v10, v2
	v_and_b32_e32 v12, 0xff, v6
	s_delay_alu instid0(VALU_DEP_1) | instskip(SKIP_1) | instid1(SALU_CYCLE_1)
	v_cmp_eq_u16_e32 vcc_lo, 0, v12
	s_or_b32 s1, vcc_lo, s1
	s_and_not1_b32 exec_lo, exec_lo, s1
	s_cbranch_execnz .LBB0_12
; %bb.13:
	s_or_b32 exec_lo, exec_lo, s1
	v_mov_b32_e32 v10, v2
.LBB0_14:
	s_or_b32 exec_lo, exec_lo, s0
	v_and_b32_e32 v2, 0xff, v3
	v_mov_b32_e32 v11, v7
	s_mov_b32 s1, 0
	s_mov_b32 s0, exec_lo
	s_delay_alu instid0(VALU_DEP_2)
	v_cmpx_ne_u16_e32 0, v2
	s_cbranch_execz .LBB0_18
; %bb.15:
	v_dual_mov_b32 v6, v3 :: v_dual_mov_b32 v2, v7
.LBB0_16:                               ; =>This Inner Loop Header: Depth=1
	s_delay_alu instid0(VALU_DEP_1) | instskip(NEXT) | instid1(VALU_DEP_2)
	v_cvt_f32_ubyte0_e32 v13, v2
	v_mov_b32_e32 v11, v6
	s_delay_alu instid0(VALU_DEP_1) | instskip(NEXT) | instid1(VALU_DEP_1)
	v_cvt_f32_ubyte0_e32 v6, v11
	v_rcp_iflag_f32_e32 v12, v6
	v_nop
	s_delay_alu instid0(TRANS32_DEP_1) | instskip(NEXT) | instid1(VALU_DEP_1)
	v_mul_f32_e32 v12, v13, v12
	v_trunc_f32_e32 v12, v12
	s_delay_alu instid0(VALU_DEP_1) | instskip(SKIP_1) | instid1(VALU_DEP_2)
	v_fma_f32 v13, -v12, v6, v13
	v_cvt_u32_f32_e32 v12, v12
	v_cmp_ge_f32_e64 vcc_lo, |v13|, v6
	s_delay_alu instid0(VALU_DEP_1) | instskip(NEXT) | instid1(VALU_DEP_1)
	v_add_co_ci_u32_e64 v6, null, 0, v12, vcc_lo
	v_mul_lo_u32 v6, v6, v11
	s_delay_alu instid0(VALU_DEP_1) | instskip(NEXT) | instid1(VALU_DEP_1)
	v_sub_nc_u32_e32 v2, v2, v6
	v_and_b32_e32 v6, 0xff, v2
	v_mov_b32_e32 v2, v11
	s_delay_alu instid0(VALU_DEP_2) | instskip(SKIP_1) | instid1(SALU_CYCLE_1)
	v_cmp_eq_u16_e32 vcc_lo, 0, v6
	s_or_b32 s1, vcc_lo, s1
	s_and_not1_b32 exec_lo, exec_lo, s1
	s_cbranch_execnz .LBB0_16
; %bb.17:
	s_or_b32 exec_lo, exec_lo, s1
.LBB0_18:
	s_delay_alu instid0(SALU_CYCLE_1) | instskip(SKIP_4) | instid1(VALU_DEP_2)
	s_or_b32 exec_lo, exec_lo, s0
	v_lshrrev_b32_e32 v2, 8, v3
	v_lshrrev_b32_e32 v12, 8, v7
	s_mov_b32 s1, 0
	s_mov_b32 s0, exec_lo
	v_and_b32_e32 v6, 0xff, v2
	s_delay_alu instid0(VALU_DEP_1)
	v_cmpx_ne_u16_e32 0, v6
	s_cbranch_execz .LBB0_21
.LBB0_19:                               ; =>This Inner Loop Header: Depth=1
	v_cvt_f32_ubyte0_e32 v16, v12
	v_mov_b32_e32 v6, v2
	s_delay_alu instid0(VALU_DEP_1) | instskip(NEXT) | instid1(VALU_DEP_1)
	v_cvt_f32_ubyte0_e32 v2, v6
	v_rcp_iflag_f32_e32 v13, v2
	v_nop
	s_delay_alu instid0(TRANS32_DEP_1) | instskip(NEXT) | instid1(VALU_DEP_1)
	v_mul_f32_e32 v13, v16, v13
	v_trunc_f32_e32 v13, v13
	s_delay_alu instid0(VALU_DEP_1) | instskip(SKIP_1) | instid1(VALU_DEP_2)
	v_fma_f32 v16, -v13, v2, v16
	v_cvt_u32_f32_e32 v13, v13
	v_cmp_ge_f32_e64 vcc_lo, |v16|, v2
	s_delay_alu instid0(VALU_DEP_1) | instskip(NEXT) | instid1(VALU_DEP_1)
	v_add_co_ci_u32_e64 v2, null, 0, v13, vcc_lo
	v_mul_lo_u32 v2, v2, v6
	s_delay_alu instid0(VALU_DEP_1) | instskip(NEXT) | instid1(VALU_DEP_1)
	v_dual_sub_nc_u32 v2, v12, v2 :: v_dual_mov_b32 v12, v6
	v_and_b32_e32 v2, 0xff, v2
	s_delay_alu instid0(VALU_DEP_1) | instskip(SKIP_1) | instid1(SALU_CYCLE_1)
	v_cmp_eq_u16_e32 vcc_lo, 0, v2
	s_or_b32 s1, vcc_lo, s1
	s_and_not1_b32 exec_lo, exec_lo, s1
	s_cbranch_execnz .LBB0_19
; %bb.20:
	s_or_b32 exec_lo, exec_lo, s1
	v_mov_b32_e32 v12, v6
.LBB0_21:
	s_or_b32 exec_lo, exec_lo, s0
	v_lshrrev_b32_e32 v2, 16, v3
	v_lshrrev_b32_e32 v13, 16, v7
	s_mov_b32 s1, 0
	s_mov_b32 s0, exec_lo
	s_delay_alu instid0(VALU_DEP_2) | instskip(NEXT) | instid1(VALU_DEP_1)
	v_and_b32_e32 v6, 0xff, v2
	v_cmpx_ne_u16_e32 0, v6
	s_cbranch_execz .LBB0_24
.LBB0_22:                               ; =>This Inner Loop Header: Depth=1
	v_cvt_f32_ubyte0_e32 v17, v13
	v_mov_b32_e32 v6, v2
	s_delay_alu instid0(VALU_DEP_1) | instskip(NEXT) | instid1(VALU_DEP_1)
	v_cvt_f32_ubyte0_e32 v2, v6
	v_rcp_iflag_f32_e32 v16, v2
	v_nop
	s_delay_alu instid0(TRANS32_DEP_1) | instskip(NEXT) | instid1(VALU_DEP_1)
	v_mul_f32_e32 v16, v17, v16
	v_trunc_f32_e32 v16, v16
	s_delay_alu instid0(VALU_DEP_1) | instskip(SKIP_1) | instid1(VALU_DEP_2)
	v_fma_f32 v17, -v16, v2, v17
	v_cvt_u32_f32_e32 v16, v16
	v_cmp_ge_f32_e64 vcc_lo, |v17|, v2
	s_delay_alu instid0(VALU_DEP_1) | instskip(NEXT) | instid1(VALU_DEP_1)
	v_add_co_ci_u32_e64 v2, null, 0, v16, vcc_lo
	v_mul_lo_u32 v2, v2, v6
	s_delay_alu instid0(VALU_DEP_1) | instskip(NEXT) | instid1(VALU_DEP_1)
	v_dual_mov_b32 v13, v6 :: v_dual_sub_nc_u32 v2, v13, v2
	v_and_b32_e32 v2, 0xff, v2
	s_delay_alu instid0(VALU_DEP_1) | instskip(SKIP_1) | instid1(SALU_CYCLE_1)
	v_cmp_eq_u16_e32 vcc_lo, 0, v2
	s_or_b32 s1, vcc_lo, s1
	s_and_not1_b32 exec_lo, exec_lo, s1
	s_cbranch_execnz .LBB0_22
; %bb.23:
	s_or_b32 exec_lo, exec_lo, s1
	v_mov_b32_e32 v13, v6
.LBB0_24:
	s_or_b32 exec_lo, exec_lo, s0
	v_lshrrev_b32_e32 v2, 24, v3
	v_lshrrev_b32_e32 v16, 24, v7
	s_mov_b32 s1, 0
	s_mov_b32 s0, exec_lo
	s_delay_alu instid0(VALU_DEP_2)
	v_cmpx_ne_u16_e32 0, v2
	s_cbranch_execz .LBB0_27
.LBB0_25:                               ; =>This Inner Loop Header: Depth=1
	v_cvt_f32_ubyte0_e32 v7, v16
	v_mov_b32_e32 v3, v2
	s_delay_alu instid0(VALU_DEP_1) | instskip(NEXT) | instid1(VALU_DEP_1)
	v_cvt_f32_ubyte0_e32 v2, v3
	v_rcp_iflag_f32_e32 v6, v2
	v_nop
	s_delay_alu instid0(TRANS32_DEP_1) | instskip(NEXT) | instid1(VALU_DEP_1)
	v_mul_f32_e32 v6, v7, v6
	v_trunc_f32_e32 v6, v6
	s_delay_alu instid0(VALU_DEP_1) | instskip(SKIP_1) | instid1(VALU_DEP_2)
	v_fma_f32 v7, -v6, v2, v7
	v_cvt_u32_f32_e32 v6, v6
	v_cmp_ge_f32_e64 vcc_lo, |v7|, v2
	s_delay_alu instid0(VALU_DEP_1) | instskip(NEXT) | instid1(VALU_DEP_1)
	v_add_co_ci_u32_e64 v2, null, 0, v6, vcc_lo
	v_mul_lo_u32 v2, v2, v3
	s_delay_alu instid0(VALU_DEP_1) | instskip(NEXT) | instid1(VALU_DEP_1)
	v_dual_sub_nc_u32 v2, v16, v2 :: v_dual_mov_b32 v16, v3
	v_and_b32_e32 v2, 0xff, v2
	s_delay_alu instid0(VALU_DEP_1) | instskip(SKIP_1) | instid1(SALU_CYCLE_1)
	v_cmp_eq_u16_e32 vcc_lo, 0, v2
	s_or_b32 s1, vcc_lo, s1
	s_and_not1_b32 exec_lo, exec_lo, s1
	s_cbranch_execnz .LBB0_25
; %bb.26:
	s_or_b32 exec_lo, exec_lo, s1
	v_mov_b32_e32 v16, v3
.LBB0_27:
	s_or_b32 exec_lo, exec_lo, s0
	v_and_b32_e32 v2, 0xff, v4
	v_mov_b32_e32 v17, v8
	s_mov_b32 s1, 0
	s_mov_b32 s0, exec_lo
	s_delay_alu instid0(VALU_DEP_2)
	v_cmpx_ne_u16_e32 0, v2
	s_cbranch_execz .LBB0_31
; %bb.28:
	v_dual_mov_b32 v3, v4 :: v_dual_mov_b32 v2, v8
.LBB0_29:                               ; =>This Inner Loop Header: Depth=1
	s_delay_alu instid0(VALU_DEP_1) | instskip(NEXT) | instid1(VALU_DEP_2)
	v_cvt_f32_ubyte0_e32 v7, v2
	v_mov_b32_e32 v17, v3
	s_delay_alu instid0(VALU_DEP_1) | instskip(NEXT) | instid1(VALU_DEP_1)
	v_cvt_f32_ubyte0_e32 v3, v17
	v_rcp_iflag_f32_e32 v6, v3
	v_nop
	s_delay_alu instid0(TRANS32_DEP_1) | instskip(NEXT) | instid1(VALU_DEP_1)
	v_mul_f32_e32 v6, v7, v6
	v_trunc_f32_e32 v6, v6
	s_delay_alu instid0(VALU_DEP_1) | instskip(SKIP_1) | instid1(VALU_DEP_2)
	v_fma_f32 v7, -v6, v3, v7
	v_cvt_u32_f32_e32 v6, v6
	v_cmp_ge_f32_e64 vcc_lo, |v7|, v3
	s_delay_alu instid0(VALU_DEP_1) | instskip(NEXT) | instid1(VALU_DEP_1)
	v_add_co_ci_u32_e64 v3, null, 0, v6, vcc_lo
	v_mul_lo_u32 v3, v3, v17
	s_delay_alu instid0(VALU_DEP_1) | instskip(NEXT) | instid1(VALU_DEP_1)
	v_sub_nc_u32_e32 v2, v2, v3
	v_and_b32_e32 v3, 0xff, v2
	v_mov_b32_e32 v2, v17
	s_delay_alu instid0(VALU_DEP_2) | instskip(SKIP_1) | instid1(SALU_CYCLE_1)
	v_cmp_eq_u16_e32 vcc_lo, 0, v3
	s_or_b32 s1, vcc_lo, s1
	s_and_not1_b32 exec_lo, exec_lo, s1
	s_cbranch_execnz .LBB0_29
; %bb.30:
	s_or_b32 exec_lo, exec_lo, s1
.LBB0_31:
	s_delay_alu instid0(SALU_CYCLE_1) | instskip(SKIP_4) | instid1(VALU_DEP_2)
	s_or_b32 exec_lo, exec_lo, s0
	v_lshrrev_b32_e32 v2, 8, v4
	v_lshrrev_b32_e32 v18, 8, v8
	s_mov_b32 s1, 0
	s_mov_b32 s0, exec_lo
	v_and_b32_e32 v3, 0xff, v2
	s_delay_alu instid0(VALU_DEP_1)
	v_cmpx_ne_u16_e32 0, v3
	s_cbranch_execz .LBB0_34
.LBB0_32:                               ; =>This Inner Loop Header: Depth=1
	v_cvt_f32_ubyte0_e32 v7, v18
	v_mov_b32_e32 v3, v2
	s_delay_alu instid0(VALU_DEP_1) | instskip(NEXT) | instid1(VALU_DEP_1)
	v_cvt_f32_ubyte0_e32 v2, v3
	v_rcp_iflag_f32_e32 v6, v2
	v_nop
	s_delay_alu instid0(TRANS32_DEP_1) | instskip(NEXT) | instid1(VALU_DEP_1)
	v_mul_f32_e32 v6, v7, v6
	v_trunc_f32_e32 v6, v6
	s_delay_alu instid0(VALU_DEP_1) | instskip(SKIP_1) | instid1(VALU_DEP_2)
	v_fma_f32 v7, -v6, v2, v7
	v_cvt_u32_f32_e32 v6, v6
	v_cmp_ge_f32_e64 vcc_lo, |v7|, v2
	s_delay_alu instid0(VALU_DEP_1) | instskip(NEXT) | instid1(VALU_DEP_1)
	v_add_co_ci_u32_e64 v2, null, 0, v6, vcc_lo
	v_mul_lo_u32 v2, v2, v3
	s_delay_alu instid0(VALU_DEP_1) | instskip(NEXT) | instid1(VALU_DEP_1)
	v_dual_sub_nc_u32 v2, v18, v2 :: v_dual_mov_b32 v18, v3
	v_and_b32_e32 v2, 0xff, v2
	s_delay_alu instid0(VALU_DEP_1) | instskip(SKIP_1) | instid1(SALU_CYCLE_1)
	v_cmp_eq_u16_e32 vcc_lo, 0, v2
	s_or_b32 s1, vcc_lo, s1
	s_and_not1_b32 exec_lo, exec_lo, s1
	s_cbranch_execnz .LBB0_32
; %bb.33:
	s_or_b32 exec_lo, exec_lo, s1
	v_mov_b32_e32 v18, v3
.LBB0_34:
	s_or_b32 exec_lo, exec_lo, s0
	v_lshrrev_b32_e32 v2, 16, v4
	v_lshrrev_b32_e32 v19, 16, v8
	s_mov_b32 s1, 0
	s_mov_b32 s0, exec_lo
	s_delay_alu instid0(VALU_DEP_2) | instskip(NEXT) | instid1(VALU_DEP_1)
	v_and_b32_e32 v3, 0xff, v2
	v_cmpx_ne_u16_e32 0, v3
	s_cbranch_execz .LBB0_37
.LBB0_35:                               ; =>This Inner Loop Header: Depth=1
	v_cvt_f32_ubyte0_e32 v7, v19
	v_mov_b32_e32 v3, v2
	s_delay_alu instid0(VALU_DEP_1) | instskip(NEXT) | instid1(VALU_DEP_1)
	v_cvt_f32_ubyte0_e32 v2, v3
	v_rcp_iflag_f32_e32 v6, v2
	v_nop
	s_delay_alu instid0(TRANS32_DEP_1) | instskip(NEXT) | instid1(VALU_DEP_1)
	v_mul_f32_e32 v6, v7, v6
	v_trunc_f32_e32 v6, v6
	s_delay_alu instid0(VALU_DEP_1) | instskip(SKIP_1) | instid1(VALU_DEP_2)
	v_fma_f32 v7, -v6, v2, v7
	v_cvt_u32_f32_e32 v6, v6
	v_cmp_ge_f32_e64 vcc_lo, |v7|, v2
	s_delay_alu instid0(VALU_DEP_1) | instskip(NEXT) | instid1(VALU_DEP_1)
	v_add_co_ci_u32_e64 v2, null, 0, v6, vcc_lo
	v_mul_lo_u32 v2, v2, v3
	s_delay_alu instid0(VALU_DEP_1) | instskip(SKIP_1) | instid1(VALU_DEP_2)
	v_sub_nc_u32_e32 v2, v19, v2
	v_mov_b32_e32 v19, v3
	v_and_b32_e32 v2, 0xff, v2
	s_delay_alu instid0(VALU_DEP_1) | instskip(SKIP_1) | instid1(SALU_CYCLE_1)
	v_cmp_eq_u16_e32 vcc_lo, 0, v2
	s_or_b32 s1, vcc_lo, s1
	s_and_not1_b32 exec_lo, exec_lo, s1
	s_cbranch_execnz .LBB0_35
; %bb.36:
	s_or_b32 exec_lo, exec_lo, s1
	v_mov_b32_e32 v19, v3
.LBB0_37:
	s_or_b32 exec_lo, exec_lo, s0
	v_lshrrev_b64 v[6:7], 24, v[4:5]
	v_lshrrev_b64 v[2:3], 24, v[8:9]
	s_mov_b32 s1, 0
	s_mov_b32 s0, exec_lo
	s_delay_alu instid0(VALU_DEP_2) | instskip(NEXT) | instid1(VALU_DEP_1)
	v_and_b32_e32 v4, 0xff, v6
	v_cmpx_ne_u16_e32 0, v4
	s_cbranch_execz .LBB0_40
.LBB0_38:                               ; =>This Inner Loop Header: Depth=1
	s_delay_alu instid0(VALU_DEP_3) | instskip(SKIP_1) | instid1(VALU_DEP_1)
	v_cvt_f32_ubyte0_e32 v7, v2
	v_mov_b32_e32 v3, v6
	v_cvt_f32_ubyte0_e32 v4, v3
	s_delay_alu instid0(VALU_DEP_1) | instskip(SKIP_1) | instid1(TRANS32_DEP_1)
	v_rcp_iflag_f32_e32 v6, v4
	v_nop
	v_mul_f32_e32 v6, v7, v6
	s_delay_alu instid0(VALU_DEP_1) | instskip(NEXT) | instid1(VALU_DEP_1)
	v_trunc_f32_e32 v6, v6
	v_fma_f32 v7, -v6, v4, v7
	v_cvt_u32_f32_e32 v6, v6
	s_delay_alu instid0(VALU_DEP_2) | instskip(NEXT) | instid1(VALU_DEP_1)
	v_cmp_ge_f32_e64 vcc_lo, |v7|, v4
	v_add_co_ci_u32_e64 v4, null, 0, v6, vcc_lo
	s_delay_alu instid0(VALU_DEP_1) | instskip(NEXT) | instid1(VALU_DEP_1)
	v_mul_lo_u32 v4, v4, v3
	v_sub_nc_u32_e32 v2, v2, v4
	s_delay_alu instid0(VALU_DEP_1) | instskip(SKIP_1) | instid1(VALU_DEP_2)
	v_and_b32_e32 v6, 0xff, v2
	v_mov_b32_e32 v2, v3
	v_cmp_eq_u16_e32 vcc_lo, 0, v6
	s_or_b32 s1, vcc_lo, s1
	s_delay_alu instid0(SALU_CYCLE_1)
	s_and_not1_b32 exec_lo, exec_lo, s1
	s_cbranch_execnz .LBB0_38
; %bb.39:
	s_or_b32 exec_lo, exec_lo, s1
	v_mov_b32_e32 v2, v3
.LBB0_40:
	s_or_b32 exec_lo, exec_lo, s0
	v_and_b32_e32 v3, 0xff, v5
	s_mov_b32 s1, 0
	s_delay_alu instid0(VALU_DEP_1)
	v_cmp_ne_u16_e32 vcc_lo, 0, v3
	v_mov_b32_e32 v3, v9
	s_and_saveexec_b32 s0, vcc_lo
	s_cbranch_execz .LBB0_44
; %bb.41:
	v_dual_mov_b32 v6, v5 :: v_dual_mov_b32 v4, v9
.LBB0_42:                               ; =>This Inner Loop Header: Depth=1
	s_delay_alu instid0(VALU_DEP_1) | instskip(NEXT) | instid1(VALU_DEP_2)
	v_cvt_f32_ubyte0_e32 v8, v4
	v_mov_b32_e32 v3, v6
	s_delay_alu instid0(VALU_DEP_1) | instskip(NEXT) | instid1(VALU_DEP_1)
	v_cvt_f32_ubyte0_e32 v6, v3
	v_rcp_iflag_f32_e32 v7, v6
	v_nop
	s_delay_alu instid0(TRANS32_DEP_1) | instskip(NEXT) | instid1(VALU_DEP_1)
	v_mul_f32_e32 v7, v8, v7
	v_trunc_f32_e32 v7, v7
	s_delay_alu instid0(VALU_DEP_1) | instskip(SKIP_1) | instid1(VALU_DEP_2)
	v_fma_f32 v8, -v7, v6, v8
	v_cvt_u32_f32_e32 v7, v7
	v_cmp_ge_f32_e64 vcc_lo, |v8|, v6
	s_delay_alu instid0(VALU_DEP_1) | instskip(NEXT) | instid1(VALU_DEP_1)
	v_add_co_ci_u32_e64 v6, null, 0, v7, vcc_lo
	v_mul_lo_u32 v6, v6, v3
	s_delay_alu instid0(VALU_DEP_1) | instskip(NEXT) | instid1(VALU_DEP_1)
	v_sub_nc_u32_e32 v4, v4, v6
	v_and_b32_e32 v6, 0xff, v4
	v_mov_b32_e32 v4, v3
	s_delay_alu instid0(VALU_DEP_2) | instskip(SKIP_1) | instid1(SALU_CYCLE_1)
	v_cmp_eq_u16_e32 vcc_lo, 0, v6
	s_or_b32 s1, vcc_lo, s1
	s_and_not1_b32 exec_lo, exec_lo, s1
	s_cbranch_execnz .LBB0_42
; %bb.43:
	s_or_b32 exec_lo, exec_lo, s1
.LBB0_44:
	s_delay_alu instid0(SALU_CYCLE_1) | instskip(SKIP_4) | instid1(VALU_DEP_2)
	s_or_b32 exec_lo, exec_lo, s0
	v_lshrrev_b32_e32 v6, 8, v5
	v_lshrrev_b32_e32 v4, 8, v9
	s_mov_b32 s1, 0
	s_mov_b32 s0, exec_lo
	v_and_b32_e32 v7, 0xff, v6
	s_delay_alu instid0(VALU_DEP_1)
	v_cmpx_ne_u16_e32 0, v7
	s_cbranch_execz .LBB0_47
.LBB0_45:                               ; =>This Inner Loop Header: Depth=1
	v_cvt_f32_ubyte0_e32 v20, v4
	v_mov_b32_e32 v7, v6
	s_delay_alu instid0(VALU_DEP_1) | instskip(NEXT) | instid1(VALU_DEP_1)
	v_cvt_f32_ubyte0_e32 v6, v7
	v_rcp_iflag_f32_e32 v8, v6
	v_nop
	s_delay_alu instid0(TRANS32_DEP_1) | instskip(NEXT) | instid1(VALU_DEP_1)
	v_mul_f32_e32 v8, v20, v8
	v_trunc_f32_e32 v8, v8
	s_delay_alu instid0(VALU_DEP_1) | instskip(SKIP_1) | instid1(VALU_DEP_2)
	v_fma_f32 v20, -v8, v6, v20
	v_cvt_u32_f32_e32 v8, v8
	v_cmp_ge_f32_e64 vcc_lo, |v20|, v6
	s_delay_alu instid0(VALU_DEP_1) | instskip(NEXT) | instid1(VALU_DEP_1)
	v_add_co_ci_u32_e64 v6, null, 0, v8, vcc_lo
	v_mul_lo_u32 v6, v6, v7
	s_delay_alu instid0(VALU_DEP_1) | instskip(NEXT) | instid1(VALU_DEP_1)
	v_sub_nc_u32_e32 v4, v4, v6
	v_and_b32_e32 v6, 0xff, v4
	v_mov_b32_e32 v4, v7
	s_delay_alu instid0(VALU_DEP_2) | instskip(SKIP_1) | instid1(SALU_CYCLE_1)
	v_cmp_eq_u16_e32 vcc_lo, 0, v6
	s_or_b32 s1, vcc_lo, s1
	s_and_not1_b32 exec_lo, exec_lo, s1
	s_cbranch_execnz .LBB0_45
; %bb.46:
	s_or_b32 exec_lo, exec_lo, s1
	v_mov_b32_e32 v4, v7
.LBB0_47:
	s_or_b32 exec_lo, exec_lo, s0
	v_lshrrev_b32_e32 v7, 16, v5
	v_lshrrev_b32_e32 v6, 16, v9
	s_mov_b32 s1, 0
	s_mov_b32 s0, exec_lo
	s_delay_alu instid0(VALU_DEP_2) | instskip(NEXT) | instid1(VALU_DEP_1)
	v_and_b32_e32 v8, 0xff, v7
	v_cmpx_ne_u16_e32 0, v8
	s_cbranch_execz .LBB0_50
.LBB0_48:                               ; =>This Inner Loop Header: Depth=1
	v_cvt_f32_ubyte0_e32 v21, v6
	v_mov_b32_e32 v8, v7
	s_delay_alu instid0(VALU_DEP_1) | instskip(NEXT) | instid1(VALU_DEP_1)
	v_cvt_f32_ubyte0_e32 v7, v8
	v_rcp_iflag_f32_e32 v20, v7
	v_nop
	s_delay_alu instid0(TRANS32_DEP_1) | instskip(NEXT) | instid1(VALU_DEP_1)
	v_mul_f32_e32 v20, v21, v20
	v_trunc_f32_e32 v20, v20
	s_delay_alu instid0(VALU_DEP_1) | instskip(SKIP_1) | instid1(VALU_DEP_2)
	v_fma_f32 v21, -v20, v7, v21
	v_cvt_u32_f32_e32 v20, v20
	v_cmp_ge_f32_e64 vcc_lo, |v21|, v7
	s_delay_alu instid0(VALU_DEP_1) | instskip(NEXT) | instid1(VALU_DEP_1)
	v_add_co_ci_u32_e64 v7, null, 0, v20, vcc_lo
	v_mul_lo_u32 v7, v7, v8
	s_delay_alu instid0(VALU_DEP_1) | instskip(NEXT) | instid1(VALU_DEP_1)
	v_sub_nc_u32_e32 v6, v6, v7
	v_and_b32_e32 v7, 0xff, v6
	v_mov_b32_e32 v6, v8
	s_delay_alu instid0(VALU_DEP_2) | instskip(SKIP_1) | instid1(SALU_CYCLE_1)
	v_cmp_eq_u16_e32 vcc_lo, 0, v7
	s_or_b32 s1, vcc_lo, s1
	s_and_not1_b32 exec_lo, exec_lo, s1
	s_cbranch_execnz .LBB0_48
; %bb.49:
	s_or_b32 exec_lo, exec_lo, s1
	v_mov_b32_e32 v6, v8
.LBB0_50:
	s_or_b32 exec_lo, exec_lo, s0
	v_lshrrev_b32_e32 v7, 24, v5
	v_lshrrev_b32_e32 v5, 24, v9
	s_mov_b32 s1, 0
	s_mov_b32 s0, exec_lo
	s_delay_alu instid0(VALU_DEP_2)
	v_cmpx_ne_u16_e32 0, v7
	s_cbranch_execz .LBB0_53
.LBB0_51:                               ; =>This Inner Loop Header: Depth=1
	v_cvt_f32_ubyte0_e32 v20, v5
	v_mov_b32_e32 v8, v7
	s_delay_alu instid0(VALU_DEP_1) | instskip(NEXT) | instid1(VALU_DEP_1)
	v_cvt_f32_ubyte0_e32 v7, v8
	v_rcp_iflag_f32_e32 v9, v7
	v_nop
	s_delay_alu instid0(TRANS32_DEP_1) | instskip(NEXT) | instid1(VALU_DEP_1)
	v_mul_f32_e32 v9, v20, v9
	v_trunc_f32_e32 v9, v9
	s_delay_alu instid0(VALU_DEP_1) | instskip(SKIP_1) | instid1(VALU_DEP_2)
	v_fma_f32 v20, -v9, v7, v20
	v_cvt_u32_f32_e32 v9, v9
	v_cmp_ge_f32_e64 vcc_lo, |v20|, v7
	s_delay_alu instid0(VALU_DEP_1) | instskip(NEXT) | instid1(VALU_DEP_1)
	v_add_co_ci_u32_e64 v7, null, 0, v9, vcc_lo
	v_mul_lo_u32 v7, v7, v8
	s_delay_alu instid0(VALU_DEP_1) | instskip(NEXT) | instid1(VALU_DEP_1)
	v_sub_nc_u32_e32 v5, v5, v7
	v_and_b32_e32 v7, 0xff, v5
	v_mov_b32_e32 v5, v8
	s_delay_alu instid0(VALU_DEP_2) | instskip(SKIP_1) | instid1(SALU_CYCLE_1)
	v_cmp_eq_u16_e32 vcc_lo, 0, v7
	s_or_b32 s1, vcc_lo, s1
	s_and_not1_b32 exec_lo, exec_lo, s1
	s_cbranch_execnz .LBB0_51
; %bb.52:
	s_or_b32 exec_lo, exec_lo, s1
	v_mov_b32_e32 v5, v8
.LBB0_53:
	s_or_b32 exec_lo, exec_lo, s0
	v_perm_b32 v3, v3, v4, 0xc0c0004
	s_delay_alu instid0(VALU_DEP_2)
	v_perm_b32 v4, v6, v5, 0xc0c0004
	v_perm_b32 v6, v17, v18, 0xc0c0004
	v_perm_b32 v2, v19, v2, 0xc0c0004
	v_perm_b32 v7, v11, v12, 0xc0c0004
	v_perm_b32 v8, v13, v16, 0xc0c0004
	v_perm_b32 v1, v1, v14, 0xc0c0004
	v_perm_b32 v9, v15, v10, 0xc0c0004
	v_lshl_or_b32 v5, v4, 16, v3
	v_lshl_or_b32 v4, v2, 16, v6
	;; [unrolled: 1-line block ×3, first 2 shown]
	s_add_nc_u64 s[4:5], s[16:17], s[14:15]
	v_lshl_or_b32 v2, v9, 16, v1
	s_mov_b32 s0, 0
	global_store_b128 v0, v[2:5], s[4:5] scale_offset
.LBB0_54:
	s_and_b32 vcc_lo, exec_lo, s0
	s_cbranch_vccz .LBB0_185
; %bb.55:
	v_cmp_gt_i32_e32 vcc_lo, s13, v0
	s_wait_xcnt 0x0
	v_dual_mov_b32 v2, 0 :: v_dual_bitop2_b32 v10, s14, v0 bitop3:0x54
	v_or_b32_e32 v38, 0x100, v0
	v_dual_mov_b32 v12, 0 :: v_dual_mov_b32 v11, 0
	v_dual_mov_b32 v14, 0 :: v_dual_mov_b32 v13, 0
	;; [unrolled: 1-line block ×16, first 2 shown]
	s_and_saveexec_b32 s1, vcc_lo
	s_cbranch_execz .LBB0_87
; %bb.56:
	s_clause 0x1
	global_load_u8 v41, v10, s[18:19]
	global_load_u8 v40, v10, s[2:3]
	v_cmp_gt_u32_e64 s0, s13, v38
	v_dual_mov_b32 v37, 0 :: v_dual_mov_b32 v39, 0
	v_dual_mov_b32 v5, 0 :: v_dual_mov_b32 v36, 0
	v_dual_mov_b32 v6, 0 :: v_dual_mov_b32 v35, 0
	v_dual_mov_b32 v33, 0 :: v_dual_mov_b32 v34, 0
	v_dual_mov_b32 v31, 0 :: v_dual_mov_b32 v32, 0
	v_dual_mov_b32 v29, 0 :: v_dual_mov_b32 v30, 0
	v_dual_mov_b32 v27, 0 :: v_dual_mov_b32 v28, 0
	v_dual_mov_b32 v25, 0 :: v_dual_mov_b32 v26, 0
	v_dual_mov_b32 v23, 0 :: v_dual_mov_b32 v24, 0
	v_dual_mov_b32 v21, 0 :: v_dual_mov_b32 v22, 0
	v_dual_mov_b32 v19, 0 :: v_dual_mov_b32 v20, 0
	v_dual_mov_b32 v17, 0 :: v_dual_mov_b32 v18, 0
	v_dual_mov_b32 v15, 0 :: v_dual_mov_b32 v16, 0
	v_dual_mov_b32 v13, 0 :: v_dual_mov_b32 v14, 0
	v_dual_mov_b32 v11, 0 :: v_dual_mov_b32 v12, 0
	s_wait_xcnt 0x0
	s_and_saveexec_b32 s4, s0
	s_cbranch_execz .LBB0_86
; %bb.57:
	v_dual_mov_b32 v5, 0 :: v_dual_add_nc_u32 v4, s14, v0
	v_or_b32_e32 v1, 0x200, v0
	v_dual_mov_b32 v36, 0 :: v_dual_mov_b32 v6, 0
	s_clause 0x1
	global_load_u8 v39, v4, s[18:19] offset:256
	global_load_u8 v37, v4, s[2:3] offset:256
	v_dual_mov_b32 v35, 0 :: v_dual_mov_b32 v33, 0
	v_cmp_gt_u32_e64 s0, s13, v1
	v_dual_mov_b32 v34, 0 :: v_dual_mov_b32 v31, 0
	v_dual_mov_b32 v32, 0 :: v_dual_mov_b32 v29, 0
	;; [unrolled: 1-line block ×11, first 2 shown]
	v_mov_b32_e32 v12, 0
	s_wait_xcnt 0x0
	s_and_saveexec_b32 s5, s0
	s_cbranch_execz .LBB0_85
; %bb.58:
	v_add_nc_u64_e32 v[6:7], s[18:19], v[4:5]
	v_add_nc_u64_e32 v[8:9], s[2:3], v[4:5]
	v_or_b32_e32 v3, 0x300, v0
	v_dual_mov_b32 v35, 0 :: v_dual_mov_b32 v33, 0
	v_dual_mov_b32 v34, 0 :: v_dual_mov_b32 v31, 0
	global_load_u8 v36, v[6:7], off offset:512
	global_load_u8 v1, v[8:9], off offset:512
	v_cmp_gt_u32_e64 s0, s13, v3
	v_dual_mov_b32 v32, 0 :: v_dual_mov_b32 v29, 0
	v_dual_mov_b32 v30, 0 :: v_dual_mov_b32 v27, 0
	;; [unrolled: 1-line block ×10, first 2 shown]
	v_mov_b32_e32 v12, 0
	s_wait_xcnt 0x0
	s_and_saveexec_b32 s2, s0
	s_cbranch_execz .LBB0_84
; %bb.59:
	global_load_u8 v35, v[6:7], off offset:768
	global_load_u8 v5, v[8:9], off offset:768
	v_or_b32_e32 v3, 0x400, v0
	v_dual_mov_b32 v33, 0 :: v_dual_mov_b32 v34, 0
	v_dual_mov_b32 v31, 0 :: v_dual_mov_b32 v32, 0
	s_delay_alu instid0(VALU_DEP_3)
	v_cmp_gt_u32_e64 s0, s13, v3
	v_dual_mov_b32 v29, 0 :: v_dual_mov_b32 v30, 0
	v_dual_mov_b32 v27, 0 :: v_dual_mov_b32 v28, 0
	;; [unrolled: 1-line block ×10, first 2 shown]
	s_wait_xcnt 0x0
	s_and_saveexec_b32 s3, s0
	s_cbranch_execz .LBB0_83
; %bb.60:
	global_load_u8 v34, v[6:7], off offset:1024
	global_load_u8 v33, v[8:9], off offset:1024
	v_or_b32_e32 v3, 0x500, v0
	v_dual_mov_b32 v31, 0 :: v_dual_mov_b32 v32, 0
	v_dual_mov_b32 v29, 0 :: v_dual_mov_b32 v30, 0
	s_delay_alu instid0(VALU_DEP_3)
	v_cmp_gt_u32_e64 s0, s13, v3
	v_dual_mov_b32 v27, 0 :: v_dual_mov_b32 v28, 0
	v_dual_mov_b32 v25, 0 :: v_dual_mov_b32 v26, 0
	;; [unrolled: 1-line block ×9, first 2 shown]
	s_wait_xcnt 0x0
	s_and_saveexec_b32 s6, s0
	s_cbranch_execz .LBB0_82
; %bb.61:
	global_load_u8 v32, v[6:7], off offset:1280
	global_load_u8 v31, v[8:9], off offset:1280
	v_or_b32_e32 v3, 0x600, v0
	v_dual_mov_b32 v29, 0 :: v_dual_mov_b32 v30, 0
	v_dual_mov_b32 v27, 0 :: v_dual_mov_b32 v28, 0
	s_delay_alu instid0(VALU_DEP_3)
	v_cmp_gt_u32_e64 s0, s13, v3
	v_dual_mov_b32 v25, 0 :: v_dual_mov_b32 v26, 0
	v_dual_mov_b32 v23, 0 :: v_dual_mov_b32 v24, 0
	;; [unrolled: 1-line block ×8, first 2 shown]
	s_wait_xcnt 0x0
	s_and_saveexec_b32 s7, s0
	s_cbranch_execz .LBB0_81
; %bb.62:
	global_load_u8 v30, v[6:7], off offset:1536
	global_load_u8 v29, v[8:9], off offset:1536
	v_or_b32_e32 v3, 0x700, v0
	v_dual_mov_b32 v27, 0 :: v_dual_mov_b32 v28, 0
	v_dual_mov_b32 v25, 0 :: v_dual_mov_b32 v26, 0
	;; [unrolled: 1-line block ×9, first 2 shown]
	s_mov_b32 s8, exec_lo
	s_wait_xcnt 0x0
	v_cmpx_gt_u32_e64 s13, v3
	s_cbranch_execz .LBB0_80
; %bb.63:
	global_load_u8 v28, v[6:7], off offset:1792
	global_load_u8 v27, v[8:9], off offset:1792
	v_or_b32_e32 v3, 0x800, v0
	v_dual_mov_b32 v25, 0 :: v_dual_mov_b32 v26, 0
	v_dual_mov_b32 v23, 0 :: v_dual_mov_b32 v24, 0
	;; [unrolled: 1-line block ×8, first 2 shown]
	s_mov_b32 s9, exec_lo
	s_wait_xcnt 0x0
	v_cmpx_gt_u32_e64 s13, v3
	s_cbranch_execz .LBB0_79
; %bb.64:
	global_load_u8 v26, v[6:7], off offset:2048
	global_load_u8 v25, v[8:9], off offset:2048
	v_or_b32_e32 v3, 0x900, v0
	v_dual_mov_b32 v23, 0 :: v_dual_mov_b32 v24, 0
	v_dual_mov_b32 v21, 0 :: v_dual_mov_b32 v22, 0
	;; [unrolled: 1-line block ×7, first 2 shown]
	s_mov_b32 s10, exec_lo
	s_wait_xcnt 0x0
	v_cmpx_gt_u32_e64 s13, v3
	s_cbranch_execz .LBB0_78
; %bb.65:
	global_load_u8 v24, v[6:7], off offset:2304
	global_load_u8 v23, v[8:9], off offset:2304
	v_or_b32_e32 v3, 0xa00, v0
	v_dual_mov_b32 v21, 0 :: v_dual_mov_b32 v22, 0
	v_dual_mov_b32 v19, 0 :: v_dual_mov_b32 v20, 0
	;; [unrolled: 1-line block ×6, first 2 shown]
	s_mov_b32 s11, exec_lo
	s_wait_xcnt 0x0
	v_cmpx_gt_u32_e64 s13, v3
	s_cbranch_execz .LBB0_77
; %bb.66:
	global_load_u8 v22, v[6:7], off offset:2560
	global_load_u8 v21, v[8:9], off offset:2560
	v_or_b32_e32 v3, 0xb00, v0
	v_dual_mov_b32 v19, 0 :: v_dual_mov_b32 v20, 0
	v_dual_mov_b32 v17, 0 :: v_dual_mov_b32 v18, 0
	v_dual_mov_b32 v15, 0 :: v_dual_mov_b32 v16, 0
	v_dual_mov_b32 v13, 0 :: v_dual_mov_b32 v14, 0
	v_dual_mov_b32 v11, 0 :: v_dual_mov_b32 v12, 0
	s_mov_b32 s12, exec_lo
	s_wait_xcnt 0x0
	v_cmpx_gt_u32_e64 s13, v3
	s_cbranch_execz .LBB0_76
; %bb.67:
	global_load_u8 v20, v[6:7], off offset:2816
	global_load_u8 v19, v[8:9], off offset:2816
	v_or_b32_e32 v3, 0xc00, v0
	v_dual_mov_b32 v17, 0 :: v_dual_mov_b32 v18, 0
	v_dual_mov_b32 v15, 0 :: v_dual_mov_b32 v16, 0
	;; [unrolled: 1-line block ×4, first 2 shown]
	s_mov_b32 s15, exec_lo
	s_wait_xcnt 0x0
	v_cmpx_gt_u32_e64 s13, v3
	s_cbranch_execz .LBB0_75
; %bb.68:
	global_load_u8 v18, v[6:7], off offset:3072
	global_load_u8 v17, v[8:9], off offset:3072
	v_or_b32_e32 v3, 0xd00, v0
	v_dual_mov_b32 v15, 0 :: v_dual_mov_b32 v16, 0
	v_dual_mov_b32 v13, 0 :: v_dual_mov_b32 v14, 0
	;; [unrolled: 1-line block ×3, first 2 shown]
	s_mov_b32 s18, exec_lo
	s_wait_xcnt 0x0
	v_cmpx_gt_u32_e64 s13, v3
	s_cbranch_execz .LBB0_74
; %bb.69:
	global_load_u8 v16, v[6:7], off offset:3328
	global_load_u8 v15, v[8:9], off offset:3328
	v_or_b32_e32 v3, 0xe00, v0
	v_dual_mov_b32 v13, 0 :: v_dual_mov_b32 v14, 0
	v_dual_mov_b32 v11, 0 :: v_dual_mov_b32 v12, 0
	s_mov_b32 s19, exec_lo
	s_wait_xcnt 0x0
	v_cmpx_gt_u32_e64 s13, v3
	s_cbranch_execz .LBB0_73
; %bb.70:
	global_load_u8 v14, v[6:7], off offset:3584
	global_load_u8 v13, v[8:9], off offset:3584
	v_or_b32_e32 v3, 0xf00, v0
	v_dual_mov_b32 v11, 0 :: v_dual_mov_b32 v12, 0
	s_mov_b32 s20, exec_lo
	s_wait_xcnt 0x0
	s_delay_alu instid0(VALU_DEP_2)
	v_cmpx_gt_u32_e64 s13, v3
	s_cbranch_execz .LBB0_72
; %bb.71:
	global_load_u8 v12, v[6:7], off offset:3840
	global_load_u8 v11, v[8:9], off offset:3840
.LBB0_72:
	s_wait_xcnt 0x0
	s_or_b32 exec_lo, exec_lo, s20
.LBB0_73:
	s_delay_alu instid0(SALU_CYCLE_1)
	s_or_b32 exec_lo, exec_lo, s19
.LBB0_74:
	s_delay_alu instid0(SALU_CYCLE_1)
	s_or_b32 exec_lo, exec_lo, s18
.LBB0_75:
	s_delay_alu instid0(SALU_CYCLE_1)
	s_or_b32 exec_lo, exec_lo, s15
.LBB0_76:
	s_delay_alu instid0(SALU_CYCLE_1)
	s_or_b32 exec_lo, exec_lo, s12
.LBB0_77:
	s_delay_alu instid0(SALU_CYCLE_1)
	s_or_b32 exec_lo, exec_lo, s11
.LBB0_78:
	s_delay_alu instid0(SALU_CYCLE_1)
	s_or_b32 exec_lo, exec_lo, s10
.LBB0_79:
	s_delay_alu instid0(SALU_CYCLE_1)
	s_or_b32 exec_lo, exec_lo, s9
.LBB0_80:
	s_delay_alu instid0(SALU_CYCLE_1)
	s_or_b32 exec_lo, exec_lo, s8
.LBB0_81:
	s_delay_alu instid0(SALU_CYCLE_1)
	s_or_b32 exec_lo, exec_lo, s7
.LBB0_82:
	s_delay_alu instid0(SALU_CYCLE_1)
	s_or_b32 exec_lo, exec_lo, s6
.LBB0_83:
	s_delay_alu instid0(SALU_CYCLE_1)
	s_or_b32 exec_lo, exec_lo, s3
.LBB0_84:
	s_delay_alu instid0(SALU_CYCLE_1)
	s_or_b32 exec_lo, exec_lo, s2
	s_wait_loadcnt 0x0
	v_dual_mov_b32 v6, v5 :: v_dual_mov_b32 v5, v1
.LBB0_85:
	s_or_b32 exec_lo, exec_lo, s5
.LBB0_86:
	s_delay_alu instid0(SALU_CYCLE_1)
	s_or_b32 exec_lo, exec_lo, s4
.LBB0_87:
	s_delay_alu instid0(SALU_CYCLE_1)
	s_or_b32 exec_lo, exec_lo, s1
	v_dual_mov_b32 v1, v2 :: v_dual_mov_b32 v4, v2
	v_mov_b32_e32 v3, v2
	s_and_saveexec_b32 s1, vcc_lo
	s_cbranch_execz .LBB0_93
; %bb.88:
	s_wait_loadcnt 0x1
	v_and_b32_e32 v1, 0xff, v41
	s_mov_b32 s2, exec_lo
	s_delay_alu instid0(VALU_DEP_1)
	v_cmpx_ne_u16_e32 0, v1
	s_cbranch_execz .LBB0_92
; %bb.89:
	s_mov_b32 s3, 0
.LBB0_90:                               ; =>This Inner Loop Header: Depth=1
	s_wait_loadcnt 0x0
	v_cvt_f32_ubyte0_e32 v4, v40
	v_mov_b32_e32 v1, v41
	s_delay_alu instid0(VALU_DEP_1) | instskip(NEXT) | instid1(VALU_DEP_1)
	v_cvt_f32_ubyte0_e32 v2, v1
	v_rcp_iflag_f32_e32 v3, v2
	v_nop
	s_delay_alu instid0(TRANS32_DEP_1) | instskip(NEXT) | instid1(VALU_DEP_1)
	v_mul_f32_e32 v3, v4, v3
	v_trunc_f32_e32 v3, v3
	s_delay_alu instid0(VALU_DEP_1) | instskip(SKIP_1) | instid1(VALU_DEP_2)
	v_fma_f32 v4, -v3, v2, v4
	v_cvt_u32_f32_e32 v3, v3
	v_cmp_ge_f32_e64 s0, |v4|, v2
	s_delay_alu instid0(VALU_DEP_1) | instskip(NEXT) | instid1(VALU_DEP_1)
	v_add_co_ci_u32_e64 v2, null, 0, v3, s0
	v_mul_lo_u32 v2, v2, v1
	s_delay_alu instid0(VALU_DEP_1) | instskip(NEXT) | instid1(VALU_DEP_1)
	v_dual_sub_nc_u32 v2, v40, v2 :: v_dual_mov_b32 v40, v1
	v_and_b32_e32 v41, 0xff, v2
	s_delay_alu instid0(VALU_DEP_1) | instskip(SKIP_1) | instid1(SALU_CYCLE_1)
	v_cmp_eq_u16_e64 s0, 0, v41
	s_or_b32 s3, s0, s3
	s_and_not1_b32 exec_lo, exec_lo, s3
	s_cbranch_execnz .LBB0_90
; %bb.91:
	s_or_b32 exec_lo, exec_lo, s3
	v_mov_b32_e32 v40, v1
.LBB0_92:
	s_or_b32 exec_lo, exec_lo, s2
	s_wait_loadcnt 0x0
	s_delay_alu instid0(VALU_DEP_1) | instskip(SKIP_1) | instid1(VALU_DEP_2)
	v_and_b32_e32 v2, 0xff, v40
	v_mov_b32_e32 v1, 0
	v_and_b32_e32 v2, 0xffff, v2
	s_delay_alu instid0(VALU_DEP_2)
	v_dual_mov_b32 v4, v1 :: v_dual_mov_b32 v3, v1
.LBB0_93:
	s_or_b32 exec_lo, exec_lo, s1
	v_cmp_gt_i32_e64 s0, s13, v38
	s_and_saveexec_b32 s2, s0
	s_cbranch_execz .LBB0_98
; %bb.94:
	s_wait_loadcnt 0x1
	v_and_b32_e32 v7, 0xff, v39
	s_mov_b32 s4, 0
	s_mov_b32 s3, exec_lo
	s_delay_alu instid0(VALU_DEP_1)
	v_cmpx_ne_u16_e32 0, v7
	s_cbranch_execz .LBB0_97
.LBB0_95:                               ; =>This Inner Loop Header: Depth=1
	s_wait_loadcnt 0x0
	v_cvt_f32_ubyte0_e32 v38, v37
	v_mov_b32_e32 v7, v39
	s_delay_alu instid0(VALU_DEP_1) | instskip(NEXT) | instid1(VALU_DEP_1)
	v_cvt_f32_ubyte0_e32 v8, v7
	v_rcp_iflag_f32_e32 v9, v8
	v_nop
	s_delay_alu instid0(TRANS32_DEP_1) | instskip(NEXT) | instid1(VALU_DEP_1)
	v_mul_f32_e32 v9, v38, v9
	v_trunc_f32_e32 v9, v9
	s_delay_alu instid0(VALU_DEP_1) | instskip(SKIP_1) | instid1(VALU_DEP_2)
	v_fma_f32 v38, -v9, v8, v38
	v_cvt_u32_f32_e32 v9, v9
	v_cmp_ge_f32_e64 s1, |v38|, v8
	s_delay_alu instid0(VALU_DEP_1) | instskip(NEXT) | instid1(VALU_DEP_1)
	v_add_co_ci_u32_e64 v8, null, 0, v9, s1
	v_mul_lo_u32 v8, v8, v7
	s_delay_alu instid0(VALU_DEP_1) | instskip(NEXT) | instid1(VALU_DEP_1)
	v_dual_mov_b32 v37, v7 :: v_dual_sub_nc_u32 v8, v37, v8
	v_and_b32_e32 v39, 0xff, v8
	s_delay_alu instid0(VALU_DEP_1) | instskip(SKIP_1) | instid1(SALU_CYCLE_1)
	v_cmp_eq_u16_e64 s1, 0, v39
	s_or_b32 s4, s1, s4
	s_and_not1_b32 exec_lo, exec_lo, s4
	s_cbranch_execnz .LBB0_95
; %bb.96:
	s_or_b32 exec_lo, exec_lo, s4
	v_mov_b32_e32 v37, v7
.LBB0_97:
	s_or_b32 exec_lo, exec_lo, s3
	s_wait_loadcnt 0x0
	s_delay_alu instid0(VALU_DEP_1)
	v_perm_b32 v2, v2, v37, 0x7060004
.LBB0_98:
	s_or_b32 exec_lo, exec_lo, s2
	v_or_b32_e32 v7, 0x200, v0
	s_delay_alu instid0(VALU_DEP_1)
	v_cmp_gt_i32_e64 s1, s13, v7
	s_and_saveexec_b32 s3, s1
	s_cbranch_execz .LBB0_103
; %bb.99:
	v_and_b32_e32 v7, 0xff, v36
	s_mov_b32 s5, 0
	s_mov_b32 s4, exec_lo
	s_delay_alu instid0(VALU_DEP_1)
	v_cmpx_ne_u16_e32 0, v7
	s_cbranch_execz .LBB0_102
.LBB0_100:                              ; =>This Inner Loop Header: Depth=1
	v_mov_b32_e32 v7, v36
	v_cvt_f32_ubyte0_e32 v36, v5
	s_delay_alu instid0(VALU_DEP_2) | instskip(NEXT) | instid1(VALU_DEP_1)
	v_cvt_f32_ubyte0_e32 v8, v7
	v_rcp_iflag_f32_e32 v9, v8
	v_nop
	s_delay_alu instid0(TRANS32_DEP_1) | instskip(NEXT) | instid1(VALU_DEP_1)
	v_mul_f32_e32 v9, v36, v9
	v_trunc_f32_e32 v9, v9
	s_delay_alu instid0(VALU_DEP_1) | instskip(SKIP_1) | instid1(VALU_DEP_2)
	v_fma_f32 v36, -v9, v8, v36
	v_cvt_u32_f32_e32 v9, v9
	v_cmp_ge_f32_e64 s2, |v36|, v8
	s_delay_alu instid0(VALU_DEP_1) | instskip(NEXT) | instid1(VALU_DEP_1)
	v_add_co_ci_u32_e64 v8, null, 0, v9, s2
	v_mul_lo_u32 v8, v8, v7
	s_delay_alu instid0(VALU_DEP_1) | instskip(NEXT) | instid1(VALU_DEP_1)
	v_sub_nc_u32_e32 v5, v5, v8
	v_and_b32_e32 v36, 0xff, v5
	v_mov_b32_e32 v5, v7
	s_delay_alu instid0(VALU_DEP_2) | instskip(SKIP_1) | instid1(SALU_CYCLE_1)
	v_cmp_eq_u16_e64 s2, 0, v36
	s_or_b32 s5, s2, s5
	s_and_not1_b32 exec_lo, exec_lo, s5
	s_cbranch_execnz .LBB0_100
; %bb.101:
	s_or_b32 exec_lo, exec_lo, s5
	v_mov_b32_e32 v5, v7
.LBB0_102:
	s_or_b32 exec_lo, exec_lo, s4
	s_delay_alu instid0(VALU_DEP_1)
	v_perm_b32 v2, v2, v5, 0x7000504
.LBB0_103:
	s_or_b32 exec_lo, exec_lo, s3
	v_or_b32_e32 v5, 0x300, v0
	s_delay_alu instid0(VALU_DEP_1)
	v_cmp_gt_i32_e64 s2, s13, v5
	s_and_saveexec_b32 s4, s2
	s_cbranch_execz .LBB0_108
; %bb.104:
	v_and_b32_e32 v5, 0xff, v35
	s_mov_b32 s6, 0
	s_mov_b32 s5, exec_lo
	s_delay_alu instid0(VALU_DEP_1)
	v_cmpx_ne_u16_e32 0, v5
	s_cbranch_execz .LBB0_107
.LBB0_105:                              ; =>This Inner Loop Header: Depth=1
	v_cvt_f32_ubyte0_e32 v9, v6
	v_mov_b32_e32 v5, v35
	s_delay_alu instid0(VALU_DEP_1) | instskip(NEXT) | instid1(VALU_DEP_1)
	v_cvt_f32_ubyte0_e32 v7, v5
	v_rcp_iflag_f32_e32 v8, v7
	v_nop
	s_delay_alu instid0(TRANS32_DEP_1) | instskip(NEXT) | instid1(VALU_DEP_1)
	v_mul_f32_e32 v8, v9, v8
	v_trunc_f32_e32 v8, v8
	s_delay_alu instid0(VALU_DEP_1) | instskip(SKIP_1) | instid1(VALU_DEP_2)
	v_fma_f32 v9, -v8, v7, v9
	v_cvt_u32_f32_e32 v8, v8
	v_cmp_ge_f32_e64 s3, |v9|, v7
	s_delay_alu instid0(VALU_DEP_1) | instskip(NEXT) | instid1(VALU_DEP_1)
	v_add_co_ci_u32_e64 v7, null, 0, v8, s3
	v_mul_lo_u32 v7, v7, v5
	s_delay_alu instid0(VALU_DEP_1) | instskip(NEXT) | instid1(VALU_DEP_1)
	v_sub_nc_u32_e32 v6, v6, v7
	v_and_b32_e32 v35, 0xff, v6
	v_mov_b32_e32 v6, v5
	s_delay_alu instid0(VALU_DEP_2) | instskip(SKIP_1) | instid1(SALU_CYCLE_1)
	v_cmp_eq_u16_e64 s3, 0, v35
	s_or_b32 s6, s3, s6
	s_and_not1_b32 exec_lo, exec_lo, s6
	s_cbranch_execnz .LBB0_105
; %bb.106:
	s_or_b32 exec_lo, exec_lo, s6
	v_mov_b32_e32 v6, v5
.LBB0_107:
	s_or_b32 exec_lo, exec_lo, s5
	s_delay_alu instid0(VALU_DEP_1)
	v_perm_b32 v2, v2, v6, 0x60504
.LBB0_108:
	s_or_b32 exec_lo, exec_lo, s4
	v_or_b32_e32 v5, 0x400, v0
	s_mov_b32 s4, exec_lo
	s_delay_alu instid0(VALU_DEP_1)
	v_cmpx_gt_i32_e64 s13, v5
	s_cbranch_execz .LBB0_113
; %bb.109:
	v_and_b32_e32 v6, 0xff, v34
	s_mov_b32 s6, 0
	s_mov_b32 s5, exec_lo
	s_delay_alu instid0(VALU_DEP_1)
	v_cmpx_ne_u16_e32 0, v6
	s_cbranch_execz .LBB0_112
.LBB0_110:                              ; =>This Inner Loop Header: Depth=1
	v_cvt_f32_ubyte0_e32 v9, v33
	v_mov_b32_e32 v6, v34
	s_delay_alu instid0(VALU_DEP_1) | instskip(NEXT) | instid1(VALU_DEP_1)
	v_cvt_f32_ubyte0_e32 v7, v6
	v_rcp_iflag_f32_e32 v8, v7
	v_nop
	s_delay_alu instid0(TRANS32_DEP_1) | instskip(NEXT) | instid1(VALU_DEP_1)
	v_mul_f32_e32 v8, v9, v8
	v_trunc_f32_e32 v8, v8
	s_delay_alu instid0(VALU_DEP_1) | instskip(SKIP_1) | instid1(VALU_DEP_2)
	v_fma_f32 v9, -v8, v7, v9
	v_cvt_u32_f32_e32 v8, v8
	v_cmp_ge_f32_e64 s3, |v9|, v7
	s_delay_alu instid0(VALU_DEP_1) | instskip(NEXT) | instid1(VALU_DEP_1)
	v_add_co_ci_u32_e64 v7, null, 0, v8, s3
	v_mul_lo_u32 v7, v7, v6
	s_delay_alu instid0(VALU_DEP_1) | instskip(NEXT) | instid1(VALU_DEP_1)
	v_dual_sub_nc_u32 v7, v33, v7 :: v_dual_mov_b32 v33, v6
	v_and_b32_e32 v34, 0xff, v7
	s_delay_alu instid0(VALU_DEP_1) | instskip(SKIP_1) | instid1(SALU_CYCLE_1)
	v_cmp_eq_u16_e64 s3, 0, v34
	s_or_b32 s6, s3, s6
	s_and_not1_b32 exec_lo, exec_lo, s6
	s_cbranch_execnz .LBB0_110
; %bb.111:
	s_or_b32 exec_lo, exec_lo, s6
	v_mov_b32_e32 v33, v6
.LBB0_112:
	s_or_b32 exec_lo, exec_lo, s5
	s_delay_alu instid0(VALU_DEP_1)
	v_perm_b32 v1, v33, v1, 0x3020104
.LBB0_113:
	s_or_b32 exec_lo, exec_lo, s4
	v_or_b32_e32 v6, 0x500, v0
	s_delay_alu instid0(VALU_DEP_1)
	v_cmp_gt_i32_e64 s3, s13, v6
	s_and_saveexec_b32 s5, s3
	s_cbranch_execz .LBB0_118
; %bb.114:
	v_and_b32_e32 v6, 0xff, v32
	s_mov_b32 s7, 0
	s_mov_b32 s6, exec_lo
	s_delay_alu instid0(VALU_DEP_1)
	v_cmpx_ne_u16_e32 0, v6
	s_cbranch_execz .LBB0_117
.LBB0_115:                              ; =>This Inner Loop Header: Depth=1
	v_cvt_f32_ubyte0_e32 v9, v31
	v_mov_b32_e32 v6, v32
	s_delay_alu instid0(VALU_DEP_1) | instskip(NEXT) | instid1(VALU_DEP_1)
	v_cvt_f32_ubyte0_e32 v7, v6
	v_rcp_iflag_f32_e32 v8, v7
	v_nop
	s_delay_alu instid0(TRANS32_DEP_1) | instskip(NEXT) | instid1(VALU_DEP_1)
	v_mul_f32_e32 v8, v9, v8
	v_trunc_f32_e32 v8, v8
	s_delay_alu instid0(VALU_DEP_1) | instskip(SKIP_1) | instid1(VALU_DEP_2)
	v_fma_f32 v9, -v8, v7, v9
	v_cvt_u32_f32_e32 v8, v8
	v_cmp_ge_f32_e64 s4, |v9|, v7
	s_delay_alu instid0(VALU_DEP_1) | instskip(NEXT) | instid1(VALU_DEP_1)
	v_add_co_ci_u32_e64 v7, null, 0, v8, s4
	v_mul_lo_u32 v7, v7, v6
	s_delay_alu instid0(VALU_DEP_1) | instskip(NEXT) | instid1(VALU_DEP_1)
	v_dual_sub_nc_u32 v7, v31, v7 :: v_dual_mov_b32 v31, v6
	v_and_b32_e32 v32, 0xff, v7
	s_delay_alu instid0(VALU_DEP_1) | instskip(SKIP_1) | instid1(SALU_CYCLE_1)
	v_cmp_eq_u16_e64 s4, 0, v32
	s_or_b32 s7, s4, s7
	s_and_not1_b32 exec_lo, exec_lo, s7
	s_cbranch_execnz .LBB0_115
; %bb.116:
	s_or_b32 exec_lo, exec_lo, s7
	v_mov_b32_e32 v31, v6
.LBB0_117:
	s_or_b32 exec_lo, exec_lo, s6
	s_delay_alu instid0(VALU_DEP_1)
	v_perm_b32 v1, v1, v31, 0x7060004
.LBB0_118:
	s_or_b32 exec_lo, exec_lo, s5
	v_or_b32_e32 v6, 0x600, v0
	s_delay_alu instid0(VALU_DEP_1)
	v_cmp_gt_i32_e64 s4, s13, v6
	s_and_saveexec_b32 s6, s4
	;; [unrolled: 46-line block ×3, first 2 shown]
	s_cbranch_execz .LBB0_128
; %bb.124:
	v_and_b32_e32 v6, 0xff, v28
	s_mov_b32 s9, 0
	s_mov_b32 s8, exec_lo
	s_delay_alu instid0(VALU_DEP_1)
	v_cmpx_ne_u16_e32 0, v6
	s_cbranch_execz .LBB0_127
.LBB0_125:                              ; =>This Inner Loop Header: Depth=1
	v_cvt_f32_ubyte0_e32 v9, v27
	v_mov_b32_e32 v6, v28
	s_delay_alu instid0(VALU_DEP_1) | instskip(NEXT) | instid1(VALU_DEP_1)
	v_cvt_f32_ubyte0_e32 v7, v6
	v_rcp_iflag_f32_e32 v8, v7
	v_nop
	s_delay_alu instid0(TRANS32_DEP_1) | instskip(NEXT) | instid1(VALU_DEP_1)
	v_mul_f32_e32 v8, v9, v8
	v_trunc_f32_e32 v8, v8
	s_delay_alu instid0(VALU_DEP_1) | instskip(SKIP_1) | instid1(VALU_DEP_2)
	v_fma_f32 v9, -v8, v7, v9
	v_cvt_u32_f32_e32 v8, v8
	v_cmp_ge_f32_e64 s6, |v9|, v7
	s_delay_alu instid0(VALU_DEP_1) | instskip(NEXT) | instid1(VALU_DEP_1)
	v_add_co_ci_u32_e64 v7, null, 0, v8, s6
	v_mul_lo_u32 v7, v7, v6
	s_delay_alu instid0(VALU_DEP_1) | instskip(NEXT) | instid1(VALU_DEP_1)
	v_dual_sub_nc_u32 v7, v27, v7 :: v_dual_mov_b32 v27, v6
	v_and_b32_e32 v28, 0xff, v7
	s_delay_alu instid0(VALU_DEP_1) | instskip(SKIP_1) | instid1(SALU_CYCLE_1)
	v_cmp_eq_u16_e64 s6, 0, v28
	s_or_b32 s9, s6, s9
	s_and_not1_b32 exec_lo, exec_lo, s9
	s_cbranch_execnz .LBB0_125
; %bb.126:
	s_or_b32 exec_lo, exec_lo, s9
	v_mov_b32_e32 v27, v6
.LBB0_127:
	s_or_b32 exec_lo, exec_lo, s8
	s_delay_alu instid0(VALU_DEP_1)
	v_perm_b32 v1, v1, v27, 0x60504
.LBB0_128:
	s_or_b32 exec_lo, exec_lo, s7
	v_or_b32_e32 v8, 0x800, v0
	s_mov_b32 s7, exec_lo
	s_delay_alu instid0(VALU_DEP_1)
	v_cmpx_gt_i32_e64 s13, v8
	s_cbranch_execz .LBB0_133
; %bb.129:
	v_and_b32_e32 v6, 0xff, v26
	s_mov_b32 s9, 0
	s_mov_b32 s8, exec_lo
	s_delay_alu instid0(VALU_DEP_1)
	v_cmpx_ne_u16_e32 0, v6
	s_cbranch_execz .LBB0_132
.LBB0_130:                              ; =>This Inner Loop Header: Depth=1
	v_mov_b32_e32 v6, v26
	v_cvt_f32_ubyte0_e32 v26, v25
	s_delay_alu instid0(VALU_DEP_2) | instskip(NEXT) | instid1(VALU_DEP_1)
	v_cvt_f32_ubyte0_e32 v7, v6
	v_rcp_iflag_f32_e32 v9, v7
	v_nop
	s_delay_alu instid0(TRANS32_DEP_1) | instskip(NEXT) | instid1(VALU_DEP_1)
	v_mul_f32_e32 v9, v26, v9
	v_trunc_f32_e32 v9, v9
	s_delay_alu instid0(VALU_DEP_1) | instskip(SKIP_1) | instid1(VALU_DEP_2)
	v_fma_f32 v26, -v9, v7, v26
	v_cvt_u32_f32_e32 v9, v9
	v_cmp_ge_f32_e64 s6, |v26|, v7
	s_delay_alu instid0(VALU_DEP_1) | instskip(NEXT) | instid1(VALU_DEP_1)
	v_add_co_ci_u32_e64 v7, null, 0, v9, s6
	v_mul_lo_u32 v7, v7, v6
	s_delay_alu instid0(VALU_DEP_1) | instskip(NEXT) | instid1(VALU_DEP_1)
	v_dual_sub_nc_u32 v7, v25, v7 :: v_dual_mov_b32 v25, v6
	v_and_b32_e32 v26, 0xff, v7
	s_delay_alu instid0(VALU_DEP_1) | instskip(SKIP_1) | instid1(SALU_CYCLE_1)
	v_cmp_eq_u16_e64 s6, 0, v26
	s_or_b32 s9, s6, s9
	s_and_not1_b32 exec_lo, exec_lo, s9
	s_cbranch_execnz .LBB0_130
; %bb.131:
	s_or_b32 exec_lo, exec_lo, s9
	v_mov_b32_e32 v25, v6
.LBB0_132:
	s_or_b32 exec_lo, exec_lo, s8
	s_delay_alu instid0(VALU_DEP_1)
	v_perm_b32 v4, v25, v4, 0x3020104
.LBB0_133:
	s_or_b32 exec_lo, exec_lo, s7
	v_or_b32_e32 v6, 0x900, v0
	s_delay_alu instid0(VALU_DEP_1)
	v_cmp_gt_i32_e64 s6, s13, v6
	s_and_saveexec_b32 s8, s6
	s_cbranch_execz .LBB0_138
; %bb.134:
	v_and_b32_e32 v6, 0xff, v24
	s_mov_b32 s10, 0
	s_mov_b32 s9, exec_lo
	s_delay_alu instid0(VALU_DEP_1)
	v_cmpx_ne_u16_e32 0, v6
	s_cbranch_execz .LBB0_137
.LBB0_135:                              ; =>This Inner Loop Header: Depth=1
	v_mov_b32_e32 v6, v24
	v_cvt_f32_ubyte0_e32 v24, v23
	s_delay_alu instid0(VALU_DEP_2) | instskip(NEXT) | instid1(VALU_DEP_1)
	v_cvt_f32_ubyte0_e32 v7, v6
	v_rcp_iflag_f32_e32 v9, v7
	v_nop
	s_delay_alu instid0(TRANS32_DEP_1) | instskip(NEXT) | instid1(VALU_DEP_1)
	v_mul_f32_e32 v9, v24, v9
	v_trunc_f32_e32 v9, v9
	s_delay_alu instid0(VALU_DEP_1) | instskip(SKIP_1) | instid1(VALU_DEP_2)
	v_fma_f32 v24, -v9, v7, v24
	v_cvt_u32_f32_e32 v9, v9
	v_cmp_ge_f32_e64 s7, |v24|, v7
	s_delay_alu instid0(VALU_DEP_1) | instskip(NEXT) | instid1(VALU_DEP_1)
	v_add_co_ci_u32_e64 v7, null, 0, v9, s7
	v_mul_lo_u32 v7, v7, v6
	s_delay_alu instid0(VALU_DEP_1) | instskip(NEXT) | instid1(VALU_DEP_1)
	v_dual_sub_nc_u32 v7, v23, v7 :: v_dual_mov_b32 v23, v6
	v_and_b32_e32 v24, 0xff, v7
	s_delay_alu instid0(VALU_DEP_1) | instskip(SKIP_1) | instid1(SALU_CYCLE_1)
	v_cmp_eq_u16_e64 s7, 0, v24
	s_or_b32 s10, s7, s10
	s_and_not1_b32 exec_lo, exec_lo, s10
	s_cbranch_execnz .LBB0_135
; %bb.136:
	s_or_b32 exec_lo, exec_lo, s10
	v_mov_b32_e32 v23, v6
.LBB0_137:
	s_or_b32 exec_lo, exec_lo, s9
	s_delay_alu instid0(VALU_DEP_1)
	v_perm_b32 v4, v4, v23, 0x7060004
.LBB0_138:
	s_or_b32 exec_lo, exec_lo, s8
	v_or_b32_e32 v6, 0xa00, v0
	s_delay_alu instid0(VALU_DEP_1)
	v_cmp_gt_i32_e64 s7, s13, v6
	s_and_saveexec_b32 s9, s7
	;; [unrolled: 46-line block ×3, first 2 shown]
	s_cbranch_execz .LBB0_148
; %bb.144:
	v_and_b32_e32 v6, 0xff, v20
	s_mov_b32 s12, 0
	s_mov_b32 s11, exec_lo
	s_delay_alu instid0(VALU_DEP_1)
	v_cmpx_ne_u16_e32 0, v6
	s_cbranch_execz .LBB0_147
.LBB0_145:                              ; =>This Inner Loop Header: Depth=1
	v_mov_b32_e32 v6, v20
	v_cvt_f32_ubyte0_e32 v20, v19
	s_delay_alu instid0(VALU_DEP_2) | instskip(NEXT) | instid1(VALU_DEP_1)
	v_cvt_f32_ubyte0_e32 v7, v6
	v_rcp_iflag_f32_e32 v9, v7
	v_nop
	s_delay_alu instid0(TRANS32_DEP_1) | instskip(NEXT) | instid1(VALU_DEP_1)
	v_mul_f32_e32 v9, v20, v9
	v_trunc_f32_e32 v9, v9
	s_delay_alu instid0(VALU_DEP_1) | instskip(SKIP_1) | instid1(VALU_DEP_2)
	v_fma_f32 v20, -v9, v7, v20
	v_cvt_u32_f32_e32 v9, v9
	v_cmp_ge_f32_e64 s9, |v20|, v7
	s_delay_alu instid0(VALU_DEP_1) | instskip(NEXT) | instid1(VALU_DEP_1)
	v_add_co_ci_u32_e64 v7, null, 0, v9, s9
	v_mul_lo_u32 v7, v7, v6
	s_delay_alu instid0(VALU_DEP_1) | instskip(NEXT) | instid1(VALU_DEP_1)
	v_dual_sub_nc_u32 v7, v19, v7 :: v_dual_mov_b32 v19, v6
	v_and_b32_e32 v20, 0xff, v7
	s_delay_alu instid0(VALU_DEP_1) | instskip(SKIP_1) | instid1(SALU_CYCLE_1)
	v_cmp_eq_u16_e64 s9, 0, v20
	s_or_b32 s12, s9, s12
	s_and_not1_b32 exec_lo, exec_lo, s12
	s_cbranch_execnz .LBB0_145
; %bb.146:
	s_or_b32 exec_lo, exec_lo, s12
	v_mov_b32_e32 v19, v6
.LBB0_147:
	s_or_b32 exec_lo, exec_lo, s11
	s_delay_alu instid0(VALU_DEP_1)
	v_perm_b32 v4, v4, v19, 0x60504
.LBB0_148:
	s_or_b32 exec_lo, exec_lo, s10
	v_or_b32_e32 v9, 0xc00, v0
	s_mov_b32 s10, exec_lo
	s_delay_alu instid0(VALU_DEP_1)
	v_cmpx_gt_i32_e64 s13, v9
	s_cbranch_execz .LBB0_153
; %bb.149:
	v_and_b32_e32 v6, 0xff, v18
	s_mov_b32 s12, 0
	s_mov_b32 s11, exec_lo
	s_delay_alu instid0(VALU_DEP_1)
	v_cmpx_ne_u16_e32 0, v6
	s_cbranch_execz .LBB0_152
.LBB0_150:                              ; =>This Inner Loop Header: Depth=1
	v_cvt_f32_ubyte0_e32 v19, v17
	v_mov_b32_e32 v6, v18
	s_delay_alu instid0(VALU_DEP_1) | instskip(NEXT) | instid1(VALU_DEP_1)
	v_cvt_f32_ubyte0_e32 v7, v6
	v_rcp_iflag_f32_e32 v18, v7
	v_nop
	s_delay_alu instid0(TRANS32_DEP_1) | instskip(NEXT) | instid1(VALU_DEP_1)
	v_mul_f32_e32 v18, v19, v18
	v_trunc_f32_e32 v18, v18
	s_delay_alu instid0(VALU_DEP_1) | instskip(SKIP_1) | instid1(VALU_DEP_2)
	v_fma_f32 v19, -v18, v7, v19
	v_cvt_u32_f32_e32 v18, v18
	v_cmp_ge_f32_e64 s9, |v19|, v7
	s_delay_alu instid0(VALU_DEP_1) | instskip(NEXT) | instid1(VALU_DEP_1)
	v_add_co_ci_u32_e64 v7, null, 0, v18, s9
	v_mul_lo_u32 v7, v7, v6
	s_delay_alu instid0(VALU_DEP_1) | instskip(NEXT) | instid1(VALU_DEP_1)
	v_dual_sub_nc_u32 v7, v17, v7 :: v_dual_mov_b32 v17, v6
	v_and_b32_e32 v18, 0xff, v7
	s_delay_alu instid0(VALU_DEP_1) | instskip(SKIP_1) | instid1(SALU_CYCLE_1)
	v_cmp_eq_u16_e64 s9, 0, v18
	s_or_b32 s12, s9, s12
	s_and_not1_b32 exec_lo, exec_lo, s12
	s_cbranch_execnz .LBB0_150
; %bb.151:
	s_or_b32 exec_lo, exec_lo, s12
	v_mov_b32_e32 v17, v6
.LBB0_152:
	s_or_b32 exec_lo, exec_lo, s11
	s_delay_alu instid0(VALU_DEP_1)
	v_perm_b32 v3, v17, v3, 0x3020104
.LBB0_153:
	s_or_b32 exec_lo, exec_lo, s10
	v_or_b32_e32 v6, 0xd00, v0
	s_delay_alu instid0(VALU_DEP_1)
	v_cmp_gt_i32_e64 s9, s13, v6
	s_and_saveexec_b32 s11, s9
	s_cbranch_execz .LBB0_158
; %bb.154:
	v_and_b32_e32 v6, 0xff, v16
	s_mov_b32 s15, 0
	s_mov_b32 s12, exec_lo
	s_delay_alu instid0(VALU_DEP_1)
	v_cmpx_ne_u16_e32 0, v6
	s_cbranch_execz .LBB0_157
.LBB0_155:                              ; =>This Inner Loop Header: Depth=1
	v_cvt_f32_ubyte0_e32 v17, v15
	v_mov_b32_e32 v6, v16
	s_delay_alu instid0(VALU_DEP_1) | instskip(NEXT) | instid1(VALU_DEP_1)
	v_cvt_f32_ubyte0_e32 v7, v6
	v_rcp_iflag_f32_e32 v16, v7
	v_nop
	s_delay_alu instid0(TRANS32_DEP_1) | instskip(NEXT) | instid1(VALU_DEP_1)
	v_mul_f32_e32 v16, v17, v16
	v_trunc_f32_e32 v16, v16
	s_delay_alu instid0(VALU_DEP_1) | instskip(SKIP_1) | instid1(VALU_DEP_2)
	v_fma_f32 v17, -v16, v7, v17
	v_cvt_u32_f32_e32 v16, v16
	v_cmp_ge_f32_e64 s10, |v17|, v7
	s_delay_alu instid0(VALU_DEP_1) | instskip(NEXT) | instid1(VALU_DEP_1)
	v_add_co_ci_u32_e64 v7, null, 0, v16, s10
	v_mul_lo_u32 v7, v7, v6
	s_delay_alu instid0(VALU_DEP_1) | instskip(NEXT) | instid1(VALU_DEP_1)
	v_dual_sub_nc_u32 v7, v15, v7 :: v_dual_mov_b32 v15, v6
	v_and_b32_e32 v16, 0xff, v7
	s_delay_alu instid0(VALU_DEP_1) | instskip(SKIP_1) | instid1(SALU_CYCLE_1)
	v_cmp_eq_u16_e64 s10, 0, v16
	s_or_b32 s15, s10, s15
	s_and_not1_b32 exec_lo, exec_lo, s15
	s_cbranch_execnz .LBB0_155
; %bb.156:
	s_or_b32 exec_lo, exec_lo, s15
	v_mov_b32_e32 v15, v6
.LBB0_157:
	s_or_b32 exec_lo, exec_lo, s12
	s_delay_alu instid0(VALU_DEP_1)
	v_perm_b32 v3, v3, v15, 0x7060004
.LBB0_158:
	s_or_b32 exec_lo, exec_lo, s11
	v_or_b32_e32 v6, 0xe00, v0
	s_delay_alu instid0(VALU_DEP_1)
	v_cmp_gt_i32_e64 s10, s13, v6
	s_and_saveexec_b32 s12, s10
	;; [unrolled: 46-line block ×3, first 2 shown]
	s_cbranch_execz .LBB0_168
; %bb.164:
	v_and_b32_e32 v6, 0xff, v12
	s_mov_b32 s19, 0
	s_mov_b32 s18, exec_lo
	s_delay_alu instid0(VALU_DEP_1)
	v_cmpx_ne_u16_e32 0, v6
	s_cbranch_execz .LBB0_167
.LBB0_165:                              ; =>This Inner Loop Header: Depth=1
	v_cvt_f32_ubyte0_e32 v13, v11
	v_mov_b32_e32 v6, v12
	s_delay_alu instid0(VALU_DEP_1) | instskip(NEXT) | instid1(VALU_DEP_1)
	v_cvt_f32_ubyte0_e32 v7, v6
	v_rcp_iflag_f32_e32 v12, v7
	v_nop
	s_delay_alu instid0(TRANS32_DEP_1) | instskip(NEXT) | instid1(VALU_DEP_1)
	v_mul_f32_e32 v12, v13, v12
	v_trunc_f32_e32 v12, v12
	s_delay_alu instid0(VALU_DEP_1) | instskip(SKIP_1) | instid1(VALU_DEP_2)
	v_fma_f32 v13, -v12, v7, v13
	v_cvt_u32_f32_e32 v12, v12
	v_cmp_ge_f32_e64 s12, |v13|, v7
	s_delay_alu instid0(VALU_DEP_1) | instskip(NEXT) | instid1(VALU_DEP_1)
	v_add_co_ci_u32_e64 v7, null, 0, v12, s12
	v_mul_lo_u32 v7, v7, v6
	s_delay_alu instid0(VALU_DEP_1) | instskip(NEXT) | instid1(VALU_DEP_1)
	v_dual_sub_nc_u32 v7, v11, v7 :: v_dual_mov_b32 v11, v6
	v_and_b32_e32 v12, 0xff, v7
	s_delay_alu instid0(VALU_DEP_1) | instskip(SKIP_1) | instid1(SALU_CYCLE_1)
	v_cmp_eq_u16_e64 s12, 0, v12
	s_or_b32 s19, s12, s19
	s_and_not1_b32 exec_lo, exec_lo, s19
	s_cbranch_execnz .LBB0_165
; %bb.166:
	s_or_b32 exec_lo, exec_lo, s19
	v_mov_b32_e32 v11, v6
.LBB0_167:
	s_or_b32 exec_lo, exec_lo, s18
	s_delay_alu instid0(VALU_DEP_1)
	v_perm_b32 v3, v3, v11, 0x60504
.LBB0_168:
	s_or_b32 exec_lo, exec_lo, s15
	s_and_saveexec_b32 s12, vcc_lo
	s_cbranch_execz .LBB0_185
; %bb.169:
	global_store_b8 v10, v2, s[16:17]
	s_wait_xcnt 0x0
	s_and_b32 exec_lo, exec_lo, s0
	s_cbranch_execz .LBB0_185
; %bb.170:
	v_dual_lshrrev_b32 v7, 8, v2 :: v_dual_add_nc_u32 v6, s14, v0
	global_store_b8 v6, v7, s[16:17] offset:256
	s_wait_xcnt 0x0
	s_and_b32 exec_lo, exec_lo, s1
	s_cbranch_execz .LBB0_185
; %bb.171:
	v_mov_b32_e32 v7, 0
	s_delay_alu instid0(VALU_DEP_1)
	v_add_nc_u64_e32 v[6:7], s[16:17], v[6:7]
	global_store_d16_hi_b8 v[6:7], v2, off offset:512
	s_wait_xcnt 0x0
	s_and_b32 exec_lo, exec_lo, s2
	s_cbranch_execz .LBB0_185
; %bb.172:
	v_lshrrev_b32_e32 v0, 24, v2
	v_cmp_gt_u32_e32 vcc_lo, s13, v5
	global_store_b8 v[6:7], v0, off offset:768
	s_wait_xcnt 0x0
	s_and_b32 exec_lo, exec_lo, vcc_lo
	s_cbranch_execz .LBB0_185
; %bb.173:
	global_store_b8 v[6:7], v1, off offset:1024
	s_wait_xcnt 0x0
	s_and_b32 exec_lo, exec_lo, s3
	s_cbranch_execz .LBB0_185
; %bb.174:
	v_lshrrev_b32_e32 v0, 8, v1
	global_store_b8 v[6:7], v0, off offset:1280
	s_wait_xcnt 0x0
	s_and_b32 exec_lo, exec_lo, s4
	s_cbranch_execz .LBB0_185
; %bb.175:
	global_store_d16_hi_b8 v[6:7], v1, off offset:1536
	s_wait_xcnt 0x0
	s_and_b32 exec_lo, exec_lo, s5
	s_cbranch_execz .LBB0_185
; %bb.176:
	v_lshrrev_b32_e32 v0, 24, v1
	v_cmp_gt_u32_e32 vcc_lo, s13, v8
	global_store_b8 v[6:7], v0, off offset:1792
	s_wait_xcnt 0x0
	s_and_b32 exec_lo, exec_lo, vcc_lo
	s_cbranch_execz .LBB0_185
; %bb.177:
	global_store_b8 v[6:7], v4, off offset:2048
	s_wait_xcnt 0x0
	s_and_b32 exec_lo, exec_lo, s6
	s_cbranch_execz .LBB0_185
; %bb.178:
	v_lshrrev_b32_e32 v0, 8, v4
	global_store_b8 v[6:7], v0, off offset:2304
	s_wait_xcnt 0x0
	s_and_b32 exec_lo, exec_lo, s7
	s_cbranch_execz .LBB0_185
; %bb.179:
	;; [unrolled: 23-line block ×3, first 2 shown]
	global_store_d16_hi_b8 v[6:7], v3, off offset:3584
	s_wait_xcnt 0x0
	s_and_b32 exec_lo, exec_lo, s11
	s_cbranch_execz .LBB0_185
; %bb.184:
	v_lshrrev_b32_e32 v0, 24, v3
	global_store_b8 v[6:7], v0, off offset:3840
.LBB0_185:
	s_endpgm
	.section	.rodata,"a",@progbits
	.p2align	6, 0x0
	.amdhsa_kernel _ZN2at6native29vectorized_elementwise_kernelILi16EZZZNS0_15gcd_kernel_cudaERNS_18TensorIteratorBaseEENKUlvE_clEvENKUlvE_clEvEUlhhE_St5arrayIPcLm3EEEEviT0_T1_
		.amdhsa_group_segment_fixed_size 0
		.amdhsa_private_segment_fixed_size 0
		.amdhsa_kernarg_size 32
		.amdhsa_user_sgpr_count 2
		.amdhsa_user_sgpr_dispatch_ptr 0
		.amdhsa_user_sgpr_queue_ptr 0
		.amdhsa_user_sgpr_kernarg_segment_ptr 1
		.amdhsa_user_sgpr_dispatch_id 0
		.amdhsa_user_sgpr_kernarg_preload_length 0
		.amdhsa_user_sgpr_kernarg_preload_offset 0
		.amdhsa_user_sgpr_private_segment_size 0
		.amdhsa_wavefront_size32 1
		.amdhsa_uses_dynamic_stack 0
		.amdhsa_enable_private_segment 0
		.amdhsa_system_sgpr_workgroup_id_x 1
		.amdhsa_system_sgpr_workgroup_id_y 0
		.amdhsa_system_sgpr_workgroup_id_z 0
		.amdhsa_system_sgpr_workgroup_info 0
		.amdhsa_system_vgpr_workitem_id 0
		.amdhsa_next_free_vgpr 42
		.amdhsa_next_free_sgpr 21
		.amdhsa_named_barrier_count 0
		.amdhsa_reserve_vcc 1
		.amdhsa_float_round_mode_32 0
		.amdhsa_float_round_mode_16_64 0
		.amdhsa_float_denorm_mode_32 3
		.amdhsa_float_denorm_mode_16_64 3
		.amdhsa_fp16_overflow 0
		.amdhsa_memory_ordered 1
		.amdhsa_forward_progress 1
		.amdhsa_inst_pref_size 71
		.amdhsa_round_robin_scheduling 0
		.amdhsa_exception_fp_ieee_invalid_op 0
		.amdhsa_exception_fp_denorm_src 0
		.amdhsa_exception_fp_ieee_div_zero 0
		.amdhsa_exception_fp_ieee_overflow 0
		.amdhsa_exception_fp_ieee_underflow 0
		.amdhsa_exception_fp_ieee_inexact 0
		.amdhsa_exception_int_div_zero 0
	.end_amdhsa_kernel
	.section	.text._ZN2at6native29vectorized_elementwise_kernelILi16EZZZNS0_15gcd_kernel_cudaERNS_18TensorIteratorBaseEENKUlvE_clEvENKUlvE_clEvEUlhhE_St5arrayIPcLm3EEEEviT0_T1_,"axG",@progbits,_ZN2at6native29vectorized_elementwise_kernelILi16EZZZNS0_15gcd_kernel_cudaERNS_18TensorIteratorBaseEENKUlvE_clEvENKUlvE_clEvEUlhhE_St5arrayIPcLm3EEEEviT0_T1_,comdat
.Lfunc_end0:
	.size	_ZN2at6native29vectorized_elementwise_kernelILi16EZZZNS0_15gcd_kernel_cudaERNS_18TensorIteratorBaseEENKUlvE_clEvENKUlvE_clEvEUlhhE_St5arrayIPcLm3EEEEviT0_T1_, .Lfunc_end0-_ZN2at6native29vectorized_elementwise_kernelILi16EZZZNS0_15gcd_kernel_cudaERNS_18TensorIteratorBaseEENKUlvE_clEvENKUlvE_clEvEUlhhE_St5arrayIPcLm3EEEEviT0_T1_
                                        ; -- End function
	.set _ZN2at6native29vectorized_elementwise_kernelILi16EZZZNS0_15gcd_kernel_cudaERNS_18TensorIteratorBaseEENKUlvE_clEvENKUlvE_clEvEUlhhE_St5arrayIPcLm3EEEEviT0_T1_.num_vgpr, 42
	.set _ZN2at6native29vectorized_elementwise_kernelILi16EZZZNS0_15gcd_kernel_cudaERNS_18TensorIteratorBaseEENKUlvE_clEvENKUlvE_clEvEUlhhE_St5arrayIPcLm3EEEEviT0_T1_.num_agpr, 0
	.set _ZN2at6native29vectorized_elementwise_kernelILi16EZZZNS0_15gcd_kernel_cudaERNS_18TensorIteratorBaseEENKUlvE_clEvENKUlvE_clEvEUlhhE_St5arrayIPcLm3EEEEviT0_T1_.numbered_sgpr, 21
	.set _ZN2at6native29vectorized_elementwise_kernelILi16EZZZNS0_15gcd_kernel_cudaERNS_18TensorIteratorBaseEENKUlvE_clEvENKUlvE_clEvEUlhhE_St5arrayIPcLm3EEEEviT0_T1_.num_named_barrier, 0
	.set _ZN2at6native29vectorized_elementwise_kernelILi16EZZZNS0_15gcd_kernel_cudaERNS_18TensorIteratorBaseEENKUlvE_clEvENKUlvE_clEvEUlhhE_St5arrayIPcLm3EEEEviT0_T1_.private_seg_size, 0
	.set _ZN2at6native29vectorized_elementwise_kernelILi16EZZZNS0_15gcd_kernel_cudaERNS_18TensorIteratorBaseEENKUlvE_clEvENKUlvE_clEvEUlhhE_St5arrayIPcLm3EEEEviT0_T1_.uses_vcc, 1
	.set _ZN2at6native29vectorized_elementwise_kernelILi16EZZZNS0_15gcd_kernel_cudaERNS_18TensorIteratorBaseEENKUlvE_clEvENKUlvE_clEvEUlhhE_St5arrayIPcLm3EEEEviT0_T1_.uses_flat_scratch, 0
	.set _ZN2at6native29vectorized_elementwise_kernelILi16EZZZNS0_15gcd_kernel_cudaERNS_18TensorIteratorBaseEENKUlvE_clEvENKUlvE_clEvEUlhhE_St5arrayIPcLm3EEEEviT0_T1_.has_dyn_sized_stack, 0
	.set _ZN2at6native29vectorized_elementwise_kernelILi16EZZZNS0_15gcd_kernel_cudaERNS_18TensorIteratorBaseEENKUlvE_clEvENKUlvE_clEvEUlhhE_St5arrayIPcLm3EEEEviT0_T1_.has_recursion, 0
	.set _ZN2at6native29vectorized_elementwise_kernelILi16EZZZNS0_15gcd_kernel_cudaERNS_18TensorIteratorBaseEENKUlvE_clEvENKUlvE_clEvEUlhhE_St5arrayIPcLm3EEEEviT0_T1_.has_indirect_call, 0
	.section	.AMDGPU.csdata,"",@progbits
; Kernel info:
; codeLenInByte = 9088
; TotalNumSgprs: 23
; NumVgprs: 42
; ScratchSize: 0
; MemoryBound: 0
; FloatMode: 240
; IeeeMode: 1
; LDSByteSize: 0 bytes/workgroup (compile time only)
; SGPRBlocks: 0
; VGPRBlocks: 2
; NumSGPRsForWavesPerEU: 23
; NumVGPRsForWavesPerEU: 42
; NamedBarCnt: 0
; Occupancy: 16
; WaveLimiterHint : 0
; COMPUTE_PGM_RSRC2:SCRATCH_EN: 0
; COMPUTE_PGM_RSRC2:USER_SGPR: 2
; COMPUTE_PGM_RSRC2:TRAP_HANDLER: 0
; COMPUTE_PGM_RSRC2:TGID_X_EN: 1
; COMPUTE_PGM_RSRC2:TGID_Y_EN: 0
; COMPUTE_PGM_RSRC2:TGID_Z_EN: 0
; COMPUTE_PGM_RSRC2:TIDIG_COMP_CNT: 0
	.section	.text._ZN2at6native29vectorized_elementwise_kernelILi8EZZZNS0_15gcd_kernel_cudaERNS_18TensorIteratorBaseEENKUlvE_clEvENKUlvE_clEvEUlhhE_St5arrayIPcLm3EEEEviT0_T1_,"axG",@progbits,_ZN2at6native29vectorized_elementwise_kernelILi8EZZZNS0_15gcd_kernel_cudaERNS_18TensorIteratorBaseEENKUlvE_clEvENKUlvE_clEvEUlhhE_St5arrayIPcLm3EEEEviT0_T1_,comdat
	.globl	_ZN2at6native29vectorized_elementwise_kernelILi8EZZZNS0_15gcd_kernel_cudaERNS_18TensorIteratorBaseEENKUlvE_clEvENKUlvE_clEvEUlhhE_St5arrayIPcLm3EEEEviT0_T1_ ; -- Begin function _ZN2at6native29vectorized_elementwise_kernelILi8EZZZNS0_15gcd_kernel_cudaERNS_18TensorIteratorBaseEENKUlvE_clEvENKUlvE_clEvEUlhhE_St5arrayIPcLm3EEEEviT0_T1_
	.p2align	8
	.type	_ZN2at6native29vectorized_elementwise_kernelILi8EZZZNS0_15gcd_kernel_cudaERNS_18TensorIteratorBaseEENKUlvE_clEvENKUlvE_clEvEUlhhE_St5arrayIPcLm3EEEEviT0_T1_,@function
_ZN2at6native29vectorized_elementwise_kernelILi8EZZZNS0_15gcd_kernel_cudaERNS_18TensorIteratorBaseEENKUlvE_clEvENKUlvE_clEvEUlhhE_St5arrayIPcLm3EEEEviT0_T1_: ; @_ZN2at6native29vectorized_elementwise_kernelILi8EZZZNS0_15gcd_kernel_cudaERNS_18TensorIteratorBaseEENKUlvE_clEvENKUlvE_clEvEUlhhE_St5arrayIPcLm3EEEEviT0_T1_
; %bb.0:
	s_clause 0x2
	s_load_b32 s4, s[0:1], 0x0
	s_load_b128 s[16:19], s[0:1], 0x8
	s_load_b64 s[2:3], s[0:1], 0x18
	s_wait_xcnt 0x0
	s_bfe_u32 s0, ttmp6, 0x4000c
	s_and_b32 s1, ttmp6, 15
	s_add_co_i32 s0, s0, 1
	s_getreg_b32 s5, hwreg(HW_REG_IB_STS2, 6, 4)
	s_mul_i32 s0, ttmp9, s0
	s_delay_alu instid0(SALU_CYCLE_1) | instskip(SKIP_2) | instid1(SALU_CYCLE_1)
	s_add_co_i32 s1, s1, s0
	s_cmp_eq_u32 s5, 0
	s_cselect_b32 s0, ttmp9, s1
	s_lshl_b32 s14, s0, 12
	s_mov_b32 s0, -1
	s_wait_kmcnt 0x0
	s_sub_co_i32 s13, s4, s14
	s_delay_alu instid0(SALU_CYCLE_1)
	s_cmp_gt_i32 s13, 0xfff
	s_cbranch_scc0 .LBB1_58
; %bb.1:
	s_ashr_i32 s15, s14, 31
	s_delay_alu instid0(SALU_CYCLE_1)
	s_add_nc_u64 s[0:1], s[18:19], s[14:15]
	s_add_nc_u64 s[4:5], s[2:3], s[14:15]
	s_clause 0x3
	global_load_b64 v[6:7], v0, s[0:1] scale_offset
	global_load_b64 v[8:9], v0, s[4:5] scale_offset
	global_load_b64 v[2:3], v0, s[0:1] offset:2048 scale_offset
	global_load_b64 v[4:5], v0, s[4:5] offset:2048 scale_offset
	s_wait_loadcnt 0x3
	v_and_b32_e32 v1, 0xff, v6
	s_delay_alu instid0(VALU_DEP_1)
	v_cmp_ne_u16_e32 vcc_lo, 0, v1
	s_wait_loadcnt 0x2
	v_mov_b32_e32 v1, v8
	s_wait_xcnt 0x0
	s_and_saveexec_b32 s0, vcc_lo
	s_cbranch_execz .LBB1_5
; %bb.2:
	v_dual_mov_b32 v11, v6 :: v_dual_mov_b32 v10, v8
	s_mov_b32 s1, 0
.LBB1_3:                                ; =>This Inner Loop Header: Depth=1
	s_delay_alu instid0(VALU_DEP_1) | instskip(NEXT) | instid1(VALU_DEP_2)
	v_cvt_f32_ubyte0_e32 v13, v10
	v_mov_b32_e32 v1, v11
	s_delay_alu instid0(VALU_DEP_1) | instskip(NEXT) | instid1(VALU_DEP_1)
	v_cvt_f32_ubyte0_e32 v11, v1
	v_rcp_iflag_f32_e32 v12, v11
	v_nop
	s_delay_alu instid0(TRANS32_DEP_1) | instskip(NEXT) | instid1(VALU_DEP_1)
	v_mul_f32_e32 v12, v13, v12
	v_trunc_f32_e32 v12, v12
	s_delay_alu instid0(VALU_DEP_1) | instskip(SKIP_1) | instid1(VALU_DEP_2)
	v_fma_f32 v13, -v12, v11, v13
	v_cvt_u32_f32_e32 v12, v12
	v_cmp_ge_f32_e64 vcc_lo, |v13|, v11
	s_delay_alu instid0(VALU_DEP_1) | instskip(NEXT) | instid1(VALU_DEP_1)
	v_add_co_ci_u32_e64 v11, null, 0, v12, vcc_lo
	v_mul_lo_u32 v11, v11, v1
	s_delay_alu instid0(VALU_DEP_1) | instskip(NEXT) | instid1(VALU_DEP_1)
	v_sub_nc_u32_e32 v10, v10, v11
	v_and_b32_e32 v11, 0xff, v10
	v_mov_b32_e32 v10, v1
	s_delay_alu instid0(VALU_DEP_2) | instskip(SKIP_1) | instid1(SALU_CYCLE_1)
	v_cmp_eq_u16_e32 vcc_lo, 0, v11
	s_or_b32 s1, vcc_lo, s1
	s_and_not1_b32 exec_lo, exec_lo, s1
	s_cbranch_execnz .LBB1_3
; %bb.4:
	s_or_b32 exec_lo, exec_lo, s1
.LBB1_5:
	s_delay_alu instid0(SALU_CYCLE_1) | instskip(SKIP_3) | instid1(VALU_DEP_1)
	s_or_b32 exec_lo, exec_lo, s0
	v_dual_lshrrev_b32 v11, 8, v6 :: v_dual_lshrrev_b32 v10, 8, v8
	s_mov_b32 s1, 0
	s_mov_b32 s0, exec_lo
	v_and_b32_e32 v12, 0xff, v11
	s_delay_alu instid0(VALU_DEP_1)
	v_cmpx_ne_u16_e32 0, v12
	s_cbranch_execz .LBB1_8
.LBB1_6:                                ; =>This Inner Loop Header: Depth=1
	v_cvt_f32_ubyte0_e32 v14, v10
	v_mov_b32_e32 v12, v11
	s_delay_alu instid0(VALU_DEP_1) | instskip(NEXT) | instid1(VALU_DEP_1)
	v_cvt_f32_ubyte0_e32 v11, v12
	v_rcp_iflag_f32_e32 v13, v11
	v_nop
	s_delay_alu instid0(TRANS32_DEP_1) | instskip(NEXT) | instid1(VALU_DEP_1)
	v_mul_f32_e32 v13, v14, v13
	v_trunc_f32_e32 v13, v13
	s_delay_alu instid0(VALU_DEP_1) | instskip(SKIP_1) | instid1(VALU_DEP_2)
	v_fma_f32 v14, -v13, v11, v14
	v_cvt_u32_f32_e32 v13, v13
	v_cmp_ge_f32_e64 vcc_lo, |v14|, v11
	s_delay_alu instid0(VALU_DEP_1) | instskip(NEXT) | instid1(VALU_DEP_1)
	v_add_co_ci_u32_e64 v11, null, 0, v13, vcc_lo
	v_mul_lo_u32 v11, v11, v12
	s_delay_alu instid0(VALU_DEP_1) | instskip(NEXT) | instid1(VALU_DEP_1)
	v_sub_nc_u32_e32 v10, v10, v11
	v_and_b32_e32 v11, 0xff, v10
	v_mov_b32_e32 v10, v12
	s_delay_alu instid0(VALU_DEP_2) | instskip(SKIP_1) | instid1(SALU_CYCLE_1)
	v_cmp_eq_u16_e32 vcc_lo, 0, v11
	s_or_b32 s1, vcc_lo, s1
	s_and_not1_b32 exec_lo, exec_lo, s1
	s_cbranch_execnz .LBB1_6
; %bb.7:
	s_or_b32 exec_lo, exec_lo, s1
	v_mov_b32_e32 v10, v12
.LBB1_8:
	s_or_b32 exec_lo, exec_lo, s0
	v_dual_lshrrev_b32 v12, 16, v6 :: v_dual_lshrrev_b32 v11, 16, v8
	s_mov_b32 s1, 0
	s_mov_b32 s0, exec_lo
	s_delay_alu instid0(VALU_DEP_1) | instskip(NEXT) | instid1(VALU_DEP_1)
	v_and_b32_e32 v13, 0xff, v12
	v_cmpx_ne_u16_e32 0, v13
	s_cbranch_execz .LBB1_11
.LBB1_9:                                ; =>This Inner Loop Header: Depth=1
	v_cvt_f32_ubyte0_e32 v15, v11
	v_mov_b32_e32 v13, v12
	s_delay_alu instid0(VALU_DEP_1) | instskip(NEXT) | instid1(VALU_DEP_1)
	v_cvt_f32_ubyte0_e32 v12, v13
	v_rcp_iflag_f32_e32 v14, v12
	v_nop
	s_delay_alu instid0(TRANS32_DEP_1) | instskip(NEXT) | instid1(VALU_DEP_1)
	v_mul_f32_e32 v14, v15, v14
	v_trunc_f32_e32 v14, v14
	s_delay_alu instid0(VALU_DEP_1) | instskip(SKIP_1) | instid1(VALU_DEP_2)
	v_fma_f32 v15, -v14, v12, v15
	v_cvt_u32_f32_e32 v14, v14
	v_cmp_ge_f32_e64 vcc_lo, |v15|, v12
	s_delay_alu instid0(VALU_DEP_1) | instskip(NEXT) | instid1(VALU_DEP_1)
	v_add_co_ci_u32_e64 v12, null, 0, v14, vcc_lo
	v_mul_lo_u32 v12, v12, v13
	s_delay_alu instid0(VALU_DEP_1) | instskip(NEXT) | instid1(VALU_DEP_1)
	v_sub_nc_u32_e32 v11, v11, v12
	v_and_b32_e32 v12, 0xff, v11
	v_mov_b32_e32 v11, v13
	s_delay_alu instid0(VALU_DEP_2) | instskip(SKIP_1) | instid1(SALU_CYCLE_1)
	v_cmp_eq_u16_e32 vcc_lo, 0, v12
	s_or_b32 s1, vcc_lo, s1
	s_and_not1_b32 exec_lo, exec_lo, s1
	s_cbranch_execnz .LBB1_9
; %bb.10:
	s_or_b32 exec_lo, exec_lo, s1
	v_mov_b32_e32 v11, v13
.LBB1_11:
	s_or_b32 exec_lo, exec_lo, s0
	v_lshrrev_b32_e32 v8, 24, v8
	s_mov_b32 s0, exec_lo
	v_cmpx_lt_u32_e32 0xffffff, v6
	s_cbranch_execz .LBB1_15
; %bb.12:
	v_lshrrev_b32_e32 v12, 24, v6
	s_mov_b32 s1, 0
.LBB1_13:                               ; =>This Inner Loop Header: Depth=1
	v_cvt_f32_ubyte0_e32 v14, v8
	s_delay_alu instid0(VALU_DEP_2) | instskip(NEXT) | instid1(VALU_DEP_1)
	v_mov_b32_e32 v6, v12
	v_cvt_f32_ubyte0_e32 v12, v6
	s_delay_alu instid0(VALU_DEP_1) | instskip(SKIP_1) | instid1(TRANS32_DEP_1)
	v_rcp_iflag_f32_e32 v13, v12
	v_nop
	v_mul_f32_e32 v13, v14, v13
	s_delay_alu instid0(VALU_DEP_1) | instskip(NEXT) | instid1(VALU_DEP_1)
	v_trunc_f32_e32 v13, v13
	v_fma_f32 v14, -v13, v12, v14
	v_cvt_u32_f32_e32 v13, v13
	s_delay_alu instid0(VALU_DEP_2) | instskip(NEXT) | instid1(VALU_DEP_1)
	v_cmp_ge_f32_e64 vcc_lo, |v14|, v12
	v_add_co_ci_u32_e64 v12, null, 0, v13, vcc_lo
	s_delay_alu instid0(VALU_DEP_1) | instskip(NEXT) | instid1(VALU_DEP_1)
	v_mul_lo_u32 v12, v12, v6
	v_sub_nc_u32_e32 v8, v8, v12
	s_delay_alu instid0(VALU_DEP_1) | instskip(SKIP_1) | instid1(VALU_DEP_2)
	v_and_b32_e32 v12, 0xff, v8
	v_mov_b32_e32 v8, v6
	v_cmp_eq_u16_e32 vcc_lo, 0, v12
	s_or_b32 s1, vcc_lo, s1
	s_delay_alu instid0(SALU_CYCLE_1)
	s_and_not1_b32 exec_lo, exec_lo, s1
	s_cbranch_execnz .LBB1_13
; %bb.14:
	s_or_b32 exec_lo, exec_lo, s1
	v_mov_b32_e32 v8, v6
.LBB1_15:
	s_or_b32 exec_lo, exec_lo, s0
	v_and_b32_e32 v6, 0xff, v7
	s_mov_b32 s1, 0
	s_delay_alu instid0(VALU_DEP_1)
	v_cmp_ne_u16_e32 vcc_lo, 0, v6
	v_mov_b32_e32 v6, v9
	s_and_saveexec_b32 s0, vcc_lo
	s_cbranch_execz .LBB1_19
; %bb.16:
	v_dual_mov_b32 v13, v7 :: v_dual_mov_b32 v12, v9
.LBB1_17:                               ; =>This Inner Loop Header: Depth=1
	s_delay_alu instid0(VALU_DEP_1) | instskip(NEXT) | instid1(VALU_DEP_2)
	v_cvt_f32_ubyte0_e32 v15, v12
	v_mov_b32_e32 v6, v13
	s_delay_alu instid0(VALU_DEP_1) | instskip(NEXT) | instid1(VALU_DEP_1)
	v_cvt_f32_ubyte0_e32 v13, v6
	v_rcp_iflag_f32_e32 v14, v13
	v_nop
	s_delay_alu instid0(TRANS32_DEP_1) | instskip(NEXT) | instid1(VALU_DEP_1)
	v_mul_f32_e32 v14, v15, v14
	v_trunc_f32_e32 v14, v14
	s_delay_alu instid0(VALU_DEP_1) | instskip(SKIP_1) | instid1(VALU_DEP_2)
	v_fma_f32 v15, -v14, v13, v15
	v_cvt_u32_f32_e32 v14, v14
	v_cmp_ge_f32_e64 vcc_lo, |v15|, v13
	s_delay_alu instid0(VALU_DEP_1) | instskip(NEXT) | instid1(VALU_DEP_1)
	v_add_co_ci_u32_e64 v13, null, 0, v14, vcc_lo
	v_mul_lo_u32 v13, v13, v6
	s_delay_alu instid0(VALU_DEP_1) | instskip(NEXT) | instid1(VALU_DEP_1)
	v_sub_nc_u32_e32 v12, v12, v13
	v_and_b32_e32 v13, 0xff, v12
	v_mov_b32_e32 v12, v6
	s_delay_alu instid0(VALU_DEP_2) | instskip(SKIP_1) | instid1(SALU_CYCLE_1)
	v_cmp_eq_u16_e32 vcc_lo, 0, v13
	s_or_b32 s1, vcc_lo, s1
	s_and_not1_b32 exec_lo, exec_lo, s1
	s_cbranch_execnz .LBB1_17
; %bb.18:
	s_or_b32 exec_lo, exec_lo, s1
.LBB1_19:
	s_delay_alu instid0(SALU_CYCLE_1) | instskip(SKIP_3) | instid1(VALU_DEP_1)
	s_or_b32 exec_lo, exec_lo, s0
	v_dual_lshrrev_b32 v13, 8, v7 :: v_dual_lshrrev_b32 v12, 8, v9
	s_mov_b32 s1, 0
	s_mov_b32 s0, exec_lo
	v_and_b32_e32 v14, 0xff, v13
	s_delay_alu instid0(VALU_DEP_1)
	v_cmpx_ne_u16_e32 0, v14
	s_cbranch_execz .LBB1_22
.LBB1_20:                               ; =>This Inner Loop Header: Depth=1
	v_cvt_f32_ubyte0_e32 v16, v12
	v_mov_b32_e32 v14, v13
	s_delay_alu instid0(VALU_DEP_1) | instskip(NEXT) | instid1(VALU_DEP_1)
	v_cvt_f32_ubyte0_e32 v13, v14
	v_rcp_iflag_f32_e32 v15, v13
	v_nop
	s_delay_alu instid0(TRANS32_DEP_1) | instskip(NEXT) | instid1(VALU_DEP_1)
	v_mul_f32_e32 v15, v16, v15
	v_trunc_f32_e32 v15, v15
	s_delay_alu instid0(VALU_DEP_1) | instskip(SKIP_1) | instid1(VALU_DEP_2)
	v_fma_f32 v16, -v15, v13, v16
	v_cvt_u32_f32_e32 v15, v15
	v_cmp_ge_f32_e64 vcc_lo, |v16|, v13
	s_delay_alu instid0(VALU_DEP_1) | instskip(NEXT) | instid1(VALU_DEP_1)
	v_add_co_ci_u32_e64 v13, null, 0, v15, vcc_lo
	v_mul_lo_u32 v13, v13, v14
	s_delay_alu instid0(VALU_DEP_1) | instskip(NEXT) | instid1(VALU_DEP_1)
	v_sub_nc_u32_e32 v12, v12, v13
	v_and_b32_e32 v13, 0xff, v12
	v_mov_b32_e32 v12, v14
	s_delay_alu instid0(VALU_DEP_2) | instskip(SKIP_1) | instid1(SALU_CYCLE_1)
	v_cmp_eq_u16_e32 vcc_lo, 0, v13
	s_or_b32 s1, vcc_lo, s1
	s_and_not1_b32 exec_lo, exec_lo, s1
	s_cbranch_execnz .LBB1_20
; %bb.21:
	s_or_b32 exec_lo, exec_lo, s1
	v_mov_b32_e32 v12, v14
.LBB1_22:
	s_or_b32 exec_lo, exec_lo, s0
	v_dual_lshrrev_b32 v14, 16, v7 :: v_dual_lshrrev_b32 v13, 16, v9
	s_mov_b32 s1, 0
	s_mov_b32 s0, exec_lo
	s_delay_alu instid0(VALU_DEP_1) | instskip(NEXT) | instid1(VALU_DEP_1)
	v_and_b32_e32 v15, 0xff, v14
	v_cmpx_ne_u16_e32 0, v15
	s_cbranch_execz .LBB1_25
.LBB1_23:                               ; =>This Inner Loop Header: Depth=1
	v_cvt_f32_ubyte0_e32 v17, v13
	v_mov_b32_e32 v15, v14
	s_delay_alu instid0(VALU_DEP_1) | instskip(NEXT) | instid1(VALU_DEP_1)
	v_cvt_f32_ubyte0_e32 v14, v15
	v_rcp_iflag_f32_e32 v16, v14
	v_nop
	s_delay_alu instid0(TRANS32_DEP_1) | instskip(NEXT) | instid1(VALU_DEP_1)
	v_mul_f32_e32 v16, v17, v16
	v_trunc_f32_e32 v16, v16
	s_delay_alu instid0(VALU_DEP_1) | instskip(SKIP_1) | instid1(VALU_DEP_2)
	v_fma_f32 v17, -v16, v14, v17
	v_cvt_u32_f32_e32 v16, v16
	v_cmp_ge_f32_e64 vcc_lo, |v17|, v14
	s_delay_alu instid0(VALU_DEP_1) | instskip(NEXT) | instid1(VALU_DEP_1)
	v_add_co_ci_u32_e64 v14, null, 0, v16, vcc_lo
	v_mul_lo_u32 v14, v14, v15
	s_delay_alu instid0(VALU_DEP_1) | instskip(NEXT) | instid1(VALU_DEP_1)
	v_sub_nc_u32_e32 v13, v13, v14
	v_and_b32_e32 v14, 0xff, v13
	v_mov_b32_e32 v13, v15
	s_delay_alu instid0(VALU_DEP_2) | instskip(SKIP_1) | instid1(SALU_CYCLE_1)
	v_cmp_eq_u16_e32 vcc_lo, 0, v14
	s_or_b32 s1, vcc_lo, s1
	s_and_not1_b32 exec_lo, exec_lo, s1
	s_cbranch_execnz .LBB1_23
; %bb.24:
	s_or_b32 exec_lo, exec_lo, s1
	v_mov_b32_e32 v13, v15
.LBB1_25:
	s_or_b32 exec_lo, exec_lo, s0
	v_lshrrev_b32_e32 v9, 24, v9
	s_mov_b32 s0, exec_lo
	v_cmpx_lt_u32_e32 0xffffff, v7
	s_cbranch_execz .LBB1_29
; %bb.26:
	v_lshrrev_b32_e32 v14, 24, v7
	s_mov_b32 s1, 0
.LBB1_27:                               ; =>This Inner Loop Header: Depth=1
	v_cvt_f32_ubyte0_e32 v16, v9
	s_delay_alu instid0(VALU_DEP_2) | instskip(NEXT) | instid1(VALU_DEP_1)
	v_mov_b32_e32 v7, v14
	v_cvt_f32_ubyte0_e32 v14, v7
	s_delay_alu instid0(VALU_DEP_1) | instskip(SKIP_1) | instid1(TRANS32_DEP_1)
	v_rcp_iflag_f32_e32 v15, v14
	v_nop
	v_mul_f32_e32 v15, v16, v15
	s_delay_alu instid0(VALU_DEP_1) | instskip(NEXT) | instid1(VALU_DEP_1)
	v_trunc_f32_e32 v15, v15
	v_fma_f32 v16, -v15, v14, v16
	v_cvt_u32_f32_e32 v15, v15
	s_delay_alu instid0(VALU_DEP_2) | instskip(NEXT) | instid1(VALU_DEP_1)
	v_cmp_ge_f32_e64 vcc_lo, |v16|, v14
	v_add_co_ci_u32_e64 v14, null, 0, v15, vcc_lo
	s_delay_alu instid0(VALU_DEP_1) | instskip(NEXT) | instid1(VALU_DEP_1)
	v_mul_lo_u32 v14, v14, v7
	v_sub_nc_u32_e32 v9, v9, v14
	s_delay_alu instid0(VALU_DEP_1) | instskip(SKIP_1) | instid1(VALU_DEP_2)
	v_and_b32_e32 v14, 0xff, v9
	v_mov_b32_e32 v9, v7
	v_cmp_eq_u16_e32 vcc_lo, 0, v14
	s_or_b32 s1, vcc_lo, s1
	s_delay_alu instid0(SALU_CYCLE_1)
	s_and_not1_b32 exec_lo, exec_lo, s1
	s_cbranch_execnz .LBB1_27
; %bb.28:
	s_or_b32 exec_lo, exec_lo, s1
	v_mov_b32_e32 v9, v7
.LBB1_29:
	s_or_b32 exec_lo, exec_lo, s0
	s_wait_loadcnt 0x1
	v_and_b32_e32 v7, 0xff, v2
	s_mov_b32 s1, 0
	s_delay_alu instid0(VALU_DEP_1)
	v_cmp_ne_u16_e32 vcc_lo, 0, v7
	s_wait_loadcnt 0x0
	v_mov_b32_e32 v7, v4
	s_and_saveexec_b32 s0, vcc_lo
	s_cbranch_execz .LBB1_33
; %bb.30:
	v_dual_mov_b32 v15, v2 :: v_dual_mov_b32 v14, v4
.LBB1_31:                               ; =>This Inner Loop Header: Depth=1
	s_delay_alu instid0(VALU_DEP_1) | instskip(NEXT) | instid1(VALU_DEP_2)
	v_cvt_f32_ubyte0_e32 v17, v14
	v_mov_b32_e32 v7, v15
	s_delay_alu instid0(VALU_DEP_1) | instskip(NEXT) | instid1(VALU_DEP_1)
	v_cvt_f32_ubyte0_e32 v15, v7
	v_rcp_iflag_f32_e32 v16, v15
	v_nop
	s_delay_alu instid0(TRANS32_DEP_1) | instskip(NEXT) | instid1(VALU_DEP_1)
	v_mul_f32_e32 v16, v17, v16
	v_trunc_f32_e32 v16, v16
	s_delay_alu instid0(VALU_DEP_1) | instskip(SKIP_1) | instid1(VALU_DEP_2)
	v_fma_f32 v17, -v16, v15, v17
	v_cvt_u32_f32_e32 v16, v16
	v_cmp_ge_f32_e64 vcc_lo, |v17|, v15
	s_delay_alu instid0(VALU_DEP_1) | instskip(NEXT) | instid1(VALU_DEP_1)
	v_add_co_ci_u32_e64 v15, null, 0, v16, vcc_lo
	v_mul_lo_u32 v15, v15, v7
	s_delay_alu instid0(VALU_DEP_1) | instskip(NEXT) | instid1(VALU_DEP_1)
	v_sub_nc_u32_e32 v14, v14, v15
	v_and_b32_e32 v15, 0xff, v14
	v_mov_b32_e32 v14, v7
	s_delay_alu instid0(VALU_DEP_2) | instskip(SKIP_1) | instid1(SALU_CYCLE_1)
	v_cmp_eq_u16_e32 vcc_lo, 0, v15
	s_or_b32 s1, vcc_lo, s1
	s_and_not1_b32 exec_lo, exec_lo, s1
	s_cbranch_execnz .LBB1_31
; %bb.32:
	s_or_b32 exec_lo, exec_lo, s1
.LBB1_33:
	s_delay_alu instid0(SALU_CYCLE_1) | instskip(SKIP_3) | instid1(VALU_DEP_1)
	s_or_b32 exec_lo, exec_lo, s0
	v_dual_lshrrev_b32 v15, 8, v2 :: v_dual_lshrrev_b32 v14, 8, v4
	s_mov_b32 s1, 0
	s_mov_b32 s0, exec_lo
	v_and_b32_e32 v16, 0xff, v15
	s_delay_alu instid0(VALU_DEP_1)
	v_cmpx_ne_u16_e32 0, v16
	s_cbranch_execz .LBB1_36
.LBB1_34:                               ; =>This Inner Loop Header: Depth=1
	v_cvt_f32_ubyte0_e32 v18, v14
	v_mov_b32_e32 v16, v15
	s_delay_alu instid0(VALU_DEP_1) | instskip(NEXT) | instid1(VALU_DEP_1)
	v_cvt_f32_ubyte0_e32 v15, v16
	v_rcp_iflag_f32_e32 v17, v15
	v_nop
	s_delay_alu instid0(TRANS32_DEP_1) | instskip(NEXT) | instid1(VALU_DEP_1)
	v_mul_f32_e32 v17, v18, v17
	v_trunc_f32_e32 v17, v17
	s_delay_alu instid0(VALU_DEP_1) | instskip(SKIP_1) | instid1(VALU_DEP_2)
	v_fma_f32 v18, -v17, v15, v18
	v_cvt_u32_f32_e32 v17, v17
	v_cmp_ge_f32_e64 vcc_lo, |v18|, v15
	s_delay_alu instid0(VALU_DEP_1) | instskip(NEXT) | instid1(VALU_DEP_1)
	v_add_co_ci_u32_e64 v15, null, 0, v17, vcc_lo
	v_mul_lo_u32 v15, v15, v16
	s_delay_alu instid0(VALU_DEP_1) | instskip(NEXT) | instid1(VALU_DEP_1)
	v_sub_nc_u32_e32 v14, v14, v15
	v_and_b32_e32 v15, 0xff, v14
	v_mov_b32_e32 v14, v16
	s_delay_alu instid0(VALU_DEP_2) | instskip(SKIP_1) | instid1(SALU_CYCLE_1)
	v_cmp_eq_u16_e32 vcc_lo, 0, v15
	s_or_b32 s1, vcc_lo, s1
	s_and_not1_b32 exec_lo, exec_lo, s1
	s_cbranch_execnz .LBB1_34
; %bb.35:
	s_or_b32 exec_lo, exec_lo, s1
	v_mov_b32_e32 v14, v16
.LBB1_36:
	s_or_b32 exec_lo, exec_lo, s0
	v_dual_lshrrev_b32 v16, 16, v2 :: v_dual_lshrrev_b32 v15, 16, v4
	s_mov_b32 s1, 0
	s_mov_b32 s0, exec_lo
	s_delay_alu instid0(VALU_DEP_1) | instskip(NEXT) | instid1(VALU_DEP_1)
	v_and_b32_e32 v17, 0xff, v16
	v_cmpx_ne_u16_e32 0, v17
	s_cbranch_execz .LBB1_39
.LBB1_37:                               ; =>This Inner Loop Header: Depth=1
	v_cvt_f32_ubyte0_e32 v19, v15
	v_mov_b32_e32 v17, v16
	s_delay_alu instid0(VALU_DEP_1) | instskip(NEXT) | instid1(VALU_DEP_1)
	v_cvt_f32_ubyte0_e32 v16, v17
	v_rcp_iflag_f32_e32 v18, v16
	v_nop
	s_delay_alu instid0(TRANS32_DEP_1) | instskip(NEXT) | instid1(VALU_DEP_1)
	v_mul_f32_e32 v18, v19, v18
	v_trunc_f32_e32 v18, v18
	s_delay_alu instid0(VALU_DEP_1) | instskip(SKIP_1) | instid1(VALU_DEP_2)
	v_fma_f32 v19, -v18, v16, v19
	v_cvt_u32_f32_e32 v18, v18
	v_cmp_ge_f32_e64 vcc_lo, |v19|, v16
	s_delay_alu instid0(VALU_DEP_1) | instskip(NEXT) | instid1(VALU_DEP_1)
	v_add_co_ci_u32_e64 v16, null, 0, v18, vcc_lo
	v_mul_lo_u32 v16, v16, v17
	s_delay_alu instid0(VALU_DEP_1) | instskip(NEXT) | instid1(VALU_DEP_1)
	v_sub_nc_u32_e32 v15, v15, v16
	v_and_b32_e32 v16, 0xff, v15
	v_mov_b32_e32 v15, v17
	s_delay_alu instid0(VALU_DEP_2) | instskip(SKIP_1) | instid1(SALU_CYCLE_1)
	v_cmp_eq_u16_e32 vcc_lo, 0, v16
	s_or_b32 s1, vcc_lo, s1
	s_and_not1_b32 exec_lo, exec_lo, s1
	s_cbranch_execnz .LBB1_37
; %bb.38:
	s_or_b32 exec_lo, exec_lo, s1
	v_mov_b32_e32 v15, v17
.LBB1_39:
	s_or_b32 exec_lo, exec_lo, s0
	v_lshrrev_b32_e32 v4, 24, v4
	s_mov_b32 s0, exec_lo
	v_cmpx_lt_u32_e32 0xffffff, v2
	s_cbranch_execz .LBB1_43
; %bb.40:
	v_lshrrev_b32_e32 v16, 24, v2
	s_mov_b32 s1, 0
.LBB1_41:                               ; =>This Inner Loop Header: Depth=1
	v_cvt_f32_ubyte0_e32 v18, v4
	s_delay_alu instid0(VALU_DEP_2) | instskip(NEXT) | instid1(VALU_DEP_1)
	v_mov_b32_e32 v2, v16
	v_cvt_f32_ubyte0_e32 v16, v2
	s_delay_alu instid0(VALU_DEP_1) | instskip(SKIP_1) | instid1(TRANS32_DEP_1)
	v_rcp_iflag_f32_e32 v17, v16
	v_nop
	v_mul_f32_e32 v17, v18, v17
	s_delay_alu instid0(VALU_DEP_1) | instskip(NEXT) | instid1(VALU_DEP_1)
	v_trunc_f32_e32 v17, v17
	v_fma_f32 v18, -v17, v16, v18
	v_cvt_u32_f32_e32 v17, v17
	s_delay_alu instid0(VALU_DEP_2) | instskip(NEXT) | instid1(VALU_DEP_1)
	v_cmp_ge_f32_e64 vcc_lo, |v18|, v16
	v_add_co_ci_u32_e64 v16, null, 0, v17, vcc_lo
	s_delay_alu instid0(VALU_DEP_1) | instskip(NEXT) | instid1(VALU_DEP_1)
	v_mul_lo_u32 v16, v16, v2
	v_sub_nc_u32_e32 v4, v4, v16
	s_delay_alu instid0(VALU_DEP_1) | instskip(SKIP_1) | instid1(VALU_DEP_2)
	v_and_b32_e32 v16, 0xff, v4
	v_mov_b32_e32 v4, v2
	v_cmp_eq_u16_e32 vcc_lo, 0, v16
	s_or_b32 s1, vcc_lo, s1
	s_delay_alu instid0(SALU_CYCLE_1)
	s_and_not1_b32 exec_lo, exec_lo, s1
	s_cbranch_execnz .LBB1_41
; %bb.42:
	s_or_b32 exec_lo, exec_lo, s1
	v_mov_b32_e32 v4, v2
.LBB1_43:
	s_or_b32 exec_lo, exec_lo, s0
	v_and_b32_e32 v2, 0xff, v3
	s_mov_b32 s1, 0
	s_delay_alu instid0(VALU_DEP_1)
	v_cmp_ne_u16_e32 vcc_lo, 0, v2
	v_mov_b32_e32 v2, v5
	s_and_saveexec_b32 s0, vcc_lo
	s_cbranch_execz .LBB1_47
; %bb.44:
	v_dual_mov_b32 v17, v3 :: v_dual_mov_b32 v16, v5
.LBB1_45:                               ; =>This Inner Loop Header: Depth=1
	s_delay_alu instid0(VALU_DEP_1) | instskip(NEXT) | instid1(VALU_DEP_2)
	v_cvt_f32_ubyte0_e32 v19, v16
	v_mov_b32_e32 v2, v17
	s_delay_alu instid0(VALU_DEP_1) | instskip(NEXT) | instid1(VALU_DEP_1)
	v_cvt_f32_ubyte0_e32 v17, v2
	v_rcp_iflag_f32_e32 v18, v17
	v_nop
	s_delay_alu instid0(TRANS32_DEP_1) | instskip(NEXT) | instid1(VALU_DEP_1)
	v_mul_f32_e32 v18, v19, v18
	v_trunc_f32_e32 v18, v18
	s_delay_alu instid0(VALU_DEP_1) | instskip(SKIP_1) | instid1(VALU_DEP_2)
	v_fma_f32 v19, -v18, v17, v19
	v_cvt_u32_f32_e32 v18, v18
	v_cmp_ge_f32_e64 vcc_lo, |v19|, v17
	s_delay_alu instid0(VALU_DEP_1) | instskip(NEXT) | instid1(VALU_DEP_1)
	v_add_co_ci_u32_e64 v17, null, 0, v18, vcc_lo
	v_mul_lo_u32 v17, v17, v2
	s_delay_alu instid0(VALU_DEP_1) | instskip(NEXT) | instid1(VALU_DEP_1)
	v_sub_nc_u32_e32 v16, v16, v17
	v_and_b32_e32 v17, 0xff, v16
	v_mov_b32_e32 v16, v2
	s_delay_alu instid0(VALU_DEP_2) | instskip(SKIP_1) | instid1(SALU_CYCLE_1)
	v_cmp_eq_u16_e32 vcc_lo, 0, v17
	s_or_b32 s1, vcc_lo, s1
	s_and_not1_b32 exec_lo, exec_lo, s1
	s_cbranch_execnz .LBB1_45
; %bb.46:
	s_or_b32 exec_lo, exec_lo, s1
.LBB1_47:
	s_delay_alu instid0(SALU_CYCLE_1) | instskip(SKIP_3) | instid1(VALU_DEP_1)
	s_or_b32 exec_lo, exec_lo, s0
	v_dual_lshrrev_b32 v17, 8, v3 :: v_dual_lshrrev_b32 v16, 8, v5
	s_mov_b32 s1, 0
	s_mov_b32 s0, exec_lo
	v_and_b32_e32 v18, 0xff, v17
	s_delay_alu instid0(VALU_DEP_1)
	v_cmpx_ne_u16_e32 0, v18
	s_cbranch_execz .LBB1_50
.LBB1_48:                               ; =>This Inner Loop Header: Depth=1
	v_cvt_f32_ubyte0_e32 v20, v16
	v_mov_b32_e32 v18, v17
	s_delay_alu instid0(VALU_DEP_1) | instskip(NEXT) | instid1(VALU_DEP_1)
	v_cvt_f32_ubyte0_e32 v17, v18
	v_rcp_iflag_f32_e32 v19, v17
	v_nop
	s_delay_alu instid0(TRANS32_DEP_1) | instskip(NEXT) | instid1(VALU_DEP_1)
	v_mul_f32_e32 v19, v20, v19
	v_trunc_f32_e32 v19, v19
	s_delay_alu instid0(VALU_DEP_1) | instskip(SKIP_1) | instid1(VALU_DEP_2)
	v_fma_f32 v20, -v19, v17, v20
	v_cvt_u32_f32_e32 v19, v19
	v_cmp_ge_f32_e64 vcc_lo, |v20|, v17
	s_delay_alu instid0(VALU_DEP_1) | instskip(NEXT) | instid1(VALU_DEP_1)
	v_add_co_ci_u32_e64 v17, null, 0, v19, vcc_lo
	v_mul_lo_u32 v17, v17, v18
	s_delay_alu instid0(VALU_DEP_1) | instskip(NEXT) | instid1(VALU_DEP_1)
	v_sub_nc_u32_e32 v16, v16, v17
	v_and_b32_e32 v17, 0xff, v16
	v_mov_b32_e32 v16, v18
	s_delay_alu instid0(VALU_DEP_2) | instskip(SKIP_1) | instid1(SALU_CYCLE_1)
	v_cmp_eq_u16_e32 vcc_lo, 0, v17
	s_or_b32 s1, vcc_lo, s1
	s_and_not1_b32 exec_lo, exec_lo, s1
	s_cbranch_execnz .LBB1_48
; %bb.49:
	s_or_b32 exec_lo, exec_lo, s1
	v_mov_b32_e32 v16, v18
.LBB1_50:
	s_or_b32 exec_lo, exec_lo, s0
	v_dual_lshrrev_b32 v18, 16, v3 :: v_dual_lshrrev_b32 v17, 16, v5
	s_mov_b32 s1, 0
	s_mov_b32 s0, exec_lo
	s_delay_alu instid0(VALU_DEP_1) | instskip(NEXT) | instid1(VALU_DEP_1)
	v_and_b32_e32 v19, 0xff, v18
	v_cmpx_ne_u16_e32 0, v19
	s_cbranch_execz .LBB1_53
.LBB1_51:                               ; =>This Inner Loop Header: Depth=1
	v_cvt_f32_ubyte0_e32 v21, v17
	v_mov_b32_e32 v19, v18
	s_delay_alu instid0(VALU_DEP_1) | instskip(NEXT) | instid1(VALU_DEP_1)
	v_cvt_f32_ubyte0_e32 v18, v19
	v_rcp_iflag_f32_e32 v20, v18
	v_nop
	s_delay_alu instid0(TRANS32_DEP_1) | instskip(NEXT) | instid1(VALU_DEP_1)
	v_mul_f32_e32 v20, v21, v20
	v_trunc_f32_e32 v20, v20
	s_delay_alu instid0(VALU_DEP_1) | instskip(SKIP_1) | instid1(VALU_DEP_2)
	v_fma_f32 v21, -v20, v18, v21
	v_cvt_u32_f32_e32 v20, v20
	v_cmp_ge_f32_e64 vcc_lo, |v21|, v18
	s_delay_alu instid0(VALU_DEP_1) | instskip(NEXT) | instid1(VALU_DEP_1)
	v_add_co_ci_u32_e64 v18, null, 0, v20, vcc_lo
	v_mul_lo_u32 v18, v18, v19
	s_delay_alu instid0(VALU_DEP_1) | instskip(NEXT) | instid1(VALU_DEP_1)
	v_sub_nc_u32_e32 v17, v17, v18
	v_and_b32_e32 v18, 0xff, v17
	v_mov_b32_e32 v17, v19
	s_delay_alu instid0(VALU_DEP_2) | instskip(SKIP_1) | instid1(SALU_CYCLE_1)
	v_cmp_eq_u16_e32 vcc_lo, 0, v18
	s_or_b32 s1, vcc_lo, s1
	s_and_not1_b32 exec_lo, exec_lo, s1
	s_cbranch_execnz .LBB1_51
; %bb.52:
	s_or_b32 exec_lo, exec_lo, s1
	v_mov_b32_e32 v17, v19
.LBB1_53:
	s_or_b32 exec_lo, exec_lo, s0
	v_lshrrev_b32_e32 v5, 24, v5
	s_mov_b32 s0, exec_lo
	v_cmpx_lt_u32_e32 0xffffff, v3
	s_cbranch_execz .LBB1_57
; %bb.54:
	v_lshrrev_b32_e32 v18, 24, v3
	s_mov_b32 s1, 0
.LBB1_55:                               ; =>This Inner Loop Header: Depth=1
	v_cvt_f32_ubyte0_e32 v20, v5
	s_delay_alu instid0(VALU_DEP_2) | instskip(NEXT) | instid1(VALU_DEP_1)
	v_mov_b32_e32 v3, v18
	v_cvt_f32_ubyte0_e32 v18, v3
	s_delay_alu instid0(VALU_DEP_1) | instskip(SKIP_1) | instid1(TRANS32_DEP_1)
	v_rcp_iflag_f32_e32 v19, v18
	v_nop
	v_mul_f32_e32 v19, v20, v19
	s_delay_alu instid0(VALU_DEP_1) | instskip(NEXT) | instid1(VALU_DEP_1)
	v_trunc_f32_e32 v19, v19
	v_fma_f32 v20, -v19, v18, v20
	v_cvt_u32_f32_e32 v19, v19
	s_delay_alu instid0(VALU_DEP_2) | instskip(NEXT) | instid1(VALU_DEP_1)
	v_cmp_ge_f32_e64 vcc_lo, |v20|, v18
	v_add_co_ci_u32_e64 v18, null, 0, v19, vcc_lo
	s_delay_alu instid0(VALU_DEP_1) | instskip(NEXT) | instid1(VALU_DEP_1)
	v_mul_lo_u32 v18, v18, v3
	v_sub_nc_u32_e32 v5, v5, v18
	s_delay_alu instid0(VALU_DEP_1) | instskip(SKIP_1) | instid1(VALU_DEP_2)
	v_and_b32_e32 v18, 0xff, v5
	v_mov_b32_e32 v5, v3
	v_cmp_eq_u16_e32 vcc_lo, 0, v18
	s_or_b32 s1, vcc_lo, s1
	s_delay_alu instid0(SALU_CYCLE_1)
	s_and_not1_b32 exec_lo, exec_lo, s1
	s_cbranch_execnz .LBB1_55
; %bb.56:
	s_or_b32 exec_lo, exec_lo, s1
	v_mov_b32_e32 v5, v3
.LBB1_57:
	s_or_b32 exec_lo, exec_lo, s0
	s_delay_alu instid0(VALU_DEP_1)
	v_perm_b32 v3, v17, v5, 0xc0c0004
	v_perm_b32 v5, v6, v12, 0xc0c0004
	v_perm_b32 v6, v13, v9, 0xc0c0004
	v_perm_b32 v1, v1, v10, 0xc0c0004
	v_perm_b32 v8, v11, v8, 0xc0c0004
	v_perm_b32 v2, v2, v16, 0xc0c0004
	v_perm_b32 v7, v7, v14, 0xc0c0004
	v_perm_b32 v9, v15, v4, 0xc0c0004
	v_lshl_or_b32 v5, v6, 16, v5
	v_lshl_or_b32 v4, v8, 16, v1
	v_lshl_or_b32 v3, v3, 16, v2
	s_add_nc_u64 s[4:5], s[16:17], s[14:15]
	v_lshl_or_b32 v2, v9, 16, v7
	s_mov_b32 s0, 0
	s_clause 0x1
	global_store_b64 v0, v[4:5], s[4:5] scale_offset
	global_store_b64 v0, v[2:3], s[4:5] offset:2048 scale_offset
.LBB1_58:
	s_and_b32 vcc_lo, exec_lo, s0
	s_cbranch_vccz .LBB1_189
; %bb.59:
	v_cmp_gt_i32_e32 vcc_lo, s13, v0
	s_wait_xcnt 0x0
	v_dual_mov_b32 v2, 0 :: v_dual_bitop2_b32 v10, s14, v0 bitop3:0x54
	v_or_b32_e32 v38, 0x100, v0
	v_dual_mov_b32 v12, 0 :: v_dual_mov_b32 v11, 0
	v_dual_mov_b32 v14, 0 :: v_dual_mov_b32 v13, 0
	;; [unrolled: 1-line block ×16, first 2 shown]
	s_and_saveexec_b32 s1, vcc_lo
	s_cbranch_execz .LBB1_91
; %bb.60:
	s_clause 0x1
	global_load_u8 v41, v10, s[18:19]
	global_load_u8 v40, v10, s[2:3]
	v_cmp_gt_u32_e64 s0, s13, v38
	v_dual_mov_b32 v37, 0 :: v_dual_mov_b32 v39, 0
	v_dual_mov_b32 v5, 0 :: v_dual_mov_b32 v36, 0
	;; [unrolled: 1-line block ×15, first 2 shown]
	s_wait_xcnt 0x0
	s_and_saveexec_b32 s4, s0
	s_cbranch_execz .LBB1_90
; %bb.61:
	v_dual_mov_b32 v5, 0 :: v_dual_add_nc_u32 v4, s14, v0
	v_or_b32_e32 v1, 0x200, v0
	v_dual_mov_b32 v36, 0 :: v_dual_mov_b32 v6, 0
	s_clause 0x1
	global_load_u8 v39, v4, s[18:19] offset:256
	global_load_u8 v37, v4, s[2:3] offset:256
	v_dual_mov_b32 v35, 0 :: v_dual_mov_b32 v33, 0
	v_cmp_gt_u32_e64 s0, s13, v1
	v_dual_mov_b32 v34, 0 :: v_dual_mov_b32 v31, 0
	v_dual_mov_b32 v32, 0 :: v_dual_mov_b32 v29, 0
	;; [unrolled: 1-line block ×11, first 2 shown]
	v_mov_b32_e32 v12, 0
	s_wait_xcnt 0x0
	s_and_saveexec_b32 s5, s0
	s_cbranch_execz .LBB1_89
; %bb.62:
	v_add_nc_u64_e32 v[6:7], s[18:19], v[4:5]
	v_add_nc_u64_e32 v[8:9], s[2:3], v[4:5]
	v_or_b32_e32 v3, 0x300, v0
	v_dual_mov_b32 v35, 0 :: v_dual_mov_b32 v33, 0
	v_dual_mov_b32 v34, 0 :: v_dual_mov_b32 v31, 0
	global_load_u8 v36, v[6:7], off offset:512
	global_load_u8 v1, v[8:9], off offset:512
	v_cmp_gt_u32_e64 s0, s13, v3
	v_dual_mov_b32 v32, 0 :: v_dual_mov_b32 v29, 0
	v_dual_mov_b32 v30, 0 :: v_dual_mov_b32 v27, 0
	;; [unrolled: 1-line block ×10, first 2 shown]
	v_mov_b32_e32 v12, 0
	s_wait_xcnt 0x0
	s_and_saveexec_b32 s2, s0
	s_cbranch_execz .LBB1_88
; %bb.63:
	global_load_u8 v35, v[6:7], off offset:768
	global_load_u8 v5, v[8:9], off offset:768
	v_or_b32_e32 v3, 0x400, v0
	v_dual_mov_b32 v33, 0 :: v_dual_mov_b32 v34, 0
	v_dual_mov_b32 v31, 0 :: v_dual_mov_b32 v32, 0
	s_delay_alu instid0(VALU_DEP_3)
	v_cmp_gt_u32_e64 s0, s13, v3
	v_dual_mov_b32 v29, 0 :: v_dual_mov_b32 v30, 0
	v_dual_mov_b32 v27, 0 :: v_dual_mov_b32 v28, 0
	;; [unrolled: 1-line block ×10, first 2 shown]
	s_wait_xcnt 0x0
	s_and_saveexec_b32 s3, s0
	s_cbranch_execz .LBB1_87
; %bb.64:
	global_load_u8 v34, v[6:7], off offset:1024
	global_load_u8 v33, v[8:9], off offset:1024
	v_or_b32_e32 v3, 0x500, v0
	v_dual_mov_b32 v31, 0 :: v_dual_mov_b32 v32, 0
	v_dual_mov_b32 v29, 0 :: v_dual_mov_b32 v30, 0
	s_delay_alu instid0(VALU_DEP_3)
	v_cmp_gt_u32_e64 s0, s13, v3
	v_dual_mov_b32 v27, 0 :: v_dual_mov_b32 v28, 0
	v_dual_mov_b32 v25, 0 :: v_dual_mov_b32 v26, 0
	;; [unrolled: 1-line block ×9, first 2 shown]
	s_wait_xcnt 0x0
	s_and_saveexec_b32 s6, s0
	s_cbranch_execz .LBB1_86
; %bb.65:
	global_load_u8 v32, v[6:7], off offset:1280
	global_load_u8 v31, v[8:9], off offset:1280
	v_or_b32_e32 v3, 0x600, v0
	v_dual_mov_b32 v29, 0 :: v_dual_mov_b32 v30, 0
	v_dual_mov_b32 v27, 0 :: v_dual_mov_b32 v28, 0
	s_delay_alu instid0(VALU_DEP_3)
	v_cmp_gt_u32_e64 s0, s13, v3
	v_dual_mov_b32 v25, 0 :: v_dual_mov_b32 v26, 0
	v_dual_mov_b32 v23, 0 :: v_dual_mov_b32 v24, 0
	;; [unrolled: 1-line block ×8, first 2 shown]
	s_wait_xcnt 0x0
	s_and_saveexec_b32 s7, s0
	s_cbranch_execz .LBB1_85
; %bb.66:
	global_load_u8 v30, v[6:7], off offset:1536
	global_load_u8 v29, v[8:9], off offset:1536
	v_or_b32_e32 v3, 0x700, v0
	v_dual_mov_b32 v27, 0 :: v_dual_mov_b32 v28, 0
	v_dual_mov_b32 v25, 0 :: v_dual_mov_b32 v26, 0
	;; [unrolled: 1-line block ×9, first 2 shown]
	s_mov_b32 s8, exec_lo
	s_wait_xcnt 0x0
	v_cmpx_gt_u32_e64 s13, v3
	s_cbranch_execz .LBB1_84
; %bb.67:
	global_load_u8 v28, v[6:7], off offset:1792
	global_load_u8 v27, v[8:9], off offset:1792
	v_or_b32_e32 v3, 0x800, v0
	v_dual_mov_b32 v25, 0 :: v_dual_mov_b32 v26, 0
	v_dual_mov_b32 v23, 0 :: v_dual_mov_b32 v24, 0
	;; [unrolled: 1-line block ×8, first 2 shown]
	s_mov_b32 s9, exec_lo
	s_wait_xcnt 0x0
	v_cmpx_gt_u32_e64 s13, v3
	s_cbranch_execz .LBB1_83
; %bb.68:
	global_load_u8 v26, v[6:7], off offset:2048
	global_load_u8 v25, v[8:9], off offset:2048
	v_or_b32_e32 v3, 0x900, v0
	v_dual_mov_b32 v23, 0 :: v_dual_mov_b32 v24, 0
	v_dual_mov_b32 v21, 0 :: v_dual_mov_b32 v22, 0
	;; [unrolled: 1-line block ×7, first 2 shown]
	s_mov_b32 s10, exec_lo
	s_wait_xcnt 0x0
	v_cmpx_gt_u32_e64 s13, v3
	s_cbranch_execz .LBB1_82
; %bb.69:
	global_load_u8 v24, v[6:7], off offset:2304
	global_load_u8 v23, v[8:9], off offset:2304
	v_or_b32_e32 v3, 0xa00, v0
	v_dual_mov_b32 v21, 0 :: v_dual_mov_b32 v22, 0
	v_dual_mov_b32 v19, 0 :: v_dual_mov_b32 v20, 0
	;; [unrolled: 1-line block ×6, first 2 shown]
	s_mov_b32 s11, exec_lo
	s_wait_xcnt 0x0
	v_cmpx_gt_u32_e64 s13, v3
	s_cbranch_execz .LBB1_81
; %bb.70:
	global_load_u8 v22, v[6:7], off offset:2560
	global_load_u8 v21, v[8:9], off offset:2560
	v_or_b32_e32 v3, 0xb00, v0
	v_dual_mov_b32 v19, 0 :: v_dual_mov_b32 v20, 0
	v_dual_mov_b32 v17, 0 :: v_dual_mov_b32 v18, 0
	;; [unrolled: 1-line block ×5, first 2 shown]
	s_mov_b32 s12, exec_lo
	s_wait_xcnt 0x0
	v_cmpx_gt_u32_e64 s13, v3
	s_cbranch_execz .LBB1_80
; %bb.71:
	global_load_u8 v20, v[6:7], off offset:2816
	global_load_u8 v19, v[8:9], off offset:2816
	v_or_b32_e32 v3, 0xc00, v0
	v_dual_mov_b32 v17, 0 :: v_dual_mov_b32 v18, 0
	v_dual_mov_b32 v15, 0 :: v_dual_mov_b32 v16, 0
	;; [unrolled: 1-line block ×4, first 2 shown]
	s_mov_b32 s15, exec_lo
	s_wait_xcnt 0x0
	v_cmpx_gt_u32_e64 s13, v3
	s_cbranch_execz .LBB1_79
; %bb.72:
	global_load_u8 v18, v[6:7], off offset:3072
	global_load_u8 v17, v[8:9], off offset:3072
	v_or_b32_e32 v3, 0xd00, v0
	v_dual_mov_b32 v15, 0 :: v_dual_mov_b32 v16, 0
	v_dual_mov_b32 v13, 0 :: v_dual_mov_b32 v14, 0
	;; [unrolled: 1-line block ×3, first 2 shown]
	s_mov_b32 s18, exec_lo
	s_wait_xcnt 0x0
	v_cmpx_gt_u32_e64 s13, v3
	s_cbranch_execz .LBB1_78
; %bb.73:
	global_load_u8 v16, v[6:7], off offset:3328
	global_load_u8 v15, v[8:9], off offset:3328
	v_or_b32_e32 v3, 0xe00, v0
	v_dual_mov_b32 v13, 0 :: v_dual_mov_b32 v14, 0
	v_dual_mov_b32 v11, 0 :: v_dual_mov_b32 v12, 0
	s_mov_b32 s19, exec_lo
	s_wait_xcnt 0x0
	v_cmpx_gt_u32_e64 s13, v3
	s_cbranch_execz .LBB1_77
; %bb.74:
	global_load_u8 v14, v[6:7], off offset:3584
	global_load_u8 v13, v[8:9], off offset:3584
	v_or_b32_e32 v3, 0xf00, v0
	v_dual_mov_b32 v11, 0 :: v_dual_mov_b32 v12, 0
	s_mov_b32 s20, exec_lo
	s_wait_xcnt 0x0
	s_delay_alu instid0(VALU_DEP_2)
	v_cmpx_gt_u32_e64 s13, v3
	s_cbranch_execz .LBB1_76
; %bb.75:
	global_load_u8 v12, v[6:7], off offset:3840
	global_load_u8 v11, v[8:9], off offset:3840
.LBB1_76:
	s_wait_xcnt 0x0
	s_or_b32 exec_lo, exec_lo, s20
.LBB1_77:
	s_delay_alu instid0(SALU_CYCLE_1)
	s_or_b32 exec_lo, exec_lo, s19
.LBB1_78:
	s_delay_alu instid0(SALU_CYCLE_1)
	s_or_b32 exec_lo, exec_lo, s18
.LBB1_79:
	s_delay_alu instid0(SALU_CYCLE_1)
	s_or_b32 exec_lo, exec_lo, s15
.LBB1_80:
	s_delay_alu instid0(SALU_CYCLE_1)
	s_or_b32 exec_lo, exec_lo, s12
.LBB1_81:
	s_delay_alu instid0(SALU_CYCLE_1)
	s_or_b32 exec_lo, exec_lo, s11
.LBB1_82:
	s_delay_alu instid0(SALU_CYCLE_1)
	s_or_b32 exec_lo, exec_lo, s10
.LBB1_83:
	s_delay_alu instid0(SALU_CYCLE_1)
	s_or_b32 exec_lo, exec_lo, s9
.LBB1_84:
	s_delay_alu instid0(SALU_CYCLE_1)
	s_or_b32 exec_lo, exec_lo, s8
.LBB1_85:
	s_delay_alu instid0(SALU_CYCLE_1)
	s_or_b32 exec_lo, exec_lo, s7
.LBB1_86:
	s_delay_alu instid0(SALU_CYCLE_1)
	s_or_b32 exec_lo, exec_lo, s6
.LBB1_87:
	s_delay_alu instid0(SALU_CYCLE_1)
	s_or_b32 exec_lo, exec_lo, s3
.LBB1_88:
	s_delay_alu instid0(SALU_CYCLE_1)
	s_or_b32 exec_lo, exec_lo, s2
	s_wait_loadcnt 0x0
	v_dual_mov_b32 v6, v5 :: v_dual_mov_b32 v5, v1
.LBB1_89:
	s_or_b32 exec_lo, exec_lo, s5
.LBB1_90:
	s_delay_alu instid0(SALU_CYCLE_1)
	s_or_b32 exec_lo, exec_lo, s4
.LBB1_91:
	s_delay_alu instid0(SALU_CYCLE_1)
	s_or_b32 exec_lo, exec_lo, s1
	v_dual_mov_b32 v1, v2 :: v_dual_mov_b32 v4, v2
	v_mov_b32_e32 v3, v2
	s_and_saveexec_b32 s1, vcc_lo
	s_cbranch_execz .LBB1_97
; %bb.92:
	s_wait_loadcnt 0x1
	v_and_b32_e32 v1, 0xff, v41
	s_mov_b32 s2, exec_lo
	s_delay_alu instid0(VALU_DEP_1)
	v_cmpx_ne_u16_e32 0, v1
	s_cbranch_execz .LBB1_96
; %bb.93:
	s_mov_b32 s3, 0
.LBB1_94:                               ; =>This Inner Loop Header: Depth=1
	s_wait_loadcnt 0x0
	v_cvt_f32_ubyte0_e32 v4, v40
	v_mov_b32_e32 v1, v41
	s_delay_alu instid0(VALU_DEP_1) | instskip(NEXT) | instid1(VALU_DEP_1)
	v_cvt_f32_ubyte0_e32 v2, v1
	v_rcp_iflag_f32_e32 v3, v2
	v_nop
	s_delay_alu instid0(TRANS32_DEP_1) | instskip(NEXT) | instid1(VALU_DEP_1)
	v_mul_f32_e32 v3, v4, v3
	v_trunc_f32_e32 v3, v3
	s_delay_alu instid0(VALU_DEP_1) | instskip(SKIP_1) | instid1(VALU_DEP_2)
	v_fma_f32 v4, -v3, v2, v4
	v_cvt_u32_f32_e32 v3, v3
	v_cmp_ge_f32_e64 s0, |v4|, v2
	s_delay_alu instid0(VALU_DEP_1) | instskip(NEXT) | instid1(VALU_DEP_1)
	v_add_co_ci_u32_e64 v2, null, 0, v3, s0
	v_mul_lo_u32 v2, v2, v1
	s_delay_alu instid0(VALU_DEP_1) | instskip(NEXT) | instid1(VALU_DEP_1)
	v_dual_sub_nc_u32 v2, v40, v2 :: v_dual_mov_b32 v40, v1
	v_and_b32_e32 v41, 0xff, v2
	s_delay_alu instid0(VALU_DEP_1) | instskip(SKIP_1) | instid1(SALU_CYCLE_1)
	v_cmp_eq_u16_e64 s0, 0, v41
	s_or_b32 s3, s0, s3
	s_and_not1_b32 exec_lo, exec_lo, s3
	s_cbranch_execnz .LBB1_94
; %bb.95:
	s_or_b32 exec_lo, exec_lo, s3
	v_mov_b32_e32 v40, v1
.LBB1_96:
	s_or_b32 exec_lo, exec_lo, s2
	s_wait_loadcnt 0x0
	s_delay_alu instid0(VALU_DEP_1) | instskip(SKIP_1) | instid1(VALU_DEP_2)
	v_and_b32_e32 v2, 0xff, v40
	v_mov_b32_e32 v1, 0
	v_and_b32_e32 v2, 0xffff, v2
	s_delay_alu instid0(VALU_DEP_2)
	v_dual_mov_b32 v4, v1 :: v_dual_mov_b32 v3, v1
.LBB1_97:
	s_or_b32 exec_lo, exec_lo, s1
	v_cmp_gt_i32_e64 s0, s13, v38
	s_and_saveexec_b32 s2, s0
	s_cbranch_execz .LBB1_102
; %bb.98:
	s_wait_loadcnt 0x1
	v_and_b32_e32 v7, 0xff, v39
	s_mov_b32 s4, 0
	s_mov_b32 s3, exec_lo
	s_delay_alu instid0(VALU_DEP_1)
	v_cmpx_ne_u16_e32 0, v7
	s_cbranch_execz .LBB1_101
.LBB1_99:                               ; =>This Inner Loop Header: Depth=1
	s_wait_loadcnt 0x0
	v_cvt_f32_ubyte0_e32 v38, v37
	v_mov_b32_e32 v7, v39
	s_delay_alu instid0(VALU_DEP_1) | instskip(NEXT) | instid1(VALU_DEP_1)
	v_cvt_f32_ubyte0_e32 v8, v7
	v_rcp_iflag_f32_e32 v9, v8
	v_nop
	s_delay_alu instid0(TRANS32_DEP_1) | instskip(NEXT) | instid1(VALU_DEP_1)
	v_mul_f32_e32 v9, v38, v9
	v_trunc_f32_e32 v9, v9
	s_delay_alu instid0(VALU_DEP_1) | instskip(SKIP_1) | instid1(VALU_DEP_2)
	v_fma_f32 v38, -v9, v8, v38
	v_cvt_u32_f32_e32 v9, v9
	v_cmp_ge_f32_e64 s1, |v38|, v8
	s_delay_alu instid0(VALU_DEP_1) | instskip(NEXT) | instid1(VALU_DEP_1)
	v_add_co_ci_u32_e64 v8, null, 0, v9, s1
	v_mul_lo_u32 v8, v8, v7
	s_delay_alu instid0(VALU_DEP_1) | instskip(NEXT) | instid1(VALU_DEP_1)
	v_dual_mov_b32 v37, v7 :: v_dual_sub_nc_u32 v8, v37, v8
	v_and_b32_e32 v39, 0xff, v8
	s_delay_alu instid0(VALU_DEP_1) | instskip(SKIP_1) | instid1(SALU_CYCLE_1)
	v_cmp_eq_u16_e64 s1, 0, v39
	s_or_b32 s4, s1, s4
	s_and_not1_b32 exec_lo, exec_lo, s4
	s_cbranch_execnz .LBB1_99
; %bb.100:
	s_or_b32 exec_lo, exec_lo, s4
	v_mov_b32_e32 v37, v7
.LBB1_101:
	s_or_b32 exec_lo, exec_lo, s3
	s_wait_loadcnt 0x0
	s_delay_alu instid0(VALU_DEP_1)
	v_perm_b32 v2, v2, v37, 0x7060004
.LBB1_102:
	s_or_b32 exec_lo, exec_lo, s2
	v_or_b32_e32 v7, 0x200, v0
	s_delay_alu instid0(VALU_DEP_1)
	v_cmp_gt_i32_e64 s1, s13, v7
	s_and_saveexec_b32 s3, s1
	s_cbranch_execz .LBB1_107
; %bb.103:
	v_and_b32_e32 v7, 0xff, v36
	s_mov_b32 s5, 0
	s_mov_b32 s4, exec_lo
	s_delay_alu instid0(VALU_DEP_1)
	v_cmpx_ne_u16_e32 0, v7
	s_cbranch_execz .LBB1_106
.LBB1_104:                              ; =>This Inner Loop Header: Depth=1
	v_mov_b32_e32 v7, v36
	v_cvt_f32_ubyte0_e32 v36, v5
	s_delay_alu instid0(VALU_DEP_2) | instskip(NEXT) | instid1(VALU_DEP_1)
	v_cvt_f32_ubyte0_e32 v8, v7
	v_rcp_iflag_f32_e32 v9, v8
	v_nop
	s_delay_alu instid0(TRANS32_DEP_1) | instskip(NEXT) | instid1(VALU_DEP_1)
	v_mul_f32_e32 v9, v36, v9
	v_trunc_f32_e32 v9, v9
	s_delay_alu instid0(VALU_DEP_1) | instskip(SKIP_1) | instid1(VALU_DEP_2)
	v_fma_f32 v36, -v9, v8, v36
	v_cvt_u32_f32_e32 v9, v9
	v_cmp_ge_f32_e64 s2, |v36|, v8
	s_delay_alu instid0(VALU_DEP_1) | instskip(NEXT) | instid1(VALU_DEP_1)
	v_add_co_ci_u32_e64 v8, null, 0, v9, s2
	v_mul_lo_u32 v8, v8, v7
	s_delay_alu instid0(VALU_DEP_1) | instskip(NEXT) | instid1(VALU_DEP_1)
	v_sub_nc_u32_e32 v5, v5, v8
	v_and_b32_e32 v36, 0xff, v5
	v_mov_b32_e32 v5, v7
	s_delay_alu instid0(VALU_DEP_2) | instskip(SKIP_1) | instid1(SALU_CYCLE_1)
	v_cmp_eq_u16_e64 s2, 0, v36
	s_or_b32 s5, s2, s5
	s_and_not1_b32 exec_lo, exec_lo, s5
	s_cbranch_execnz .LBB1_104
; %bb.105:
	s_or_b32 exec_lo, exec_lo, s5
	v_mov_b32_e32 v5, v7
.LBB1_106:
	s_or_b32 exec_lo, exec_lo, s4
	s_delay_alu instid0(VALU_DEP_1)
	v_perm_b32 v2, v2, v5, 0x7000504
.LBB1_107:
	s_or_b32 exec_lo, exec_lo, s3
	v_or_b32_e32 v5, 0x300, v0
	s_delay_alu instid0(VALU_DEP_1)
	v_cmp_gt_i32_e64 s2, s13, v5
	s_and_saveexec_b32 s4, s2
	s_cbranch_execz .LBB1_112
; %bb.108:
	v_and_b32_e32 v5, 0xff, v35
	s_mov_b32 s6, 0
	s_mov_b32 s5, exec_lo
	s_delay_alu instid0(VALU_DEP_1)
	v_cmpx_ne_u16_e32 0, v5
	s_cbranch_execz .LBB1_111
.LBB1_109:                              ; =>This Inner Loop Header: Depth=1
	v_cvt_f32_ubyte0_e32 v9, v6
	v_mov_b32_e32 v5, v35
	s_delay_alu instid0(VALU_DEP_1) | instskip(NEXT) | instid1(VALU_DEP_1)
	v_cvt_f32_ubyte0_e32 v7, v5
	v_rcp_iflag_f32_e32 v8, v7
	v_nop
	s_delay_alu instid0(TRANS32_DEP_1) | instskip(NEXT) | instid1(VALU_DEP_1)
	v_mul_f32_e32 v8, v9, v8
	v_trunc_f32_e32 v8, v8
	s_delay_alu instid0(VALU_DEP_1) | instskip(SKIP_1) | instid1(VALU_DEP_2)
	v_fma_f32 v9, -v8, v7, v9
	v_cvt_u32_f32_e32 v8, v8
	v_cmp_ge_f32_e64 s3, |v9|, v7
	s_delay_alu instid0(VALU_DEP_1) | instskip(NEXT) | instid1(VALU_DEP_1)
	v_add_co_ci_u32_e64 v7, null, 0, v8, s3
	v_mul_lo_u32 v7, v7, v5
	s_delay_alu instid0(VALU_DEP_1) | instskip(NEXT) | instid1(VALU_DEP_1)
	v_sub_nc_u32_e32 v6, v6, v7
	v_and_b32_e32 v35, 0xff, v6
	v_mov_b32_e32 v6, v5
	s_delay_alu instid0(VALU_DEP_2) | instskip(SKIP_1) | instid1(SALU_CYCLE_1)
	v_cmp_eq_u16_e64 s3, 0, v35
	s_or_b32 s6, s3, s6
	s_and_not1_b32 exec_lo, exec_lo, s6
	s_cbranch_execnz .LBB1_109
; %bb.110:
	s_or_b32 exec_lo, exec_lo, s6
	v_mov_b32_e32 v6, v5
.LBB1_111:
	s_or_b32 exec_lo, exec_lo, s5
	s_delay_alu instid0(VALU_DEP_1)
	v_perm_b32 v2, v2, v6, 0x60504
.LBB1_112:
	s_or_b32 exec_lo, exec_lo, s4
	v_or_b32_e32 v5, 0x400, v0
	s_mov_b32 s4, exec_lo
	s_delay_alu instid0(VALU_DEP_1)
	v_cmpx_gt_i32_e64 s13, v5
	s_cbranch_execz .LBB1_117
; %bb.113:
	v_and_b32_e32 v6, 0xff, v34
	s_mov_b32 s6, 0
	s_mov_b32 s5, exec_lo
	s_delay_alu instid0(VALU_DEP_1)
	v_cmpx_ne_u16_e32 0, v6
	s_cbranch_execz .LBB1_116
.LBB1_114:                              ; =>This Inner Loop Header: Depth=1
	v_cvt_f32_ubyte0_e32 v9, v33
	v_mov_b32_e32 v6, v34
	s_delay_alu instid0(VALU_DEP_1) | instskip(NEXT) | instid1(VALU_DEP_1)
	v_cvt_f32_ubyte0_e32 v7, v6
	v_rcp_iflag_f32_e32 v8, v7
	v_nop
	s_delay_alu instid0(TRANS32_DEP_1) | instskip(NEXT) | instid1(VALU_DEP_1)
	v_mul_f32_e32 v8, v9, v8
	v_trunc_f32_e32 v8, v8
	s_delay_alu instid0(VALU_DEP_1) | instskip(SKIP_1) | instid1(VALU_DEP_2)
	v_fma_f32 v9, -v8, v7, v9
	v_cvt_u32_f32_e32 v8, v8
	v_cmp_ge_f32_e64 s3, |v9|, v7
	s_delay_alu instid0(VALU_DEP_1) | instskip(NEXT) | instid1(VALU_DEP_1)
	v_add_co_ci_u32_e64 v7, null, 0, v8, s3
	v_mul_lo_u32 v7, v7, v6
	s_delay_alu instid0(VALU_DEP_1) | instskip(NEXT) | instid1(VALU_DEP_1)
	v_dual_sub_nc_u32 v7, v33, v7 :: v_dual_mov_b32 v33, v6
	v_and_b32_e32 v34, 0xff, v7
	s_delay_alu instid0(VALU_DEP_1) | instskip(SKIP_1) | instid1(SALU_CYCLE_1)
	v_cmp_eq_u16_e64 s3, 0, v34
	s_or_b32 s6, s3, s6
	s_and_not1_b32 exec_lo, exec_lo, s6
	s_cbranch_execnz .LBB1_114
; %bb.115:
	s_or_b32 exec_lo, exec_lo, s6
	v_mov_b32_e32 v33, v6
.LBB1_116:
	s_or_b32 exec_lo, exec_lo, s5
	s_delay_alu instid0(VALU_DEP_1)
	v_perm_b32 v1, v33, v1, 0x3020104
.LBB1_117:
	s_or_b32 exec_lo, exec_lo, s4
	v_or_b32_e32 v6, 0x500, v0
	s_delay_alu instid0(VALU_DEP_1)
	v_cmp_gt_i32_e64 s3, s13, v6
	s_and_saveexec_b32 s5, s3
	s_cbranch_execz .LBB1_122
; %bb.118:
	v_and_b32_e32 v6, 0xff, v32
	s_mov_b32 s7, 0
	s_mov_b32 s6, exec_lo
	s_delay_alu instid0(VALU_DEP_1)
	v_cmpx_ne_u16_e32 0, v6
	s_cbranch_execz .LBB1_121
.LBB1_119:                              ; =>This Inner Loop Header: Depth=1
	v_cvt_f32_ubyte0_e32 v9, v31
	v_mov_b32_e32 v6, v32
	s_delay_alu instid0(VALU_DEP_1) | instskip(NEXT) | instid1(VALU_DEP_1)
	v_cvt_f32_ubyte0_e32 v7, v6
	v_rcp_iflag_f32_e32 v8, v7
	v_nop
	s_delay_alu instid0(TRANS32_DEP_1) | instskip(NEXT) | instid1(VALU_DEP_1)
	v_mul_f32_e32 v8, v9, v8
	v_trunc_f32_e32 v8, v8
	s_delay_alu instid0(VALU_DEP_1) | instskip(SKIP_1) | instid1(VALU_DEP_2)
	v_fma_f32 v9, -v8, v7, v9
	v_cvt_u32_f32_e32 v8, v8
	v_cmp_ge_f32_e64 s4, |v9|, v7
	s_delay_alu instid0(VALU_DEP_1) | instskip(NEXT) | instid1(VALU_DEP_1)
	v_add_co_ci_u32_e64 v7, null, 0, v8, s4
	v_mul_lo_u32 v7, v7, v6
	s_delay_alu instid0(VALU_DEP_1) | instskip(NEXT) | instid1(VALU_DEP_1)
	v_dual_sub_nc_u32 v7, v31, v7 :: v_dual_mov_b32 v31, v6
	v_and_b32_e32 v32, 0xff, v7
	s_delay_alu instid0(VALU_DEP_1) | instskip(SKIP_1) | instid1(SALU_CYCLE_1)
	v_cmp_eq_u16_e64 s4, 0, v32
	s_or_b32 s7, s4, s7
	s_and_not1_b32 exec_lo, exec_lo, s7
	s_cbranch_execnz .LBB1_119
; %bb.120:
	s_or_b32 exec_lo, exec_lo, s7
	v_mov_b32_e32 v31, v6
.LBB1_121:
	s_or_b32 exec_lo, exec_lo, s6
	s_delay_alu instid0(VALU_DEP_1)
	v_perm_b32 v1, v1, v31, 0x7060004
.LBB1_122:
	s_or_b32 exec_lo, exec_lo, s5
	v_or_b32_e32 v6, 0x600, v0
	s_delay_alu instid0(VALU_DEP_1)
	v_cmp_gt_i32_e64 s4, s13, v6
	s_and_saveexec_b32 s6, s4
	;; [unrolled: 46-line block ×3, first 2 shown]
	s_cbranch_execz .LBB1_132
; %bb.128:
	v_and_b32_e32 v6, 0xff, v28
	s_mov_b32 s9, 0
	s_mov_b32 s8, exec_lo
	s_delay_alu instid0(VALU_DEP_1)
	v_cmpx_ne_u16_e32 0, v6
	s_cbranch_execz .LBB1_131
.LBB1_129:                              ; =>This Inner Loop Header: Depth=1
	v_cvt_f32_ubyte0_e32 v9, v27
	v_mov_b32_e32 v6, v28
	s_delay_alu instid0(VALU_DEP_1) | instskip(NEXT) | instid1(VALU_DEP_1)
	v_cvt_f32_ubyte0_e32 v7, v6
	v_rcp_iflag_f32_e32 v8, v7
	v_nop
	s_delay_alu instid0(TRANS32_DEP_1) | instskip(NEXT) | instid1(VALU_DEP_1)
	v_mul_f32_e32 v8, v9, v8
	v_trunc_f32_e32 v8, v8
	s_delay_alu instid0(VALU_DEP_1) | instskip(SKIP_1) | instid1(VALU_DEP_2)
	v_fma_f32 v9, -v8, v7, v9
	v_cvt_u32_f32_e32 v8, v8
	v_cmp_ge_f32_e64 s6, |v9|, v7
	s_delay_alu instid0(VALU_DEP_1) | instskip(NEXT) | instid1(VALU_DEP_1)
	v_add_co_ci_u32_e64 v7, null, 0, v8, s6
	v_mul_lo_u32 v7, v7, v6
	s_delay_alu instid0(VALU_DEP_1) | instskip(NEXT) | instid1(VALU_DEP_1)
	v_dual_sub_nc_u32 v7, v27, v7 :: v_dual_mov_b32 v27, v6
	v_and_b32_e32 v28, 0xff, v7
	s_delay_alu instid0(VALU_DEP_1) | instskip(SKIP_1) | instid1(SALU_CYCLE_1)
	v_cmp_eq_u16_e64 s6, 0, v28
	s_or_b32 s9, s6, s9
	s_and_not1_b32 exec_lo, exec_lo, s9
	s_cbranch_execnz .LBB1_129
; %bb.130:
	s_or_b32 exec_lo, exec_lo, s9
	v_mov_b32_e32 v27, v6
.LBB1_131:
	s_or_b32 exec_lo, exec_lo, s8
	s_delay_alu instid0(VALU_DEP_1)
	v_perm_b32 v1, v1, v27, 0x60504
.LBB1_132:
	s_or_b32 exec_lo, exec_lo, s7
	v_or_b32_e32 v8, 0x800, v0
	s_mov_b32 s7, exec_lo
	s_delay_alu instid0(VALU_DEP_1)
	v_cmpx_gt_i32_e64 s13, v8
	s_cbranch_execz .LBB1_137
; %bb.133:
	v_and_b32_e32 v6, 0xff, v26
	s_mov_b32 s9, 0
	s_mov_b32 s8, exec_lo
	s_delay_alu instid0(VALU_DEP_1)
	v_cmpx_ne_u16_e32 0, v6
	s_cbranch_execz .LBB1_136
.LBB1_134:                              ; =>This Inner Loop Header: Depth=1
	v_mov_b32_e32 v6, v26
	v_cvt_f32_ubyte0_e32 v26, v25
	s_delay_alu instid0(VALU_DEP_2) | instskip(NEXT) | instid1(VALU_DEP_1)
	v_cvt_f32_ubyte0_e32 v7, v6
	v_rcp_iflag_f32_e32 v9, v7
	v_nop
	s_delay_alu instid0(TRANS32_DEP_1) | instskip(NEXT) | instid1(VALU_DEP_1)
	v_mul_f32_e32 v9, v26, v9
	v_trunc_f32_e32 v9, v9
	s_delay_alu instid0(VALU_DEP_1) | instskip(SKIP_1) | instid1(VALU_DEP_2)
	v_fma_f32 v26, -v9, v7, v26
	v_cvt_u32_f32_e32 v9, v9
	v_cmp_ge_f32_e64 s6, |v26|, v7
	s_delay_alu instid0(VALU_DEP_1) | instskip(NEXT) | instid1(VALU_DEP_1)
	v_add_co_ci_u32_e64 v7, null, 0, v9, s6
	v_mul_lo_u32 v7, v7, v6
	s_delay_alu instid0(VALU_DEP_1) | instskip(NEXT) | instid1(VALU_DEP_1)
	v_dual_sub_nc_u32 v7, v25, v7 :: v_dual_mov_b32 v25, v6
	v_and_b32_e32 v26, 0xff, v7
	s_delay_alu instid0(VALU_DEP_1) | instskip(SKIP_1) | instid1(SALU_CYCLE_1)
	v_cmp_eq_u16_e64 s6, 0, v26
	s_or_b32 s9, s6, s9
	s_and_not1_b32 exec_lo, exec_lo, s9
	s_cbranch_execnz .LBB1_134
; %bb.135:
	s_or_b32 exec_lo, exec_lo, s9
	v_mov_b32_e32 v25, v6
.LBB1_136:
	s_or_b32 exec_lo, exec_lo, s8
	s_delay_alu instid0(VALU_DEP_1)
	v_perm_b32 v4, v25, v4, 0x3020104
.LBB1_137:
	s_or_b32 exec_lo, exec_lo, s7
	v_or_b32_e32 v6, 0x900, v0
	s_delay_alu instid0(VALU_DEP_1)
	v_cmp_gt_i32_e64 s6, s13, v6
	s_and_saveexec_b32 s8, s6
	s_cbranch_execz .LBB1_142
; %bb.138:
	v_and_b32_e32 v6, 0xff, v24
	s_mov_b32 s10, 0
	s_mov_b32 s9, exec_lo
	s_delay_alu instid0(VALU_DEP_1)
	v_cmpx_ne_u16_e32 0, v6
	s_cbranch_execz .LBB1_141
.LBB1_139:                              ; =>This Inner Loop Header: Depth=1
	v_mov_b32_e32 v6, v24
	v_cvt_f32_ubyte0_e32 v24, v23
	s_delay_alu instid0(VALU_DEP_2) | instskip(NEXT) | instid1(VALU_DEP_1)
	v_cvt_f32_ubyte0_e32 v7, v6
	v_rcp_iflag_f32_e32 v9, v7
	v_nop
	s_delay_alu instid0(TRANS32_DEP_1) | instskip(NEXT) | instid1(VALU_DEP_1)
	v_mul_f32_e32 v9, v24, v9
	v_trunc_f32_e32 v9, v9
	s_delay_alu instid0(VALU_DEP_1) | instskip(SKIP_1) | instid1(VALU_DEP_2)
	v_fma_f32 v24, -v9, v7, v24
	v_cvt_u32_f32_e32 v9, v9
	v_cmp_ge_f32_e64 s7, |v24|, v7
	s_delay_alu instid0(VALU_DEP_1) | instskip(NEXT) | instid1(VALU_DEP_1)
	v_add_co_ci_u32_e64 v7, null, 0, v9, s7
	v_mul_lo_u32 v7, v7, v6
	s_delay_alu instid0(VALU_DEP_1) | instskip(NEXT) | instid1(VALU_DEP_1)
	v_dual_sub_nc_u32 v7, v23, v7 :: v_dual_mov_b32 v23, v6
	v_and_b32_e32 v24, 0xff, v7
	s_delay_alu instid0(VALU_DEP_1) | instskip(SKIP_1) | instid1(SALU_CYCLE_1)
	v_cmp_eq_u16_e64 s7, 0, v24
	s_or_b32 s10, s7, s10
	s_and_not1_b32 exec_lo, exec_lo, s10
	s_cbranch_execnz .LBB1_139
; %bb.140:
	s_or_b32 exec_lo, exec_lo, s10
	v_mov_b32_e32 v23, v6
.LBB1_141:
	s_or_b32 exec_lo, exec_lo, s9
	s_delay_alu instid0(VALU_DEP_1)
	v_perm_b32 v4, v4, v23, 0x7060004
.LBB1_142:
	s_or_b32 exec_lo, exec_lo, s8
	v_or_b32_e32 v6, 0xa00, v0
	s_delay_alu instid0(VALU_DEP_1)
	v_cmp_gt_i32_e64 s7, s13, v6
	s_and_saveexec_b32 s9, s7
	;; [unrolled: 46-line block ×3, first 2 shown]
	s_cbranch_execz .LBB1_152
; %bb.148:
	v_and_b32_e32 v6, 0xff, v20
	s_mov_b32 s12, 0
	s_mov_b32 s11, exec_lo
	s_delay_alu instid0(VALU_DEP_1)
	v_cmpx_ne_u16_e32 0, v6
	s_cbranch_execz .LBB1_151
.LBB1_149:                              ; =>This Inner Loop Header: Depth=1
	v_mov_b32_e32 v6, v20
	v_cvt_f32_ubyte0_e32 v20, v19
	s_delay_alu instid0(VALU_DEP_2) | instskip(NEXT) | instid1(VALU_DEP_1)
	v_cvt_f32_ubyte0_e32 v7, v6
	v_rcp_iflag_f32_e32 v9, v7
	v_nop
	s_delay_alu instid0(TRANS32_DEP_1) | instskip(NEXT) | instid1(VALU_DEP_1)
	v_mul_f32_e32 v9, v20, v9
	v_trunc_f32_e32 v9, v9
	s_delay_alu instid0(VALU_DEP_1) | instskip(SKIP_1) | instid1(VALU_DEP_2)
	v_fma_f32 v20, -v9, v7, v20
	v_cvt_u32_f32_e32 v9, v9
	v_cmp_ge_f32_e64 s9, |v20|, v7
	s_delay_alu instid0(VALU_DEP_1) | instskip(NEXT) | instid1(VALU_DEP_1)
	v_add_co_ci_u32_e64 v7, null, 0, v9, s9
	v_mul_lo_u32 v7, v7, v6
	s_delay_alu instid0(VALU_DEP_1) | instskip(NEXT) | instid1(VALU_DEP_1)
	v_dual_sub_nc_u32 v7, v19, v7 :: v_dual_mov_b32 v19, v6
	v_and_b32_e32 v20, 0xff, v7
	s_delay_alu instid0(VALU_DEP_1) | instskip(SKIP_1) | instid1(SALU_CYCLE_1)
	v_cmp_eq_u16_e64 s9, 0, v20
	s_or_b32 s12, s9, s12
	s_and_not1_b32 exec_lo, exec_lo, s12
	s_cbranch_execnz .LBB1_149
; %bb.150:
	s_or_b32 exec_lo, exec_lo, s12
	v_mov_b32_e32 v19, v6
.LBB1_151:
	s_or_b32 exec_lo, exec_lo, s11
	s_delay_alu instid0(VALU_DEP_1)
	v_perm_b32 v4, v4, v19, 0x60504
.LBB1_152:
	s_or_b32 exec_lo, exec_lo, s10
	v_or_b32_e32 v9, 0xc00, v0
	s_mov_b32 s10, exec_lo
	s_delay_alu instid0(VALU_DEP_1)
	v_cmpx_gt_i32_e64 s13, v9
	s_cbranch_execz .LBB1_157
; %bb.153:
	v_and_b32_e32 v6, 0xff, v18
	s_mov_b32 s12, 0
	s_mov_b32 s11, exec_lo
	s_delay_alu instid0(VALU_DEP_1)
	v_cmpx_ne_u16_e32 0, v6
	s_cbranch_execz .LBB1_156
.LBB1_154:                              ; =>This Inner Loop Header: Depth=1
	v_cvt_f32_ubyte0_e32 v19, v17
	v_mov_b32_e32 v6, v18
	s_delay_alu instid0(VALU_DEP_1) | instskip(NEXT) | instid1(VALU_DEP_1)
	v_cvt_f32_ubyte0_e32 v7, v6
	v_rcp_iflag_f32_e32 v18, v7
	v_nop
	s_delay_alu instid0(TRANS32_DEP_1) | instskip(NEXT) | instid1(VALU_DEP_1)
	v_mul_f32_e32 v18, v19, v18
	v_trunc_f32_e32 v18, v18
	s_delay_alu instid0(VALU_DEP_1) | instskip(SKIP_1) | instid1(VALU_DEP_2)
	v_fma_f32 v19, -v18, v7, v19
	v_cvt_u32_f32_e32 v18, v18
	v_cmp_ge_f32_e64 s9, |v19|, v7
	s_delay_alu instid0(VALU_DEP_1) | instskip(NEXT) | instid1(VALU_DEP_1)
	v_add_co_ci_u32_e64 v7, null, 0, v18, s9
	v_mul_lo_u32 v7, v7, v6
	s_delay_alu instid0(VALU_DEP_1) | instskip(NEXT) | instid1(VALU_DEP_1)
	v_dual_sub_nc_u32 v7, v17, v7 :: v_dual_mov_b32 v17, v6
	v_and_b32_e32 v18, 0xff, v7
	s_delay_alu instid0(VALU_DEP_1) | instskip(SKIP_1) | instid1(SALU_CYCLE_1)
	v_cmp_eq_u16_e64 s9, 0, v18
	s_or_b32 s12, s9, s12
	s_and_not1_b32 exec_lo, exec_lo, s12
	s_cbranch_execnz .LBB1_154
; %bb.155:
	s_or_b32 exec_lo, exec_lo, s12
	v_mov_b32_e32 v17, v6
.LBB1_156:
	s_or_b32 exec_lo, exec_lo, s11
	s_delay_alu instid0(VALU_DEP_1)
	v_perm_b32 v3, v17, v3, 0x3020104
.LBB1_157:
	s_or_b32 exec_lo, exec_lo, s10
	v_or_b32_e32 v6, 0xd00, v0
	s_delay_alu instid0(VALU_DEP_1)
	v_cmp_gt_i32_e64 s9, s13, v6
	s_and_saveexec_b32 s11, s9
	s_cbranch_execz .LBB1_162
; %bb.158:
	v_and_b32_e32 v6, 0xff, v16
	s_mov_b32 s15, 0
	s_mov_b32 s12, exec_lo
	s_delay_alu instid0(VALU_DEP_1)
	v_cmpx_ne_u16_e32 0, v6
	s_cbranch_execz .LBB1_161
.LBB1_159:                              ; =>This Inner Loop Header: Depth=1
	v_cvt_f32_ubyte0_e32 v17, v15
	v_mov_b32_e32 v6, v16
	s_delay_alu instid0(VALU_DEP_1) | instskip(NEXT) | instid1(VALU_DEP_1)
	v_cvt_f32_ubyte0_e32 v7, v6
	v_rcp_iflag_f32_e32 v16, v7
	v_nop
	s_delay_alu instid0(TRANS32_DEP_1) | instskip(NEXT) | instid1(VALU_DEP_1)
	v_mul_f32_e32 v16, v17, v16
	v_trunc_f32_e32 v16, v16
	s_delay_alu instid0(VALU_DEP_1) | instskip(SKIP_1) | instid1(VALU_DEP_2)
	v_fma_f32 v17, -v16, v7, v17
	v_cvt_u32_f32_e32 v16, v16
	v_cmp_ge_f32_e64 s10, |v17|, v7
	s_delay_alu instid0(VALU_DEP_1) | instskip(NEXT) | instid1(VALU_DEP_1)
	v_add_co_ci_u32_e64 v7, null, 0, v16, s10
	v_mul_lo_u32 v7, v7, v6
	s_delay_alu instid0(VALU_DEP_1) | instskip(NEXT) | instid1(VALU_DEP_1)
	v_dual_sub_nc_u32 v7, v15, v7 :: v_dual_mov_b32 v15, v6
	v_and_b32_e32 v16, 0xff, v7
	s_delay_alu instid0(VALU_DEP_1) | instskip(SKIP_1) | instid1(SALU_CYCLE_1)
	v_cmp_eq_u16_e64 s10, 0, v16
	s_or_b32 s15, s10, s15
	s_and_not1_b32 exec_lo, exec_lo, s15
	s_cbranch_execnz .LBB1_159
; %bb.160:
	s_or_b32 exec_lo, exec_lo, s15
	v_mov_b32_e32 v15, v6
.LBB1_161:
	s_or_b32 exec_lo, exec_lo, s12
	s_delay_alu instid0(VALU_DEP_1)
	v_perm_b32 v3, v3, v15, 0x7060004
.LBB1_162:
	s_or_b32 exec_lo, exec_lo, s11
	v_or_b32_e32 v6, 0xe00, v0
	s_delay_alu instid0(VALU_DEP_1)
	v_cmp_gt_i32_e64 s10, s13, v6
	s_and_saveexec_b32 s12, s10
	;; [unrolled: 46-line block ×3, first 2 shown]
	s_cbranch_execz .LBB1_172
; %bb.168:
	v_and_b32_e32 v6, 0xff, v12
	s_mov_b32 s19, 0
	s_mov_b32 s18, exec_lo
	s_delay_alu instid0(VALU_DEP_1)
	v_cmpx_ne_u16_e32 0, v6
	s_cbranch_execz .LBB1_171
.LBB1_169:                              ; =>This Inner Loop Header: Depth=1
	v_cvt_f32_ubyte0_e32 v13, v11
	v_mov_b32_e32 v6, v12
	s_delay_alu instid0(VALU_DEP_1) | instskip(NEXT) | instid1(VALU_DEP_1)
	v_cvt_f32_ubyte0_e32 v7, v6
	v_rcp_iflag_f32_e32 v12, v7
	v_nop
	s_delay_alu instid0(TRANS32_DEP_1) | instskip(NEXT) | instid1(VALU_DEP_1)
	v_mul_f32_e32 v12, v13, v12
	v_trunc_f32_e32 v12, v12
	s_delay_alu instid0(VALU_DEP_1) | instskip(SKIP_1) | instid1(VALU_DEP_2)
	v_fma_f32 v13, -v12, v7, v13
	v_cvt_u32_f32_e32 v12, v12
	v_cmp_ge_f32_e64 s12, |v13|, v7
	s_delay_alu instid0(VALU_DEP_1) | instskip(NEXT) | instid1(VALU_DEP_1)
	v_add_co_ci_u32_e64 v7, null, 0, v12, s12
	v_mul_lo_u32 v7, v7, v6
	s_delay_alu instid0(VALU_DEP_1) | instskip(NEXT) | instid1(VALU_DEP_1)
	v_dual_sub_nc_u32 v7, v11, v7 :: v_dual_mov_b32 v11, v6
	v_and_b32_e32 v12, 0xff, v7
	s_delay_alu instid0(VALU_DEP_1) | instskip(SKIP_1) | instid1(SALU_CYCLE_1)
	v_cmp_eq_u16_e64 s12, 0, v12
	s_or_b32 s19, s12, s19
	s_and_not1_b32 exec_lo, exec_lo, s19
	s_cbranch_execnz .LBB1_169
; %bb.170:
	s_or_b32 exec_lo, exec_lo, s19
	v_mov_b32_e32 v11, v6
.LBB1_171:
	s_or_b32 exec_lo, exec_lo, s18
	s_delay_alu instid0(VALU_DEP_1)
	v_perm_b32 v3, v3, v11, 0x60504
.LBB1_172:
	s_or_b32 exec_lo, exec_lo, s15
	s_and_saveexec_b32 s12, vcc_lo
	s_cbranch_execz .LBB1_189
; %bb.173:
	global_store_b8 v10, v2, s[16:17]
	s_wait_xcnt 0x0
	s_and_b32 exec_lo, exec_lo, s0
	s_cbranch_execz .LBB1_189
; %bb.174:
	v_dual_lshrrev_b32 v7, 8, v2 :: v_dual_add_nc_u32 v6, s14, v0
	global_store_b8 v6, v7, s[16:17] offset:256
	s_wait_xcnt 0x0
	s_and_b32 exec_lo, exec_lo, s1
	s_cbranch_execz .LBB1_189
; %bb.175:
	v_mov_b32_e32 v7, 0
	s_delay_alu instid0(VALU_DEP_1)
	v_add_nc_u64_e32 v[6:7], s[16:17], v[6:7]
	global_store_d16_hi_b8 v[6:7], v2, off offset:512
	s_wait_xcnt 0x0
	s_and_b32 exec_lo, exec_lo, s2
	s_cbranch_execz .LBB1_189
; %bb.176:
	v_lshrrev_b32_e32 v0, 24, v2
	v_cmp_gt_u32_e32 vcc_lo, s13, v5
	global_store_b8 v[6:7], v0, off offset:768
	s_wait_xcnt 0x0
	s_and_b32 exec_lo, exec_lo, vcc_lo
	s_cbranch_execz .LBB1_189
; %bb.177:
	global_store_b8 v[6:7], v1, off offset:1024
	s_wait_xcnt 0x0
	s_and_b32 exec_lo, exec_lo, s3
	s_cbranch_execz .LBB1_189
; %bb.178:
	v_lshrrev_b32_e32 v0, 8, v1
	global_store_b8 v[6:7], v0, off offset:1280
	s_wait_xcnt 0x0
	s_and_b32 exec_lo, exec_lo, s4
	s_cbranch_execz .LBB1_189
; %bb.179:
	global_store_d16_hi_b8 v[6:7], v1, off offset:1536
	s_wait_xcnt 0x0
	s_and_b32 exec_lo, exec_lo, s5
	s_cbranch_execz .LBB1_189
; %bb.180:
	v_lshrrev_b32_e32 v0, 24, v1
	v_cmp_gt_u32_e32 vcc_lo, s13, v8
	global_store_b8 v[6:7], v0, off offset:1792
	s_wait_xcnt 0x0
	s_and_b32 exec_lo, exec_lo, vcc_lo
	s_cbranch_execz .LBB1_189
; %bb.181:
	global_store_b8 v[6:7], v4, off offset:2048
	s_wait_xcnt 0x0
	s_and_b32 exec_lo, exec_lo, s6
	s_cbranch_execz .LBB1_189
; %bb.182:
	v_lshrrev_b32_e32 v0, 8, v4
	global_store_b8 v[6:7], v0, off offset:2304
	s_wait_xcnt 0x0
	s_and_b32 exec_lo, exec_lo, s7
	s_cbranch_execz .LBB1_189
; %bb.183:
	;; [unrolled: 23-line block ×3, first 2 shown]
	global_store_d16_hi_b8 v[6:7], v3, off offset:3584
	s_wait_xcnt 0x0
	s_and_b32 exec_lo, exec_lo, s11
	s_cbranch_execz .LBB1_189
; %bb.188:
	v_lshrrev_b32_e32 v0, 24, v3
	global_store_b8 v[6:7], v0, off offset:3840
.LBB1_189:
	s_endpgm
	.section	.rodata,"a",@progbits
	.p2align	6, 0x0
	.amdhsa_kernel _ZN2at6native29vectorized_elementwise_kernelILi8EZZZNS0_15gcd_kernel_cudaERNS_18TensorIteratorBaseEENKUlvE_clEvENKUlvE_clEvEUlhhE_St5arrayIPcLm3EEEEviT0_T1_
		.amdhsa_group_segment_fixed_size 0
		.amdhsa_private_segment_fixed_size 0
		.amdhsa_kernarg_size 32
		.amdhsa_user_sgpr_count 2
		.amdhsa_user_sgpr_dispatch_ptr 0
		.amdhsa_user_sgpr_queue_ptr 0
		.amdhsa_user_sgpr_kernarg_segment_ptr 1
		.amdhsa_user_sgpr_dispatch_id 0
		.amdhsa_user_sgpr_kernarg_preload_length 0
		.amdhsa_user_sgpr_kernarg_preload_offset 0
		.amdhsa_user_sgpr_private_segment_size 0
		.amdhsa_wavefront_size32 1
		.amdhsa_uses_dynamic_stack 0
		.amdhsa_enable_private_segment 0
		.amdhsa_system_sgpr_workgroup_id_x 1
		.amdhsa_system_sgpr_workgroup_id_y 0
		.amdhsa_system_sgpr_workgroup_id_z 0
		.amdhsa_system_sgpr_workgroup_info 0
		.amdhsa_system_vgpr_workitem_id 0
		.amdhsa_next_free_vgpr 42
		.amdhsa_next_free_sgpr 21
		.amdhsa_named_barrier_count 0
		.amdhsa_reserve_vcc 1
		.amdhsa_float_round_mode_32 0
		.amdhsa_float_round_mode_16_64 0
		.amdhsa_float_denorm_mode_32 3
		.amdhsa_float_denorm_mode_16_64 3
		.amdhsa_fp16_overflow 0
		.amdhsa_memory_ordered 1
		.amdhsa_forward_progress 1
		.amdhsa_inst_pref_size 72
		.amdhsa_round_robin_scheduling 0
		.amdhsa_exception_fp_ieee_invalid_op 0
		.amdhsa_exception_fp_denorm_src 0
		.amdhsa_exception_fp_ieee_div_zero 0
		.amdhsa_exception_fp_ieee_overflow 0
		.amdhsa_exception_fp_ieee_underflow 0
		.amdhsa_exception_fp_ieee_inexact 0
		.amdhsa_exception_int_div_zero 0
	.end_amdhsa_kernel
	.section	.text._ZN2at6native29vectorized_elementwise_kernelILi8EZZZNS0_15gcd_kernel_cudaERNS_18TensorIteratorBaseEENKUlvE_clEvENKUlvE_clEvEUlhhE_St5arrayIPcLm3EEEEviT0_T1_,"axG",@progbits,_ZN2at6native29vectorized_elementwise_kernelILi8EZZZNS0_15gcd_kernel_cudaERNS_18TensorIteratorBaseEENKUlvE_clEvENKUlvE_clEvEUlhhE_St5arrayIPcLm3EEEEviT0_T1_,comdat
.Lfunc_end1:
	.size	_ZN2at6native29vectorized_elementwise_kernelILi8EZZZNS0_15gcd_kernel_cudaERNS_18TensorIteratorBaseEENKUlvE_clEvENKUlvE_clEvEUlhhE_St5arrayIPcLm3EEEEviT0_T1_, .Lfunc_end1-_ZN2at6native29vectorized_elementwise_kernelILi8EZZZNS0_15gcd_kernel_cudaERNS_18TensorIteratorBaseEENKUlvE_clEvENKUlvE_clEvEUlhhE_St5arrayIPcLm3EEEEviT0_T1_
                                        ; -- End function
	.set _ZN2at6native29vectorized_elementwise_kernelILi8EZZZNS0_15gcd_kernel_cudaERNS_18TensorIteratorBaseEENKUlvE_clEvENKUlvE_clEvEUlhhE_St5arrayIPcLm3EEEEviT0_T1_.num_vgpr, 42
	.set _ZN2at6native29vectorized_elementwise_kernelILi8EZZZNS0_15gcd_kernel_cudaERNS_18TensorIteratorBaseEENKUlvE_clEvENKUlvE_clEvEUlhhE_St5arrayIPcLm3EEEEviT0_T1_.num_agpr, 0
	.set _ZN2at6native29vectorized_elementwise_kernelILi8EZZZNS0_15gcd_kernel_cudaERNS_18TensorIteratorBaseEENKUlvE_clEvENKUlvE_clEvEUlhhE_St5arrayIPcLm3EEEEviT0_T1_.numbered_sgpr, 21
	.set _ZN2at6native29vectorized_elementwise_kernelILi8EZZZNS0_15gcd_kernel_cudaERNS_18TensorIteratorBaseEENKUlvE_clEvENKUlvE_clEvEUlhhE_St5arrayIPcLm3EEEEviT0_T1_.num_named_barrier, 0
	.set _ZN2at6native29vectorized_elementwise_kernelILi8EZZZNS0_15gcd_kernel_cudaERNS_18TensorIteratorBaseEENKUlvE_clEvENKUlvE_clEvEUlhhE_St5arrayIPcLm3EEEEviT0_T1_.private_seg_size, 0
	.set _ZN2at6native29vectorized_elementwise_kernelILi8EZZZNS0_15gcd_kernel_cudaERNS_18TensorIteratorBaseEENKUlvE_clEvENKUlvE_clEvEUlhhE_St5arrayIPcLm3EEEEviT0_T1_.uses_vcc, 1
	.set _ZN2at6native29vectorized_elementwise_kernelILi8EZZZNS0_15gcd_kernel_cudaERNS_18TensorIteratorBaseEENKUlvE_clEvENKUlvE_clEvEUlhhE_St5arrayIPcLm3EEEEviT0_T1_.uses_flat_scratch, 0
	.set _ZN2at6native29vectorized_elementwise_kernelILi8EZZZNS0_15gcd_kernel_cudaERNS_18TensorIteratorBaseEENKUlvE_clEvENKUlvE_clEvEUlhhE_St5arrayIPcLm3EEEEviT0_T1_.has_dyn_sized_stack, 0
	.set _ZN2at6native29vectorized_elementwise_kernelILi8EZZZNS0_15gcd_kernel_cudaERNS_18TensorIteratorBaseEENKUlvE_clEvENKUlvE_clEvEUlhhE_St5arrayIPcLm3EEEEviT0_T1_.has_recursion, 0
	.set _ZN2at6native29vectorized_elementwise_kernelILi8EZZZNS0_15gcd_kernel_cudaERNS_18TensorIteratorBaseEENKUlvE_clEvENKUlvE_clEvEUlhhE_St5arrayIPcLm3EEEEviT0_T1_.has_indirect_call, 0
	.section	.AMDGPU.csdata,"",@progbits
; Kernel info:
; codeLenInByte = 9128
; TotalNumSgprs: 23
; NumVgprs: 42
; ScratchSize: 0
; MemoryBound: 0
; FloatMode: 240
; IeeeMode: 1
; LDSByteSize: 0 bytes/workgroup (compile time only)
; SGPRBlocks: 0
; VGPRBlocks: 2
; NumSGPRsForWavesPerEU: 23
; NumVGPRsForWavesPerEU: 42
; NamedBarCnt: 0
; Occupancy: 16
; WaveLimiterHint : 1
; COMPUTE_PGM_RSRC2:SCRATCH_EN: 0
; COMPUTE_PGM_RSRC2:USER_SGPR: 2
; COMPUTE_PGM_RSRC2:TRAP_HANDLER: 0
; COMPUTE_PGM_RSRC2:TGID_X_EN: 1
; COMPUTE_PGM_RSRC2:TGID_Y_EN: 0
; COMPUTE_PGM_RSRC2:TGID_Z_EN: 0
; COMPUTE_PGM_RSRC2:TIDIG_COMP_CNT: 0
	.section	.text._ZN2at6native29vectorized_elementwise_kernelILi4EZZZNS0_15gcd_kernel_cudaERNS_18TensorIteratorBaseEENKUlvE_clEvENKUlvE_clEvEUlhhE_St5arrayIPcLm3EEEEviT0_T1_,"axG",@progbits,_ZN2at6native29vectorized_elementwise_kernelILi4EZZZNS0_15gcd_kernel_cudaERNS_18TensorIteratorBaseEENKUlvE_clEvENKUlvE_clEvEUlhhE_St5arrayIPcLm3EEEEviT0_T1_,comdat
	.globl	_ZN2at6native29vectorized_elementwise_kernelILi4EZZZNS0_15gcd_kernel_cudaERNS_18TensorIteratorBaseEENKUlvE_clEvENKUlvE_clEvEUlhhE_St5arrayIPcLm3EEEEviT0_T1_ ; -- Begin function _ZN2at6native29vectorized_elementwise_kernelILi4EZZZNS0_15gcd_kernel_cudaERNS_18TensorIteratorBaseEENKUlvE_clEvENKUlvE_clEvEUlhhE_St5arrayIPcLm3EEEEviT0_T1_
	.p2align	8
	.type	_ZN2at6native29vectorized_elementwise_kernelILi4EZZZNS0_15gcd_kernel_cudaERNS_18TensorIteratorBaseEENKUlvE_clEvENKUlvE_clEvEUlhhE_St5arrayIPcLm3EEEEviT0_T1_,@function
_ZN2at6native29vectorized_elementwise_kernelILi4EZZZNS0_15gcd_kernel_cudaERNS_18TensorIteratorBaseEENKUlvE_clEvENKUlvE_clEvEUlhhE_St5arrayIPcLm3EEEEviT0_T1_: ; @_ZN2at6native29vectorized_elementwise_kernelILi4EZZZNS0_15gcd_kernel_cudaERNS_18TensorIteratorBaseEENKUlvE_clEvENKUlvE_clEvEUlhhE_St5arrayIPcLm3EEEEviT0_T1_
; %bb.0:
	s_clause 0x2
	s_load_b32 s4, s[0:1], 0x0
	s_load_b128 s[16:19], s[0:1], 0x8
	s_load_b64 s[2:3], s[0:1], 0x18
	s_wait_xcnt 0x0
	s_bfe_u32 s0, ttmp6, 0x4000c
	s_and_b32 s1, ttmp6, 15
	s_add_co_i32 s0, s0, 1
	s_getreg_b32 s5, hwreg(HW_REG_IB_STS2, 6, 4)
	s_mul_i32 s0, ttmp9, s0
	s_delay_alu instid0(SALU_CYCLE_1) | instskip(SKIP_2) | instid1(SALU_CYCLE_1)
	s_add_co_i32 s1, s1, s0
	s_cmp_eq_u32 s5, 0
	s_cselect_b32 s0, ttmp9, s1
	s_lshl_b32 s14, s0, 12
	s_mov_b32 s0, -1
	s_wait_kmcnt 0x0
	s_sub_co_i32 s13, s4, s14
	s_delay_alu instid0(SALU_CYCLE_1)
	s_cmp_gt_i32 s13, 0xfff
	s_cbranch_scc0 .LBB2_58
; %bb.1:
	s_ashr_i32 s15, s14, 31
	s_delay_alu instid0(SALU_CYCLE_1)
	s_add_nc_u64 s[0:1], s[18:19], s[14:15]
	s_add_nc_u64 s[4:5], s[2:3], s[14:15]
	s_clause 0x7
	global_load_b32 v7, v0, s[0:1] scale_offset
	global_load_b32 v13, v0, s[0:1] offset:1024 scale_offset
	global_load_b32 v6, v0, s[4:5] scale_offset
	global_load_b32 v8, v0, s[0:1] offset:2048 scale_offset
	global_load_b32 v2, v0, s[0:1] offset:3072 scale_offset
	;; [unrolled: 1-line block ×5, first 2 shown]
	s_wait_loadcnt 0x7
	v_and_b32_e32 v1, 0xff, v7
	s_delay_alu instid0(VALU_DEP_1)
	v_cmp_ne_u16_e32 vcc_lo, 0, v1
	s_wait_loadcnt 0x5
	v_mov_b32_e32 v1, v6
	s_wait_xcnt 0x0
	s_and_saveexec_b32 s0, vcc_lo
	s_cbranch_execz .LBB2_5
; %bb.2:
	v_dual_mov_b32 v5, v7 :: v_dual_mov_b32 v4, v6
	s_mov_b32 s1, 0
.LBB2_3:                                ; =>This Inner Loop Header: Depth=1
	s_delay_alu instid0(VALU_DEP_1) | instskip(NEXT) | instid1(VALU_DEP_2)
	v_cvt_f32_ubyte0_e32 v11, v4
	v_mov_b32_e32 v1, v5
	s_delay_alu instid0(VALU_DEP_1) | instskip(NEXT) | instid1(VALU_DEP_1)
	v_cvt_f32_ubyte0_e32 v5, v1
	v_rcp_iflag_f32_e32 v10, v5
	v_nop
	s_delay_alu instid0(TRANS32_DEP_1) | instskip(NEXT) | instid1(VALU_DEP_1)
	v_mul_f32_e32 v10, v11, v10
	v_trunc_f32_e32 v10, v10
	s_delay_alu instid0(VALU_DEP_1) | instskip(SKIP_1) | instid1(VALU_DEP_2)
	v_fma_f32 v11, -v10, v5, v11
	v_cvt_u32_f32_e32 v10, v10
	v_cmp_ge_f32_e64 vcc_lo, |v11|, v5
	s_delay_alu instid0(VALU_DEP_1) | instskip(NEXT) | instid1(VALU_DEP_1)
	v_add_co_ci_u32_e64 v5, null, 0, v10, vcc_lo
	v_mul_lo_u32 v5, v5, v1
	s_delay_alu instid0(VALU_DEP_1) | instskip(NEXT) | instid1(VALU_DEP_1)
	v_sub_nc_u32_e32 v4, v4, v5
	v_and_b32_e32 v5, 0xff, v4
	v_mov_b32_e32 v4, v1
	s_delay_alu instid0(VALU_DEP_2) | instskip(SKIP_1) | instid1(SALU_CYCLE_1)
	v_cmp_eq_u16_e32 vcc_lo, 0, v5
	s_or_b32 s1, vcc_lo, s1
	s_and_not1_b32 exec_lo, exec_lo, s1
	s_cbranch_execnz .LBB2_3
; %bb.4:
	s_or_b32 exec_lo, exec_lo, s1
.LBB2_5:
	s_delay_alu instid0(SALU_CYCLE_1) | instskip(SKIP_3) | instid1(VALU_DEP_1)
	s_or_b32 exec_lo, exec_lo, s0
	v_dual_lshrrev_b32 v5, 8, v7 :: v_dual_lshrrev_b32 v4, 8, v6
	s_mov_b32 s1, 0
	s_mov_b32 s0, exec_lo
	v_and_b32_e32 v10, 0xff, v5
	s_delay_alu instid0(VALU_DEP_1)
	v_cmpx_ne_u16_e32 0, v10
	s_cbranch_execz .LBB2_8
.LBB2_6:                                ; =>This Inner Loop Header: Depth=1
	v_cvt_f32_ubyte0_e32 v14, v4
	v_mov_b32_e32 v10, v5
	s_delay_alu instid0(VALU_DEP_1) | instskip(NEXT) | instid1(VALU_DEP_1)
	v_cvt_f32_ubyte0_e32 v5, v10
	v_rcp_iflag_f32_e32 v11, v5
	v_nop
	s_delay_alu instid0(TRANS32_DEP_1) | instskip(NEXT) | instid1(VALU_DEP_1)
	v_mul_f32_e32 v11, v14, v11
	v_trunc_f32_e32 v11, v11
	s_delay_alu instid0(VALU_DEP_1) | instskip(SKIP_1) | instid1(VALU_DEP_2)
	v_fma_f32 v14, -v11, v5, v14
	v_cvt_u32_f32_e32 v11, v11
	v_cmp_ge_f32_e64 vcc_lo, |v14|, v5
	s_delay_alu instid0(VALU_DEP_1) | instskip(NEXT) | instid1(VALU_DEP_1)
	v_add_co_ci_u32_e64 v5, null, 0, v11, vcc_lo
	v_mul_lo_u32 v5, v5, v10
	s_delay_alu instid0(VALU_DEP_1) | instskip(NEXT) | instid1(VALU_DEP_1)
	v_sub_nc_u32_e32 v4, v4, v5
	v_and_b32_e32 v5, 0xff, v4
	v_mov_b32_e32 v4, v10
	s_delay_alu instid0(VALU_DEP_2) | instskip(SKIP_1) | instid1(SALU_CYCLE_1)
	v_cmp_eq_u16_e32 vcc_lo, 0, v5
	s_or_b32 s1, vcc_lo, s1
	s_and_not1_b32 exec_lo, exec_lo, s1
	s_cbranch_execnz .LBB2_6
; %bb.7:
	s_or_b32 exec_lo, exec_lo, s1
	v_mov_b32_e32 v4, v10
.LBB2_8:
	s_or_b32 exec_lo, exec_lo, s0
	v_dual_lshrrev_b32 v10, 16, v7 :: v_dual_lshrrev_b32 v5, 16, v6
	s_mov_b32 s1, 0
	s_mov_b32 s0, exec_lo
	s_delay_alu instid0(VALU_DEP_1) | instskip(NEXT) | instid1(VALU_DEP_1)
	v_and_b32_e32 v11, 0xff, v10
	v_cmpx_ne_u16_e32 0, v11
	s_cbranch_execz .LBB2_11
.LBB2_9:                                ; =>This Inner Loop Header: Depth=1
	v_cvt_f32_ubyte0_e32 v15, v5
	v_mov_b32_e32 v11, v10
	s_delay_alu instid0(VALU_DEP_1) | instskip(NEXT) | instid1(VALU_DEP_1)
	v_cvt_f32_ubyte0_e32 v10, v11
	v_rcp_iflag_f32_e32 v14, v10
	v_nop
	s_delay_alu instid0(TRANS32_DEP_1) | instskip(NEXT) | instid1(VALU_DEP_1)
	v_mul_f32_e32 v14, v15, v14
	v_trunc_f32_e32 v14, v14
	s_delay_alu instid0(VALU_DEP_1) | instskip(SKIP_1) | instid1(VALU_DEP_2)
	v_fma_f32 v15, -v14, v10, v15
	v_cvt_u32_f32_e32 v14, v14
	v_cmp_ge_f32_e64 vcc_lo, |v15|, v10
	s_delay_alu instid0(VALU_DEP_1) | instskip(NEXT) | instid1(VALU_DEP_1)
	v_add_co_ci_u32_e64 v10, null, 0, v14, vcc_lo
	v_mul_lo_u32 v10, v10, v11
	s_delay_alu instid0(VALU_DEP_1) | instskip(NEXT) | instid1(VALU_DEP_1)
	v_sub_nc_u32_e32 v5, v5, v10
	v_and_b32_e32 v10, 0xff, v5
	v_mov_b32_e32 v5, v11
	s_delay_alu instid0(VALU_DEP_2) | instskip(SKIP_1) | instid1(SALU_CYCLE_1)
	v_cmp_eq_u16_e32 vcc_lo, 0, v10
	s_or_b32 s1, vcc_lo, s1
	s_and_not1_b32 exec_lo, exec_lo, s1
	s_cbranch_execnz .LBB2_9
; %bb.10:
	s_or_b32 exec_lo, exec_lo, s1
	v_mov_b32_e32 v5, v11
.LBB2_11:
	s_or_b32 exec_lo, exec_lo, s0
	v_lshrrev_b32_e32 v6, 24, v6
	s_mov_b32 s0, exec_lo
	v_cmpx_lt_u32_e32 0xffffff, v7
	s_cbranch_execz .LBB2_15
; %bb.12:
	v_lshrrev_b32_e32 v10, 24, v7
	s_mov_b32 s1, 0
.LBB2_13:                               ; =>This Inner Loop Header: Depth=1
	v_cvt_f32_ubyte0_e32 v14, v6
	s_delay_alu instid0(VALU_DEP_2) | instskip(NEXT) | instid1(VALU_DEP_1)
	v_mov_b32_e32 v7, v10
	v_cvt_f32_ubyte0_e32 v10, v7
	s_delay_alu instid0(VALU_DEP_1) | instskip(SKIP_1) | instid1(TRANS32_DEP_1)
	v_rcp_iflag_f32_e32 v11, v10
	v_nop
	v_mul_f32_e32 v11, v14, v11
	s_delay_alu instid0(VALU_DEP_1) | instskip(NEXT) | instid1(VALU_DEP_1)
	v_trunc_f32_e32 v11, v11
	v_fma_f32 v14, -v11, v10, v14
	v_cvt_u32_f32_e32 v11, v11
	s_delay_alu instid0(VALU_DEP_2) | instskip(NEXT) | instid1(VALU_DEP_1)
	v_cmp_ge_f32_e64 vcc_lo, |v14|, v10
	v_add_co_ci_u32_e64 v10, null, 0, v11, vcc_lo
	s_delay_alu instid0(VALU_DEP_1) | instskip(NEXT) | instid1(VALU_DEP_1)
	v_mul_lo_u32 v10, v10, v7
	v_sub_nc_u32_e32 v6, v6, v10
	s_delay_alu instid0(VALU_DEP_1) | instskip(SKIP_1) | instid1(VALU_DEP_2)
	v_and_b32_e32 v10, 0xff, v6
	v_mov_b32_e32 v6, v7
	v_cmp_eq_u16_e32 vcc_lo, 0, v10
	s_or_b32 s1, vcc_lo, s1
	s_delay_alu instid0(SALU_CYCLE_1)
	s_and_not1_b32 exec_lo, exec_lo, s1
	s_cbranch_execnz .LBB2_13
; %bb.14:
	s_or_b32 exec_lo, exec_lo, s1
	v_mov_b32_e32 v6, v7
.LBB2_15:
	s_or_b32 exec_lo, exec_lo, s0
	v_and_b32_e32 v7, 0xff, v13
	s_mov_b32 s1, 0
	s_delay_alu instid0(VALU_DEP_1)
	v_cmp_ne_u16_e32 vcc_lo, 0, v7
	s_wait_loadcnt 0x2
	v_mov_b32_e32 v7, v12
	s_and_saveexec_b32 s0, vcc_lo
	s_cbranch_execz .LBB2_19
; %bb.16:
	v_dual_mov_b32 v11, v13 :: v_dual_mov_b32 v10, v12
.LBB2_17:                               ; =>This Inner Loop Header: Depth=1
	s_delay_alu instid0(VALU_DEP_1) | instskip(NEXT) | instid1(VALU_DEP_2)
	v_cvt_f32_ubyte0_e32 v15, v10
	v_mov_b32_e32 v7, v11
	s_delay_alu instid0(VALU_DEP_1) | instskip(NEXT) | instid1(VALU_DEP_1)
	v_cvt_f32_ubyte0_e32 v11, v7
	v_rcp_iflag_f32_e32 v14, v11
	v_nop
	s_delay_alu instid0(TRANS32_DEP_1) | instskip(NEXT) | instid1(VALU_DEP_1)
	v_mul_f32_e32 v14, v15, v14
	v_trunc_f32_e32 v14, v14
	s_delay_alu instid0(VALU_DEP_1) | instskip(SKIP_1) | instid1(VALU_DEP_2)
	v_fma_f32 v15, -v14, v11, v15
	v_cvt_u32_f32_e32 v14, v14
	v_cmp_ge_f32_e64 vcc_lo, |v15|, v11
	s_delay_alu instid0(VALU_DEP_1) | instskip(NEXT) | instid1(VALU_DEP_1)
	v_add_co_ci_u32_e64 v11, null, 0, v14, vcc_lo
	v_mul_lo_u32 v11, v11, v7
	s_delay_alu instid0(VALU_DEP_1) | instskip(NEXT) | instid1(VALU_DEP_1)
	v_sub_nc_u32_e32 v10, v10, v11
	v_and_b32_e32 v11, 0xff, v10
	v_mov_b32_e32 v10, v7
	s_delay_alu instid0(VALU_DEP_2) | instskip(SKIP_1) | instid1(SALU_CYCLE_1)
	v_cmp_eq_u16_e32 vcc_lo, 0, v11
	s_or_b32 s1, vcc_lo, s1
	s_and_not1_b32 exec_lo, exec_lo, s1
	s_cbranch_execnz .LBB2_17
; %bb.18:
	s_or_b32 exec_lo, exec_lo, s1
.LBB2_19:
	s_delay_alu instid0(SALU_CYCLE_1) | instskip(SKIP_3) | instid1(VALU_DEP_1)
	s_or_b32 exec_lo, exec_lo, s0
	v_dual_lshrrev_b32 v11, 8, v13 :: v_dual_lshrrev_b32 v10, 8, v12
	s_mov_b32 s1, 0
	s_mov_b32 s0, exec_lo
	v_and_b32_e32 v14, 0xff, v11
	s_delay_alu instid0(VALU_DEP_1)
	v_cmpx_ne_u16_e32 0, v14
	s_cbranch_execz .LBB2_22
.LBB2_20:                               ; =>This Inner Loop Header: Depth=1
	v_cvt_f32_ubyte0_e32 v16, v10
	v_mov_b32_e32 v14, v11
	s_delay_alu instid0(VALU_DEP_1) | instskip(NEXT) | instid1(VALU_DEP_1)
	v_cvt_f32_ubyte0_e32 v11, v14
	v_rcp_iflag_f32_e32 v15, v11
	v_nop
	s_delay_alu instid0(TRANS32_DEP_1) | instskip(NEXT) | instid1(VALU_DEP_1)
	v_mul_f32_e32 v15, v16, v15
	v_trunc_f32_e32 v15, v15
	s_delay_alu instid0(VALU_DEP_1) | instskip(SKIP_1) | instid1(VALU_DEP_2)
	v_fma_f32 v16, -v15, v11, v16
	v_cvt_u32_f32_e32 v15, v15
	v_cmp_ge_f32_e64 vcc_lo, |v16|, v11
	s_delay_alu instid0(VALU_DEP_1) | instskip(NEXT) | instid1(VALU_DEP_1)
	v_add_co_ci_u32_e64 v11, null, 0, v15, vcc_lo
	v_mul_lo_u32 v11, v11, v14
	s_delay_alu instid0(VALU_DEP_1) | instskip(NEXT) | instid1(VALU_DEP_1)
	v_sub_nc_u32_e32 v10, v10, v11
	v_and_b32_e32 v11, 0xff, v10
	v_mov_b32_e32 v10, v14
	s_delay_alu instid0(VALU_DEP_2) | instskip(SKIP_1) | instid1(SALU_CYCLE_1)
	v_cmp_eq_u16_e32 vcc_lo, 0, v11
	s_or_b32 s1, vcc_lo, s1
	s_and_not1_b32 exec_lo, exec_lo, s1
	s_cbranch_execnz .LBB2_20
; %bb.21:
	s_or_b32 exec_lo, exec_lo, s1
	v_mov_b32_e32 v10, v14
.LBB2_22:
	s_or_b32 exec_lo, exec_lo, s0
	v_dual_lshrrev_b32 v14, 16, v13 :: v_dual_lshrrev_b32 v11, 16, v12
	s_mov_b32 s1, 0
	s_mov_b32 s0, exec_lo
	s_delay_alu instid0(VALU_DEP_1) | instskip(NEXT) | instid1(VALU_DEP_1)
	v_and_b32_e32 v15, 0xff, v14
	v_cmpx_ne_u16_e32 0, v15
	s_cbranch_execz .LBB2_25
.LBB2_23:                               ; =>This Inner Loop Header: Depth=1
	v_cvt_f32_ubyte0_e32 v17, v11
	v_mov_b32_e32 v15, v14
	s_delay_alu instid0(VALU_DEP_1) | instskip(NEXT) | instid1(VALU_DEP_1)
	v_cvt_f32_ubyte0_e32 v14, v15
	v_rcp_iflag_f32_e32 v16, v14
	v_nop
	s_delay_alu instid0(TRANS32_DEP_1) | instskip(NEXT) | instid1(VALU_DEP_1)
	v_mul_f32_e32 v16, v17, v16
	v_trunc_f32_e32 v16, v16
	s_delay_alu instid0(VALU_DEP_1) | instskip(SKIP_1) | instid1(VALU_DEP_2)
	v_fma_f32 v17, -v16, v14, v17
	v_cvt_u32_f32_e32 v16, v16
	v_cmp_ge_f32_e64 vcc_lo, |v17|, v14
	s_delay_alu instid0(VALU_DEP_1) | instskip(NEXT) | instid1(VALU_DEP_1)
	v_add_co_ci_u32_e64 v14, null, 0, v16, vcc_lo
	v_mul_lo_u32 v14, v14, v15
	s_delay_alu instid0(VALU_DEP_1) | instskip(NEXT) | instid1(VALU_DEP_1)
	v_sub_nc_u32_e32 v11, v11, v14
	v_and_b32_e32 v14, 0xff, v11
	v_mov_b32_e32 v11, v15
	s_delay_alu instid0(VALU_DEP_2) | instskip(SKIP_1) | instid1(SALU_CYCLE_1)
	v_cmp_eq_u16_e32 vcc_lo, 0, v14
	s_or_b32 s1, vcc_lo, s1
	s_and_not1_b32 exec_lo, exec_lo, s1
	s_cbranch_execnz .LBB2_23
; %bb.24:
	s_or_b32 exec_lo, exec_lo, s1
	v_mov_b32_e32 v11, v15
.LBB2_25:
	s_or_b32 exec_lo, exec_lo, s0
	v_lshrrev_b32_e32 v12, 24, v12
	s_mov_b32 s0, exec_lo
	v_cmpx_lt_u32_e32 0xffffff, v13
	s_cbranch_execz .LBB2_29
; %bb.26:
	v_lshrrev_b32_e32 v14, 24, v13
	s_mov_b32 s1, 0
.LBB2_27:                               ; =>This Inner Loop Header: Depth=1
	v_cvt_f32_ubyte0_e32 v16, v12
	s_delay_alu instid0(VALU_DEP_2) | instskip(NEXT) | instid1(VALU_DEP_1)
	v_mov_b32_e32 v13, v14
	v_cvt_f32_ubyte0_e32 v14, v13
	s_delay_alu instid0(VALU_DEP_1) | instskip(SKIP_1) | instid1(TRANS32_DEP_1)
	v_rcp_iflag_f32_e32 v15, v14
	v_nop
	v_mul_f32_e32 v15, v16, v15
	s_delay_alu instid0(VALU_DEP_1) | instskip(NEXT) | instid1(VALU_DEP_1)
	v_trunc_f32_e32 v15, v15
	v_fma_f32 v16, -v15, v14, v16
	v_cvt_u32_f32_e32 v15, v15
	s_delay_alu instid0(VALU_DEP_2) | instskip(NEXT) | instid1(VALU_DEP_1)
	v_cmp_ge_f32_e64 vcc_lo, |v16|, v14
	v_add_co_ci_u32_e64 v14, null, 0, v15, vcc_lo
	s_delay_alu instid0(VALU_DEP_1) | instskip(NEXT) | instid1(VALU_DEP_1)
	v_mul_lo_u32 v14, v14, v13
	v_sub_nc_u32_e32 v12, v12, v14
	s_delay_alu instid0(VALU_DEP_1) | instskip(SKIP_1) | instid1(VALU_DEP_2)
	v_and_b32_e32 v14, 0xff, v12
	v_mov_b32_e32 v12, v13
	v_cmp_eq_u16_e32 vcc_lo, 0, v14
	s_or_b32 s1, vcc_lo, s1
	s_delay_alu instid0(SALU_CYCLE_1)
	s_and_not1_b32 exec_lo, exec_lo, s1
	s_cbranch_execnz .LBB2_27
; %bb.28:
	s_or_b32 exec_lo, exec_lo, s1
	v_mov_b32_e32 v12, v13
.LBB2_29:
	s_or_b32 exec_lo, exec_lo, s0
	v_and_b32_e32 v13, 0xff, v8
	s_mov_b32 s1, 0
	s_delay_alu instid0(VALU_DEP_1)
	v_cmp_ne_u16_e32 vcc_lo, 0, v13
	s_wait_loadcnt 0x1
	v_mov_b32_e32 v13, v9
	s_and_saveexec_b32 s0, vcc_lo
	s_cbranch_execz .LBB2_33
; %bb.30:
	v_dual_mov_b32 v15, v8 :: v_dual_mov_b32 v14, v9
.LBB2_31:                               ; =>This Inner Loop Header: Depth=1
	s_delay_alu instid0(VALU_DEP_1) | instskip(NEXT) | instid1(VALU_DEP_2)
	v_cvt_f32_ubyte0_e32 v17, v14
	v_mov_b32_e32 v13, v15
	s_delay_alu instid0(VALU_DEP_1) | instskip(NEXT) | instid1(VALU_DEP_1)
	v_cvt_f32_ubyte0_e32 v15, v13
	v_rcp_iflag_f32_e32 v16, v15
	v_nop
	s_delay_alu instid0(TRANS32_DEP_1) | instskip(NEXT) | instid1(VALU_DEP_1)
	v_mul_f32_e32 v16, v17, v16
	v_trunc_f32_e32 v16, v16
	s_delay_alu instid0(VALU_DEP_1) | instskip(SKIP_1) | instid1(VALU_DEP_2)
	v_fma_f32 v17, -v16, v15, v17
	v_cvt_u32_f32_e32 v16, v16
	v_cmp_ge_f32_e64 vcc_lo, |v17|, v15
	s_delay_alu instid0(VALU_DEP_1) | instskip(NEXT) | instid1(VALU_DEP_1)
	v_add_co_ci_u32_e64 v15, null, 0, v16, vcc_lo
	v_mul_lo_u32 v15, v15, v13
	s_delay_alu instid0(VALU_DEP_1) | instskip(NEXT) | instid1(VALU_DEP_1)
	v_sub_nc_u32_e32 v14, v14, v15
	v_and_b32_e32 v15, 0xff, v14
	v_mov_b32_e32 v14, v13
	s_delay_alu instid0(VALU_DEP_2) | instskip(SKIP_1) | instid1(SALU_CYCLE_1)
	v_cmp_eq_u16_e32 vcc_lo, 0, v15
	s_or_b32 s1, vcc_lo, s1
	s_and_not1_b32 exec_lo, exec_lo, s1
	s_cbranch_execnz .LBB2_31
; %bb.32:
	s_or_b32 exec_lo, exec_lo, s1
.LBB2_33:
	s_delay_alu instid0(SALU_CYCLE_1) | instskip(SKIP_3) | instid1(VALU_DEP_1)
	s_or_b32 exec_lo, exec_lo, s0
	v_dual_lshrrev_b32 v15, 8, v8 :: v_dual_lshrrev_b32 v14, 8, v9
	s_mov_b32 s1, 0
	s_mov_b32 s0, exec_lo
	v_and_b32_e32 v16, 0xff, v15
	s_delay_alu instid0(VALU_DEP_1)
	v_cmpx_ne_u16_e32 0, v16
	s_cbranch_execz .LBB2_36
.LBB2_34:                               ; =>This Inner Loop Header: Depth=1
	v_cvt_f32_ubyte0_e32 v18, v14
	v_mov_b32_e32 v16, v15
	s_delay_alu instid0(VALU_DEP_1) | instskip(NEXT) | instid1(VALU_DEP_1)
	v_cvt_f32_ubyte0_e32 v15, v16
	v_rcp_iflag_f32_e32 v17, v15
	v_nop
	s_delay_alu instid0(TRANS32_DEP_1) | instskip(NEXT) | instid1(VALU_DEP_1)
	v_mul_f32_e32 v17, v18, v17
	v_trunc_f32_e32 v17, v17
	s_delay_alu instid0(VALU_DEP_1) | instskip(SKIP_1) | instid1(VALU_DEP_2)
	v_fma_f32 v18, -v17, v15, v18
	v_cvt_u32_f32_e32 v17, v17
	v_cmp_ge_f32_e64 vcc_lo, |v18|, v15
	s_delay_alu instid0(VALU_DEP_1) | instskip(NEXT) | instid1(VALU_DEP_1)
	v_add_co_ci_u32_e64 v15, null, 0, v17, vcc_lo
	v_mul_lo_u32 v15, v15, v16
	s_delay_alu instid0(VALU_DEP_1) | instskip(NEXT) | instid1(VALU_DEP_1)
	v_sub_nc_u32_e32 v14, v14, v15
	v_and_b32_e32 v15, 0xff, v14
	v_mov_b32_e32 v14, v16
	s_delay_alu instid0(VALU_DEP_2) | instskip(SKIP_1) | instid1(SALU_CYCLE_1)
	v_cmp_eq_u16_e32 vcc_lo, 0, v15
	s_or_b32 s1, vcc_lo, s1
	s_and_not1_b32 exec_lo, exec_lo, s1
	s_cbranch_execnz .LBB2_34
; %bb.35:
	s_or_b32 exec_lo, exec_lo, s1
	v_mov_b32_e32 v14, v16
.LBB2_36:
	s_or_b32 exec_lo, exec_lo, s0
	v_dual_lshrrev_b32 v16, 16, v8 :: v_dual_lshrrev_b32 v15, 16, v9
	s_mov_b32 s1, 0
	s_mov_b32 s0, exec_lo
	s_delay_alu instid0(VALU_DEP_1) | instskip(NEXT) | instid1(VALU_DEP_1)
	v_and_b32_e32 v17, 0xff, v16
	v_cmpx_ne_u16_e32 0, v17
	s_cbranch_execz .LBB2_39
.LBB2_37:                               ; =>This Inner Loop Header: Depth=1
	v_cvt_f32_ubyte0_e32 v19, v15
	v_mov_b32_e32 v17, v16
	s_delay_alu instid0(VALU_DEP_1) | instskip(NEXT) | instid1(VALU_DEP_1)
	v_cvt_f32_ubyte0_e32 v16, v17
	v_rcp_iflag_f32_e32 v18, v16
	v_nop
	s_delay_alu instid0(TRANS32_DEP_1) | instskip(NEXT) | instid1(VALU_DEP_1)
	v_mul_f32_e32 v18, v19, v18
	v_trunc_f32_e32 v18, v18
	s_delay_alu instid0(VALU_DEP_1) | instskip(SKIP_1) | instid1(VALU_DEP_2)
	v_fma_f32 v19, -v18, v16, v19
	v_cvt_u32_f32_e32 v18, v18
	v_cmp_ge_f32_e64 vcc_lo, |v19|, v16
	s_delay_alu instid0(VALU_DEP_1) | instskip(NEXT) | instid1(VALU_DEP_1)
	v_add_co_ci_u32_e64 v16, null, 0, v18, vcc_lo
	v_mul_lo_u32 v16, v16, v17
	s_delay_alu instid0(VALU_DEP_1) | instskip(NEXT) | instid1(VALU_DEP_1)
	v_sub_nc_u32_e32 v15, v15, v16
	v_and_b32_e32 v16, 0xff, v15
	v_mov_b32_e32 v15, v17
	s_delay_alu instid0(VALU_DEP_2) | instskip(SKIP_1) | instid1(SALU_CYCLE_1)
	v_cmp_eq_u16_e32 vcc_lo, 0, v16
	s_or_b32 s1, vcc_lo, s1
	s_and_not1_b32 exec_lo, exec_lo, s1
	s_cbranch_execnz .LBB2_37
; %bb.38:
	s_or_b32 exec_lo, exec_lo, s1
	v_mov_b32_e32 v15, v17
.LBB2_39:
	s_or_b32 exec_lo, exec_lo, s0
	v_lshrrev_b32_e32 v9, 24, v9
	s_mov_b32 s0, exec_lo
	v_cmpx_lt_u32_e32 0xffffff, v8
	s_cbranch_execz .LBB2_43
; %bb.40:
	v_lshrrev_b32_e32 v16, 24, v8
	s_mov_b32 s1, 0
.LBB2_41:                               ; =>This Inner Loop Header: Depth=1
	v_cvt_f32_ubyte0_e32 v18, v9
	s_delay_alu instid0(VALU_DEP_2) | instskip(NEXT) | instid1(VALU_DEP_1)
	v_mov_b32_e32 v8, v16
	v_cvt_f32_ubyte0_e32 v16, v8
	s_delay_alu instid0(VALU_DEP_1) | instskip(SKIP_1) | instid1(TRANS32_DEP_1)
	v_rcp_iflag_f32_e32 v17, v16
	v_nop
	v_mul_f32_e32 v17, v18, v17
	s_delay_alu instid0(VALU_DEP_1) | instskip(NEXT) | instid1(VALU_DEP_1)
	v_trunc_f32_e32 v17, v17
	v_fma_f32 v18, -v17, v16, v18
	v_cvt_u32_f32_e32 v17, v17
	s_delay_alu instid0(VALU_DEP_2) | instskip(NEXT) | instid1(VALU_DEP_1)
	v_cmp_ge_f32_e64 vcc_lo, |v18|, v16
	v_add_co_ci_u32_e64 v16, null, 0, v17, vcc_lo
	s_delay_alu instid0(VALU_DEP_1) | instskip(NEXT) | instid1(VALU_DEP_1)
	v_mul_lo_u32 v16, v16, v8
	v_sub_nc_u32_e32 v9, v9, v16
	s_delay_alu instid0(VALU_DEP_1) | instskip(SKIP_1) | instid1(VALU_DEP_2)
	v_and_b32_e32 v16, 0xff, v9
	v_mov_b32_e32 v9, v8
	v_cmp_eq_u16_e32 vcc_lo, 0, v16
	s_or_b32 s1, vcc_lo, s1
	s_delay_alu instid0(SALU_CYCLE_1)
	s_and_not1_b32 exec_lo, exec_lo, s1
	s_cbranch_execnz .LBB2_41
; %bb.42:
	s_or_b32 exec_lo, exec_lo, s1
	v_mov_b32_e32 v9, v8
.LBB2_43:
	s_or_b32 exec_lo, exec_lo, s0
	v_and_b32_e32 v8, 0xff, v2
	s_mov_b32 s1, 0
	s_delay_alu instid0(VALU_DEP_1)
	v_cmp_ne_u16_e32 vcc_lo, 0, v8
	s_wait_loadcnt 0x0
	v_mov_b32_e32 v8, v3
	s_and_saveexec_b32 s0, vcc_lo
	s_cbranch_execz .LBB2_47
; %bb.44:
	v_dual_mov_b32 v17, v2 :: v_dual_mov_b32 v16, v3
.LBB2_45:                               ; =>This Inner Loop Header: Depth=1
	s_delay_alu instid0(VALU_DEP_1) | instskip(NEXT) | instid1(VALU_DEP_2)
	v_cvt_f32_ubyte0_e32 v19, v16
	v_mov_b32_e32 v8, v17
	s_delay_alu instid0(VALU_DEP_1) | instskip(NEXT) | instid1(VALU_DEP_1)
	v_cvt_f32_ubyte0_e32 v17, v8
	v_rcp_iflag_f32_e32 v18, v17
	v_nop
	s_delay_alu instid0(TRANS32_DEP_1) | instskip(NEXT) | instid1(VALU_DEP_1)
	v_mul_f32_e32 v18, v19, v18
	v_trunc_f32_e32 v18, v18
	s_delay_alu instid0(VALU_DEP_1) | instskip(SKIP_1) | instid1(VALU_DEP_2)
	v_fma_f32 v19, -v18, v17, v19
	v_cvt_u32_f32_e32 v18, v18
	v_cmp_ge_f32_e64 vcc_lo, |v19|, v17
	s_delay_alu instid0(VALU_DEP_1) | instskip(NEXT) | instid1(VALU_DEP_1)
	v_add_co_ci_u32_e64 v17, null, 0, v18, vcc_lo
	v_mul_lo_u32 v17, v17, v8
	s_delay_alu instid0(VALU_DEP_1) | instskip(NEXT) | instid1(VALU_DEP_1)
	v_sub_nc_u32_e32 v16, v16, v17
	v_and_b32_e32 v17, 0xff, v16
	v_mov_b32_e32 v16, v8
	s_delay_alu instid0(VALU_DEP_2) | instskip(SKIP_1) | instid1(SALU_CYCLE_1)
	v_cmp_eq_u16_e32 vcc_lo, 0, v17
	s_or_b32 s1, vcc_lo, s1
	s_and_not1_b32 exec_lo, exec_lo, s1
	s_cbranch_execnz .LBB2_45
; %bb.46:
	s_or_b32 exec_lo, exec_lo, s1
.LBB2_47:
	s_delay_alu instid0(SALU_CYCLE_1) | instskip(SKIP_3) | instid1(VALU_DEP_1)
	s_or_b32 exec_lo, exec_lo, s0
	v_dual_lshrrev_b32 v17, 8, v2 :: v_dual_lshrrev_b32 v16, 8, v3
	s_mov_b32 s1, 0
	s_mov_b32 s0, exec_lo
	v_and_b32_e32 v18, 0xff, v17
	s_delay_alu instid0(VALU_DEP_1)
	v_cmpx_ne_u16_e32 0, v18
	s_cbranch_execz .LBB2_50
.LBB2_48:                               ; =>This Inner Loop Header: Depth=1
	v_cvt_f32_ubyte0_e32 v20, v16
	v_mov_b32_e32 v18, v17
	s_delay_alu instid0(VALU_DEP_1) | instskip(NEXT) | instid1(VALU_DEP_1)
	v_cvt_f32_ubyte0_e32 v17, v18
	v_rcp_iflag_f32_e32 v19, v17
	v_nop
	s_delay_alu instid0(TRANS32_DEP_1) | instskip(NEXT) | instid1(VALU_DEP_1)
	v_mul_f32_e32 v19, v20, v19
	v_trunc_f32_e32 v19, v19
	s_delay_alu instid0(VALU_DEP_1) | instskip(SKIP_1) | instid1(VALU_DEP_2)
	v_fma_f32 v20, -v19, v17, v20
	v_cvt_u32_f32_e32 v19, v19
	v_cmp_ge_f32_e64 vcc_lo, |v20|, v17
	s_delay_alu instid0(VALU_DEP_1) | instskip(NEXT) | instid1(VALU_DEP_1)
	v_add_co_ci_u32_e64 v17, null, 0, v19, vcc_lo
	v_mul_lo_u32 v17, v17, v18
	s_delay_alu instid0(VALU_DEP_1) | instskip(NEXT) | instid1(VALU_DEP_1)
	v_sub_nc_u32_e32 v16, v16, v17
	v_and_b32_e32 v17, 0xff, v16
	v_mov_b32_e32 v16, v18
	s_delay_alu instid0(VALU_DEP_2) | instskip(SKIP_1) | instid1(SALU_CYCLE_1)
	v_cmp_eq_u16_e32 vcc_lo, 0, v17
	s_or_b32 s1, vcc_lo, s1
	s_and_not1_b32 exec_lo, exec_lo, s1
	s_cbranch_execnz .LBB2_48
; %bb.49:
	s_or_b32 exec_lo, exec_lo, s1
	v_mov_b32_e32 v16, v18
.LBB2_50:
	s_or_b32 exec_lo, exec_lo, s0
	v_dual_lshrrev_b32 v18, 16, v2 :: v_dual_lshrrev_b32 v17, 16, v3
	s_mov_b32 s1, 0
	s_mov_b32 s0, exec_lo
	s_delay_alu instid0(VALU_DEP_1) | instskip(NEXT) | instid1(VALU_DEP_1)
	v_and_b32_e32 v19, 0xff, v18
	v_cmpx_ne_u16_e32 0, v19
	s_cbranch_execz .LBB2_53
.LBB2_51:                               ; =>This Inner Loop Header: Depth=1
	v_cvt_f32_ubyte0_e32 v21, v17
	v_mov_b32_e32 v19, v18
	s_delay_alu instid0(VALU_DEP_1) | instskip(NEXT) | instid1(VALU_DEP_1)
	v_cvt_f32_ubyte0_e32 v18, v19
	v_rcp_iflag_f32_e32 v20, v18
	v_nop
	s_delay_alu instid0(TRANS32_DEP_1) | instskip(NEXT) | instid1(VALU_DEP_1)
	v_mul_f32_e32 v20, v21, v20
	v_trunc_f32_e32 v20, v20
	s_delay_alu instid0(VALU_DEP_1) | instskip(SKIP_1) | instid1(VALU_DEP_2)
	v_fma_f32 v21, -v20, v18, v21
	v_cvt_u32_f32_e32 v20, v20
	v_cmp_ge_f32_e64 vcc_lo, |v21|, v18
	s_delay_alu instid0(VALU_DEP_1) | instskip(NEXT) | instid1(VALU_DEP_1)
	v_add_co_ci_u32_e64 v18, null, 0, v20, vcc_lo
	v_mul_lo_u32 v18, v18, v19
	s_delay_alu instid0(VALU_DEP_1) | instskip(NEXT) | instid1(VALU_DEP_1)
	v_sub_nc_u32_e32 v17, v17, v18
	v_and_b32_e32 v18, 0xff, v17
	v_mov_b32_e32 v17, v19
	s_delay_alu instid0(VALU_DEP_2) | instskip(SKIP_1) | instid1(SALU_CYCLE_1)
	v_cmp_eq_u16_e32 vcc_lo, 0, v18
	s_or_b32 s1, vcc_lo, s1
	s_and_not1_b32 exec_lo, exec_lo, s1
	s_cbranch_execnz .LBB2_51
; %bb.52:
	s_or_b32 exec_lo, exec_lo, s1
	v_mov_b32_e32 v17, v19
.LBB2_53:
	s_or_b32 exec_lo, exec_lo, s0
	v_lshrrev_b32_e32 v3, 24, v3
	s_mov_b32 s0, exec_lo
	v_cmpx_lt_u32_e32 0xffffff, v2
	s_cbranch_execz .LBB2_57
; %bb.54:
	v_lshrrev_b32_e32 v18, 24, v2
	s_mov_b32 s1, 0
.LBB2_55:                               ; =>This Inner Loop Header: Depth=1
	v_cvt_f32_ubyte0_e32 v20, v3
	s_delay_alu instid0(VALU_DEP_2) | instskip(NEXT) | instid1(VALU_DEP_1)
	v_mov_b32_e32 v2, v18
	v_cvt_f32_ubyte0_e32 v18, v2
	s_delay_alu instid0(VALU_DEP_1) | instskip(SKIP_1) | instid1(TRANS32_DEP_1)
	v_rcp_iflag_f32_e32 v19, v18
	v_nop
	v_mul_f32_e32 v19, v20, v19
	s_delay_alu instid0(VALU_DEP_1) | instskip(NEXT) | instid1(VALU_DEP_1)
	v_trunc_f32_e32 v19, v19
	v_fma_f32 v20, -v19, v18, v20
	v_cvt_u32_f32_e32 v19, v19
	s_delay_alu instid0(VALU_DEP_2) | instskip(NEXT) | instid1(VALU_DEP_1)
	v_cmp_ge_f32_e64 vcc_lo, |v20|, v18
	v_add_co_ci_u32_e64 v18, null, 0, v19, vcc_lo
	s_delay_alu instid0(VALU_DEP_1) | instskip(NEXT) | instid1(VALU_DEP_1)
	v_mul_lo_u32 v18, v18, v2
	v_sub_nc_u32_e32 v3, v3, v18
	s_delay_alu instid0(VALU_DEP_1) | instskip(SKIP_1) | instid1(VALU_DEP_2)
	v_and_b32_e32 v18, 0xff, v3
	v_mov_b32_e32 v3, v2
	v_cmp_eq_u16_e32 vcc_lo, 0, v18
	s_or_b32 s1, vcc_lo, s1
	s_delay_alu instid0(SALU_CYCLE_1)
	s_and_not1_b32 exec_lo, exec_lo, s1
	s_cbranch_execnz .LBB2_55
; %bb.56:
	s_or_b32 exec_lo, exec_lo, s1
	v_mov_b32_e32 v3, v2
.LBB2_57:
	s_or_b32 exec_lo, exec_lo, s0
	v_perm_b32 v1, v1, v4, 0xc0c0004
	v_perm_b32 v4, v5, v6, 0xc0c0004
	v_perm_b32 v2, v8, v16, 0xc0c0004
	v_perm_b32 v3, v17, v3, 0xc0c0004
	v_perm_b32 v7, v7, v10, 0xc0c0004
	v_perm_b32 v5, v11, v12, 0xc0c0004
	v_perm_b32 v8, v13, v14, 0xc0c0004
	v_perm_b32 v6, v15, v9, 0xc0c0004
	v_lshl_or_b32 v1, v4, 16, v1
	v_lshl_or_b32 v2, v3, 16, v2
	;; [unrolled: 1-line block ×3, first 2 shown]
	s_add_nc_u64 s[4:5], s[16:17], s[14:15]
	v_lshl_or_b32 v4, v6, 16, v8
	s_mov_b32 s0, 0
	s_clause 0x3
	global_store_b32 v0, v1, s[4:5] scale_offset
	global_store_b32 v0, v3, s[4:5] offset:1024 scale_offset
	global_store_b32 v0, v4, s[4:5] offset:2048 scale_offset
	;; [unrolled: 1-line block ×3, first 2 shown]
.LBB2_58:
	s_and_b32 vcc_lo, exec_lo, s0
	s_cbranch_vccz .LBB2_189
; %bb.59:
	v_cmp_gt_i32_e32 vcc_lo, s13, v0
	s_wait_xcnt 0x0
	v_dual_mov_b32 v2, 0 :: v_dual_bitop2_b32 v10, s14, v0 bitop3:0x54
	v_or_b32_e32 v38, 0x100, v0
	v_dual_mov_b32 v12, 0 :: v_dual_mov_b32 v11, 0
	v_dual_mov_b32 v14, 0 :: v_dual_mov_b32 v13, 0
	;; [unrolled: 1-line block ×16, first 2 shown]
	s_and_saveexec_b32 s1, vcc_lo
	s_cbranch_execz .LBB2_91
; %bb.60:
	s_clause 0x1
	global_load_u8 v41, v10, s[18:19]
	global_load_u8 v40, v10, s[2:3]
	v_cmp_gt_u32_e64 s0, s13, v38
	v_dual_mov_b32 v37, 0 :: v_dual_mov_b32 v39, 0
	v_dual_mov_b32 v5, 0 :: v_dual_mov_b32 v36, 0
	;; [unrolled: 1-line block ×15, first 2 shown]
	s_wait_xcnt 0x0
	s_and_saveexec_b32 s4, s0
	s_cbranch_execz .LBB2_90
; %bb.61:
	v_dual_mov_b32 v5, 0 :: v_dual_add_nc_u32 v4, s14, v0
	v_or_b32_e32 v1, 0x200, v0
	v_dual_mov_b32 v36, 0 :: v_dual_mov_b32 v6, 0
	s_clause 0x1
	global_load_u8 v39, v4, s[18:19] offset:256
	global_load_u8 v37, v4, s[2:3] offset:256
	v_dual_mov_b32 v35, 0 :: v_dual_mov_b32 v33, 0
	v_cmp_gt_u32_e64 s0, s13, v1
	v_dual_mov_b32 v34, 0 :: v_dual_mov_b32 v31, 0
	v_dual_mov_b32 v32, 0 :: v_dual_mov_b32 v29, 0
	;; [unrolled: 1-line block ×11, first 2 shown]
	v_mov_b32_e32 v12, 0
	s_wait_xcnt 0x0
	s_and_saveexec_b32 s5, s0
	s_cbranch_execz .LBB2_89
; %bb.62:
	v_add_nc_u64_e32 v[6:7], s[18:19], v[4:5]
	v_add_nc_u64_e32 v[8:9], s[2:3], v[4:5]
	v_or_b32_e32 v3, 0x300, v0
	v_dual_mov_b32 v35, 0 :: v_dual_mov_b32 v33, 0
	v_dual_mov_b32 v34, 0 :: v_dual_mov_b32 v31, 0
	global_load_u8 v36, v[6:7], off offset:512
	global_load_u8 v1, v[8:9], off offset:512
	v_cmp_gt_u32_e64 s0, s13, v3
	v_dual_mov_b32 v32, 0 :: v_dual_mov_b32 v29, 0
	v_dual_mov_b32 v30, 0 :: v_dual_mov_b32 v27, 0
	;; [unrolled: 1-line block ×10, first 2 shown]
	v_mov_b32_e32 v12, 0
	s_wait_xcnt 0x0
	s_and_saveexec_b32 s2, s0
	s_cbranch_execz .LBB2_88
; %bb.63:
	global_load_u8 v35, v[6:7], off offset:768
	global_load_u8 v5, v[8:9], off offset:768
	v_or_b32_e32 v3, 0x400, v0
	v_dual_mov_b32 v33, 0 :: v_dual_mov_b32 v34, 0
	v_dual_mov_b32 v31, 0 :: v_dual_mov_b32 v32, 0
	s_delay_alu instid0(VALU_DEP_3)
	v_cmp_gt_u32_e64 s0, s13, v3
	v_dual_mov_b32 v29, 0 :: v_dual_mov_b32 v30, 0
	v_dual_mov_b32 v27, 0 :: v_dual_mov_b32 v28, 0
	;; [unrolled: 1-line block ×10, first 2 shown]
	s_wait_xcnt 0x0
	s_and_saveexec_b32 s3, s0
	s_cbranch_execz .LBB2_87
; %bb.64:
	global_load_u8 v34, v[6:7], off offset:1024
	global_load_u8 v33, v[8:9], off offset:1024
	v_or_b32_e32 v3, 0x500, v0
	v_dual_mov_b32 v31, 0 :: v_dual_mov_b32 v32, 0
	v_dual_mov_b32 v29, 0 :: v_dual_mov_b32 v30, 0
	s_delay_alu instid0(VALU_DEP_3)
	v_cmp_gt_u32_e64 s0, s13, v3
	v_dual_mov_b32 v27, 0 :: v_dual_mov_b32 v28, 0
	v_dual_mov_b32 v25, 0 :: v_dual_mov_b32 v26, 0
	;; [unrolled: 1-line block ×9, first 2 shown]
	s_wait_xcnt 0x0
	s_and_saveexec_b32 s6, s0
	s_cbranch_execz .LBB2_86
; %bb.65:
	global_load_u8 v32, v[6:7], off offset:1280
	global_load_u8 v31, v[8:9], off offset:1280
	v_or_b32_e32 v3, 0x600, v0
	v_dual_mov_b32 v29, 0 :: v_dual_mov_b32 v30, 0
	v_dual_mov_b32 v27, 0 :: v_dual_mov_b32 v28, 0
	s_delay_alu instid0(VALU_DEP_3)
	v_cmp_gt_u32_e64 s0, s13, v3
	v_dual_mov_b32 v25, 0 :: v_dual_mov_b32 v26, 0
	v_dual_mov_b32 v23, 0 :: v_dual_mov_b32 v24, 0
	;; [unrolled: 1-line block ×8, first 2 shown]
	s_wait_xcnt 0x0
	s_and_saveexec_b32 s7, s0
	s_cbranch_execz .LBB2_85
; %bb.66:
	global_load_u8 v30, v[6:7], off offset:1536
	global_load_u8 v29, v[8:9], off offset:1536
	v_or_b32_e32 v3, 0x700, v0
	v_dual_mov_b32 v27, 0 :: v_dual_mov_b32 v28, 0
	v_dual_mov_b32 v25, 0 :: v_dual_mov_b32 v26, 0
	v_dual_mov_b32 v23, 0 :: v_dual_mov_b32 v24, 0
	v_dual_mov_b32 v21, 0 :: v_dual_mov_b32 v22, 0
	v_dual_mov_b32 v19, 0 :: v_dual_mov_b32 v20, 0
	v_dual_mov_b32 v17, 0 :: v_dual_mov_b32 v18, 0
	v_dual_mov_b32 v15, 0 :: v_dual_mov_b32 v16, 0
	v_dual_mov_b32 v13, 0 :: v_dual_mov_b32 v14, 0
	v_dual_mov_b32 v11, 0 :: v_dual_mov_b32 v12, 0
	s_mov_b32 s8, exec_lo
	s_wait_xcnt 0x0
	v_cmpx_gt_u32_e64 s13, v3
	s_cbranch_execz .LBB2_84
; %bb.67:
	global_load_u8 v28, v[6:7], off offset:1792
	global_load_u8 v27, v[8:9], off offset:1792
	v_or_b32_e32 v3, 0x800, v0
	v_dual_mov_b32 v25, 0 :: v_dual_mov_b32 v26, 0
	v_dual_mov_b32 v23, 0 :: v_dual_mov_b32 v24, 0
	;; [unrolled: 1-line block ×8, first 2 shown]
	s_mov_b32 s9, exec_lo
	s_wait_xcnt 0x0
	v_cmpx_gt_u32_e64 s13, v3
	s_cbranch_execz .LBB2_83
; %bb.68:
	global_load_u8 v26, v[6:7], off offset:2048
	global_load_u8 v25, v[8:9], off offset:2048
	v_or_b32_e32 v3, 0x900, v0
	v_dual_mov_b32 v23, 0 :: v_dual_mov_b32 v24, 0
	v_dual_mov_b32 v21, 0 :: v_dual_mov_b32 v22, 0
	;; [unrolled: 1-line block ×7, first 2 shown]
	s_mov_b32 s10, exec_lo
	s_wait_xcnt 0x0
	v_cmpx_gt_u32_e64 s13, v3
	s_cbranch_execz .LBB2_82
; %bb.69:
	global_load_u8 v24, v[6:7], off offset:2304
	global_load_u8 v23, v[8:9], off offset:2304
	v_or_b32_e32 v3, 0xa00, v0
	v_dual_mov_b32 v21, 0 :: v_dual_mov_b32 v22, 0
	v_dual_mov_b32 v19, 0 :: v_dual_mov_b32 v20, 0
	;; [unrolled: 1-line block ×6, first 2 shown]
	s_mov_b32 s11, exec_lo
	s_wait_xcnt 0x0
	v_cmpx_gt_u32_e64 s13, v3
	s_cbranch_execz .LBB2_81
; %bb.70:
	global_load_u8 v22, v[6:7], off offset:2560
	global_load_u8 v21, v[8:9], off offset:2560
	v_or_b32_e32 v3, 0xb00, v0
	v_dual_mov_b32 v19, 0 :: v_dual_mov_b32 v20, 0
	v_dual_mov_b32 v17, 0 :: v_dual_mov_b32 v18, 0
	;; [unrolled: 1-line block ×5, first 2 shown]
	s_mov_b32 s12, exec_lo
	s_wait_xcnt 0x0
	v_cmpx_gt_u32_e64 s13, v3
	s_cbranch_execz .LBB2_80
; %bb.71:
	global_load_u8 v20, v[6:7], off offset:2816
	global_load_u8 v19, v[8:9], off offset:2816
	v_or_b32_e32 v3, 0xc00, v0
	v_dual_mov_b32 v17, 0 :: v_dual_mov_b32 v18, 0
	v_dual_mov_b32 v15, 0 :: v_dual_mov_b32 v16, 0
	;; [unrolled: 1-line block ×4, first 2 shown]
	s_mov_b32 s15, exec_lo
	s_wait_xcnt 0x0
	v_cmpx_gt_u32_e64 s13, v3
	s_cbranch_execz .LBB2_79
; %bb.72:
	global_load_u8 v18, v[6:7], off offset:3072
	global_load_u8 v17, v[8:9], off offset:3072
	v_or_b32_e32 v3, 0xd00, v0
	v_dual_mov_b32 v15, 0 :: v_dual_mov_b32 v16, 0
	v_dual_mov_b32 v13, 0 :: v_dual_mov_b32 v14, 0
	;; [unrolled: 1-line block ×3, first 2 shown]
	s_mov_b32 s18, exec_lo
	s_wait_xcnt 0x0
	v_cmpx_gt_u32_e64 s13, v3
	s_cbranch_execz .LBB2_78
; %bb.73:
	global_load_u8 v16, v[6:7], off offset:3328
	global_load_u8 v15, v[8:9], off offset:3328
	v_or_b32_e32 v3, 0xe00, v0
	v_dual_mov_b32 v13, 0 :: v_dual_mov_b32 v14, 0
	v_dual_mov_b32 v11, 0 :: v_dual_mov_b32 v12, 0
	s_mov_b32 s19, exec_lo
	s_wait_xcnt 0x0
	v_cmpx_gt_u32_e64 s13, v3
	s_cbranch_execz .LBB2_77
; %bb.74:
	global_load_u8 v14, v[6:7], off offset:3584
	global_load_u8 v13, v[8:9], off offset:3584
	v_or_b32_e32 v3, 0xf00, v0
	v_dual_mov_b32 v11, 0 :: v_dual_mov_b32 v12, 0
	s_mov_b32 s20, exec_lo
	s_wait_xcnt 0x0
	s_delay_alu instid0(VALU_DEP_2)
	v_cmpx_gt_u32_e64 s13, v3
	s_cbranch_execz .LBB2_76
; %bb.75:
	global_load_u8 v12, v[6:7], off offset:3840
	global_load_u8 v11, v[8:9], off offset:3840
.LBB2_76:
	s_wait_xcnt 0x0
	s_or_b32 exec_lo, exec_lo, s20
.LBB2_77:
	s_delay_alu instid0(SALU_CYCLE_1)
	s_or_b32 exec_lo, exec_lo, s19
.LBB2_78:
	s_delay_alu instid0(SALU_CYCLE_1)
	s_or_b32 exec_lo, exec_lo, s18
.LBB2_79:
	s_delay_alu instid0(SALU_CYCLE_1)
	s_or_b32 exec_lo, exec_lo, s15
.LBB2_80:
	s_delay_alu instid0(SALU_CYCLE_1)
	s_or_b32 exec_lo, exec_lo, s12
.LBB2_81:
	s_delay_alu instid0(SALU_CYCLE_1)
	s_or_b32 exec_lo, exec_lo, s11
.LBB2_82:
	s_delay_alu instid0(SALU_CYCLE_1)
	s_or_b32 exec_lo, exec_lo, s10
.LBB2_83:
	s_delay_alu instid0(SALU_CYCLE_1)
	s_or_b32 exec_lo, exec_lo, s9
.LBB2_84:
	s_delay_alu instid0(SALU_CYCLE_1)
	s_or_b32 exec_lo, exec_lo, s8
.LBB2_85:
	s_delay_alu instid0(SALU_CYCLE_1)
	s_or_b32 exec_lo, exec_lo, s7
.LBB2_86:
	s_delay_alu instid0(SALU_CYCLE_1)
	s_or_b32 exec_lo, exec_lo, s6
.LBB2_87:
	s_delay_alu instid0(SALU_CYCLE_1)
	s_or_b32 exec_lo, exec_lo, s3
.LBB2_88:
	s_delay_alu instid0(SALU_CYCLE_1)
	s_or_b32 exec_lo, exec_lo, s2
	s_wait_loadcnt 0x0
	v_dual_mov_b32 v6, v5 :: v_dual_mov_b32 v5, v1
.LBB2_89:
	s_or_b32 exec_lo, exec_lo, s5
.LBB2_90:
	s_delay_alu instid0(SALU_CYCLE_1)
	s_or_b32 exec_lo, exec_lo, s4
.LBB2_91:
	s_delay_alu instid0(SALU_CYCLE_1)
	s_or_b32 exec_lo, exec_lo, s1
	v_dual_mov_b32 v1, v2 :: v_dual_mov_b32 v4, v2
	v_mov_b32_e32 v3, v2
	s_and_saveexec_b32 s1, vcc_lo
	s_cbranch_execz .LBB2_97
; %bb.92:
	s_wait_loadcnt 0x1
	v_and_b32_e32 v1, 0xff, v41
	s_mov_b32 s2, exec_lo
	s_delay_alu instid0(VALU_DEP_1)
	v_cmpx_ne_u16_e32 0, v1
	s_cbranch_execz .LBB2_96
; %bb.93:
	s_mov_b32 s3, 0
.LBB2_94:                               ; =>This Inner Loop Header: Depth=1
	s_wait_loadcnt 0x0
	v_cvt_f32_ubyte0_e32 v4, v40
	v_mov_b32_e32 v1, v41
	s_delay_alu instid0(VALU_DEP_1) | instskip(NEXT) | instid1(VALU_DEP_1)
	v_cvt_f32_ubyte0_e32 v2, v1
	v_rcp_iflag_f32_e32 v3, v2
	v_nop
	s_delay_alu instid0(TRANS32_DEP_1) | instskip(NEXT) | instid1(VALU_DEP_1)
	v_mul_f32_e32 v3, v4, v3
	v_trunc_f32_e32 v3, v3
	s_delay_alu instid0(VALU_DEP_1) | instskip(SKIP_1) | instid1(VALU_DEP_2)
	v_fma_f32 v4, -v3, v2, v4
	v_cvt_u32_f32_e32 v3, v3
	v_cmp_ge_f32_e64 s0, |v4|, v2
	s_delay_alu instid0(VALU_DEP_1) | instskip(NEXT) | instid1(VALU_DEP_1)
	v_add_co_ci_u32_e64 v2, null, 0, v3, s0
	v_mul_lo_u32 v2, v2, v1
	s_delay_alu instid0(VALU_DEP_1) | instskip(NEXT) | instid1(VALU_DEP_1)
	v_dual_sub_nc_u32 v2, v40, v2 :: v_dual_mov_b32 v40, v1
	v_and_b32_e32 v41, 0xff, v2
	s_delay_alu instid0(VALU_DEP_1) | instskip(SKIP_1) | instid1(SALU_CYCLE_1)
	v_cmp_eq_u16_e64 s0, 0, v41
	s_or_b32 s3, s0, s3
	s_and_not1_b32 exec_lo, exec_lo, s3
	s_cbranch_execnz .LBB2_94
; %bb.95:
	s_or_b32 exec_lo, exec_lo, s3
	v_mov_b32_e32 v40, v1
.LBB2_96:
	s_or_b32 exec_lo, exec_lo, s2
	s_wait_loadcnt 0x0
	s_delay_alu instid0(VALU_DEP_1) | instskip(SKIP_1) | instid1(VALU_DEP_2)
	v_and_b32_e32 v2, 0xff, v40
	v_mov_b32_e32 v1, 0
	v_and_b32_e32 v2, 0xffff, v2
	s_delay_alu instid0(VALU_DEP_2)
	v_dual_mov_b32 v4, v1 :: v_dual_mov_b32 v3, v1
.LBB2_97:
	s_or_b32 exec_lo, exec_lo, s1
	v_cmp_gt_i32_e64 s0, s13, v38
	s_and_saveexec_b32 s2, s0
	s_cbranch_execz .LBB2_102
; %bb.98:
	s_wait_loadcnt 0x1
	v_and_b32_e32 v7, 0xff, v39
	s_mov_b32 s4, 0
	s_mov_b32 s3, exec_lo
	s_delay_alu instid0(VALU_DEP_1)
	v_cmpx_ne_u16_e32 0, v7
	s_cbranch_execz .LBB2_101
.LBB2_99:                               ; =>This Inner Loop Header: Depth=1
	s_wait_loadcnt 0x0
	v_cvt_f32_ubyte0_e32 v38, v37
	v_mov_b32_e32 v7, v39
	s_delay_alu instid0(VALU_DEP_1) | instskip(NEXT) | instid1(VALU_DEP_1)
	v_cvt_f32_ubyte0_e32 v8, v7
	v_rcp_iflag_f32_e32 v9, v8
	v_nop
	s_delay_alu instid0(TRANS32_DEP_1) | instskip(NEXT) | instid1(VALU_DEP_1)
	v_mul_f32_e32 v9, v38, v9
	v_trunc_f32_e32 v9, v9
	s_delay_alu instid0(VALU_DEP_1) | instskip(SKIP_1) | instid1(VALU_DEP_2)
	v_fma_f32 v38, -v9, v8, v38
	v_cvt_u32_f32_e32 v9, v9
	v_cmp_ge_f32_e64 s1, |v38|, v8
	s_delay_alu instid0(VALU_DEP_1) | instskip(NEXT) | instid1(VALU_DEP_1)
	v_add_co_ci_u32_e64 v8, null, 0, v9, s1
	v_mul_lo_u32 v8, v8, v7
	s_delay_alu instid0(VALU_DEP_1) | instskip(NEXT) | instid1(VALU_DEP_1)
	v_dual_mov_b32 v37, v7 :: v_dual_sub_nc_u32 v8, v37, v8
	v_and_b32_e32 v39, 0xff, v8
	s_delay_alu instid0(VALU_DEP_1) | instskip(SKIP_1) | instid1(SALU_CYCLE_1)
	v_cmp_eq_u16_e64 s1, 0, v39
	s_or_b32 s4, s1, s4
	s_and_not1_b32 exec_lo, exec_lo, s4
	s_cbranch_execnz .LBB2_99
; %bb.100:
	s_or_b32 exec_lo, exec_lo, s4
	v_mov_b32_e32 v37, v7
.LBB2_101:
	s_or_b32 exec_lo, exec_lo, s3
	s_wait_loadcnt 0x0
	s_delay_alu instid0(VALU_DEP_1)
	v_perm_b32 v2, v2, v37, 0x7060004
.LBB2_102:
	s_or_b32 exec_lo, exec_lo, s2
	v_or_b32_e32 v7, 0x200, v0
	s_delay_alu instid0(VALU_DEP_1)
	v_cmp_gt_i32_e64 s1, s13, v7
	s_and_saveexec_b32 s3, s1
	s_cbranch_execz .LBB2_107
; %bb.103:
	v_and_b32_e32 v7, 0xff, v36
	s_mov_b32 s5, 0
	s_mov_b32 s4, exec_lo
	s_delay_alu instid0(VALU_DEP_1)
	v_cmpx_ne_u16_e32 0, v7
	s_cbranch_execz .LBB2_106
.LBB2_104:                              ; =>This Inner Loop Header: Depth=1
	v_mov_b32_e32 v7, v36
	v_cvt_f32_ubyte0_e32 v36, v5
	s_delay_alu instid0(VALU_DEP_2) | instskip(NEXT) | instid1(VALU_DEP_1)
	v_cvt_f32_ubyte0_e32 v8, v7
	v_rcp_iflag_f32_e32 v9, v8
	v_nop
	s_delay_alu instid0(TRANS32_DEP_1) | instskip(NEXT) | instid1(VALU_DEP_1)
	v_mul_f32_e32 v9, v36, v9
	v_trunc_f32_e32 v9, v9
	s_delay_alu instid0(VALU_DEP_1) | instskip(SKIP_1) | instid1(VALU_DEP_2)
	v_fma_f32 v36, -v9, v8, v36
	v_cvt_u32_f32_e32 v9, v9
	v_cmp_ge_f32_e64 s2, |v36|, v8
	s_delay_alu instid0(VALU_DEP_1) | instskip(NEXT) | instid1(VALU_DEP_1)
	v_add_co_ci_u32_e64 v8, null, 0, v9, s2
	v_mul_lo_u32 v8, v8, v7
	s_delay_alu instid0(VALU_DEP_1) | instskip(NEXT) | instid1(VALU_DEP_1)
	v_sub_nc_u32_e32 v5, v5, v8
	v_and_b32_e32 v36, 0xff, v5
	v_mov_b32_e32 v5, v7
	s_delay_alu instid0(VALU_DEP_2) | instskip(SKIP_1) | instid1(SALU_CYCLE_1)
	v_cmp_eq_u16_e64 s2, 0, v36
	s_or_b32 s5, s2, s5
	s_and_not1_b32 exec_lo, exec_lo, s5
	s_cbranch_execnz .LBB2_104
; %bb.105:
	s_or_b32 exec_lo, exec_lo, s5
	v_mov_b32_e32 v5, v7
.LBB2_106:
	s_or_b32 exec_lo, exec_lo, s4
	s_delay_alu instid0(VALU_DEP_1)
	v_perm_b32 v2, v2, v5, 0x7000504
.LBB2_107:
	s_or_b32 exec_lo, exec_lo, s3
	v_or_b32_e32 v5, 0x300, v0
	s_delay_alu instid0(VALU_DEP_1)
	v_cmp_gt_i32_e64 s2, s13, v5
	s_and_saveexec_b32 s4, s2
	s_cbranch_execz .LBB2_112
; %bb.108:
	v_and_b32_e32 v5, 0xff, v35
	s_mov_b32 s6, 0
	s_mov_b32 s5, exec_lo
	s_delay_alu instid0(VALU_DEP_1)
	v_cmpx_ne_u16_e32 0, v5
	s_cbranch_execz .LBB2_111
.LBB2_109:                              ; =>This Inner Loop Header: Depth=1
	v_cvt_f32_ubyte0_e32 v9, v6
	v_mov_b32_e32 v5, v35
	s_delay_alu instid0(VALU_DEP_1) | instskip(NEXT) | instid1(VALU_DEP_1)
	v_cvt_f32_ubyte0_e32 v7, v5
	v_rcp_iflag_f32_e32 v8, v7
	v_nop
	s_delay_alu instid0(TRANS32_DEP_1) | instskip(NEXT) | instid1(VALU_DEP_1)
	v_mul_f32_e32 v8, v9, v8
	v_trunc_f32_e32 v8, v8
	s_delay_alu instid0(VALU_DEP_1) | instskip(SKIP_1) | instid1(VALU_DEP_2)
	v_fma_f32 v9, -v8, v7, v9
	v_cvt_u32_f32_e32 v8, v8
	v_cmp_ge_f32_e64 s3, |v9|, v7
	s_delay_alu instid0(VALU_DEP_1) | instskip(NEXT) | instid1(VALU_DEP_1)
	v_add_co_ci_u32_e64 v7, null, 0, v8, s3
	v_mul_lo_u32 v7, v7, v5
	s_delay_alu instid0(VALU_DEP_1) | instskip(NEXT) | instid1(VALU_DEP_1)
	v_sub_nc_u32_e32 v6, v6, v7
	v_and_b32_e32 v35, 0xff, v6
	v_mov_b32_e32 v6, v5
	s_delay_alu instid0(VALU_DEP_2) | instskip(SKIP_1) | instid1(SALU_CYCLE_1)
	v_cmp_eq_u16_e64 s3, 0, v35
	s_or_b32 s6, s3, s6
	s_and_not1_b32 exec_lo, exec_lo, s6
	s_cbranch_execnz .LBB2_109
; %bb.110:
	s_or_b32 exec_lo, exec_lo, s6
	v_mov_b32_e32 v6, v5
.LBB2_111:
	s_or_b32 exec_lo, exec_lo, s5
	s_delay_alu instid0(VALU_DEP_1)
	v_perm_b32 v2, v2, v6, 0x60504
.LBB2_112:
	s_or_b32 exec_lo, exec_lo, s4
	v_or_b32_e32 v5, 0x400, v0
	s_mov_b32 s4, exec_lo
	s_delay_alu instid0(VALU_DEP_1)
	v_cmpx_gt_i32_e64 s13, v5
	s_cbranch_execz .LBB2_117
; %bb.113:
	v_and_b32_e32 v6, 0xff, v34
	s_mov_b32 s6, 0
	s_mov_b32 s5, exec_lo
	s_delay_alu instid0(VALU_DEP_1)
	v_cmpx_ne_u16_e32 0, v6
	s_cbranch_execz .LBB2_116
.LBB2_114:                              ; =>This Inner Loop Header: Depth=1
	v_cvt_f32_ubyte0_e32 v9, v33
	v_mov_b32_e32 v6, v34
	s_delay_alu instid0(VALU_DEP_1) | instskip(NEXT) | instid1(VALU_DEP_1)
	v_cvt_f32_ubyte0_e32 v7, v6
	v_rcp_iflag_f32_e32 v8, v7
	v_nop
	s_delay_alu instid0(TRANS32_DEP_1) | instskip(NEXT) | instid1(VALU_DEP_1)
	v_mul_f32_e32 v8, v9, v8
	v_trunc_f32_e32 v8, v8
	s_delay_alu instid0(VALU_DEP_1) | instskip(SKIP_1) | instid1(VALU_DEP_2)
	v_fma_f32 v9, -v8, v7, v9
	v_cvt_u32_f32_e32 v8, v8
	v_cmp_ge_f32_e64 s3, |v9|, v7
	s_delay_alu instid0(VALU_DEP_1) | instskip(NEXT) | instid1(VALU_DEP_1)
	v_add_co_ci_u32_e64 v7, null, 0, v8, s3
	v_mul_lo_u32 v7, v7, v6
	s_delay_alu instid0(VALU_DEP_1) | instskip(NEXT) | instid1(VALU_DEP_1)
	v_dual_sub_nc_u32 v7, v33, v7 :: v_dual_mov_b32 v33, v6
	v_and_b32_e32 v34, 0xff, v7
	s_delay_alu instid0(VALU_DEP_1) | instskip(SKIP_1) | instid1(SALU_CYCLE_1)
	v_cmp_eq_u16_e64 s3, 0, v34
	s_or_b32 s6, s3, s6
	s_and_not1_b32 exec_lo, exec_lo, s6
	s_cbranch_execnz .LBB2_114
; %bb.115:
	s_or_b32 exec_lo, exec_lo, s6
	v_mov_b32_e32 v33, v6
.LBB2_116:
	s_or_b32 exec_lo, exec_lo, s5
	s_delay_alu instid0(VALU_DEP_1)
	v_perm_b32 v1, v33, v1, 0x3020104
.LBB2_117:
	s_or_b32 exec_lo, exec_lo, s4
	v_or_b32_e32 v6, 0x500, v0
	s_delay_alu instid0(VALU_DEP_1)
	v_cmp_gt_i32_e64 s3, s13, v6
	s_and_saveexec_b32 s5, s3
	s_cbranch_execz .LBB2_122
; %bb.118:
	v_and_b32_e32 v6, 0xff, v32
	s_mov_b32 s7, 0
	s_mov_b32 s6, exec_lo
	s_delay_alu instid0(VALU_DEP_1)
	v_cmpx_ne_u16_e32 0, v6
	s_cbranch_execz .LBB2_121
.LBB2_119:                              ; =>This Inner Loop Header: Depth=1
	v_cvt_f32_ubyte0_e32 v9, v31
	v_mov_b32_e32 v6, v32
	s_delay_alu instid0(VALU_DEP_1) | instskip(NEXT) | instid1(VALU_DEP_1)
	v_cvt_f32_ubyte0_e32 v7, v6
	v_rcp_iflag_f32_e32 v8, v7
	v_nop
	s_delay_alu instid0(TRANS32_DEP_1) | instskip(NEXT) | instid1(VALU_DEP_1)
	v_mul_f32_e32 v8, v9, v8
	v_trunc_f32_e32 v8, v8
	s_delay_alu instid0(VALU_DEP_1) | instskip(SKIP_1) | instid1(VALU_DEP_2)
	v_fma_f32 v9, -v8, v7, v9
	v_cvt_u32_f32_e32 v8, v8
	v_cmp_ge_f32_e64 s4, |v9|, v7
	s_delay_alu instid0(VALU_DEP_1) | instskip(NEXT) | instid1(VALU_DEP_1)
	v_add_co_ci_u32_e64 v7, null, 0, v8, s4
	v_mul_lo_u32 v7, v7, v6
	s_delay_alu instid0(VALU_DEP_1) | instskip(NEXT) | instid1(VALU_DEP_1)
	v_dual_sub_nc_u32 v7, v31, v7 :: v_dual_mov_b32 v31, v6
	v_and_b32_e32 v32, 0xff, v7
	s_delay_alu instid0(VALU_DEP_1) | instskip(SKIP_1) | instid1(SALU_CYCLE_1)
	v_cmp_eq_u16_e64 s4, 0, v32
	s_or_b32 s7, s4, s7
	s_and_not1_b32 exec_lo, exec_lo, s7
	s_cbranch_execnz .LBB2_119
; %bb.120:
	s_or_b32 exec_lo, exec_lo, s7
	v_mov_b32_e32 v31, v6
.LBB2_121:
	s_or_b32 exec_lo, exec_lo, s6
	s_delay_alu instid0(VALU_DEP_1)
	v_perm_b32 v1, v1, v31, 0x7060004
.LBB2_122:
	s_or_b32 exec_lo, exec_lo, s5
	v_or_b32_e32 v6, 0x600, v0
	s_delay_alu instid0(VALU_DEP_1)
	v_cmp_gt_i32_e64 s4, s13, v6
	s_and_saveexec_b32 s6, s4
	;; [unrolled: 46-line block ×3, first 2 shown]
	s_cbranch_execz .LBB2_132
; %bb.128:
	v_and_b32_e32 v6, 0xff, v28
	s_mov_b32 s9, 0
	s_mov_b32 s8, exec_lo
	s_delay_alu instid0(VALU_DEP_1)
	v_cmpx_ne_u16_e32 0, v6
	s_cbranch_execz .LBB2_131
.LBB2_129:                              ; =>This Inner Loop Header: Depth=1
	v_cvt_f32_ubyte0_e32 v9, v27
	v_mov_b32_e32 v6, v28
	s_delay_alu instid0(VALU_DEP_1) | instskip(NEXT) | instid1(VALU_DEP_1)
	v_cvt_f32_ubyte0_e32 v7, v6
	v_rcp_iflag_f32_e32 v8, v7
	v_nop
	s_delay_alu instid0(TRANS32_DEP_1) | instskip(NEXT) | instid1(VALU_DEP_1)
	v_mul_f32_e32 v8, v9, v8
	v_trunc_f32_e32 v8, v8
	s_delay_alu instid0(VALU_DEP_1) | instskip(SKIP_1) | instid1(VALU_DEP_2)
	v_fma_f32 v9, -v8, v7, v9
	v_cvt_u32_f32_e32 v8, v8
	v_cmp_ge_f32_e64 s6, |v9|, v7
	s_delay_alu instid0(VALU_DEP_1) | instskip(NEXT) | instid1(VALU_DEP_1)
	v_add_co_ci_u32_e64 v7, null, 0, v8, s6
	v_mul_lo_u32 v7, v7, v6
	s_delay_alu instid0(VALU_DEP_1) | instskip(NEXT) | instid1(VALU_DEP_1)
	v_dual_sub_nc_u32 v7, v27, v7 :: v_dual_mov_b32 v27, v6
	v_and_b32_e32 v28, 0xff, v7
	s_delay_alu instid0(VALU_DEP_1) | instskip(SKIP_1) | instid1(SALU_CYCLE_1)
	v_cmp_eq_u16_e64 s6, 0, v28
	s_or_b32 s9, s6, s9
	s_and_not1_b32 exec_lo, exec_lo, s9
	s_cbranch_execnz .LBB2_129
; %bb.130:
	s_or_b32 exec_lo, exec_lo, s9
	v_mov_b32_e32 v27, v6
.LBB2_131:
	s_or_b32 exec_lo, exec_lo, s8
	s_delay_alu instid0(VALU_DEP_1)
	v_perm_b32 v1, v1, v27, 0x60504
.LBB2_132:
	s_or_b32 exec_lo, exec_lo, s7
	v_or_b32_e32 v8, 0x800, v0
	s_mov_b32 s7, exec_lo
	s_delay_alu instid0(VALU_DEP_1)
	v_cmpx_gt_i32_e64 s13, v8
	s_cbranch_execz .LBB2_137
; %bb.133:
	v_and_b32_e32 v6, 0xff, v26
	s_mov_b32 s9, 0
	s_mov_b32 s8, exec_lo
	s_delay_alu instid0(VALU_DEP_1)
	v_cmpx_ne_u16_e32 0, v6
	s_cbranch_execz .LBB2_136
.LBB2_134:                              ; =>This Inner Loop Header: Depth=1
	v_mov_b32_e32 v6, v26
	v_cvt_f32_ubyte0_e32 v26, v25
	s_delay_alu instid0(VALU_DEP_2) | instskip(NEXT) | instid1(VALU_DEP_1)
	v_cvt_f32_ubyte0_e32 v7, v6
	v_rcp_iflag_f32_e32 v9, v7
	v_nop
	s_delay_alu instid0(TRANS32_DEP_1) | instskip(NEXT) | instid1(VALU_DEP_1)
	v_mul_f32_e32 v9, v26, v9
	v_trunc_f32_e32 v9, v9
	s_delay_alu instid0(VALU_DEP_1) | instskip(SKIP_1) | instid1(VALU_DEP_2)
	v_fma_f32 v26, -v9, v7, v26
	v_cvt_u32_f32_e32 v9, v9
	v_cmp_ge_f32_e64 s6, |v26|, v7
	s_delay_alu instid0(VALU_DEP_1) | instskip(NEXT) | instid1(VALU_DEP_1)
	v_add_co_ci_u32_e64 v7, null, 0, v9, s6
	v_mul_lo_u32 v7, v7, v6
	s_delay_alu instid0(VALU_DEP_1) | instskip(NEXT) | instid1(VALU_DEP_1)
	v_dual_sub_nc_u32 v7, v25, v7 :: v_dual_mov_b32 v25, v6
	v_and_b32_e32 v26, 0xff, v7
	s_delay_alu instid0(VALU_DEP_1) | instskip(SKIP_1) | instid1(SALU_CYCLE_1)
	v_cmp_eq_u16_e64 s6, 0, v26
	s_or_b32 s9, s6, s9
	s_and_not1_b32 exec_lo, exec_lo, s9
	s_cbranch_execnz .LBB2_134
; %bb.135:
	s_or_b32 exec_lo, exec_lo, s9
	v_mov_b32_e32 v25, v6
.LBB2_136:
	s_or_b32 exec_lo, exec_lo, s8
	s_delay_alu instid0(VALU_DEP_1)
	v_perm_b32 v4, v25, v4, 0x3020104
.LBB2_137:
	s_or_b32 exec_lo, exec_lo, s7
	v_or_b32_e32 v6, 0x900, v0
	s_delay_alu instid0(VALU_DEP_1)
	v_cmp_gt_i32_e64 s6, s13, v6
	s_and_saveexec_b32 s8, s6
	s_cbranch_execz .LBB2_142
; %bb.138:
	v_and_b32_e32 v6, 0xff, v24
	s_mov_b32 s10, 0
	s_mov_b32 s9, exec_lo
	s_delay_alu instid0(VALU_DEP_1)
	v_cmpx_ne_u16_e32 0, v6
	s_cbranch_execz .LBB2_141
.LBB2_139:                              ; =>This Inner Loop Header: Depth=1
	v_mov_b32_e32 v6, v24
	v_cvt_f32_ubyte0_e32 v24, v23
	s_delay_alu instid0(VALU_DEP_2) | instskip(NEXT) | instid1(VALU_DEP_1)
	v_cvt_f32_ubyte0_e32 v7, v6
	v_rcp_iflag_f32_e32 v9, v7
	v_nop
	s_delay_alu instid0(TRANS32_DEP_1) | instskip(NEXT) | instid1(VALU_DEP_1)
	v_mul_f32_e32 v9, v24, v9
	v_trunc_f32_e32 v9, v9
	s_delay_alu instid0(VALU_DEP_1) | instskip(SKIP_1) | instid1(VALU_DEP_2)
	v_fma_f32 v24, -v9, v7, v24
	v_cvt_u32_f32_e32 v9, v9
	v_cmp_ge_f32_e64 s7, |v24|, v7
	s_delay_alu instid0(VALU_DEP_1) | instskip(NEXT) | instid1(VALU_DEP_1)
	v_add_co_ci_u32_e64 v7, null, 0, v9, s7
	v_mul_lo_u32 v7, v7, v6
	s_delay_alu instid0(VALU_DEP_1) | instskip(NEXT) | instid1(VALU_DEP_1)
	v_dual_sub_nc_u32 v7, v23, v7 :: v_dual_mov_b32 v23, v6
	v_and_b32_e32 v24, 0xff, v7
	s_delay_alu instid0(VALU_DEP_1) | instskip(SKIP_1) | instid1(SALU_CYCLE_1)
	v_cmp_eq_u16_e64 s7, 0, v24
	s_or_b32 s10, s7, s10
	s_and_not1_b32 exec_lo, exec_lo, s10
	s_cbranch_execnz .LBB2_139
; %bb.140:
	s_or_b32 exec_lo, exec_lo, s10
	v_mov_b32_e32 v23, v6
.LBB2_141:
	s_or_b32 exec_lo, exec_lo, s9
	s_delay_alu instid0(VALU_DEP_1)
	v_perm_b32 v4, v4, v23, 0x7060004
.LBB2_142:
	s_or_b32 exec_lo, exec_lo, s8
	v_or_b32_e32 v6, 0xa00, v0
	s_delay_alu instid0(VALU_DEP_1)
	v_cmp_gt_i32_e64 s7, s13, v6
	s_and_saveexec_b32 s9, s7
	;; [unrolled: 46-line block ×3, first 2 shown]
	s_cbranch_execz .LBB2_152
; %bb.148:
	v_and_b32_e32 v6, 0xff, v20
	s_mov_b32 s12, 0
	s_mov_b32 s11, exec_lo
	s_delay_alu instid0(VALU_DEP_1)
	v_cmpx_ne_u16_e32 0, v6
	s_cbranch_execz .LBB2_151
.LBB2_149:                              ; =>This Inner Loop Header: Depth=1
	v_mov_b32_e32 v6, v20
	v_cvt_f32_ubyte0_e32 v20, v19
	s_delay_alu instid0(VALU_DEP_2) | instskip(NEXT) | instid1(VALU_DEP_1)
	v_cvt_f32_ubyte0_e32 v7, v6
	v_rcp_iflag_f32_e32 v9, v7
	v_nop
	s_delay_alu instid0(TRANS32_DEP_1) | instskip(NEXT) | instid1(VALU_DEP_1)
	v_mul_f32_e32 v9, v20, v9
	v_trunc_f32_e32 v9, v9
	s_delay_alu instid0(VALU_DEP_1) | instskip(SKIP_1) | instid1(VALU_DEP_2)
	v_fma_f32 v20, -v9, v7, v20
	v_cvt_u32_f32_e32 v9, v9
	v_cmp_ge_f32_e64 s9, |v20|, v7
	s_delay_alu instid0(VALU_DEP_1) | instskip(NEXT) | instid1(VALU_DEP_1)
	v_add_co_ci_u32_e64 v7, null, 0, v9, s9
	v_mul_lo_u32 v7, v7, v6
	s_delay_alu instid0(VALU_DEP_1) | instskip(NEXT) | instid1(VALU_DEP_1)
	v_dual_sub_nc_u32 v7, v19, v7 :: v_dual_mov_b32 v19, v6
	v_and_b32_e32 v20, 0xff, v7
	s_delay_alu instid0(VALU_DEP_1) | instskip(SKIP_1) | instid1(SALU_CYCLE_1)
	v_cmp_eq_u16_e64 s9, 0, v20
	s_or_b32 s12, s9, s12
	s_and_not1_b32 exec_lo, exec_lo, s12
	s_cbranch_execnz .LBB2_149
; %bb.150:
	s_or_b32 exec_lo, exec_lo, s12
	v_mov_b32_e32 v19, v6
.LBB2_151:
	s_or_b32 exec_lo, exec_lo, s11
	s_delay_alu instid0(VALU_DEP_1)
	v_perm_b32 v4, v4, v19, 0x60504
.LBB2_152:
	s_or_b32 exec_lo, exec_lo, s10
	v_or_b32_e32 v9, 0xc00, v0
	s_mov_b32 s10, exec_lo
	s_delay_alu instid0(VALU_DEP_1)
	v_cmpx_gt_i32_e64 s13, v9
	s_cbranch_execz .LBB2_157
; %bb.153:
	v_and_b32_e32 v6, 0xff, v18
	s_mov_b32 s12, 0
	s_mov_b32 s11, exec_lo
	s_delay_alu instid0(VALU_DEP_1)
	v_cmpx_ne_u16_e32 0, v6
	s_cbranch_execz .LBB2_156
.LBB2_154:                              ; =>This Inner Loop Header: Depth=1
	v_cvt_f32_ubyte0_e32 v19, v17
	v_mov_b32_e32 v6, v18
	s_delay_alu instid0(VALU_DEP_1) | instskip(NEXT) | instid1(VALU_DEP_1)
	v_cvt_f32_ubyte0_e32 v7, v6
	v_rcp_iflag_f32_e32 v18, v7
	v_nop
	s_delay_alu instid0(TRANS32_DEP_1) | instskip(NEXT) | instid1(VALU_DEP_1)
	v_mul_f32_e32 v18, v19, v18
	v_trunc_f32_e32 v18, v18
	s_delay_alu instid0(VALU_DEP_1) | instskip(SKIP_1) | instid1(VALU_DEP_2)
	v_fma_f32 v19, -v18, v7, v19
	v_cvt_u32_f32_e32 v18, v18
	v_cmp_ge_f32_e64 s9, |v19|, v7
	s_delay_alu instid0(VALU_DEP_1) | instskip(NEXT) | instid1(VALU_DEP_1)
	v_add_co_ci_u32_e64 v7, null, 0, v18, s9
	v_mul_lo_u32 v7, v7, v6
	s_delay_alu instid0(VALU_DEP_1) | instskip(NEXT) | instid1(VALU_DEP_1)
	v_dual_sub_nc_u32 v7, v17, v7 :: v_dual_mov_b32 v17, v6
	v_and_b32_e32 v18, 0xff, v7
	s_delay_alu instid0(VALU_DEP_1) | instskip(SKIP_1) | instid1(SALU_CYCLE_1)
	v_cmp_eq_u16_e64 s9, 0, v18
	s_or_b32 s12, s9, s12
	s_and_not1_b32 exec_lo, exec_lo, s12
	s_cbranch_execnz .LBB2_154
; %bb.155:
	s_or_b32 exec_lo, exec_lo, s12
	v_mov_b32_e32 v17, v6
.LBB2_156:
	s_or_b32 exec_lo, exec_lo, s11
	s_delay_alu instid0(VALU_DEP_1)
	v_perm_b32 v3, v17, v3, 0x3020104
.LBB2_157:
	s_or_b32 exec_lo, exec_lo, s10
	v_or_b32_e32 v6, 0xd00, v0
	s_delay_alu instid0(VALU_DEP_1)
	v_cmp_gt_i32_e64 s9, s13, v6
	s_and_saveexec_b32 s11, s9
	s_cbranch_execz .LBB2_162
; %bb.158:
	v_and_b32_e32 v6, 0xff, v16
	s_mov_b32 s15, 0
	s_mov_b32 s12, exec_lo
	s_delay_alu instid0(VALU_DEP_1)
	v_cmpx_ne_u16_e32 0, v6
	s_cbranch_execz .LBB2_161
.LBB2_159:                              ; =>This Inner Loop Header: Depth=1
	v_cvt_f32_ubyte0_e32 v17, v15
	v_mov_b32_e32 v6, v16
	s_delay_alu instid0(VALU_DEP_1) | instskip(NEXT) | instid1(VALU_DEP_1)
	v_cvt_f32_ubyte0_e32 v7, v6
	v_rcp_iflag_f32_e32 v16, v7
	v_nop
	s_delay_alu instid0(TRANS32_DEP_1) | instskip(NEXT) | instid1(VALU_DEP_1)
	v_mul_f32_e32 v16, v17, v16
	v_trunc_f32_e32 v16, v16
	s_delay_alu instid0(VALU_DEP_1) | instskip(SKIP_1) | instid1(VALU_DEP_2)
	v_fma_f32 v17, -v16, v7, v17
	v_cvt_u32_f32_e32 v16, v16
	v_cmp_ge_f32_e64 s10, |v17|, v7
	s_delay_alu instid0(VALU_DEP_1) | instskip(NEXT) | instid1(VALU_DEP_1)
	v_add_co_ci_u32_e64 v7, null, 0, v16, s10
	v_mul_lo_u32 v7, v7, v6
	s_delay_alu instid0(VALU_DEP_1) | instskip(NEXT) | instid1(VALU_DEP_1)
	v_dual_sub_nc_u32 v7, v15, v7 :: v_dual_mov_b32 v15, v6
	v_and_b32_e32 v16, 0xff, v7
	s_delay_alu instid0(VALU_DEP_1) | instskip(SKIP_1) | instid1(SALU_CYCLE_1)
	v_cmp_eq_u16_e64 s10, 0, v16
	s_or_b32 s15, s10, s15
	s_and_not1_b32 exec_lo, exec_lo, s15
	s_cbranch_execnz .LBB2_159
; %bb.160:
	s_or_b32 exec_lo, exec_lo, s15
	v_mov_b32_e32 v15, v6
.LBB2_161:
	s_or_b32 exec_lo, exec_lo, s12
	s_delay_alu instid0(VALU_DEP_1)
	v_perm_b32 v3, v3, v15, 0x7060004
.LBB2_162:
	s_or_b32 exec_lo, exec_lo, s11
	v_or_b32_e32 v6, 0xe00, v0
	s_delay_alu instid0(VALU_DEP_1)
	v_cmp_gt_i32_e64 s10, s13, v6
	s_and_saveexec_b32 s12, s10
	;; [unrolled: 46-line block ×3, first 2 shown]
	s_cbranch_execz .LBB2_172
; %bb.168:
	v_and_b32_e32 v6, 0xff, v12
	s_mov_b32 s19, 0
	s_mov_b32 s18, exec_lo
	s_delay_alu instid0(VALU_DEP_1)
	v_cmpx_ne_u16_e32 0, v6
	s_cbranch_execz .LBB2_171
.LBB2_169:                              ; =>This Inner Loop Header: Depth=1
	v_cvt_f32_ubyte0_e32 v13, v11
	v_mov_b32_e32 v6, v12
	s_delay_alu instid0(VALU_DEP_1) | instskip(NEXT) | instid1(VALU_DEP_1)
	v_cvt_f32_ubyte0_e32 v7, v6
	v_rcp_iflag_f32_e32 v12, v7
	v_nop
	s_delay_alu instid0(TRANS32_DEP_1) | instskip(NEXT) | instid1(VALU_DEP_1)
	v_mul_f32_e32 v12, v13, v12
	v_trunc_f32_e32 v12, v12
	s_delay_alu instid0(VALU_DEP_1) | instskip(SKIP_1) | instid1(VALU_DEP_2)
	v_fma_f32 v13, -v12, v7, v13
	v_cvt_u32_f32_e32 v12, v12
	v_cmp_ge_f32_e64 s12, |v13|, v7
	s_delay_alu instid0(VALU_DEP_1) | instskip(NEXT) | instid1(VALU_DEP_1)
	v_add_co_ci_u32_e64 v7, null, 0, v12, s12
	v_mul_lo_u32 v7, v7, v6
	s_delay_alu instid0(VALU_DEP_1) | instskip(NEXT) | instid1(VALU_DEP_1)
	v_dual_sub_nc_u32 v7, v11, v7 :: v_dual_mov_b32 v11, v6
	v_and_b32_e32 v12, 0xff, v7
	s_delay_alu instid0(VALU_DEP_1) | instskip(SKIP_1) | instid1(SALU_CYCLE_1)
	v_cmp_eq_u16_e64 s12, 0, v12
	s_or_b32 s19, s12, s19
	s_and_not1_b32 exec_lo, exec_lo, s19
	s_cbranch_execnz .LBB2_169
; %bb.170:
	s_or_b32 exec_lo, exec_lo, s19
	v_mov_b32_e32 v11, v6
.LBB2_171:
	s_or_b32 exec_lo, exec_lo, s18
	s_delay_alu instid0(VALU_DEP_1)
	v_perm_b32 v3, v3, v11, 0x60504
.LBB2_172:
	s_or_b32 exec_lo, exec_lo, s15
	s_and_saveexec_b32 s12, vcc_lo
	s_cbranch_execz .LBB2_189
; %bb.173:
	global_store_b8 v10, v2, s[16:17]
	s_wait_xcnt 0x0
	s_and_b32 exec_lo, exec_lo, s0
	s_cbranch_execz .LBB2_189
; %bb.174:
	v_dual_lshrrev_b32 v7, 8, v2 :: v_dual_add_nc_u32 v6, s14, v0
	global_store_b8 v6, v7, s[16:17] offset:256
	s_wait_xcnt 0x0
	s_and_b32 exec_lo, exec_lo, s1
	s_cbranch_execz .LBB2_189
; %bb.175:
	v_mov_b32_e32 v7, 0
	s_delay_alu instid0(VALU_DEP_1)
	v_add_nc_u64_e32 v[6:7], s[16:17], v[6:7]
	global_store_d16_hi_b8 v[6:7], v2, off offset:512
	s_wait_xcnt 0x0
	s_and_b32 exec_lo, exec_lo, s2
	s_cbranch_execz .LBB2_189
; %bb.176:
	v_lshrrev_b32_e32 v0, 24, v2
	v_cmp_gt_u32_e32 vcc_lo, s13, v5
	global_store_b8 v[6:7], v0, off offset:768
	s_wait_xcnt 0x0
	s_and_b32 exec_lo, exec_lo, vcc_lo
	s_cbranch_execz .LBB2_189
; %bb.177:
	global_store_b8 v[6:7], v1, off offset:1024
	s_wait_xcnt 0x0
	s_and_b32 exec_lo, exec_lo, s3
	s_cbranch_execz .LBB2_189
; %bb.178:
	v_lshrrev_b32_e32 v0, 8, v1
	global_store_b8 v[6:7], v0, off offset:1280
	s_wait_xcnt 0x0
	s_and_b32 exec_lo, exec_lo, s4
	s_cbranch_execz .LBB2_189
; %bb.179:
	global_store_d16_hi_b8 v[6:7], v1, off offset:1536
	s_wait_xcnt 0x0
	s_and_b32 exec_lo, exec_lo, s5
	s_cbranch_execz .LBB2_189
; %bb.180:
	v_lshrrev_b32_e32 v0, 24, v1
	v_cmp_gt_u32_e32 vcc_lo, s13, v8
	global_store_b8 v[6:7], v0, off offset:1792
	s_wait_xcnt 0x0
	s_and_b32 exec_lo, exec_lo, vcc_lo
	s_cbranch_execz .LBB2_189
; %bb.181:
	global_store_b8 v[6:7], v4, off offset:2048
	s_wait_xcnt 0x0
	s_and_b32 exec_lo, exec_lo, s6
	s_cbranch_execz .LBB2_189
; %bb.182:
	v_lshrrev_b32_e32 v0, 8, v4
	global_store_b8 v[6:7], v0, off offset:2304
	s_wait_xcnt 0x0
	s_and_b32 exec_lo, exec_lo, s7
	s_cbranch_execz .LBB2_189
; %bb.183:
	;; [unrolled: 23-line block ×3, first 2 shown]
	global_store_d16_hi_b8 v[6:7], v3, off offset:3584
	s_wait_xcnt 0x0
	s_and_b32 exec_lo, exec_lo, s11
	s_cbranch_execz .LBB2_189
; %bb.188:
	v_lshrrev_b32_e32 v0, 24, v3
	global_store_b8 v[6:7], v0, off offset:3840
.LBB2_189:
	s_endpgm
	.section	.rodata,"a",@progbits
	.p2align	6, 0x0
	.amdhsa_kernel _ZN2at6native29vectorized_elementwise_kernelILi4EZZZNS0_15gcd_kernel_cudaERNS_18TensorIteratorBaseEENKUlvE_clEvENKUlvE_clEvEUlhhE_St5arrayIPcLm3EEEEviT0_T1_
		.amdhsa_group_segment_fixed_size 0
		.amdhsa_private_segment_fixed_size 0
		.amdhsa_kernarg_size 32
		.amdhsa_user_sgpr_count 2
		.amdhsa_user_sgpr_dispatch_ptr 0
		.amdhsa_user_sgpr_queue_ptr 0
		.amdhsa_user_sgpr_kernarg_segment_ptr 1
		.amdhsa_user_sgpr_dispatch_id 0
		.amdhsa_user_sgpr_kernarg_preload_length 0
		.amdhsa_user_sgpr_kernarg_preload_offset 0
		.amdhsa_user_sgpr_private_segment_size 0
		.amdhsa_wavefront_size32 1
		.amdhsa_uses_dynamic_stack 0
		.amdhsa_enable_private_segment 0
		.amdhsa_system_sgpr_workgroup_id_x 1
		.amdhsa_system_sgpr_workgroup_id_y 0
		.amdhsa_system_sgpr_workgroup_id_z 0
		.amdhsa_system_sgpr_workgroup_info 0
		.amdhsa_system_vgpr_workitem_id 0
		.amdhsa_next_free_vgpr 42
		.amdhsa_next_free_sgpr 21
		.amdhsa_named_barrier_count 0
		.amdhsa_reserve_vcc 1
		.amdhsa_float_round_mode_32 0
		.amdhsa_float_round_mode_16_64 0
		.amdhsa_float_denorm_mode_32 3
		.amdhsa_float_denorm_mode_16_64 3
		.amdhsa_fp16_overflow 0
		.amdhsa_memory_ordered 1
		.amdhsa_forward_progress 1
		.amdhsa_inst_pref_size 72
		.amdhsa_round_robin_scheduling 0
		.amdhsa_exception_fp_ieee_invalid_op 0
		.amdhsa_exception_fp_denorm_src 0
		.amdhsa_exception_fp_ieee_div_zero 0
		.amdhsa_exception_fp_ieee_overflow 0
		.amdhsa_exception_fp_ieee_underflow 0
		.amdhsa_exception_fp_ieee_inexact 0
		.amdhsa_exception_int_div_zero 0
	.end_amdhsa_kernel
	.section	.text._ZN2at6native29vectorized_elementwise_kernelILi4EZZZNS0_15gcd_kernel_cudaERNS_18TensorIteratorBaseEENKUlvE_clEvENKUlvE_clEvEUlhhE_St5arrayIPcLm3EEEEviT0_T1_,"axG",@progbits,_ZN2at6native29vectorized_elementwise_kernelILi4EZZZNS0_15gcd_kernel_cudaERNS_18TensorIteratorBaseEENKUlvE_clEvENKUlvE_clEvEUlhhE_St5arrayIPcLm3EEEEviT0_T1_,comdat
.Lfunc_end2:
	.size	_ZN2at6native29vectorized_elementwise_kernelILi4EZZZNS0_15gcd_kernel_cudaERNS_18TensorIteratorBaseEENKUlvE_clEvENKUlvE_clEvEUlhhE_St5arrayIPcLm3EEEEviT0_T1_, .Lfunc_end2-_ZN2at6native29vectorized_elementwise_kernelILi4EZZZNS0_15gcd_kernel_cudaERNS_18TensorIteratorBaseEENKUlvE_clEvENKUlvE_clEvEUlhhE_St5arrayIPcLm3EEEEviT0_T1_
                                        ; -- End function
	.set _ZN2at6native29vectorized_elementwise_kernelILi4EZZZNS0_15gcd_kernel_cudaERNS_18TensorIteratorBaseEENKUlvE_clEvENKUlvE_clEvEUlhhE_St5arrayIPcLm3EEEEviT0_T1_.num_vgpr, 42
	.set _ZN2at6native29vectorized_elementwise_kernelILi4EZZZNS0_15gcd_kernel_cudaERNS_18TensorIteratorBaseEENKUlvE_clEvENKUlvE_clEvEUlhhE_St5arrayIPcLm3EEEEviT0_T1_.num_agpr, 0
	.set _ZN2at6native29vectorized_elementwise_kernelILi4EZZZNS0_15gcd_kernel_cudaERNS_18TensorIteratorBaseEENKUlvE_clEvENKUlvE_clEvEUlhhE_St5arrayIPcLm3EEEEviT0_T1_.numbered_sgpr, 21
	.set _ZN2at6native29vectorized_elementwise_kernelILi4EZZZNS0_15gcd_kernel_cudaERNS_18TensorIteratorBaseEENKUlvE_clEvENKUlvE_clEvEUlhhE_St5arrayIPcLm3EEEEviT0_T1_.num_named_barrier, 0
	.set _ZN2at6native29vectorized_elementwise_kernelILi4EZZZNS0_15gcd_kernel_cudaERNS_18TensorIteratorBaseEENKUlvE_clEvENKUlvE_clEvEUlhhE_St5arrayIPcLm3EEEEviT0_T1_.private_seg_size, 0
	.set _ZN2at6native29vectorized_elementwise_kernelILi4EZZZNS0_15gcd_kernel_cudaERNS_18TensorIteratorBaseEENKUlvE_clEvENKUlvE_clEvEUlhhE_St5arrayIPcLm3EEEEviT0_T1_.uses_vcc, 1
	.set _ZN2at6native29vectorized_elementwise_kernelILi4EZZZNS0_15gcd_kernel_cudaERNS_18TensorIteratorBaseEENKUlvE_clEvENKUlvE_clEvEUlhhE_St5arrayIPcLm3EEEEviT0_T1_.uses_flat_scratch, 0
	.set _ZN2at6native29vectorized_elementwise_kernelILi4EZZZNS0_15gcd_kernel_cudaERNS_18TensorIteratorBaseEENKUlvE_clEvENKUlvE_clEvEUlhhE_St5arrayIPcLm3EEEEviT0_T1_.has_dyn_sized_stack, 0
	.set _ZN2at6native29vectorized_elementwise_kernelILi4EZZZNS0_15gcd_kernel_cudaERNS_18TensorIteratorBaseEENKUlvE_clEvENKUlvE_clEvEUlhhE_St5arrayIPcLm3EEEEviT0_T1_.has_recursion, 0
	.set _ZN2at6native29vectorized_elementwise_kernelILi4EZZZNS0_15gcd_kernel_cudaERNS_18TensorIteratorBaseEENKUlvE_clEvENKUlvE_clEvEUlhhE_St5arrayIPcLm3EEEEviT0_T1_.has_indirect_call, 0
	.section	.AMDGPU.csdata,"",@progbits
; Kernel info:
; codeLenInByte = 9200
; TotalNumSgprs: 23
; NumVgprs: 42
; ScratchSize: 0
; MemoryBound: 0
; FloatMode: 240
; IeeeMode: 1
; LDSByteSize: 0 bytes/workgroup (compile time only)
; SGPRBlocks: 0
; VGPRBlocks: 2
; NumSGPRsForWavesPerEU: 23
; NumVGPRsForWavesPerEU: 42
; NamedBarCnt: 0
; Occupancy: 16
; WaveLimiterHint : 1
; COMPUTE_PGM_RSRC2:SCRATCH_EN: 0
; COMPUTE_PGM_RSRC2:USER_SGPR: 2
; COMPUTE_PGM_RSRC2:TRAP_HANDLER: 0
; COMPUTE_PGM_RSRC2:TGID_X_EN: 1
; COMPUTE_PGM_RSRC2:TGID_Y_EN: 0
; COMPUTE_PGM_RSRC2:TGID_Z_EN: 0
; COMPUTE_PGM_RSRC2:TIDIG_COMP_CNT: 0
	.section	.text._ZN2at6native29vectorized_elementwise_kernelILi2EZZZNS0_15gcd_kernel_cudaERNS_18TensorIteratorBaseEENKUlvE_clEvENKUlvE_clEvEUlhhE_St5arrayIPcLm3EEEEviT0_T1_,"axG",@progbits,_ZN2at6native29vectorized_elementwise_kernelILi2EZZZNS0_15gcd_kernel_cudaERNS_18TensorIteratorBaseEENKUlvE_clEvENKUlvE_clEvEUlhhE_St5arrayIPcLm3EEEEviT0_T1_,comdat
	.globl	_ZN2at6native29vectorized_elementwise_kernelILi2EZZZNS0_15gcd_kernel_cudaERNS_18TensorIteratorBaseEENKUlvE_clEvENKUlvE_clEvEUlhhE_St5arrayIPcLm3EEEEviT0_T1_ ; -- Begin function _ZN2at6native29vectorized_elementwise_kernelILi2EZZZNS0_15gcd_kernel_cudaERNS_18TensorIteratorBaseEENKUlvE_clEvENKUlvE_clEvEUlhhE_St5arrayIPcLm3EEEEviT0_T1_
	.p2align	8
	.type	_ZN2at6native29vectorized_elementwise_kernelILi2EZZZNS0_15gcd_kernel_cudaERNS_18TensorIteratorBaseEENKUlvE_clEvENKUlvE_clEvEUlhhE_St5arrayIPcLm3EEEEviT0_T1_,@function
_ZN2at6native29vectorized_elementwise_kernelILi2EZZZNS0_15gcd_kernel_cudaERNS_18TensorIteratorBaseEENKUlvE_clEvENKUlvE_clEvEUlhhE_St5arrayIPcLm3EEEEviT0_T1_: ; @_ZN2at6native29vectorized_elementwise_kernelILi2EZZZNS0_15gcd_kernel_cudaERNS_18TensorIteratorBaseEENKUlvE_clEvENKUlvE_clEvEUlhhE_St5arrayIPcLm3EEEEviT0_T1_
; %bb.0:
	s_clause 0x2
	s_load_b32 s4, s[0:1], 0x0
	s_load_b128 s[16:19], s[0:1], 0x8
	s_load_b64 s[2:3], s[0:1], 0x18
	s_wait_xcnt 0x0
	s_bfe_u32 s0, ttmp6, 0x4000c
	s_and_b32 s1, ttmp6, 15
	s_add_co_i32 s0, s0, 1
	s_getreg_b32 s5, hwreg(HW_REG_IB_STS2, 6, 4)
	s_mul_i32 s0, ttmp9, s0
	s_delay_alu instid0(SALU_CYCLE_1) | instskip(SKIP_2) | instid1(SALU_CYCLE_1)
	s_add_co_i32 s1, s1, s0
	s_cmp_eq_u32 s5, 0
	s_cselect_b32 s0, ttmp9, s1
	s_lshl_b32 s14, s0, 12
	s_mov_b32 s0, -1
	s_wait_kmcnt 0x0
	s_sub_co_i32 s13, s4, s14
	s_delay_alu instid0(SALU_CYCLE_1)
	s_cmp_gt_i32 s13, 0xfff
	s_cbranch_scc0 .LBB3_66
; %bb.1:
	s_ashr_i32 s15, s14, 31
	s_delay_alu instid0(SALU_CYCLE_1)
	s_add_nc_u64 s[0:1], s[18:19], s[14:15]
	s_add_nc_u64 s[4:5], s[2:3], s[14:15]
	s_clause 0xf
	global_load_u16 v4, v0, s[0:1] scale_offset
	global_load_u16 v8, v0, s[0:1] offset:512 scale_offset
	global_load_u16 v12, v0, s[0:1] offset:1024 scale_offset
	;; [unrolled: 1-line block ×7, first 2 shown]
	global_load_u16 v5, v0, s[4:5] scale_offset
	global_load_u16 v9, v0, s[4:5] offset:512 scale_offset
	global_load_u16 v13, v0, s[4:5] offset:1024 scale_offset
	global_load_u16 v17, v0, s[4:5] offset:1536 scale_offset
	global_load_u16 v14, v0, s[4:5] offset:2048 scale_offset
	global_load_u16 v10, v0, s[4:5] offset:2560 scale_offset
	global_load_u16 v6, v0, s[4:5] offset:3072 scale_offset
	; meta instruction
	global_load_u16 v2, v0, s[4:5] offset:3584 scale_offset
	s_wait_loadcnt 0xf
	v_and_b32_e32 v1, 0xff, v4
	s_delay_alu instid0(VALU_DEP_1)
	v_cmp_ne_u16_e32 vcc_lo, 0, v1
	s_wait_loadcnt 0x7
	v_mov_b32_e32 v1, v5
	s_wait_xcnt 0x0
	s_and_saveexec_b32 s0, vcc_lo
	s_cbranch_execz .LBB3_5
; %bb.2:
	v_dual_mov_b32 v19, v4 :: v_dual_mov_b32 v18, v5
	s_mov_b32 s1, 0
.LBB3_3:                                ; =>This Inner Loop Header: Depth=1
	s_delay_alu instid0(VALU_DEP_1) | instskip(NEXT) | instid1(VALU_DEP_2)
	v_cvt_f32_ubyte0_e32 v21, v18
	v_mov_b32_e32 v1, v19
	s_delay_alu instid0(VALU_DEP_1) | instskip(NEXT) | instid1(VALU_DEP_1)
	v_cvt_f32_ubyte0_e32 v19, v1
	v_rcp_iflag_f32_e32 v20, v19
	v_nop
	s_delay_alu instid0(TRANS32_DEP_1) | instskip(NEXT) | instid1(VALU_DEP_1)
	v_mul_f32_e32 v20, v21, v20
	v_trunc_f32_e32 v20, v20
	s_delay_alu instid0(VALU_DEP_1) | instskip(SKIP_1) | instid1(VALU_DEP_2)
	v_fma_f32 v21, -v20, v19, v21
	v_cvt_u32_f32_e32 v20, v20
	v_cmp_ge_f32_e64 vcc_lo, |v21|, v19
	s_delay_alu instid0(VALU_DEP_1) | instskip(NEXT) | instid1(VALU_DEP_1)
	v_add_co_ci_u32_e64 v19, null, 0, v20, vcc_lo
	v_mul_lo_u32 v19, v19, v1
	s_delay_alu instid0(VALU_DEP_1) | instskip(NEXT) | instid1(VALU_DEP_1)
	v_sub_nc_u32_e32 v18, v18, v19
	v_and_b32_e32 v19, 0xff, v18
	v_mov_b32_e32 v18, v1
	s_delay_alu instid0(VALU_DEP_2) | instskip(SKIP_1) | instid1(SALU_CYCLE_1)
	v_cmp_eq_u16_e32 vcc_lo, 0, v19
	s_or_b32 s1, vcc_lo, s1
	s_and_not1_b32 exec_lo, exec_lo, s1
	s_cbranch_execnz .LBB3_3
; %bb.4:
	s_or_b32 exec_lo, exec_lo, s1
.LBB3_5:
	s_delay_alu instid0(SALU_CYCLE_1) | instskip(SKIP_4) | instid1(VALU_DEP_2)
	s_or_b32 exec_lo, exec_lo, s0
	v_lshrrev_b16 v18, 8, v4
	v_lshrrev_b16 v4, 8, v5
	s_mov_b32 s1, 0
	s_mov_b32 s0, exec_lo
	v_cmpx_ne_u16_e32 0, v18
	s_cbranch_execz .LBB3_9
; %bb.6:
	v_lshrrev_b16 v5, 8, v5
.LBB3_7:                                ; =>This Inner Loop Header: Depth=1
	s_delay_alu instid0(VALU_DEP_1) | instskip(SKIP_1) | instid1(VALU_DEP_1)
	v_cvt_f32_ubyte0_e32 v20, v5
	v_mov_b32_e32 v4, v18
	v_cvt_f32_ubyte0_e32 v18, v4
	s_delay_alu instid0(VALU_DEP_1) | instskip(SKIP_1) | instid1(TRANS32_DEP_1)
	v_rcp_iflag_f32_e32 v19, v18
	v_nop
	v_mul_f32_e32 v19, v20, v19
	s_delay_alu instid0(VALU_DEP_1) | instskip(NEXT) | instid1(VALU_DEP_1)
	v_trunc_f32_e32 v19, v19
	v_fma_f32 v20, -v19, v18, v20
	v_cvt_u32_f32_e32 v19, v19
	s_delay_alu instid0(VALU_DEP_2) | instskip(NEXT) | instid1(VALU_DEP_1)
	v_cmp_ge_f32_e64 vcc_lo, |v20|, v18
	v_add_co_ci_u32_e64 v18, null, 0, v19, vcc_lo
	s_delay_alu instid0(VALU_DEP_1) | instskip(NEXT) | instid1(VALU_DEP_1)
	v_mul_lo_u32 v18, v18, v4
	v_sub_nc_u32_e32 v5, v5, v18
	s_delay_alu instid0(VALU_DEP_1) | instskip(SKIP_1) | instid1(VALU_DEP_2)
	v_and_b32_e32 v18, 0xff, v5
	v_mov_b32_e32 v5, v4
	v_cmp_eq_u16_e32 vcc_lo, 0, v18
	s_or_b32 s1, vcc_lo, s1
	s_delay_alu instid0(SALU_CYCLE_1)
	s_and_not1_b32 exec_lo, exec_lo, s1
	s_cbranch_execnz .LBB3_7
; %bb.8:
	s_or_b32 exec_lo, exec_lo, s1
.LBB3_9:
	s_delay_alu instid0(SALU_CYCLE_1) | instskip(SKIP_2) | instid1(VALU_DEP_1)
	s_or_b32 exec_lo, exec_lo, s0
	v_and_b32_e32 v5, 0xff, v8
	s_mov_b32 s1, 0
	v_cmp_ne_u16_e32 vcc_lo, 0, v5
	s_wait_loadcnt 0x6
	v_mov_b32_e32 v5, v9
	s_and_saveexec_b32 s0, vcc_lo
	s_cbranch_execz .LBB3_13
; %bb.10:
	v_dual_mov_b32 v19, v8 :: v_dual_mov_b32 v18, v9
.LBB3_11:                               ; =>This Inner Loop Header: Depth=1
	s_delay_alu instid0(VALU_DEP_1) | instskip(NEXT) | instid1(VALU_DEP_2)
	v_cvt_f32_ubyte0_e32 v21, v18
	v_mov_b32_e32 v5, v19
	s_delay_alu instid0(VALU_DEP_1) | instskip(NEXT) | instid1(VALU_DEP_1)
	v_cvt_f32_ubyte0_e32 v19, v5
	v_rcp_iflag_f32_e32 v20, v19
	v_nop
	s_delay_alu instid0(TRANS32_DEP_1) | instskip(NEXT) | instid1(VALU_DEP_1)
	v_mul_f32_e32 v20, v21, v20
	v_trunc_f32_e32 v20, v20
	s_delay_alu instid0(VALU_DEP_1) | instskip(SKIP_1) | instid1(VALU_DEP_2)
	v_fma_f32 v21, -v20, v19, v21
	v_cvt_u32_f32_e32 v20, v20
	v_cmp_ge_f32_e64 vcc_lo, |v21|, v19
	s_delay_alu instid0(VALU_DEP_1) | instskip(NEXT) | instid1(VALU_DEP_1)
	v_add_co_ci_u32_e64 v19, null, 0, v20, vcc_lo
	v_mul_lo_u32 v19, v19, v5
	s_delay_alu instid0(VALU_DEP_1) | instskip(NEXT) | instid1(VALU_DEP_1)
	v_sub_nc_u32_e32 v18, v18, v19
	v_and_b32_e32 v19, 0xff, v18
	v_mov_b32_e32 v18, v5
	s_delay_alu instid0(VALU_DEP_2) | instskip(SKIP_1) | instid1(SALU_CYCLE_1)
	v_cmp_eq_u16_e32 vcc_lo, 0, v19
	s_or_b32 s1, vcc_lo, s1
	s_and_not1_b32 exec_lo, exec_lo, s1
	s_cbranch_execnz .LBB3_11
; %bb.12:
	s_or_b32 exec_lo, exec_lo, s1
.LBB3_13:
	s_delay_alu instid0(SALU_CYCLE_1) | instskip(SKIP_4) | instid1(VALU_DEP_2)
	s_or_b32 exec_lo, exec_lo, s0
	v_lshrrev_b16 v18, 8, v8
	v_lshrrev_b16 v8, 8, v9
	s_mov_b32 s1, 0
	s_mov_b32 s0, exec_lo
	v_cmpx_ne_u16_e32 0, v18
	s_cbranch_execz .LBB3_17
; %bb.14:
	v_lshrrev_b16 v9, 8, v9
.LBB3_15:                               ; =>This Inner Loop Header: Depth=1
	s_delay_alu instid0(VALU_DEP_1) | instskip(SKIP_1) | instid1(VALU_DEP_1)
	v_cvt_f32_ubyte0_e32 v20, v9
	v_mov_b32_e32 v8, v18
	v_cvt_f32_ubyte0_e32 v18, v8
	s_delay_alu instid0(VALU_DEP_1) | instskip(SKIP_1) | instid1(TRANS32_DEP_1)
	v_rcp_iflag_f32_e32 v19, v18
	v_nop
	v_mul_f32_e32 v19, v20, v19
	s_delay_alu instid0(VALU_DEP_1) | instskip(NEXT) | instid1(VALU_DEP_1)
	v_trunc_f32_e32 v19, v19
	v_fma_f32 v20, -v19, v18, v20
	v_cvt_u32_f32_e32 v19, v19
	s_delay_alu instid0(VALU_DEP_2) | instskip(NEXT) | instid1(VALU_DEP_1)
	v_cmp_ge_f32_e64 vcc_lo, |v20|, v18
	v_add_co_ci_u32_e64 v18, null, 0, v19, vcc_lo
	s_delay_alu instid0(VALU_DEP_1) | instskip(NEXT) | instid1(VALU_DEP_1)
	v_mul_lo_u32 v18, v18, v8
	v_sub_nc_u32_e32 v9, v9, v18
	s_delay_alu instid0(VALU_DEP_1) | instskip(SKIP_1) | instid1(VALU_DEP_2)
	v_and_b32_e32 v18, 0xff, v9
	v_mov_b32_e32 v9, v8
	v_cmp_eq_u16_e32 vcc_lo, 0, v18
	s_or_b32 s1, vcc_lo, s1
	s_delay_alu instid0(SALU_CYCLE_1)
	s_and_not1_b32 exec_lo, exec_lo, s1
	s_cbranch_execnz .LBB3_15
; %bb.16:
	s_or_b32 exec_lo, exec_lo, s1
.LBB3_17:
	s_delay_alu instid0(SALU_CYCLE_1) | instskip(SKIP_2) | instid1(VALU_DEP_1)
	s_or_b32 exec_lo, exec_lo, s0
	v_and_b32_e32 v9, 0xff, v12
	s_mov_b32 s1, 0
	v_cmp_ne_u16_e32 vcc_lo, 0, v9
	s_wait_loadcnt 0x5
	v_mov_b32_e32 v9, v13
	s_and_saveexec_b32 s0, vcc_lo
	s_cbranch_execz .LBB3_21
; %bb.18:
	v_dual_mov_b32 v19, v12 :: v_dual_mov_b32 v18, v13
.LBB3_19:                               ; =>This Inner Loop Header: Depth=1
	s_delay_alu instid0(VALU_DEP_1) | instskip(NEXT) | instid1(VALU_DEP_2)
	v_cvt_f32_ubyte0_e32 v21, v18
	v_mov_b32_e32 v9, v19
	s_delay_alu instid0(VALU_DEP_1) | instskip(NEXT) | instid1(VALU_DEP_1)
	v_cvt_f32_ubyte0_e32 v19, v9
	v_rcp_iflag_f32_e32 v20, v19
	v_nop
	s_delay_alu instid0(TRANS32_DEP_1) | instskip(NEXT) | instid1(VALU_DEP_1)
	v_mul_f32_e32 v20, v21, v20
	v_trunc_f32_e32 v20, v20
	s_delay_alu instid0(VALU_DEP_1) | instskip(SKIP_1) | instid1(VALU_DEP_2)
	v_fma_f32 v21, -v20, v19, v21
	v_cvt_u32_f32_e32 v20, v20
	v_cmp_ge_f32_e64 vcc_lo, |v21|, v19
	s_delay_alu instid0(VALU_DEP_1) | instskip(NEXT) | instid1(VALU_DEP_1)
	v_add_co_ci_u32_e64 v19, null, 0, v20, vcc_lo
	v_mul_lo_u32 v19, v19, v9
	s_delay_alu instid0(VALU_DEP_1) | instskip(NEXT) | instid1(VALU_DEP_1)
	v_sub_nc_u32_e32 v18, v18, v19
	v_and_b32_e32 v19, 0xff, v18
	v_mov_b32_e32 v18, v9
	s_delay_alu instid0(VALU_DEP_2) | instskip(SKIP_1) | instid1(SALU_CYCLE_1)
	v_cmp_eq_u16_e32 vcc_lo, 0, v19
	s_or_b32 s1, vcc_lo, s1
	s_and_not1_b32 exec_lo, exec_lo, s1
	s_cbranch_execnz .LBB3_19
; %bb.20:
	s_or_b32 exec_lo, exec_lo, s1
.LBB3_21:
	s_delay_alu instid0(SALU_CYCLE_1) | instskip(SKIP_4) | instid1(VALU_DEP_2)
	s_or_b32 exec_lo, exec_lo, s0
	v_lshrrev_b16 v18, 8, v12
	v_lshrrev_b16 v12, 8, v13
	s_mov_b32 s1, 0
	s_mov_b32 s0, exec_lo
	v_cmpx_ne_u16_e32 0, v18
	s_cbranch_execz .LBB3_25
; %bb.22:
	v_lshrrev_b16 v13, 8, v13
.LBB3_23:                               ; =>This Inner Loop Header: Depth=1
	s_delay_alu instid0(VALU_DEP_1) | instskip(SKIP_1) | instid1(VALU_DEP_1)
	v_cvt_f32_ubyte0_e32 v20, v13
	v_mov_b32_e32 v12, v18
	v_cvt_f32_ubyte0_e32 v18, v12
	s_delay_alu instid0(VALU_DEP_1) | instskip(SKIP_1) | instid1(TRANS32_DEP_1)
	v_rcp_iflag_f32_e32 v19, v18
	v_nop
	v_mul_f32_e32 v19, v20, v19
	s_delay_alu instid0(VALU_DEP_1) | instskip(NEXT) | instid1(VALU_DEP_1)
	v_trunc_f32_e32 v19, v19
	v_fma_f32 v20, -v19, v18, v20
	v_cvt_u32_f32_e32 v19, v19
	s_delay_alu instid0(VALU_DEP_2) | instskip(NEXT) | instid1(VALU_DEP_1)
	v_cmp_ge_f32_e64 vcc_lo, |v20|, v18
	v_add_co_ci_u32_e64 v18, null, 0, v19, vcc_lo
	s_delay_alu instid0(VALU_DEP_1) | instskip(NEXT) | instid1(VALU_DEP_1)
	v_mul_lo_u32 v18, v18, v12
	v_sub_nc_u32_e32 v13, v13, v18
	s_delay_alu instid0(VALU_DEP_1) | instskip(SKIP_1) | instid1(VALU_DEP_2)
	v_and_b32_e32 v18, 0xff, v13
	v_mov_b32_e32 v13, v12
	v_cmp_eq_u16_e32 vcc_lo, 0, v18
	s_or_b32 s1, vcc_lo, s1
	s_delay_alu instid0(SALU_CYCLE_1)
	s_and_not1_b32 exec_lo, exec_lo, s1
	s_cbranch_execnz .LBB3_23
; %bb.24:
	s_or_b32 exec_lo, exec_lo, s1
.LBB3_25:
	s_delay_alu instid0(SALU_CYCLE_1) | instskip(SKIP_2) | instid1(VALU_DEP_1)
	s_or_b32 exec_lo, exec_lo, s0
	v_and_b32_e32 v13, 0xff, v16
	s_mov_b32 s1, 0
	v_cmp_ne_u16_e32 vcc_lo, 0, v13
	s_wait_loadcnt 0x4
	v_mov_b32_e32 v13, v17
	s_and_saveexec_b32 s0, vcc_lo
	s_cbranch_execz .LBB3_29
; %bb.26:
	v_dual_mov_b32 v19, v16 :: v_dual_mov_b32 v18, v17
.LBB3_27:                               ; =>This Inner Loop Header: Depth=1
	s_delay_alu instid0(VALU_DEP_1) | instskip(NEXT) | instid1(VALU_DEP_2)
	v_cvt_f32_ubyte0_e32 v21, v18
	v_mov_b32_e32 v13, v19
	s_delay_alu instid0(VALU_DEP_1) | instskip(NEXT) | instid1(VALU_DEP_1)
	v_cvt_f32_ubyte0_e32 v19, v13
	v_rcp_iflag_f32_e32 v20, v19
	v_nop
	s_delay_alu instid0(TRANS32_DEP_1) | instskip(NEXT) | instid1(VALU_DEP_1)
	v_mul_f32_e32 v20, v21, v20
	v_trunc_f32_e32 v20, v20
	s_delay_alu instid0(VALU_DEP_1) | instskip(SKIP_1) | instid1(VALU_DEP_2)
	v_fma_f32 v21, -v20, v19, v21
	v_cvt_u32_f32_e32 v20, v20
	v_cmp_ge_f32_e64 vcc_lo, |v21|, v19
	s_delay_alu instid0(VALU_DEP_1) | instskip(NEXT) | instid1(VALU_DEP_1)
	v_add_co_ci_u32_e64 v19, null, 0, v20, vcc_lo
	v_mul_lo_u32 v19, v19, v13
	s_delay_alu instid0(VALU_DEP_1) | instskip(NEXT) | instid1(VALU_DEP_1)
	v_sub_nc_u32_e32 v18, v18, v19
	v_and_b32_e32 v19, 0xff, v18
	v_mov_b32_e32 v18, v13
	s_delay_alu instid0(VALU_DEP_2) | instskip(SKIP_1) | instid1(SALU_CYCLE_1)
	v_cmp_eq_u16_e32 vcc_lo, 0, v19
	s_or_b32 s1, vcc_lo, s1
	s_and_not1_b32 exec_lo, exec_lo, s1
	s_cbranch_execnz .LBB3_27
; %bb.28:
	s_or_b32 exec_lo, exec_lo, s1
.LBB3_29:
	s_delay_alu instid0(SALU_CYCLE_1) | instskip(SKIP_4) | instid1(VALU_DEP_2)
	s_or_b32 exec_lo, exec_lo, s0
	v_lshrrev_b16 v18, 8, v16
	v_lshrrev_b16 v16, 8, v17
	s_mov_b32 s1, 0
	s_mov_b32 s0, exec_lo
	v_cmpx_ne_u16_e32 0, v18
	s_cbranch_execz .LBB3_33
; %bb.30:
	v_lshrrev_b16 v17, 8, v17
.LBB3_31:                               ; =>This Inner Loop Header: Depth=1
	s_delay_alu instid0(VALU_DEP_1) | instskip(SKIP_1) | instid1(VALU_DEP_1)
	v_cvt_f32_ubyte0_e32 v20, v17
	v_mov_b32_e32 v16, v18
	v_cvt_f32_ubyte0_e32 v18, v16
	s_delay_alu instid0(VALU_DEP_1) | instskip(SKIP_1) | instid1(TRANS32_DEP_1)
	v_rcp_iflag_f32_e32 v19, v18
	v_nop
	v_mul_f32_e32 v19, v20, v19
	s_delay_alu instid0(VALU_DEP_1) | instskip(NEXT) | instid1(VALU_DEP_1)
	v_trunc_f32_e32 v19, v19
	v_fma_f32 v20, -v19, v18, v20
	v_cvt_u32_f32_e32 v19, v19
	s_delay_alu instid0(VALU_DEP_2) | instskip(NEXT) | instid1(VALU_DEP_1)
	v_cmp_ge_f32_e64 vcc_lo, |v20|, v18
	v_add_co_ci_u32_e64 v18, null, 0, v19, vcc_lo
	s_delay_alu instid0(VALU_DEP_1) | instskip(NEXT) | instid1(VALU_DEP_1)
	v_mul_lo_u32 v18, v18, v16
	v_sub_nc_u32_e32 v17, v17, v18
	s_delay_alu instid0(VALU_DEP_1) | instskip(SKIP_1) | instid1(VALU_DEP_2)
	v_and_b32_e32 v18, 0xff, v17
	v_mov_b32_e32 v17, v16
	v_cmp_eq_u16_e32 vcc_lo, 0, v18
	s_or_b32 s1, vcc_lo, s1
	s_delay_alu instid0(SALU_CYCLE_1)
	s_and_not1_b32 exec_lo, exec_lo, s1
	s_cbranch_execnz .LBB3_31
; %bb.32:
	s_or_b32 exec_lo, exec_lo, s1
.LBB3_33:
	s_delay_alu instid0(SALU_CYCLE_1) | instskip(SKIP_2) | instid1(VALU_DEP_1)
	s_or_b32 exec_lo, exec_lo, s0
	v_and_b32_e32 v17, 0xff, v15
	s_mov_b32 s1, 0
	v_cmp_ne_u16_e32 vcc_lo, 0, v17
	s_wait_loadcnt 0x3
	v_mov_b32_e32 v17, v14
	s_and_saveexec_b32 s0, vcc_lo
	s_cbranch_execz .LBB3_37
; %bb.34:
	v_dual_mov_b32 v19, v15 :: v_dual_mov_b32 v18, v14
.LBB3_35:                               ; =>This Inner Loop Header: Depth=1
	s_delay_alu instid0(VALU_DEP_1) | instskip(NEXT) | instid1(VALU_DEP_2)
	v_cvt_f32_ubyte0_e32 v21, v18
	v_mov_b32_e32 v17, v19
	s_delay_alu instid0(VALU_DEP_1) | instskip(NEXT) | instid1(VALU_DEP_1)
	v_cvt_f32_ubyte0_e32 v19, v17
	v_rcp_iflag_f32_e32 v20, v19
	v_nop
	s_delay_alu instid0(TRANS32_DEP_1) | instskip(NEXT) | instid1(VALU_DEP_1)
	v_mul_f32_e32 v20, v21, v20
	v_trunc_f32_e32 v20, v20
	s_delay_alu instid0(VALU_DEP_1) | instskip(SKIP_1) | instid1(VALU_DEP_2)
	v_fma_f32 v21, -v20, v19, v21
	v_cvt_u32_f32_e32 v20, v20
	v_cmp_ge_f32_e64 vcc_lo, |v21|, v19
	s_delay_alu instid0(VALU_DEP_1) | instskip(NEXT) | instid1(VALU_DEP_1)
	v_add_co_ci_u32_e64 v19, null, 0, v20, vcc_lo
	v_mul_lo_u32 v19, v19, v17
	s_delay_alu instid0(VALU_DEP_1) | instskip(NEXT) | instid1(VALU_DEP_1)
	v_sub_nc_u32_e32 v18, v18, v19
	v_and_b32_e32 v19, 0xff, v18
	v_mov_b32_e32 v18, v17
	s_delay_alu instid0(VALU_DEP_2) | instskip(SKIP_1) | instid1(SALU_CYCLE_1)
	v_cmp_eq_u16_e32 vcc_lo, 0, v19
	s_or_b32 s1, vcc_lo, s1
	s_and_not1_b32 exec_lo, exec_lo, s1
	s_cbranch_execnz .LBB3_35
; %bb.36:
	s_or_b32 exec_lo, exec_lo, s1
.LBB3_37:
	s_delay_alu instid0(SALU_CYCLE_1) | instskip(SKIP_4) | instid1(VALU_DEP_2)
	s_or_b32 exec_lo, exec_lo, s0
	v_lshrrev_b16 v18, 8, v15
	v_lshrrev_b16 v15, 8, v14
	s_mov_b32 s1, 0
	s_mov_b32 s0, exec_lo
	v_cmpx_ne_u16_e32 0, v18
	s_cbranch_execz .LBB3_41
; %bb.38:
	v_lshrrev_b16 v14, 8, v14
.LBB3_39:                               ; =>This Inner Loop Header: Depth=1
	s_delay_alu instid0(VALU_DEP_1) | instskip(SKIP_1) | instid1(VALU_DEP_1)
	v_cvt_f32_ubyte0_e32 v20, v14
	v_mov_b32_e32 v15, v18
	v_cvt_f32_ubyte0_e32 v18, v15
	s_delay_alu instid0(VALU_DEP_1) | instskip(SKIP_1) | instid1(TRANS32_DEP_1)
	v_rcp_iflag_f32_e32 v19, v18
	v_nop
	v_mul_f32_e32 v19, v20, v19
	s_delay_alu instid0(VALU_DEP_1) | instskip(NEXT) | instid1(VALU_DEP_1)
	v_trunc_f32_e32 v19, v19
	v_fma_f32 v20, -v19, v18, v20
	v_cvt_u32_f32_e32 v19, v19
	s_delay_alu instid0(VALU_DEP_2) | instskip(NEXT) | instid1(VALU_DEP_1)
	v_cmp_ge_f32_e64 vcc_lo, |v20|, v18
	v_add_co_ci_u32_e64 v18, null, 0, v19, vcc_lo
	s_delay_alu instid0(VALU_DEP_1) | instskip(NEXT) | instid1(VALU_DEP_1)
	v_mul_lo_u32 v18, v18, v15
	v_sub_nc_u32_e32 v14, v14, v18
	s_delay_alu instid0(VALU_DEP_1) | instskip(SKIP_1) | instid1(VALU_DEP_2)
	v_and_b32_e32 v18, 0xff, v14
	v_mov_b32_e32 v14, v15
	v_cmp_eq_u16_e32 vcc_lo, 0, v18
	s_or_b32 s1, vcc_lo, s1
	s_delay_alu instid0(SALU_CYCLE_1)
	s_and_not1_b32 exec_lo, exec_lo, s1
	s_cbranch_execnz .LBB3_39
; %bb.40:
	s_or_b32 exec_lo, exec_lo, s1
.LBB3_41:
	s_delay_alu instid0(SALU_CYCLE_1) | instskip(SKIP_2) | instid1(VALU_DEP_1)
	s_or_b32 exec_lo, exec_lo, s0
	v_and_b32_e32 v14, 0xff, v11
	s_mov_b32 s1, 0
	v_cmp_ne_u16_e32 vcc_lo, 0, v14
	s_wait_loadcnt 0x2
	v_mov_b32_e32 v14, v10
	s_and_saveexec_b32 s0, vcc_lo
	s_cbranch_execz .LBB3_45
; %bb.42:
	v_dual_mov_b32 v19, v11 :: v_dual_mov_b32 v18, v10
.LBB3_43:                               ; =>This Inner Loop Header: Depth=1
	s_delay_alu instid0(VALU_DEP_1) | instskip(NEXT) | instid1(VALU_DEP_2)
	v_cvt_f32_ubyte0_e32 v21, v18
	v_mov_b32_e32 v14, v19
	s_delay_alu instid0(VALU_DEP_1) | instskip(NEXT) | instid1(VALU_DEP_1)
	v_cvt_f32_ubyte0_e32 v19, v14
	v_rcp_iflag_f32_e32 v20, v19
	v_nop
	s_delay_alu instid0(TRANS32_DEP_1) | instskip(NEXT) | instid1(VALU_DEP_1)
	v_mul_f32_e32 v20, v21, v20
	v_trunc_f32_e32 v20, v20
	s_delay_alu instid0(VALU_DEP_1) | instskip(SKIP_1) | instid1(VALU_DEP_2)
	v_fma_f32 v21, -v20, v19, v21
	v_cvt_u32_f32_e32 v20, v20
	v_cmp_ge_f32_e64 vcc_lo, |v21|, v19
	s_delay_alu instid0(VALU_DEP_1) | instskip(NEXT) | instid1(VALU_DEP_1)
	v_add_co_ci_u32_e64 v19, null, 0, v20, vcc_lo
	v_mul_lo_u32 v19, v19, v14
	s_delay_alu instid0(VALU_DEP_1) | instskip(NEXT) | instid1(VALU_DEP_1)
	v_sub_nc_u32_e32 v18, v18, v19
	v_and_b32_e32 v19, 0xff, v18
	v_mov_b32_e32 v18, v14
	s_delay_alu instid0(VALU_DEP_2) | instskip(SKIP_1) | instid1(SALU_CYCLE_1)
	v_cmp_eq_u16_e32 vcc_lo, 0, v19
	s_or_b32 s1, vcc_lo, s1
	s_and_not1_b32 exec_lo, exec_lo, s1
	s_cbranch_execnz .LBB3_43
; %bb.44:
	s_or_b32 exec_lo, exec_lo, s1
.LBB3_45:
	s_delay_alu instid0(SALU_CYCLE_1) | instskip(SKIP_4) | instid1(VALU_DEP_2)
	s_or_b32 exec_lo, exec_lo, s0
	v_lshrrev_b16 v18, 8, v11
	v_lshrrev_b16 v11, 8, v10
	s_mov_b32 s1, 0
	s_mov_b32 s0, exec_lo
	v_cmpx_ne_u16_e32 0, v18
	s_cbranch_execz .LBB3_49
; %bb.46:
	v_lshrrev_b16 v10, 8, v10
.LBB3_47:                               ; =>This Inner Loop Header: Depth=1
	s_delay_alu instid0(VALU_DEP_1) | instskip(SKIP_1) | instid1(VALU_DEP_1)
	v_cvt_f32_ubyte0_e32 v20, v10
	v_mov_b32_e32 v11, v18
	v_cvt_f32_ubyte0_e32 v18, v11
	s_delay_alu instid0(VALU_DEP_1) | instskip(SKIP_1) | instid1(TRANS32_DEP_1)
	v_rcp_iflag_f32_e32 v19, v18
	v_nop
	v_mul_f32_e32 v19, v20, v19
	s_delay_alu instid0(VALU_DEP_1) | instskip(NEXT) | instid1(VALU_DEP_1)
	v_trunc_f32_e32 v19, v19
	v_fma_f32 v20, -v19, v18, v20
	v_cvt_u32_f32_e32 v19, v19
	s_delay_alu instid0(VALU_DEP_2) | instskip(NEXT) | instid1(VALU_DEP_1)
	v_cmp_ge_f32_e64 vcc_lo, |v20|, v18
	v_add_co_ci_u32_e64 v18, null, 0, v19, vcc_lo
	s_delay_alu instid0(VALU_DEP_1) | instskip(NEXT) | instid1(VALU_DEP_1)
	v_mul_lo_u32 v18, v18, v11
	v_sub_nc_u32_e32 v10, v10, v18
	s_delay_alu instid0(VALU_DEP_1) | instskip(SKIP_1) | instid1(VALU_DEP_2)
	v_and_b32_e32 v18, 0xff, v10
	v_mov_b32_e32 v10, v11
	v_cmp_eq_u16_e32 vcc_lo, 0, v18
	s_or_b32 s1, vcc_lo, s1
	s_delay_alu instid0(SALU_CYCLE_1)
	s_and_not1_b32 exec_lo, exec_lo, s1
	s_cbranch_execnz .LBB3_47
; %bb.48:
	s_or_b32 exec_lo, exec_lo, s1
.LBB3_49:
	s_delay_alu instid0(SALU_CYCLE_1) | instskip(SKIP_2) | instid1(VALU_DEP_1)
	s_or_b32 exec_lo, exec_lo, s0
	v_and_b32_e32 v10, 0xff, v7
	s_mov_b32 s1, 0
	v_cmp_ne_u16_e32 vcc_lo, 0, v10
	s_wait_loadcnt 0x1
	v_mov_b32_e32 v10, v6
	s_and_saveexec_b32 s0, vcc_lo
	s_cbranch_execz .LBB3_53
; %bb.50:
	v_dual_mov_b32 v19, v7 :: v_dual_mov_b32 v18, v6
.LBB3_51:                               ; =>This Inner Loop Header: Depth=1
	s_delay_alu instid0(VALU_DEP_1) | instskip(NEXT) | instid1(VALU_DEP_2)
	v_cvt_f32_ubyte0_e32 v21, v18
	v_mov_b32_e32 v10, v19
	s_delay_alu instid0(VALU_DEP_1) | instskip(NEXT) | instid1(VALU_DEP_1)
	v_cvt_f32_ubyte0_e32 v19, v10
	v_rcp_iflag_f32_e32 v20, v19
	v_nop
	s_delay_alu instid0(TRANS32_DEP_1) | instskip(NEXT) | instid1(VALU_DEP_1)
	v_mul_f32_e32 v20, v21, v20
	v_trunc_f32_e32 v20, v20
	s_delay_alu instid0(VALU_DEP_1) | instskip(SKIP_1) | instid1(VALU_DEP_2)
	v_fma_f32 v21, -v20, v19, v21
	v_cvt_u32_f32_e32 v20, v20
	v_cmp_ge_f32_e64 vcc_lo, |v21|, v19
	s_delay_alu instid0(VALU_DEP_1) | instskip(NEXT) | instid1(VALU_DEP_1)
	v_add_co_ci_u32_e64 v19, null, 0, v20, vcc_lo
	v_mul_lo_u32 v19, v19, v10
	s_delay_alu instid0(VALU_DEP_1) | instskip(NEXT) | instid1(VALU_DEP_1)
	v_sub_nc_u32_e32 v18, v18, v19
	v_and_b32_e32 v19, 0xff, v18
	v_mov_b32_e32 v18, v10
	s_delay_alu instid0(VALU_DEP_2) | instskip(SKIP_1) | instid1(SALU_CYCLE_1)
	v_cmp_eq_u16_e32 vcc_lo, 0, v19
	s_or_b32 s1, vcc_lo, s1
	s_and_not1_b32 exec_lo, exec_lo, s1
	s_cbranch_execnz .LBB3_51
; %bb.52:
	s_or_b32 exec_lo, exec_lo, s1
.LBB3_53:
	s_delay_alu instid0(SALU_CYCLE_1) | instskip(SKIP_4) | instid1(VALU_DEP_2)
	s_or_b32 exec_lo, exec_lo, s0
	v_lshrrev_b16 v18, 8, v7
	v_lshrrev_b16 v7, 8, v6
	s_mov_b32 s1, 0
	s_mov_b32 s0, exec_lo
	v_cmpx_ne_u16_e32 0, v18
	s_cbranch_execz .LBB3_57
; %bb.54:
	v_lshrrev_b16 v6, 8, v6
.LBB3_55:                               ; =>This Inner Loop Header: Depth=1
	s_delay_alu instid0(VALU_DEP_1) | instskip(SKIP_1) | instid1(VALU_DEP_1)
	v_cvt_f32_ubyte0_e32 v20, v6
	v_mov_b32_e32 v7, v18
	v_cvt_f32_ubyte0_e32 v18, v7
	s_delay_alu instid0(VALU_DEP_1) | instskip(SKIP_1) | instid1(TRANS32_DEP_1)
	v_rcp_iflag_f32_e32 v19, v18
	v_nop
	v_mul_f32_e32 v19, v20, v19
	s_delay_alu instid0(VALU_DEP_1) | instskip(NEXT) | instid1(VALU_DEP_1)
	v_trunc_f32_e32 v19, v19
	v_fma_f32 v20, -v19, v18, v20
	v_cvt_u32_f32_e32 v19, v19
	s_delay_alu instid0(VALU_DEP_2) | instskip(NEXT) | instid1(VALU_DEP_1)
	v_cmp_ge_f32_e64 vcc_lo, |v20|, v18
	v_add_co_ci_u32_e64 v18, null, 0, v19, vcc_lo
	s_delay_alu instid0(VALU_DEP_1) | instskip(NEXT) | instid1(VALU_DEP_1)
	v_mul_lo_u32 v18, v18, v7
	v_sub_nc_u32_e32 v6, v6, v18
	s_delay_alu instid0(VALU_DEP_1) | instskip(SKIP_1) | instid1(VALU_DEP_2)
	v_and_b32_e32 v18, 0xff, v6
	v_mov_b32_e32 v6, v7
	v_cmp_eq_u16_e32 vcc_lo, 0, v18
	s_or_b32 s1, vcc_lo, s1
	s_delay_alu instid0(SALU_CYCLE_1)
	s_and_not1_b32 exec_lo, exec_lo, s1
	s_cbranch_execnz .LBB3_55
; %bb.56:
	s_or_b32 exec_lo, exec_lo, s1
.LBB3_57:
	s_delay_alu instid0(SALU_CYCLE_1) | instskip(SKIP_2) | instid1(VALU_DEP_1)
	s_or_b32 exec_lo, exec_lo, s0
	v_and_b32_e32 v6, 0xff, v3
	s_mov_b32 s1, 0
	v_cmp_ne_u16_e32 vcc_lo, 0, v6
	s_wait_loadcnt 0x0
	v_mov_b32_e32 v6, v2
	s_and_saveexec_b32 s0, vcc_lo
	s_cbranch_execz .LBB3_61
; %bb.58:
	v_dual_mov_b32 v19, v3 :: v_dual_mov_b32 v18, v2
.LBB3_59:                               ; =>This Inner Loop Header: Depth=1
	s_delay_alu instid0(VALU_DEP_1) | instskip(NEXT) | instid1(VALU_DEP_2)
	v_cvt_f32_ubyte0_e32 v21, v18
	v_mov_b32_e32 v6, v19
	s_delay_alu instid0(VALU_DEP_1) | instskip(NEXT) | instid1(VALU_DEP_1)
	v_cvt_f32_ubyte0_e32 v19, v6
	v_rcp_iflag_f32_e32 v20, v19
	v_nop
	s_delay_alu instid0(TRANS32_DEP_1) | instskip(NEXT) | instid1(VALU_DEP_1)
	v_mul_f32_e32 v20, v21, v20
	v_trunc_f32_e32 v20, v20
	s_delay_alu instid0(VALU_DEP_1) | instskip(SKIP_1) | instid1(VALU_DEP_2)
	v_fma_f32 v21, -v20, v19, v21
	v_cvt_u32_f32_e32 v20, v20
	v_cmp_ge_f32_e64 vcc_lo, |v21|, v19
	s_delay_alu instid0(VALU_DEP_1) | instskip(NEXT) | instid1(VALU_DEP_1)
	v_add_co_ci_u32_e64 v19, null, 0, v20, vcc_lo
	v_mul_lo_u32 v19, v19, v6
	s_delay_alu instid0(VALU_DEP_1) | instskip(NEXT) | instid1(VALU_DEP_1)
	v_sub_nc_u32_e32 v18, v18, v19
	v_and_b32_e32 v19, 0xff, v18
	v_mov_b32_e32 v18, v6
	s_delay_alu instid0(VALU_DEP_2) | instskip(SKIP_1) | instid1(SALU_CYCLE_1)
	v_cmp_eq_u16_e32 vcc_lo, 0, v19
	s_or_b32 s1, vcc_lo, s1
	s_and_not1_b32 exec_lo, exec_lo, s1
	s_cbranch_execnz .LBB3_59
; %bb.60:
	s_or_b32 exec_lo, exec_lo, s1
.LBB3_61:
	s_delay_alu instid0(SALU_CYCLE_1) | instskip(SKIP_4) | instid1(VALU_DEP_2)
	s_or_b32 exec_lo, exec_lo, s0
	v_lshrrev_b16 v18, 8, v3
	v_lshrrev_b16 v3, 8, v2
	s_mov_b32 s1, 0
	s_mov_b32 s0, exec_lo
	v_cmpx_ne_u16_e32 0, v18
	s_cbranch_execz .LBB3_65
; %bb.62:
	v_lshrrev_b16 v2, 8, v2
.LBB3_63:                               ; =>This Inner Loop Header: Depth=1
	s_delay_alu instid0(VALU_DEP_1) | instskip(SKIP_1) | instid1(VALU_DEP_1)
	v_cvt_f32_ubyte0_e32 v20, v2
	v_mov_b32_e32 v3, v18
	v_cvt_f32_ubyte0_e32 v18, v3
	s_delay_alu instid0(VALU_DEP_1) | instskip(SKIP_1) | instid1(TRANS32_DEP_1)
	v_rcp_iflag_f32_e32 v19, v18
	v_nop
	v_mul_f32_e32 v19, v20, v19
	s_delay_alu instid0(VALU_DEP_1) | instskip(NEXT) | instid1(VALU_DEP_1)
	v_trunc_f32_e32 v19, v19
	v_fma_f32 v20, -v19, v18, v20
	v_cvt_u32_f32_e32 v19, v19
	s_delay_alu instid0(VALU_DEP_2) | instskip(NEXT) | instid1(VALU_DEP_1)
	v_cmp_ge_f32_e64 vcc_lo, |v20|, v18
	v_add_co_ci_u32_e64 v18, null, 0, v19, vcc_lo
	s_delay_alu instid0(VALU_DEP_1) | instskip(NEXT) | instid1(VALU_DEP_1)
	v_mul_lo_u32 v18, v18, v3
	v_sub_nc_u32_e32 v2, v2, v18
	s_delay_alu instid0(VALU_DEP_1) | instskip(SKIP_1) | instid1(VALU_DEP_2)
	v_and_b32_e32 v18, 0xff, v2
	v_mov_b32_e32 v2, v3
	v_cmp_eq_u16_e32 vcc_lo, 0, v18
	s_or_b32 s1, vcc_lo, s1
	s_delay_alu instid0(SALU_CYCLE_1)
	s_and_not1_b32 exec_lo, exec_lo, s1
	s_cbranch_execnz .LBB3_63
; %bb.64:
	s_or_b32 exec_lo, exec_lo, s1
.LBB3_65:
	s_delay_alu instid0(SALU_CYCLE_1)
	s_or_b32 exec_lo, exec_lo, s0
	v_perm_b32 v1, v1, v4, 0xc0c0004
	v_perm_b32 v4, v5, v8, 0xc0c0004
	;; [unrolled: 1-line block ×6, first 2 shown]
	s_add_nc_u64 s[4:5], s[16:17], s[14:15]
	s_mov_b32 s0, 0
	v_perm_b32 v7, v17, v15, 0xc0c0004
	v_perm_b32 v6, v14, v11, 0xc0c0004
	s_clause 0x7
	global_store_b16 v0, v1, s[4:5] scale_offset
	global_store_b16 v0, v4, s[4:5] offset:512 scale_offset
	global_store_b16 v0, v5, s[4:5] offset:1024 scale_offset
	;; [unrolled: 1-line block ×7, first 2 shown]
.LBB3_66:
	s_and_b32 vcc_lo, exec_lo, s0
	s_cbranch_vccz .LBB3_197
; %bb.67:
	v_cmp_gt_i32_e32 vcc_lo, s13, v0
	s_wait_xcnt 0x0
	v_dual_mov_b32 v2, 0 :: v_dual_bitop2_b32 v10, s14, v0 bitop3:0x54
	v_or_b32_e32 v38, 0x100, v0
	v_dual_mov_b32 v12, 0 :: v_dual_mov_b32 v11, 0
	v_dual_mov_b32 v14, 0 :: v_dual_mov_b32 v13, 0
	;; [unrolled: 1-line block ×16, first 2 shown]
	s_and_saveexec_b32 s1, vcc_lo
	s_cbranch_execz .LBB3_99
; %bb.68:
	s_clause 0x1
	global_load_u8 v41, v10, s[18:19]
	global_load_u8 v40, v10, s[2:3]
	v_cmp_gt_u32_e64 s0, s13, v38
	v_dual_mov_b32 v37, 0 :: v_dual_mov_b32 v39, 0
	v_dual_mov_b32 v5, 0 :: v_dual_mov_b32 v36, 0
	;; [unrolled: 1-line block ×15, first 2 shown]
	s_wait_xcnt 0x0
	s_and_saveexec_b32 s4, s0
	s_cbranch_execz .LBB3_98
; %bb.69:
	v_dual_mov_b32 v5, 0 :: v_dual_add_nc_u32 v4, s14, v0
	v_or_b32_e32 v1, 0x200, v0
	v_dual_mov_b32 v36, 0 :: v_dual_mov_b32 v6, 0
	s_clause 0x1
	global_load_u8 v39, v4, s[18:19] offset:256
	global_load_u8 v37, v4, s[2:3] offset:256
	v_dual_mov_b32 v35, 0 :: v_dual_mov_b32 v33, 0
	v_cmp_gt_u32_e64 s0, s13, v1
	v_dual_mov_b32 v34, 0 :: v_dual_mov_b32 v31, 0
	v_dual_mov_b32 v32, 0 :: v_dual_mov_b32 v29, 0
	;; [unrolled: 1-line block ×11, first 2 shown]
	v_mov_b32_e32 v12, 0
	s_wait_xcnt 0x0
	s_and_saveexec_b32 s5, s0
	s_cbranch_execz .LBB3_97
; %bb.70:
	v_add_nc_u64_e32 v[6:7], s[18:19], v[4:5]
	v_add_nc_u64_e32 v[8:9], s[2:3], v[4:5]
	v_or_b32_e32 v3, 0x300, v0
	v_dual_mov_b32 v35, 0 :: v_dual_mov_b32 v33, 0
	v_dual_mov_b32 v34, 0 :: v_dual_mov_b32 v31, 0
	global_load_u8 v36, v[6:7], off offset:512
	global_load_u8 v1, v[8:9], off offset:512
	v_cmp_gt_u32_e64 s0, s13, v3
	v_dual_mov_b32 v32, 0 :: v_dual_mov_b32 v29, 0
	v_dual_mov_b32 v30, 0 :: v_dual_mov_b32 v27, 0
	;; [unrolled: 1-line block ×10, first 2 shown]
	v_mov_b32_e32 v12, 0
	s_wait_xcnt 0x0
	s_and_saveexec_b32 s2, s0
	s_cbranch_execz .LBB3_96
; %bb.71:
	global_load_u8 v35, v[6:7], off offset:768
	global_load_u8 v5, v[8:9], off offset:768
	v_or_b32_e32 v3, 0x400, v0
	v_dual_mov_b32 v33, 0 :: v_dual_mov_b32 v34, 0
	v_dual_mov_b32 v31, 0 :: v_dual_mov_b32 v32, 0
	s_delay_alu instid0(VALU_DEP_3)
	v_cmp_gt_u32_e64 s0, s13, v3
	v_dual_mov_b32 v29, 0 :: v_dual_mov_b32 v30, 0
	v_dual_mov_b32 v27, 0 :: v_dual_mov_b32 v28, 0
	;; [unrolled: 1-line block ×10, first 2 shown]
	s_wait_xcnt 0x0
	s_and_saveexec_b32 s3, s0
	s_cbranch_execz .LBB3_95
; %bb.72:
	global_load_u8 v34, v[6:7], off offset:1024
	global_load_u8 v33, v[8:9], off offset:1024
	v_or_b32_e32 v3, 0x500, v0
	v_dual_mov_b32 v31, 0 :: v_dual_mov_b32 v32, 0
	v_dual_mov_b32 v29, 0 :: v_dual_mov_b32 v30, 0
	s_delay_alu instid0(VALU_DEP_3)
	v_cmp_gt_u32_e64 s0, s13, v3
	v_dual_mov_b32 v27, 0 :: v_dual_mov_b32 v28, 0
	v_dual_mov_b32 v25, 0 :: v_dual_mov_b32 v26, 0
	;; [unrolled: 1-line block ×9, first 2 shown]
	s_wait_xcnt 0x0
	s_and_saveexec_b32 s6, s0
	s_cbranch_execz .LBB3_94
; %bb.73:
	global_load_u8 v32, v[6:7], off offset:1280
	global_load_u8 v31, v[8:9], off offset:1280
	v_or_b32_e32 v3, 0x600, v0
	v_dual_mov_b32 v29, 0 :: v_dual_mov_b32 v30, 0
	v_dual_mov_b32 v27, 0 :: v_dual_mov_b32 v28, 0
	s_delay_alu instid0(VALU_DEP_3)
	v_cmp_gt_u32_e64 s0, s13, v3
	v_dual_mov_b32 v25, 0 :: v_dual_mov_b32 v26, 0
	v_dual_mov_b32 v23, 0 :: v_dual_mov_b32 v24, 0
	v_dual_mov_b32 v21, 0 :: v_dual_mov_b32 v22, 0
	v_dual_mov_b32 v19, 0 :: v_dual_mov_b32 v20, 0
	v_dual_mov_b32 v17, 0 :: v_dual_mov_b32 v18, 0
	v_dual_mov_b32 v15, 0 :: v_dual_mov_b32 v16, 0
	v_dual_mov_b32 v13, 0 :: v_dual_mov_b32 v14, 0
	v_dual_mov_b32 v11, 0 :: v_dual_mov_b32 v12, 0
	s_wait_xcnt 0x0
	s_and_saveexec_b32 s7, s0
	s_cbranch_execz .LBB3_93
; %bb.74:
	global_load_u8 v30, v[6:7], off offset:1536
	global_load_u8 v29, v[8:9], off offset:1536
	v_or_b32_e32 v3, 0x700, v0
	v_dual_mov_b32 v27, 0 :: v_dual_mov_b32 v28, 0
	v_dual_mov_b32 v25, 0 :: v_dual_mov_b32 v26, 0
	;; [unrolled: 1-line block ×9, first 2 shown]
	s_mov_b32 s8, exec_lo
	s_wait_xcnt 0x0
	v_cmpx_gt_u32_e64 s13, v3
	s_cbranch_execz .LBB3_92
; %bb.75:
	global_load_u8 v28, v[6:7], off offset:1792
	global_load_u8 v27, v[8:9], off offset:1792
	v_or_b32_e32 v3, 0x800, v0
	v_dual_mov_b32 v25, 0 :: v_dual_mov_b32 v26, 0
	v_dual_mov_b32 v23, 0 :: v_dual_mov_b32 v24, 0
	v_dual_mov_b32 v21, 0 :: v_dual_mov_b32 v22, 0
	v_dual_mov_b32 v19, 0 :: v_dual_mov_b32 v20, 0
	v_dual_mov_b32 v17, 0 :: v_dual_mov_b32 v18, 0
	v_dual_mov_b32 v15, 0 :: v_dual_mov_b32 v16, 0
	v_dual_mov_b32 v13, 0 :: v_dual_mov_b32 v14, 0
	v_dual_mov_b32 v11, 0 :: v_dual_mov_b32 v12, 0
	s_mov_b32 s9, exec_lo
	s_wait_xcnt 0x0
	v_cmpx_gt_u32_e64 s13, v3
	s_cbranch_execz .LBB3_91
; %bb.76:
	global_load_u8 v26, v[6:7], off offset:2048
	global_load_u8 v25, v[8:9], off offset:2048
	v_or_b32_e32 v3, 0x900, v0
	v_dual_mov_b32 v23, 0 :: v_dual_mov_b32 v24, 0
	v_dual_mov_b32 v21, 0 :: v_dual_mov_b32 v22, 0
	;; [unrolled: 1-line block ×7, first 2 shown]
	s_mov_b32 s10, exec_lo
	s_wait_xcnt 0x0
	v_cmpx_gt_u32_e64 s13, v3
	s_cbranch_execz .LBB3_90
; %bb.77:
	global_load_u8 v24, v[6:7], off offset:2304
	global_load_u8 v23, v[8:9], off offset:2304
	v_or_b32_e32 v3, 0xa00, v0
	v_dual_mov_b32 v21, 0 :: v_dual_mov_b32 v22, 0
	v_dual_mov_b32 v19, 0 :: v_dual_mov_b32 v20, 0
	;; [unrolled: 1-line block ×6, first 2 shown]
	s_mov_b32 s11, exec_lo
	s_wait_xcnt 0x0
	v_cmpx_gt_u32_e64 s13, v3
	s_cbranch_execz .LBB3_89
; %bb.78:
	global_load_u8 v22, v[6:7], off offset:2560
	global_load_u8 v21, v[8:9], off offset:2560
	v_or_b32_e32 v3, 0xb00, v0
	v_dual_mov_b32 v19, 0 :: v_dual_mov_b32 v20, 0
	v_dual_mov_b32 v17, 0 :: v_dual_mov_b32 v18, 0
	;; [unrolled: 1-line block ×5, first 2 shown]
	s_mov_b32 s12, exec_lo
	s_wait_xcnt 0x0
	v_cmpx_gt_u32_e64 s13, v3
	s_cbranch_execz .LBB3_88
; %bb.79:
	global_load_u8 v20, v[6:7], off offset:2816
	global_load_u8 v19, v[8:9], off offset:2816
	v_or_b32_e32 v3, 0xc00, v0
	v_dual_mov_b32 v17, 0 :: v_dual_mov_b32 v18, 0
	v_dual_mov_b32 v15, 0 :: v_dual_mov_b32 v16, 0
	;; [unrolled: 1-line block ×4, first 2 shown]
	s_mov_b32 s15, exec_lo
	s_wait_xcnt 0x0
	v_cmpx_gt_u32_e64 s13, v3
	s_cbranch_execz .LBB3_87
; %bb.80:
	global_load_u8 v18, v[6:7], off offset:3072
	global_load_u8 v17, v[8:9], off offset:3072
	v_or_b32_e32 v3, 0xd00, v0
	v_dual_mov_b32 v15, 0 :: v_dual_mov_b32 v16, 0
	v_dual_mov_b32 v13, 0 :: v_dual_mov_b32 v14, 0
	;; [unrolled: 1-line block ×3, first 2 shown]
	s_mov_b32 s18, exec_lo
	s_wait_xcnt 0x0
	v_cmpx_gt_u32_e64 s13, v3
	s_cbranch_execz .LBB3_86
; %bb.81:
	global_load_u8 v16, v[6:7], off offset:3328
	global_load_u8 v15, v[8:9], off offset:3328
	v_or_b32_e32 v3, 0xe00, v0
	v_dual_mov_b32 v13, 0 :: v_dual_mov_b32 v14, 0
	v_dual_mov_b32 v11, 0 :: v_dual_mov_b32 v12, 0
	s_mov_b32 s19, exec_lo
	s_wait_xcnt 0x0
	v_cmpx_gt_u32_e64 s13, v3
	s_cbranch_execz .LBB3_85
; %bb.82:
	global_load_u8 v14, v[6:7], off offset:3584
	global_load_u8 v13, v[8:9], off offset:3584
	v_or_b32_e32 v3, 0xf00, v0
	v_dual_mov_b32 v11, 0 :: v_dual_mov_b32 v12, 0
	s_mov_b32 s20, exec_lo
	s_wait_xcnt 0x0
	s_delay_alu instid0(VALU_DEP_2)
	v_cmpx_gt_u32_e64 s13, v3
	s_cbranch_execz .LBB3_84
; %bb.83:
	global_load_u8 v12, v[6:7], off offset:3840
	global_load_u8 v11, v[8:9], off offset:3840
.LBB3_84:
	s_wait_xcnt 0x0
	s_or_b32 exec_lo, exec_lo, s20
.LBB3_85:
	s_delay_alu instid0(SALU_CYCLE_1)
	s_or_b32 exec_lo, exec_lo, s19
.LBB3_86:
	s_delay_alu instid0(SALU_CYCLE_1)
	s_or_b32 exec_lo, exec_lo, s18
.LBB3_87:
	s_delay_alu instid0(SALU_CYCLE_1)
	s_or_b32 exec_lo, exec_lo, s15
.LBB3_88:
	s_delay_alu instid0(SALU_CYCLE_1)
	s_or_b32 exec_lo, exec_lo, s12
.LBB3_89:
	s_delay_alu instid0(SALU_CYCLE_1)
	s_or_b32 exec_lo, exec_lo, s11
.LBB3_90:
	s_delay_alu instid0(SALU_CYCLE_1)
	s_or_b32 exec_lo, exec_lo, s10
.LBB3_91:
	s_delay_alu instid0(SALU_CYCLE_1)
	s_or_b32 exec_lo, exec_lo, s9
.LBB3_92:
	s_delay_alu instid0(SALU_CYCLE_1)
	s_or_b32 exec_lo, exec_lo, s8
.LBB3_93:
	s_delay_alu instid0(SALU_CYCLE_1)
	s_or_b32 exec_lo, exec_lo, s7
.LBB3_94:
	s_delay_alu instid0(SALU_CYCLE_1)
	s_or_b32 exec_lo, exec_lo, s6
.LBB3_95:
	s_delay_alu instid0(SALU_CYCLE_1)
	s_or_b32 exec_lo, exec_lo, s3
.LBB3_96:
	s_delay_alu instid0(SALU_CYCLE_1)
	s_or_b32 exec_lo, exec_lo, s2
	s_wait_loadcnt 0x0
	v_dual_mov_b32 v6, v5 :: v_dual_mov_b32 v5, v1
.LBB3_97:
	s_or_b32 exec_lo, exec_lo, s5
.LBB3_98:
	s_delay_alu instid0(SALU_CYCLE_1)
	s_or_b32 exec_lo, exec_lo, s4
.LBB3_99:
	s_delay_alu instid0(SALU_CYCLE_1)
	s_or_b32 exec_lo, exec_lo, s1
	v_dual_mov_b32 v1, v2 :: v_dual_mov_b32 v4, v2
	v_mov_b32_e32 v3, v2
	s_and_saveexec_b32 s1, vcc_lo
	s_cbranch_execz .LBB3_105
; %bb.100:
	s_wait_loadcnt 0x1
	v_and_b32_e32 v1, 0xff, v41
	s_mov_b32 s2, exec_lo
	s_delay_alu instid0(VALU_DEP_1)
	v_cmpx_ne_u16_e32 0, v1
	s_cbranch_execz .LBB3_104
; %bb.101:
	s_mov_b32 s3, 0
.LBB3_102:                              ; =>This Inner Loop Header: Depth=1
	s_wait_loadcnt 0x0
	v_cvt_f32_ubyte0_e32 v4, v40
	v_mov_b32_e32 v1, v41
	s_delay_alu instid0(VALU_DEP_1) | instskip(NEXT) | instid1(VALU_DEP_1)
	v_cvt_f32_ubyte0_e32 v2, v1
	v_rcp_iflag_f32_e32 v3, v2
	v_nop
	s_delay_alu instid0(TRANS32_DEP_1) | instskip(NEXT) | instid1(VALU_DEP_1)
	v_mul_f32_e32 v3, v4, v3
	v_trunc_f32_e32 v3, v3
	s_delay_alu instid0(VALU_DEP_1) | instskip(SKIP_1) | instid1(VALU_DEP_2)
	v_fma_f32 v4, -v3, v2, v4
	v_cvt_u32_f32_e32 v3, v3
	v_cmp_ge_f32_e64 s0, |v4|, v2
	s_delay_alu instid0(VALU_DEP_1) | instskip(NEXT) | instid1(VALU_DEP_1)
	v_add_co_ci_u32_e64 v2, null, 0, v3, s0
	v_mul_lo_u32 v2, v2, v1
	s_delay_alu instid0(VALU_DEP_1) | instskip(NEXT) | instid1(VALU_DEP_1)
	v_dual_sub_nc_u32 v2, v40, v2 :: v_dual_mov_b32 v40, v1
	v_and_b32_e32 v41, 0xff, v2
	s_delay_alu instid0(VALU_DEP_1) | instskip(SKIP_1) | instid1(SALU_CYCLE_1)
	v_cmp_eq_u16_e64 s0, 0, v41
	s_or_b32 s3, s0, s3
	s_and_not1_b32 exec_lo, exec_lo, s3
	s_cbranch_execnz .LBB3_102
; %bb.103:
	s_or_b32 exec_lo, exec_lo, s3
	v_mov_b32_e32 v40, v1
.LBB3_104:
	s_or_b32 exec_lo, exec_lo, s2
	s_wait_loadcnt 0x0
	s_delay_alu instid0(VALU_DEP_1) | instskip(SKIP_1) | instid1(VALU_DEP_2)
	v_and_b32_e32 v2, 0xff, v40
	v_mov_b32_e32 v1, 0
	v_and_b32_e32 v2, 0xffff, v2
	s_delay_alu instid0(VALU_DEP_2)
	v_dual_mov_b32 v4, v1 :: v_dual_mov_b32 v3, v1
.LBB3_105:
	s_or_b32 exec_lo, exec_lo, s1
	v_cmp_gt_i32_e64 s0, s13, v38
	s_and_saveexec_b32 s2, s0
	s_cbranch_execz .LBB3_110
; %bb.106:
	s_wait_loadcnt 0x1
	v_and_b32_e32 v7, 0xff, v39
	s_mov_b32 s4, 0
	s_mov_b32 s3, exec_lo
	s_delay_alu instid0(VALU_DEP_1)
	v_cmpx_ne_u16_e32 0, v7
	s_cbranch_execz .LBB3_109
.LBB3_107:                              ; =>This Inner Loop Header: Depth=1
	s_wait_loadcnt 0x0
	v_cvt_f32_ubyte0_e32 v38, v37
	v_mov_b32_e32 v7, v39
	s_delay_alu instid0(VALU_DEP_1) | instskip(NEXT) | instid1(VALU_DEP_1)
	v_cvt_f32_ubyte0_e32 v8, v7
	v_rcp_iflag_f32_e32 v9, v8
	v_nop
	s_delay_alu instid0(TRANS32_DEP_1) | instskip(NEXT) | instid1(VALU_DEP_1)
	v_mul_f32_e32 v9, v38, v9
	v_trunc_f32_e32 v9, v9
	s_delay_alu instid0(VALU_DEP_1) | instskip(SKIP_1) | instid1(VALU_DEP_2)
	v_fma_f32 v38, -v9, v8, v38
	v_cvt_u32_f32_e32 v9, v9
	v_cmp_ge_f32_e64 s1, |v38|, v8
	s_delay_alu instid0(VALU_DEP_1) | instskip(NEXT) | instid1(VALU_DEP_1)
	v_add_co_ci_u32_e64 v8, null, 0, v9, s1
	v_mul_lo_u32 v8, v8, v7
	s_delay_alu instid0(VALU_DEP_1) | instskip(NEXT) | instid1(VALU_DEP_1)
	v_dual_mov_b32 v37, v7 :: v_dual_sub_nc_u32 v8, v37, v8
	v_and_b32_e32 v39, 0xff, v8
	s_delay_alu instid0(VALU_DEP_1) | instskip(SKIP_1) | instid1(SALU_CYCLE_1)
	v_cmp_eq_u16_e64 s1, 0, v39
	s_or_b32 s4, s1, s4
	s_and_not1_b32 exec_lo, exec_lo, s4
	s_cbranch_execnz .LBB3_107
; %bb.108:
	s_or_b32 exec_lo, exec_lo, s4
	v_mov_b32_e32 v37, v7
.LBB3_109:
	s_or_b32 exec_lo, exec_lo, s3
	s_wait_loadcnt 0x0
	s_delay_alu instid0(VALU_DEP_1)
	v_perm_b32 v2, v2, v37, 0x7060004
.LBB3_110:
	s_or_b32 exec_lo, exec_lo, s2
	v_or_b32_e32 v7, 0x200, v0
	s_delay_alu instid0(VALU_DEP_1)
	v_cmp_gt_i32_e64 s1, s13, v7
	s_and_saveexec_b32 s3, s1
	s_cbranch_execz .LBB3_115
; %bb.111:
	v_and_b32_e32 v7, 0xff, v36
	s_mov_b32 s5, 0
	s_mov_b32 s4, exec_lo
	s_delay_alu instid0(VALU_DEP_1)
	v_cmpx_ne_u16_e32 0, v7
	s_cbranch_execz .LBB3_114
.LBB3_112:                              ; =>This Inner Loop Header: Depth=1
	v_mov_b32_e32 v7, v36
	v_cvt_f32_ubyte0_e32 v36, v5
	s_delay_alu instid0(VALU_DEP_2) | instskip(NEXT) | instid1(VALU_DEP_1)
	v_cvt_f32_ubyte0_e32 v8, v7
	v_rcp_iflag_f32_e32 v9, v8
	v_nop
	s_delay_alu instid0(TRANS32_DEP_1) | instskip(NEXT) | instid1(VALU_DEP_1)
	v_mul_f32_e32 v9, v36, v9
	v_trunc_f32_e32 v9, v9
	s_delay_alu instid0(VALU_DEP_1) | instskip(SKIP_1) | instid1(VALU_DEP_2)
	v_fma_f32 v36, -v9, v8, v36
	v_cvt_u32_f32_e32 v9, v9
	v_cmp_ge_f32_e64 s2, |v36|, v8
	s_delay_alu instid0(VALU_DEP_1) | instskip(NEXT) | instid1(VALU_DEP_1)
	v_add_co_ci_u32_e64 v8, null, 0, v9, s2
	v_mul_lo_u32 v8, v8, v7
	s_delay_alu instid0(VALU_DEP_1) | instskip(NEXT) | instid1(VALU_DEP_1)
	v_sub_nc_u32_e32 v5, v5, v8
	v_and_b32_e32 v36, 0xff, v5
	v_mov_b32_e32 v5, v7
	s_delay_alu instid0(VALU_DEP_2) | instskip(SKIP_1) | instid1(SALU_CYCLE_1)
	v_cmp_eq_u16_e64 s2, 0, v36
	s_or_b32 s5, s2, s5
	s_and_not1_b32 exec_lo, exec_lo, s5
	s_cbranch_execnz .LBB3_112
; %bb.113:
	s_or_b32 exec_lo, exec_lo, s5
	v_mov_b32_e32 v5, v7
.LBB3_114:
	s_or_b32 exec_lo, exec_lo, s4
	s_delay_alu instid0(VALU_DEP_1)
	v_perm_b32 v2, v2, v5, 0x7000504
.LBB3_115:
	s_or_b32 exec_lo, exec_lo, s3
	v_or_b32_e32 v5, 0x300, v0
	s_delay_alu instid0(VALU_DEP_1)
	v_cmp_gt_i32_e64 s2, s13, v5
	s_and_saveexec_b32 s4, s2
	s_cbranch_execz .LBB3_120
; %bb.116:
	v_and_b32_e32 v5, 0xff, v35
	s_mov_b32 s6, 0
	s_mov_b32 s5, exec_lo
	s_delay_alu instid0(VALU_DEP_1)
	v_cmpx_ne_u16_e32 0, v5
	s_cbranch_execz .LBB3_119
.LBB3_117:                              ; =>This Inner Loop Header: Depth=1
	v_cvt_f32_ubyte0_e32 v9, v6
	v_mov_b32_e32 v5, v35
	s_delay_alu instid0(VALU_DEP_1) | instskip(NEXT) | instid1(VALU_DEP_1)
	v_cvt_f32_ubyte0_e32 v7, v5
	v_rcp_iflag_f32_e32 v8, v7
	v_nop
	s_delay_alu instid0(TRANS32_DEP_1) | instskip(NEXT) | instid1(VALU_DEP_1)
	v_mul_f32_e32 v8, v9, v8
	v_trunc_f32_e32 v8, v8
	s_delay_alu instid0(VALU_DEP_1) | instskip(SKIP_1) | instid1(VALU_DEP_2)
	v_fma_f32 v9, -v8, v7, v9
	v_cvt_u32_f32_e32 v8, v8
	v_cmp_ge_f32_e64 s3, |v9|, v7
	s_delay_alu instid0(VALU_DEP_1) | instskip(NEXT) | instid1(VALU_DEP_1)
	v_add_co_ci_u32_e64 v7, null, 0, v8, s3
	v_mul_lo_u32 v7, v7, v5
	s_delay_alu instid0(VALU_DEP_1) | instskip(NEXT) | instid1(VALU_DEP_1)
	v_sub_nc_u32_e32 v6, v6, v7
	v_and_b32_e32 v35, 0xff, v6
	v_mov_b32_e32 v6, v5
	s_delay_alu instid0(VALU_DEP_2) | instskip(SKIP_1) | instid1(SALU_CYCLE_1)
	v_cmp_eq_u16_e64 s3, 0, v35
	s_or_b32 s6, s3, s6
	s_and_not1_b32 exec_lo, exec_lo, s6
	s_cbranch_execnz .LBB3_117
; %bb.118:
	s_or_b32 exec_lo, exec_lo, s6
	v_mov_b32_e32 v6, v5
.LBB3_119:
	s_or_b32 exec_lo, exec_lo, s5
	s_delay_alu instid0(VALU_DEP_1)
	v_perm_b32 v2, v2, v6, 0x60504
.LBB3_120:
	s_or_b32 exec_lo, exec_lo, s4
	v_or_b32_e32 v5, 0x400, v0
	s_mov_b32 s4, exec_lo
	s_delay_alu instid0(VALU_DEP_1)
	v_cmpx_gt_i32_e64 s13, v5
	s_cbranch_execz .LBB3_125
; %bb.121:
	v_and_b32_e32 v6, 0xff, v34
	s_mov_b32 s6, 0
	s_mov_b32 s5, exec_lo
	s_delay_alu instid0(VALU_DEP_1)
	v_cmpx_ne_u16_e32 0, v6
	s_cbranch_execz .LBB3_124
.LBB3_122:                              ; =>This Inner Loop Header: Depth=1
	v_cvt_f32_ubyte0_e32 v9, v33
	v_mov_b32_e32 v6, v34
	s_delay_alu instid0(VALU_DEP_1) | instskip(NEXT) | instid1(VALU_DEP_1)
	v_cvt_f32_ubyte0_e32 v7, v6
	v_rcp_iflag_f32_e32 v8, v7
	v_nop
	s_delay_alu instid0(TRANS32_DEP_1) | instskip(NEXT) | instid1(VALU_DEP_1)
	v_mul_f32_e32 v8, v9, v8
	v_trunc_f32_e32 v8, v8
	s_delay_alu instid0(VALU_DEP_1) | instskip(SKIP_1) | instid1(VALU_DEP_2)
	v_fma_f32 v9, -v8, v7, v9
	v_cvt_u32_f32_e32 v8, v8
	v_cmp_ge_f32_e64 s3, |v9|, v7
	s_delay_alu instid0(VALU_DEP_1) | instskip(NEXT) | instid1(VALU_DEP_1)
	v_add_co_ci_u32_e64 v7, null, 0, v8, s3
	v_mul_lo_u32 v7, v7, v6
	s_delay_alu instid0(VALU_DEP_1) | instskip(NEXT) | instid1(VALU_DEP_1)
	v_dual_sub_nc_u32 v7, v33, v7 :: v_dual_mov_b32 v33, v6
	v_and_b32_e32 v34, 0xff, v7
	s_delay_alu instid0(VALU_DEP_1) | instskip(SKIP_1) | instid1(SALU_CYCLE_1)
	v_cmp_eq_u16_e64 s3, 0, v34
	s_or_b32 s6, s3, s6
	s_and_not1_b32 exec_lo, exec_lo, s6
	s_cbranch_execnz .LBB3_122
; %bb.123:
	s_or_b32 exec_lo, exec_lo, s6
	v_mov_b32_e32 v33, v6
.LBB3_124:
	s_or_b32 exec_lo, exec_lo, s5
	s_delay_alu instid0(VALU_DEP_1)
	v_perm_b32 v1, v33, v1, 0x3020104
.LBB3_125:
	s_or_b32 exec_lo, exec_lo, s4
	v_or_b32_e32 v6, 0x500, v0
	s_delay_alu instid0(VALU_DEP_1)
	v_cmp_gt_i32_e64 s3, s13, v6
	s_and_saveexec_b32 s5, s3
	s_cbranch_execz .LBB3_130
; %bb.126:
	v_and_b32_e32 v6, 0xff, v32
	s_mov_b32 s7, 0
	s_mov_b32 s6, exec_lo
	s_delay_alu instid0(VALU_DEP_1)
	v_cmpx_ne_u16_e32 0, v6
	s_cbranch_execz .LBB3_129
.LBB3_127:                              ; =>This Inner Loop Header: Depth=1
	v_cvt_f32_ubyte0_e32 v9, v31
	v_mov_b32_e32 v6, v32
	s_delay_alu instid0(VALU_DEP_1) | instskip(NEXT) | instid1(VALU_DEP_1)
	v_cvt_f32_ubyte0_e32 v7, v6
	v_rcp_iflag_f32_e32 v8, v7
	v_nop
	s_delay_alu instid0(TRANS32_DEP_1) | instskip(NEXT) | instid1(VALU_DEP_1)
	v_mul_f32_e32 v8, v9, v8
	v_trunc_f32_e32 v8, v8
	s_delay_alu instid0(VALU_DEP_1) | instskip(SKIP_1) | instid1(VALU_DEP_2)
	v_fma_f32 v9, -v8, v7, v9
	v_cvt_u32_f32_e32 v8, v8
	v_cmp_ge_f32_e64 s4, |v9|, v7
	s_delay_alu instid0(VALU_DEP_1) | instskip(NEXT) | instid1(VALU_DEP_1)
	v_add_co_ci_u32_e64 v7, null, 0, v8, s4
	v_mul_lo_u32 v7, v7, v6
	s_delay_alu instid0(VALU_DEP_1) | instskip(NEXT) | instid1(VALU_DEP_1)
	v_dual_sub_nc_u32 v7, v31, v7 :: v_dual_mov_b32 v31, v6
	v_and_b32_e32 v32, 0xff, v7
	s_delay_alu instid0(VALU_DEP_1) | instskip(SKIP_1) | instid1(SALU_CYCLE_1)
	v_cmp_eq_u16_e64 s4, 0, v32
	s_or_b32 s7, s4, s7
	s_and_not1_b32 exec_lo, exec_lo, s7
	s_cbranch_execnz .LBB3_127
; %bb.128:
	s_or_b32 exec_lo, exec_lo, s7
	v_mov_b32_e32 v31, v6
.LBB3_129:
	s_or_b32 exec_lo, exec_lo, s6
	s_delay_alu instid0(VALU_DEP_1)
	v_perm_b32 v1, v1, v31, 0x7060004
.LBB3_130:
	s_or_b32 exec_lo, exec_lo, s5
	v_or_b32_e32 v6, 0x600, v0
	s_delay_alu instid0(VALU_DEP_1)
	v_cmp_gt_i32_e64 s4, s13, v6
	s_and_saveexec_b32 s6, s4
	;; [unrolled: 46-line block ×3, first 2 shown]
	s_cbranch_execz .LBB3_140
; %bb.136:
	v_and_b32_e32 v6, 0xff, v28
	s_mov_b32 s9, 0
	s_mov_b32 s8, exec_lo
	s_delay_alu instid0(VALU_DEP_1)
	v_cmpx_ne_u16_e32 0, v6
	s_cbranch_execz .LBB3_139
.LBB3_137:                              ; =>This Inner Loop Header: Depth=1
	v_cvt_f32_ubyte0_e32 v9, v27
	v_mov_b32_e32 v6, v28
	s_delay_alu instid0(VALU_DEP_1) | instskip(NEXT) | instid1(VALU_DEP_1)
	v_cvt_f32_ubyte0_e32 v7, v6
	v_rcp_iflag_f32_e32 v8, v7
	v_nop
	s_delay_alu instid0(TRANS32_DEP_1) | instskip(NEXT) | instid1(VALU_DEP_1)
	v_mul_f32_e32 v8, v9, v8
	v_trunc_f32_e32 v8, v8
	s_delay_alu instid0(VALU_DEP_1) | instskip(SKIP_1) | instid1(VALU_DEP_2)
	v_fma_f32 v9, -v8, v7, v9
	v_cvt_u32_f32_e32 v8, v8
	v_cmp_ge_f32_e64 s6, |v9|, v7
	s_delay_alu instid0(VALU_DEP_1) | instskip(NEXT) | instid1(VALU_DEP_1)
	v_add_co_ci_u32_e64 v7, null, 0, v8, s6
	v_mul_lo_u32 v7, v7, v6
	s_delay_alu instid0(VALU_DEP_1) | instskip(NEXT) | instid1(VALU_DEP_1)
	v_dual_sub_nc_u32 v7, v27, v7 :: v_dual_mov_b32 v27, v6
	v_and_b32_e32 v28, 0xff, v7
	s_delay_alu instid0(VALU_DEP_1) | instskip(SKIP_1) | instid1(SALU_CYCLE_1)
	v_cmp_eq_u16_e64 s6, 0, v28
	s_or_b32 s9, s6, s9
	s_and_not1_b32 exec_lo, exec_lo, s9
	s_cbranch_execnz .LBB3_137
; %bb.138:
	s_or_b32 exec_lo, exec_lo, s9
	v_mov_b32_e32 v27, v6
.LBB3_139:
	s_or_b32 exec_lo, exec_lo, s8
	s_delay_alu instid0(VALU_DEP_1)
	v_perm_b32 v1, v1, v27, 0x60504
.LBB3_140:
	s_or_b32 exec_lo, exec_lo, s7
	v_or_b32_e32 v8, 0x800, v0
	s_mov_b32 s7, exec_lo
	s_delay_alu instid0(VALU_DEP_1)
	v_cmpx_gt_i32_e64 s13, v8
	s_cbranch_execz .LBB3_145
; %bb.141:
	v_and_b32_e32 v6, 0xff, v26
	s_mov_b32 s9, 0
	s_mov_b32 s8, exec_lo
	s_delay_alu instid0(VALU_DEP_1)
	v_cmpx_ne_u16_e32 0, v6
	s_cbranch_execz .LBB3_144
.LBB3_142:                              ; =>This Inner Loop Header: Depth=1
	v_mov_b32_e32 v6, v26
	v_cvt_f32_ubyte0_e32 v26, v25
	s_delay_alu instid0(VALU_DEP_2) | instskip(NEXT) | instid1(VALU_DEP_1)
	v_cvt_f32_ubyte0_e32 v7, v6
	v_rcp_iflag_f32_e32 v9, v7
	v_nop
	s_delay_alu instid0(TRANS32_DEP_1) | instskip(NEXT) | instid1(VALU_DEP_1)
	v_mul_f32_e32 v9, v26, v9
	v_trunc_f32_e32 v9, v9
	s_delay_alu instid0(VALU_DEP_1) | instskip(SKIP_1) | instid1(VALU_DEP_2)
	v_fma_f32 v26, -v9, v7, v26
	v_cvt_u32_f32_e32 v9, v9
	v_cmp_ge_f32_e64 s6, |v26|, v7
	s_delay_alu instid0(VALU_DEP_1) | instskip(NEXT) | instid1(VALU_DEP_1)
	v_add_co_ci_u32_e64 v7, null, 0, v9, s6
	v_mul_lo_u32 v7, v7, v6
	s_delay_alu instid0(VALU_DEP_1) | instskip(NEXT) | instid1(VALU_DEP_1)
	v_dual_sub_nc_u32 v7, v25, v7 :: v_dual_mov_b32 v25, v6
	v_and_b32_e32 v26, 0xff, v7
	s_delay_alu instid0(VALU_DEP_1) | instskip(SKIP_1) | instid1(SALU_CYCLE_1)
	v_cmp_eq_u16_e64 s6, 0, v26
	s_or_b32 s9, s6, s9
	s_and_not1_b32 exec_lo, exec_lo, s9
	s_cbranch_execnz .LBB3_142
; %bb.143:
	s_or_b32 exec_lo, exec_lo, s9
	v_mov_b32_e32 v25, v6
.LBB3_144:
	s_or_b32 exec_lo, exec_lo, s8
	s_delay_alu instid0(VALU_DEP_1)
	v_perm_b32 v4, v25, v4, 0x3020104
.LBB3_145:
	s_or_b32 exec_lo, exec_lo, s7
	v_or_b32_e32 v6, 0x900, v0
	s_delay_alu instid0(VALU_DEP_1)
	v_cmp_gt_i32_e64 s6, s13, v6
	s_and_saveexec_b32 s8, s6
	s_cbranch_execz .LBB3_150
; %bb.146:
	v_and_b32_e32 v6, 0xff, v24
	s_mov_b32 s10, 0
	s_mov_b32 s9, exec_lo
	s_delay_alu instid0(VALU_DEP_1)
	v_cmpx_ne_u16_e32 0, v6
	s_cbranch_execz .LBB3_149
.LBB3_147:                              ; =>This Inner Loop Header: Depth=1
	v_mov_b32_e32 v6, v24
	v_cvt_f32_ubyte0_e32 v24, v23
	s_delay_alu instid0(VALU_DEP_2) | instskip(NEXT) | instid1(VALU_DEP_1)
	v_cvt_f32_ubyte0_e32 v7, v6
	v_rcp_iflag_f32_e32 v9, v7
	v_nop
	s_delay_alu instid0(TRANS32_DEP_1) | instskip(NEXT) | instid1(VALU_DEP_1)
	v_mul_f32_e32 v9, v24, v9
	v_trunc_f32_e32 v9, v9
	s_delay_alu instid0(VALU_DEP_1) | instskip(SKIP_1) | instid1(VALU_DEP_2)
	v_fma_f32 v24, -v9, v7, v24
	v_cvt_u32_f32_e32 v9, v9
	v_cmp_ge_f32_e64 s7, |v24|, v7
	s_delay_alu instid0(VALU_DEP_1) | instskip(NEXT) | instid1(VALU_DEP_1)
	v_add_co_ci_u32_e64 v7, null, 0, v9, s7
	v_mul_lo_u32 v7, v7, v6
	s_delay_alu instid0(VALU_DEP_1) | instskip(NEXT) | instid1(VALU_DEP_1)
	v_dual_sub_nc_u32 v7, v23, v7 :: v_dual_mov_b32 v23, v6
	v_and_b32_e32 v24, 0xff, v7
	s_delay_alu instid0(VALU_DEP_1) | instskip(SKIP_1) | instid1(SALU_CYCLE_1)
	v_cmp_eq_u16_e64 s7, 0, v24
	s_or_b32 s10, s7, s10
	s_and_not1_b32 exec_lo, exec_lo, s10
	s_cbranch_execnz .LBB3_147
; %bb.148:
	s_or_b32 exec_lo, exec_lo, s10
	v_mov_b32_e32 v23, v6
.LBB3_149:
	s_or_b32 exec_lo, exec_lo, s9
	s_delay_alu instid0(VALU_DEP_1)
	v_perm_b32 v4, v4, v23, 0x7060004
.LBB3_150:
	s_or_b32 exec_lo, exec_lo, s8
	v_or_b32_e32 v6, 0xa00, v0
	s_delay_alu instid0(VALU_DEP_1)
	v_cmp_gt_i32_e64 s7, s13, v6
	s_and_saveexec_b32 s9, s7
	;; [unrolled: 46-line block ×3, first 2 shown]
	s_cbranch_execz .LBB3_160
; %bb.156:
	v_and_b32_e32 v6, 0xff, v20
	s_mov_b32 s12, 0
	s_mov_b32 s11, exec_lo
	s_delay_alu instid0(VALU_DEP_1)
	v_cmpx_ne_u16_e32 0, v6
	s_cbranch_execz .LBB3_159
.LBB3_157:                              ; =>This Inner Loop Header: Depth=1
	v_mov_b32_e32 v6, v20
	v_cvt_f32_ubyte0_e32 v20, v19
	s_delay_alu instid0(VALU_DEP_2) | instskip(NEXT) | instid1(VALU_DEP_1)
	v_cvt_f32_ubyte0_e32 v7, v6
	v_rcp_iflag_f32_e32 v9, v7
	v_nop
	s_delay_alu instid0(TRANS32_DEP_1) | instskip(NEXT) | instid1(VALU_DEP_1)
	v_mul_f32_e32 v9, v20, v9
	v_trunc_f32_e32 v9, v9
	s_delay_alu instid0(VALU_DEP_1) | instskip(SKIP_1) | instid1(VALU_DEP_2)
	v_fma_f32 v20, -v9, v7, v20
	v_cvt_u32_f32_e32 v9, v9
	v_cmp_ge_f32_e64 s9, |v20|, v7
	s_delay_alu instid0(VALU_DEP_1) | instskip(NEXT) | instid1(VALU_DEP_1)
	v_add_co_ci_u32_e64 v7, null, 0, v9, s9
	v_mul_lo_u32 v7, v7, v6
	s_delay_alu instid0(VALU_DEP_1) | instskip(NEXT) | instid1(VALU_DEP_1)
	v_dual_sub_nc_u32 v7, v19, v7 :: v_dual_mov_b32 v19, v6
	v_and_b32_e32 v20, 0xff, v7
	s_delay_alu instid0(VALU_DEP_1) | instskip(SKIP_1) | instid1(SALU_CYCLE_1)
	v_cmp_eq_u16_e64 s9, 0, v20
	s_or_b32 s12, s9, s12
	s_and_not1_b32 exec_lo, exec_lo, s12
	s_cbranch_execnz .LBB3_157
; %bb.158:
	s_or_b32 exec_lo, exec_lo, s12
	v_mov_b32_e32 v19, v6
.LBB3_159:
	s_or_b32 exec_lo, exec_lo, s11
	s_delay_alu instid0(VALU_DEP_1)
	v_perm_b32 v4, v4, v19, 0x60504
.LBB3_160:
	s_or_b32 exec_lo, exec_lo, s10
	v_or_b32_e32 v9, 0xc00, v0
	s_mov_b32 s10, exec_lo
	s_delay_alu instid0(VALU_DEP_1)
	v_cmpx_gt_i32_e64 s13, v9
	s_cbranch_execz .LBB3_165
; %bb.161:
	v_and_b32_e32 v6, 0xff, v18
	s_mov_b32 s12, 0
	s_mov_b32 s11, exec_lo
	s_delay_alu instid0(VALU_DEP_1)
	v_cmpx_ne_u16_e32 0, v6
	s_cbranch_execz .LBB3_164
.LBB3_162:                              ; =>This Inner Loop Header: Depth=1
	v_cvt_f32_ubyte0_e32 v19, v17
	v_mov_b32_e32 v6, v18
	s_delay_alu instid0(VALU_DEP_1) | instskip(NEXT) | instid1(VALU_DEP_1)
	v_cvt_f32_ubyte0_e32 v7, v6
	v_rcp_iflag_f32_e32 v18, v7
	v_nop
	s_delay_alu instid0(TRANS32_DEP_1) | instskip(NEXT) | instid1(VALU_DEP_1)
	v_mul_f32_e32 v18, v19, v18
	v_trunc_f32_e32 v18, v18
	s_delay_alu instid0(VALU_DEP_1) | instskip(SKIP_1) | instid1(VALU_DEP_2)
	v_fma_f32 v19, -v18, v7, v19
	v_cvt_u32_f32_e32 v18, v18
	v_cmp_ge_f32_e64 s9, |v19|, v7
	s_delay_alu instid0(VALU_DEP_1) | instskip(NEXT) | instid1(VALU_DEP_1)
	v_add_co_ci_u32_e64 v7, null, 0, v18, s9
	v_mul_lo_u32 v7, v7, v6
	s_delay_alu instid0(VALU_DEP_1) | instskip(NEXT) | instid1(VALU_DEP_1)
	v_dual_sub_nc_u32 v7, v17, v7 :: v_dual_mov_b32 v17, v6
	v_and_b32_e32 v18, 0xff, v7
	s_delay_alu instid0(VALU_DEP_1) | instskip(SKIP_1) | instid1(SALU_CYCLE_1)
	v_cmp_eq_u16_e64 s9, 0, v18
	s_or_b32 s12, s9, s12
	s_and_not1_b32 exec_lo, exec_lo, s12
	s_cbranch_execnz .LBB3_162
; %bb.163:
	s_or_b32 exec_lo, exec_lo, s12
	v_mov_b32_e32 v17, v6
.LBB3_164:
	s_or_b32 exec_lo, exec_lo, s11
	s_delay_alu instid0(VALU_DEP_1)
	v_perm_b32 v3, v17, v3, 0x3020104
.LBB3_165:
	s_or_b32 exec_lo, exec_lo, s10
	v_or_b32_e32 v6, 0xd00, v0
	s_delay_alu instid0(VALU_DEP_1)
	v_cmp_gt_i32_e64 s9, s13, v6
	s_and_saveexec_b32 s11, s9
	s_cbranch_execz .LBB3_170
; %bb.166:
	v_and_b32_e32 v6, 0xff, v16
	s_mov_b32 s15, 0
	s_mov_b32 s12, exec_lo
	s_delay_alu instid0(VALU_DEP_1)
	v_cmpx_ne_u16_e32 0, v6
	s_cbranch_execz .LBB3_169
.LBB3_167:                              ; =>This Inner Loop Header: Depth=1
	v_cvt_f32_ubyte0_e32 v17, v15
	v_mov_b32_e32 v6, v16
	s_delay_alu instid0(VALU_DEP_1) | instskip(NEXT) | instid1(VALU_DEP_1)
	v_cvt_f32_ubyte0_e32 v7, v6
	v_rcp_iflag_f32_e32 v16, v7
	v_nop
	s_delay_alu instid0(TRANS32_DEP_1) | instskip(NEXT) | instid1(VALU_DEP_1)
	v_mul_f32_e32 v16, v17, v16
	v_trunc_f32_e32 v16, v16
	s_delay_alu instid0(VALU_DEP_1) | instskip(SKIP_1) | instid1(VALU_DEP_2)
	v_fma_f32 v17, -v16, v7, v17
	v_cvt_u32_f32_e32 v16, v16
	v_cmp_ge_f32_e64 s10, |v17|, v7
	s_delay_alu instid0(VALU_DEP_1) | instskip(NEXT) | instid1(VALU_DEP_1)
	v_add_co_ci_u32_e64 v7, null, 0, v16, s10
	v_mul_lo_u32 v7, v7, v6
	s_delay_alu instid0(VALU_DEP_1) | instskip(NEXT) | instid1(VALU_DEP_1)
	v_dual_sub_nc_u32 v7, v15, v7 :: v_dual_mov_b32 v15, v6
	v_and_b32_e32 v16, 0xff, v7
	s_delay_alu instid0(VALU_DEP_1) | instskip(SKIP_1) | instid1(SALU_CYCLE_1)
	v_cmp_eq_u16_e64 s10, 0, v16
	s_or_b32 s15, s10, s15
	s_and_not1_b32 exec_lo, exec_lo, s15
	s_cbranch_execnz .LBB3_167
; %bb.168:
	s_or_b32 exec_lo, exec_lo, s15
	v_mov_b32_e32 v15, v6
.LBB3_169:
	s_or_b32 exec_lo, exec_lo, s12
	s_delay_alu instid0(VALU_DEP_1)
	v_perm_b32 v3, v3, v15, 0x7060004
.LBB3_170:
	s_or_b32 exec_lo, exec_lo, s11
	v_or_b32_e32 v6, 0xe00, v0
	s_delay_alu instid0(VALU_DEP_1)
	v_cmp_gt_i32_e64 s10, s13, v6
	s_and_saveexec_b32 s12, s10
	;; [unrolled: 46-line block ×3, first 2 shown]
	s_cbranch_execz .LBB3_180
; %bb.176:
	v_and_b32_e32 v6, 0xff, v12
	s_mov_b32 s19, 0
	s_mov_b32 s18, exec_lo
	s_delay_alu instid0(VALU_DEP_1)
	v_cmpx_ne_u16_e32 0, v6
	s_cbranch_execz .LBB3_179
.LBB3_177:                              ; =>This Inner Loop Header: Depth=1
	v_cvt_f32_ubyte0_e32 v13, v11
	v_mov_b32_e32 v6, v12
	s_delay_alu instid0(VALU_DEP_1) | instskip(NEXT) | instid1(VALU_DEP_1)
	v_cvt_f32_ubyte0_e32 v7, v6
	v_rcp_iflag_f32_e32 v12, v7
	v_nop
	s_delay_alu instid0(TRANS32_DEP_1) | instskip(NEXT) | instid1(VALU_DEP_1)
	v_mul_f32_e32 v12, v13, v12
	v_trunc_f32_e32 v12, v12
	s_delay_alu instid0(VALU_DEP_1) | instskip(SKIP_1) | instid1(VALU_DEP_2)
	v_fma_f32 v13, -v12, v7, v13
	v_cvt_u32_f32_e32 v12, v12
	v_cmp_ge_f32_e64 s12, |v13|, v7
	s_delay_alu instid0(VALU_DEP_1) | instskip(NEXT) | instid1(VALU_DEP_1)
	v_add_co_ci_u32_e64 v7, null, 0, v12, s12
	v_mul_lo_u32 v7, v7, v6
	s_delay_alu instid0(VALU_DEP_1) | instskip(NEXT) | instid1(VALU_DEP_1)
	v_dual_sub_nc_u32 v7, v11, v7 :: v_dual_mov_b32 v11, v6
	v_and_b32_e32 v12, 0xff, v7
	s_delay_alu instid0(VALU_DEP_1) | instskip(SKIP_1) | instid1(SALU_CYCLE_1)
	v_cmp_eq_u16_e64 s12, 0, v12
	s_or_b32 s19, s12, s19
	s_and_not1_b32 exec_lo, exec_lo, s19
	s_cbranch_execnz .LBB3_177
; %bb.178:
	s_or_b32 exec_lo, exec_lo, s19
	v_mov_b32_e32 v11, v6
.LBB3_179:
	s_or_b32 exec_lo, exec_lo, s18
	s_delay_alu instid0(VALU_DEP_1)
	v_perm_b32 v3, v3, v11, 0x60504
.LBB3_180:
	s_or_b32 exec_lo, exec_lo, s15
	s_and_saveexec_b32 s12, vcc_lo
	s_cbranch_execz .LBB3_197
; %bb.181:
	global_store_b8 v10, v2, s[16:17]
	s_wait_xcnt 0x0
	s_and_b32 exec_lo, exec_lo, s0
	s_cbranch_execz .LBB3_197
; %bb.182:
	v_dual_lshrrev_b32 v7, 8, v2 :: v_dual_add_nc_u32 v6, s14, v0
	global_store_b8 v6, v7, s[16:17] offset:256
	s_wait_xcnt 0x0
	s_and_b32 exec_lo, exec_lo, s1
	s_cbranch_execz .LBB3_197
; %bb.183:
	v_mov_b32_e32 v7, 0
	s_delay_alu instid0(VALU_DEP_1)
	v_add_nc_u64_e32 v[6:7], s[16:17], v[6:7]
	global_store_d16_hi_b8 v[6:7], v2, off offset:512
	s_wait_xcnt 0x0
	s_and_b32 exec_lo, exec_lo, s2
	s_cbranch_execz .LBB3_197
; %bb.184:
	v_lshrrev_b32_e32 v0, 24, v2
	v_cmp_gt_u32_e32 vcc_lo, s13, v5
	global_store_b8 v[6:7], v0, off offset:768
	s_wait_xcnt 0x0
	s_and_b32 exec_lo, exec_lo, vcc_lo
	s_cbranch_execz .LBB3_197
; %bb.185:
	global_store_b8 v[6:7], v1, off offset:1024
	s_wait_xcnt 0x0
	s_and_b32 exec_lo, exec_lo, s3
	s_cbranch_execz .LBB3_197
; %bb.186:
	v_lshrrev_b32_e32 v0, 8, v1
	global_store_b8 v[6:7], v0, off offset:1280
	s_wait_xcnt 0x0
	s_and_b32 exec_lo, exec_lo, s4
	s_cbranch_execz .LBB3_197
; %bb.187:
	global_store_d16_hi_b8 v[6:7], v1, off offset:1536
	s_wait_xcnt 0x0
	s_and_b32 exec_lo, exec_lo, s5
	s_cbranch_execz .LBB3_197
; %bb.188:
	v_lshrrev_b32_e32 v0, 24, v1
	v_cmp_gt_u32_e32 vcc_lo, s13, v8
	global_store_b8 v[6:7], v0, off offset:1792
	s_wait_xcnt 0x0
	s_and_b32 exec_lo, exec_lo, vcc_lo
	s_cbranch_execz .LBB3_197
; %bb.189:
	global_store_b8 v[6:7], v4, off offset:2048
	s_wait_xcnt 0x0
	s_and_b32 exec_lo, exec_lo, s6
	s_cbranch_execz .LBB3_197
; %bb.190:
	v_lshrrev_b32_e32 v0, 8, v4
	global_store_b8 v[6:7], v0, off offset:2304
	s_wait_xcnt 0x0
	s_and_b32 exec_lo, exec_lo, s7
	s_cbranch_execz .LBB3_197
; %bb.191:
	;; [unrolled: 23-line block ×3, first 2 shown]
	global_store_d16_hi_b8 v[6:7], v3, off offset:3584
	s_wait_xcnt 0x0
	s_and_b32 exec_lo, exec_lo, s11
	s_cbranch_execz .LBB3_197
; %bb.196:
	v_lshrrev_b32_e32 v0, 24, v3
	global_store_b8 v[6:7], v0, off offset:3840
.LBB3_197:
	s_endpgm
	.section	.rodata,"a",@progbits
	.p2align	6, 0x0
	.amdhsa_kernel _ZN2at6native29vectorized_elementwise_kernelILi2EZZZNS0_15gcd_kernel_cudaERNS_18TensorIteratorBaseEENKUlvE_clEvENKUlvE_clEvEUlhhE_St5arrayIPcLm3EEEEviT0_T1_
		.amdhsa_group_segment_fixed_size 0
		.amdhsa_private_segment_fixed_size 0
		.amdhsa_kernarg_size 32
		.amdhsa_user_sgpr_count 2
		.amdhsa_user_sgpr_dispatch_ptr 0
		.amdhsa_user_sgpr_queue_ptr 0
		.amdhsa_user_sgpr_kernarg_segment_ptr 1
		.amdhsa_user_sgpr_dispatch_id 0
		.amdhsa_user_sgpr_kernarg_preload_length 0
		.amdhsa_user_sgpr_kernarg_preload_offset 0
		.amdhsa_user_sgpr_private_segment_size 0
		.amdhsa_wavefront_size32 1
		.amdhsa_uses_dynamic_stack 0
		.amdhsa_enable_private_segment 0
		.amdhsa_system_sgpr_workgroup_id_x 1
		.amdhsa_system_sgpr_workgroup_id_y 0
		.amdhsa_system_sgpr_workgroup_id_z 0
		.amdhsa_system_sgpr_workgroup_info 0
		.amdhsa_system_vgpr_workitem_id 0
		.amdhsa_next_free_vgpr 42
		.amdhsa_next_free_sgpr 21
		.amdhsa_named_barrier_count 0
		.amdhsa_reserve_vcc 1
		.amdhsa_float_round_mode_32 0
		.amdhsa_float_round_mode_16_64 0
		.amdhsa_float_denorm_mode_32 3
		.amdhsa_float_denorm_mode_16_64 3
		.amdhsa_fp16_overflow 0
		.amdhsa_memory_ordered 1
		.amdhsa_forward_progress 1
		.amdhsa_inst_pref_size 74
		.amdhsa_round_robin_scheduling 0
		.amdhsa_exception_fp_ieee_invalid_op 0
		.amdhsa_exception_fp_denorm_src 0
		.amdhsa_exception_fp_ieee_div_zero 0
		.amdhsa_exception_fp_ieee_overflow 0
		.amdhsa_exception_fp_ieee_underflow 0
		.amdhsa_exception_fp_ieee_inexact 0
		.amdhsa_exception_int_div_zero 0
	.end_amdhsa_kernel
	.section	.text._ZN2at6native29vectorized_elementwise_kernelILi2EZZZNS0_15gcd_kernel_cudaERNS_18TensorIteratorBaseEENKUlvE_clEvENKUlvE_clEvEUlhhE_St5arrayIPcLm3EEEEviT0_T1_,"axG",@progbits,_ZN2at6native29vectorized_elementwise_kernelILi2EZZZNS0_15gcd_kernel_cudaERNS_18TensorIteratorBaseEENKUlvE_clEvENKUlvE_clEvEUlhhE_St5arrayIPcLm3EEEEviT0_T1_,comdat
.Lfunc_end3:
	.size	_ZN2at6native29vectorized_elementwise_kernelILi2EZZZNS0_15gcd_kernel_cudaERNS_18TensorIteratorBaseEENKUlvE_clEvENKUlvE_clEvEUlhhE_St5arrayIPcLm3EEEEviT0_T1_, .Lfunc_end3-_ZN2at6native29vectorized_elementwise_kernelILi2EZZZNS0_15gcd_kernel_cudaERNS_18TensorIteratorBaseEENKUlvE_clEvENKUlvE_clEvEUlhhE_St5arrayIPcLm3EEEEviT0_T1_
                                        ; -- End function
	.set _ZN2at6native29vectorized_elementwise_kernelILi2EZZZNS0_15gcd_kernel_cudaERNS_18TensorIteratorBaseEENKUlvE_clEvENKUlvE_clEvEUlhhE_St5arrayIPcLm3EEEEviT0_T1_.num_vgpr, 42
	.set _ZN2at6native29vectorized_elementwise_kernelILi2EZZZNS0_15gcd_kernel_cudaERNS_18TensorIteratorBaseEENKUlvE_clEvENKUlvE_clEvEUlhhE_St5arrayIPcLm3EEEEviT0_T1_.num_agpr, 0
	.set _ZN2at6native29vectorized_elementwise_kernelILi2EZZZNS0_15gcd_kernel_cudaERNS_18TensorIteratorBaseEENKUlvE_clEvENKUlvE_clEvEUlhhE_St5arrayIPcLm3EEEEviT0_T1_.numbered_sgpr, 21
	.set _ZN2at6native29vectorized_elementwise_kernelILi2EZZZNS0_15gcd_kernel_cudaERNS_18TensorIteratorBaseEENKUlvE_clEvENKUlvE_clEvEUlhhE_St5arrayIPcLm3EEEEviT0_T1_.num_named_barrier, 0
	.set _ZN2at6native29vectorized_elementwise_kernelILi2EZZZNS0_15gcd_kernel_cudaERNS_18TensorIteratorBaseEENKUlvE_clEvENKUlvE_clEvEUlhhE_St5arrayIPcLm3EEEEviT0_T1_.private_seg_size, 0
	.set _ZN2at6native29vectorized_elementwise_kernelILi2EZZZNS0_15gcd_kernel_cudaERNS_18TensorIteratorBaseEENKUlvE_clEvENKUlvE_clEvEUlhhE_St5arrayIPcLm3EEEEviT0_T1_.uses_vcc, 1
	.set _ZN2at6native29vectorized_elementwise_kernelILi2EZZZNS0_15gcd_kernel_cudaERNS_18TensorIteratorBaseEENKUlvE_clEvENKUlvE_clEvEUlhhE_St5arrayIPcLm3EEEEviT0_T1_.uses_flat_scratch, 0
	.set _ZN2at6native29vectorized_elementwise_kernelILi2EZZZNS0_15gcd_kernel_cudaERNS_18TensorIteratorBaseEENKUlvE_clEvENKUlvE_clEvEUlhhE_St5arrayIPcLm3EEEEviT0_T1_.has_dyn_sized_stack, 0
	.set _ZN2at6native29vectorized_elementwise_kernelILi2EZZZNS0_15gcd_kernel_cudaERNS_18TensorIteratorBaseEENKUlvE_clEvENKUlvE_clEvEUlhhE_St5arrayIPcLm3EEEEviT0_T1_.has_recursion, 0
	.set _ZN2at6native29vectorized_elementwise_kernelILi2EZZZNS0_15gcd_kernel_cudaERNS_18TensorIteratorBaseEENKUlvE_clEvENKUlvE_clEvEUlhhE_St5arrayIPcLm3EEEEviT0_T1_.has_indirect_call, 0
	.section	.AMDGPU.csdata,"",@progbits
; Kernel info:
; codeLenInByte = 9380
; TotalNumSgprs: 23
; NumVgprs: 42
; ScratchSize: 0
; MemoryBound: 0
; FloatMode: 240
; IeeeMode: 1
; LDSByteSize: 0 bytes/workgroup (compile time only)
; SGPRBlocks: 0
; VGPRBlocks: 2
; NumSGPRsForWavesPerEU: 23
; NumVGPRsForWavesPerEU: 42
; NamedBarCnt: 0
; Occupancy: 16
; WaveLimiterHint : 1
; COMPUTE_PGM_RSRC2:SCRATCH_EN: 0
; COMPUTE_PGM_RSRC2:USER_SGPR: 2
; COMPUTE_PGM_RSRC2:TRAP_HANDLER: 0
; COMPUTE_PGM_RSRC2:TGID_X_EN: 1
; COMPUTE_PGM_RSRC2:TGID_Y_EN: 0
; COMPUTE_PGM_RSRC2:TGID_Z_EN: 0
; COMPUTE_PGM_RSRC2:TIDIG_COMP_CNT: 0
	.section	.text._ZN2at6native27unrolled_elementwise_kernelIZZZNS0_15gcd_kernel_cudaERNS_18TensorIteratorBaseEENKUlvE_clEvENKUlvE_clEvEUlhhE_St5arrayIPcLm3EELi4E23TrivialOffsetCalculatorILi2EjESA_ILi1EjENS0_6memory15LoadWithoutCastENSD_16StoreWithoutCastEEEviT_T0_T2_T3_T4_T5_,"axG",@progbits,_ZN2at6native27unrolled_elementwise_kernelIZZZNS0_15gcd_kernel_cudaERNS_18TensorIteratorBaseEENKUlvE_clEvENKUlvE_clEvEUlhhE_St5arrayIPcLm3EELi4E23TrivialOffsetCalculatorILi2EjESA_ILi1EjENS0_6memory15LoadWithoutCastENSD_16StoreWithoutCastEEEviT_T0_T2_T3_T4_T5_,comdat
	.globl	_ZN2at6native27unrolled_elementwise_kernelIZZZNS0_15gcd_kernel_cudaERNS_18TensorIteratorBaseEENKUlvE_clEvENKUlvE_clEvEUlhhE_St5arrayIPcLm3EELi4E23TrivialOffsetCalculatorILi2EjESA_ILi1EjENS0_6memory15LoadWithoutCastENSD_16StoreWithoutCastEEEviT_T0_T2_T3_T4_T5_ ; -- Begin function _ZN2at6native27unrolled_elementwise_kernelIZZZNS0_15gcd_kernel_cudaERNS_18TensorIteratorBaseEENKUlvE_clEvENKUlvE_clEvEUlhhE_St5arrayIPcLm3EELi4E23TrivialOffsetCalculatorILi2EjESA_ILi1EjENS0_6memory15LoadWithoutCastENSD_16StoreWithoutCastEEEviT_T0_T2_T3_T4_T5_
	.p2align	8
	.type	_ZN2at6native27unrolled_elementwise_kernelIZZZNS0_15gcd_kernel_cudaERNS_18TensorIteratorBaseEENKUlvE_clEvENKUlvE_clEvEUlhhE_St5arrayIPcLm3EELi4E23TrivialOffsetCalculatorILi2EjESA_ILi1EjENS0_6memory15LoadWithoutCastENSD_16StoreWithoutCastEEEviT_T0_T2_T3_T4_T5_,@function
_ZN2at6native27unrolled_elementwise_kernelIZZZNS0_15gcd_kernel_cudaERNS_18TensorIteratorBaseEENKUlvE_clEvENKUlvE_clEvEUlhhE_St5arrayIPcLm3EELi4E23TrivialOffsetCalculatorILi2EjESA_ILi1EjENS0_6memory15LoadWithoutCastENSD_16StoreWithoutCastEEEviT_T0_T2_T3_T4_T5_: ; @_ZN2at6native27unrolled_elementwise_kernelIZZZNS0_15gcd_kernel_cudaERNS_18TensorIteratorBaseEENKUlvE_clEvENKUlvE_clEvEUlhhE_St5arrayIPcLm3EELi4E23TrivialOffsetCalculatorILi2EjESA_ILi1EjENS0_6memory15LoadWithoutCastENSD_16StoreWithoutCastEEEviT_T0_T2_T3_T4_T5_
; %bb.0:
	s_load_b32 s9, s[0:1], 0x0
	s_bfe_u32 s10, ttmp6, 0x4000c
	s_clause 0x1
	s_load_b128 s[4:7], s[0:1], 0x8
	s_load_b64 s[2:3], s[0:1], 0x18
	s_add_co_i32 s10, s10, 1
	s_and_b32 s8, ttmp6, 15
	s_wait_xcnt 0x0
	s_mul_i32 s0, ttmp9, s10
	s_getreg_b32 s11, hwreg(HW_REG_IB_STS2, 6, 4)
	s_add_co_i32 s8, s8, s0
	s_cmp_eq_u32 s11, 0
	v_dual_mov_b32 v3, 0 :: v_dual_mov_b32 v5, 0
	s_cselect_b32 s0, ttmp9, s8
	v_dual_mov_b32 v4, 0 :: v_dual_mov_b32 v7, 0
	s_lshl_b32 s8, s0, 10
	v_dual_mov_b32 v6, 0 :: v_dual_mov_b32 v9, 0
	v_dual_mov_b32 v8, 0 :: v_dual_bitop2_b32 v2, s8, v0 bitop3:0x54
	v_or_b32_e32 v1, 0x100, v0
	s_wait_kmcnt 0x0
	s_sub_co_i32 s9, s9, s8
	v_dual_mov_b32 v11, 0 :: v_dual_mov_b32 v10, 0
	v_cmp_gt_i32_e32 vcc_lo, s9, v0
	s_and_saveexec_b32 s1, vcc_lo
	s_cbranch_execnz .LBB4_3
; %bb.1:
	s_or_b32 exec_lo, exec_lo, s1
	s_and_saveexec_b32 s1, vcc_lo
	s_cbranch_execnz .LBB4_10
.LBB4_2:
	s_or_b32 exec_lo, exec_lo, s1
	v_cmp_gt_i32_e64 s0, s9, v1
	s_and_saveexec_b32 s2, s0
	s_cbranch_execnz .LBB4_14
	s_branch .LBB4_18
.LBB4_3:
	s_clause 0x1
	global_load_u8 v11, v2, s[6:7]
	global_load_u8 v10, v2, s[2:3]
	v_dual_mov_b32 v8, 0 :: v_dual_mov_b32 v9, 0
	v_dual_mov_b32 v6, 0 :: v_dual_mov_b32 v7, 0
	v_dual_mov_b32 v4, 0 :: v_dual_mov_b32 v5, 0
	s_mov_b32 s10, exec_lo
	s_wait_xcnt 0x0
	v_cmpx_gt_u32_e64 s9, v1
	s_cbranch_execz .LBB4_9
; %bb.4:
	v_dual_add_nc_u32 v4, s8, v1 :: v_dual_mov_b32 v6, 0
	v_or_b32_e32 v12, 0x200, v0
	v_dual_mov_b32 v7, 0 :: v_dual_mov_b32 v5, 0
	s_clause 0x1
	global_load_u8 v9, v4, s[6:7]
	global_load_u8 v8, v4, s[2:3]
	s_wait_xcnt 0x0
	v_mov_b32_e32 v4, 0
	s_mov_b32 s11, exec_lo
	v_cmpx_gt_u32_e64 s9, v12
	s_cbranch_execz .LBB4_8
; %bb.5:
	v_dual_mov_b32 v5, 0 :: v_dual_add_nc_u32 v4, s8, v12
	v_or_b32_e32 v12, 0x300, v0
	s_mov_b32 s12, exec_lo
	s_clause 0x1
	global_load_u8 v7, v4, s[6:7]
	global_load_u8 v6, v4, s[2:3]
	s_wait_xcnt 0x0
	v_mov_b32_e32 v4, 0
	v_cmpx_gt_u32_e64 s9, v12
	s_cbranch_execz .LBB4_7
; %bb.6:
	v_add_nc_u32_e32 v12, s8, v12
	s_clause 0x1
	global_load_u8 v5, v12, s[6:7]
	global_load_u8 v4, v12, s[2:3]
.LBB4_7:
	s_wait_xcnt 0x0
	s_or_b32 exec_lo, exec_lo, s12
.LBB4_8:
	s_delay_alu instid0(SALU_CYCLE_1)
	s_or_b32 exec_lo, exec_lo, s11
.LBB4_9:
	s_delay_alu instid0(SALU_CYCLE_1) | instskip(NEXT) | instid1(SALU_CYCLE_1)
	s_or_b32 exec_lo, exec_lo, s10
	s_or_b32 exec_lo, exec_lo, s1
	s_and_saveexec_b32 s1, vcc_lo
	s_cbranch_execz .LBB4_2
.LBB4_10:
	s_wait_loadcnt 0x1
	v_and_b32_e32 v3, 0xff, v11
	s_mov_b32 s3, 0
	s_mov_b32 s2, exec_lo
	s_delay_alu instid0(VALU_DEP_1)
	v_cmpx_ne_u16_e32 0, v3
	s_cbranch_execz .LBB4_13
.LBB4_11:                               ; =>This Inner Loop Header: Depth=1
	s_wait_loadcnt 0x0
	v_cvt_f32_ubyte0_e32 v13, v10
	v_mov_b32_e32 v3, v11
	s_delay_alu instid0(VALU_DEP_1) | instskip(NEXT) | instid1(VALU_DEP_1)
	v_cvt_f32_ubyte0_e32 v11, v3
	v_rcp_iflag_f32_e32 v12, v11
	v_nop
	s_delay_alu instid0(TRANS32_DEP_1) | instskip(NEXT) | instid1(VALU_DEP_1)
	v_mul_f32_e32 v12, v13, v12
	v_trunc_f32_e32 v12, v12
	s_delay_alu instid0(VALU_DEP_1) | instskip(SKIP_1) | instid1(VALU_DEP_2)
	v_fma_f32 v13, -v12, v11, v13
	v_cvt_u32_f32_e32 v12, v12
	v_cmp_ge_f32_e64 s0, |v13|, v11
	s_delay_alu instid0(VALU_DEP_1) | instskip(NEXT) | instid1(VALU_DEP_1)
	v_add_co_ci_u32_e64 v11, null, 0, v12, s0
	v_mul_lo_u32 v11, v11, v3
	s_delay_alu instid0(VALU_DEP_1) | instskip(NEXT) | instid1(VALU_DEP_1)
	v_sub_nc_u32_e32 v10, v10, v11
	v_and_b32_e32 v11, 0xff, v10
	v_mov_b32_e32 v10, v3
	s_delay_alu instid0(VALU_DEP_2) | instskip(SKIP_1) | instid1(SALU_CYCLE_1)
	v_cmp_eq_u16_e64 s0, 0, v11
	s_or_b32 s3, s0, s3
	s_and_not1_b32 exec_lo, exec_lo, s3
	s_cbranch_execnz .LBB4_11
; %bb.12:
	s_or_b32 exec_lo, exec_lo, s3
	v_mov_b32_e32 v10, v3
.LBB4_13:
	s_or_b32 exec_lo, exec_lo, s2
	s_wait_loadcnt 0x0
	s_delay_alu instid0(VALU_DEP_1) | instskip(NEXT) | instid1(VALU_DEP_1)
	v_and_b32_e32 v3, 0xff, v10
	v_and_b32_e32 v3, 0xffff, v3
	s_or_b32 exec_lo, exec_lo, s1
	v_cmp_gt_i32_e64 s0, s9, v1
	s_and_saveexec_b32 s2, s0
	s_cbranch_execz .LBB4_18
.LBB4_14:
	s_wait_loadcnt 0x0
	v_and_b32_e32 v10, 0xff, v9
	s_mov_b32 s6, 0
	s_mov_b32 s3, exec_lo
	s_delay_alu instid0(VALU_DEP_1)
	v_cmpx_ne_u16_e32 0, v10
	s_cbranch_execz .LBB4_17
.LBB4_15:                               ; =>This Inner Loop Header: Depth=1
	v_cvt_f32_ubyte0_e32 v12, v8
	v_mov_b32_e32 v10, v9
	s_delay_alu instid0(VALU_DEP_1) | instskip(NEXT) | instid1(VALU_DEP_1)
	v_cvt_f32_ubyte0_e32 v9, v10
	v_rcp_iflag_f32_e32 v11, v9
	v_nop
	s_delay_alu instid0(TRANS32_DEP_1) | instskip(NEXT) | instid1(VALU_DEP_1)
	v_mul_f32_e32 v11, v12, v11
	v_trunc_f32_e32 v11, v11
	s_delay_alu instid0(VALU_DEP_1) | instskip(SKIP_1) | instid1(VALU_DEP_2)
	v_fma_f32 v12, -v11, v9, v12
	v_cvt_u32_f32_e32 v11, v11
	v_cmp_ge_f32_e64 s1, |v12|, v9
	s_delay_alu instid0(VALU_DEP_1) | instskip(NEXT) | instid1(VALU_DEP_1)
	v_add_co_ci_u32_e64 v9, null, 0, v11, s1
	v_mul_lo_u32 v9, v9, v10
	s_delay_alu instid0(VALU_DEP_1) | instskip(NEXT) | instid1(VALU_DEP_1)
	v_sub_nc_u32_e32 v8, v8, v9
	v_and_b32_e32 v9, 0xff, v8
	v_mov_b32_e32 v8, v10
	s_delay_alu instid0(VALU_DEP_2) | instskip(SKIP_1) | instid1(SALU_CYCLE_1)
	v_cmp_eq_u16_e64 s1, 0, v9
	s_or_b32 s6, s1, s6
	s_and_not1_b32 exec_lo, exec_lo, s6
	s_cbranch_execnz .LBB4_15
; %bb.16:
	s_or_b32 exec_lo, exec_lo, s6
	v_mov_b32_e32 v8, v10
.LBB4_17:
	s_or_b32 exec_lo, exec_lo, s3
	s_delay_alu instid0(VALU_DEP_1) | instskip(NEXT) | instid1(VALU_DEP_1)
	v_lshlrev_b16 v8, 8, v8
	v_or_b32_e32 v3, v3, v8
	s_delay_alu instid0(VALU_DEP_1)
	v_and_b32_e32 v3, 0xffff, v3
.LBB4_18:
	s_or_b32 exec_lo, exec_lo, s2
	s_wait_loadcnt 0x0
	v_or_b32_e32 v8, 0x200, v0
	s_delay_alu instid0(VALU_DEP_1)
	v_cmp_gt_i32_e64 s1, s9, v8
	s_and_saveexec_b32 s3, s1
	s_cbranch_execz .LBB4_23
; %bb.19:
	v_and_b32_e32 v9, 0xff, v7
	s_mov_b32 s7, 0
	s_mov_b32 s6, exec_lo
	s_delay_alu instid0(VALU_DEP_1)
	v_cmpx_ne_u16_e32 0, v9
	s_cbranch_execz .LBB4_22
.LBB4_20:                               ; =>This Inner Loop Header: Depth=1
	v_cvt_f32_ubyte0_e32 v11, v6
	v_mov_b32_e32 v9, v7
	s_delay_alu instid0(VALU_DEP_1) | instskip(NEXT) | instid1(VALU_DEP_1)
	v_cvt_f32_ubyte0_e32 v7, v9
	v_rcp_iflag_f32_e32 v10, v7
	v_nop
	s_delay_alu instid0(TRANS32_DEP_1) | instskip(NEXT) | instid1(VALU_DEP_1)
	v_mul_f32_e32 v10, v11, v10
	v_trunc_f32_e32 v10, v10
	s_delay_alu instid0(VALU_DEP_1) | instskip(SKIP_1) | instid1(VALU_DEP_2)
	v_fma_f32 v11, -v10, v7, v11
	v_cvt_u32_f32_e32 v10, v10
	v_cmp_ge_f32_e64 s2, |v11|, v7
	s_delay_alu instid0(VALU_DEP_1) | instskip(NEXT) | instid1(VALU_DEP_1)
	v_add_co_ci_u32_e64 v7, null, 0, v10, s2
	v_mul_lo_u32 v7, v7, v9
	s_delay_alu instid0(VALU_DEP_1) | instskip(NEXT) | instid1(VALU_DEP_1)
	v_sub_nc_u32_e32 v6, v6, v7
	v_and_b32_e32 v7, 0xff, v6
	v_mov_b32_e32 v6, v9
	s_delay_alu instid0(VALU_DEP_2) | instskip(SKIP_1) | instid1(SALU_CYCLE_1)
	v_cmp_eq_u16_e64 s2, 0, v7
	s_or_b32 s7, s2, s7
	s_and_not1_b32 exec_lo, exec_lo, s7
	s_cbranch_execnz .LBB4_20
; %bb.21:
	s_or_b32 exec_lo, exec_lo, s7
	v_mov_b32_e32 v6, v9
.LBB4_22:
	s_or_b32 exec_lo, exec_lo, s6
	s_delay_alu instid0(VALU_DEP_1) | instskip(NEXT) | instid1(VALU_DEP_1)
	v_and_b32_e32 v6, 0xff, v6
	v_lshlrev_b32_e32 v6, 16, v6
	s_delay_alu instid0(VALU_DEP_1)
	v_or_b32_e32 v3, v3, v6
.LBB4_23:
	s_or_b32 exec_lo, exec_lo, s3
	v_or_b32_e32 v0, 0x300, v0
	s_delay_alu instid0(VALU_DEP_1)
	v_cmp_gt_i32_e64 s2, s9, v0
	s_and_saveexec_b32 s6, s2
	s_cbranch_execz .LBB4_28
; %bb.24:
	v_and_b32_e32 v6, 0xff, v5
	s_mov_b32 s9, 0
	s_mov_b32 s7, exec_lo
	s_delay_alu instid0(VALU_DEP_1)
	v_cmpx_ne_u16_e32 0, v6
	s_cbranch_execz .LBB4_27
.LBB4_25:                               ; =>This Inner Loop Header: Depth=1
	v_cvt_f32_ubyte0_e32 v9, v4
	v_mov_b32_e32 v6, v5
	s_delay_alu instid0(VALU_DEP_1) | instskip(NEXT) | instid1(VALU_DEP_1)
	v_cvt_f32_ubyte0_e32 v5, v6
	v_rcp_iflag_f32_e32 v7, v5
	v_nop
	s_delay_alu instid0(TRANS32_DEP_1) | instskip(NEXT) | instid1(VALU_DEP_1)
	v_mul_f32_e32 v7, v9, v7
	v_trunc_f32_e32 v7, v7
	s_delay_alu instid0(VALU_DEP_1) | instskip(SKIP_1) | instid1(VALU_DEP_2)
	v_fma_f32 v9, -v7, v5, v9
	v_cvt_u32_f32_e32 v7, v7
	v_cmp_ge_f32_e64 s3, |v9|, v5
	s_delay_alu instid0(VALU_DEP_1) | instskip(NEXT) | instid1(VALU_DEP_1)
	v_add_co_ci_u32_e64 v5, null, 0, v7, s3
	v_mul_lo_u32 v5, v5, v6
	s_delay_alu instid0(VALU_DEP_1) | instskip(NEXT) | instid1(VALU_DEP_1)
	v_sub_nc_u32_e32 v4, v4, v5
	v_and_b32_e32 v5, 0xff, v4
	v_mov_b32_e32 v4, v6
	s_delay_alu instid0(VALU_DEP_2) | instskip(SKIP_1) | instid1(SALU_CYCLE_1)
	v_cmp_eq_u16_e64 s3, 0, v5
	s_or_b32 s9, s3, s9
	s_and_not1_b32 exec_lo, exec_lo, s9
	s_cbranch_execnz .LBB4_25
; %bb.26:
	s_or_b32 exec_lo, exec_lo, s9
	v_mov_b32_e32 v4, v6
.LBB4_27:
	s_or_b32 exec_lo, exec_lo, s7
	v_lshrrev_b32_e32 v5, 16, v3
	s_delay_alu instid0(VALU_DEP_2) | instskip(NEXT) | instid1(VALU_DEP_1)
	v_lshlrev_b16 v4, 8, v4
	v_or_b32_e32 v4, v5, v4
	s_delay_alu instid0(VALU_DEP_1) | instskip(NEXT) | instid1(VALU_DEP_1)
	v_lshlrev_b32_e32 v4, 16, v4
	v_and_or_b32 v3, 0xffff, v3, v4
.LBB4_28:
	s_or_b32 exec_lo, exec_lo, s6
	s_and_saveexec_b32 s3, vcc_lo
	s_cbranch_execz .LBB4_33
; %bb.29:
	global_store_b8 v2, v3, s[4:5]
	s_wait_xcnt 0x0
	s_and_b32 exec_lo, exec_lo, s0
	s_cbranch_execz .LBB4_33
; %bb.30:
	v_dual_add_nc_u32 v1, s8, v1 :: v_dual_lshrrev_b32 v2, 8, v3
	global_store_b8 v1, v2, s[4:5]
	s_wait_xcnt 0x0
	s_and_b32 exec_lo, exec_lo, s1
	s_cbranch_execz .LBB4_33
; %bb.31:
	v_add_nc_u32_e32 v1, s8, v8
	global_store_d16_hi_b8 v1, v3, s[4:5]
	s_wait_xcnt 0x0
	s_and_b32 exec_lo, exec_lo, s2
	s_cbranch_execz .LBB4_33
; %bb.32:
	v_dual_lshrrev_b32 v1, 24, v3 :: v_dual_add_nc_u32 v0, s8, v0
	global_store_b8 v0, v1, s[4:5]
.LBB4_33:
	s_endpgm
	.section	.rodata,"a",@progbits
	.p2align	6, 0x0
	.amdhsa_kernel _ZN2at6native27unrolled_elementwise_kernelIZZZNS0_15gcd_kernel_cudaERNS_18TensorIteratorBaseEENKUlvE_clEvENKUlvE_clEvEUlhhE_St5arrayIPcLm3EELi4E23TrivialOffsetCalculatorILi2EjESA_ILi1EjENS0_6memory15LoadWithoutCastENSD_16StoreWithoutCastEEEviT_T0_T2_T3_T4_T5_
		.amdhsa_group_segment_fixed_size 0
		.amdhsa_private_segment_fixed_size 0
		.amdhsa_kernarg_size 36
		.amdhsa_user_sgpr_count 2
		.amdhsa_user_sgpr_dispatch_ptr 0
		.amdhsa_user_sgpr_queue_ptr 0
		.amdhsa_user_sgpr_kernarg_segment_ptr 1
		.amdhsa_user_sgpr_dispatch_id 0
		.amdhsa_user_sgpr_kernarg_preload_length 0
		.amdhsa_user_sgpr_kernarg_preload_offset 0
		.amdhsa_user_sgpr_private_segment_size 0
		.amdhsa_wavefront_size32 1
		.amdhsa_uses_dynamic_stack 0
		.amdhsa_enable_private_segment 0
		.amdhsa_system_sgpr_workgroup_id_x 1
		.amdhsa_system_sgpr_workgroup_id_y 0
		.amdhsa_system_sgpr_workgroup_id_z 0
		.amdhsa_system_sgpr_workgroup_info 0
		.amdhsa_system_vgpr_workitem_id 0
		.amdhsa_next_free_vgpr 14
		.amdhsa_next_free_sgpr 13
		.amdhsa_named_barrier_count 0
		.amdhsa_reserve_vcc 1
		.amdhsa_float_round_mode_32 0
		.amdhsa_float_round_mode_16_64 0
		.amdhsa_float_denorm_mode_32 3
		.amdhsa_float_denorm_mode_16_64 3
		.amdhsa_fp16_overflow 0
		.amdhsa_memory_ordered 1
		.amdhsa_forward_progress 1
		.amdhsa_inst_pref_size 12
		.amdhsa_round_robin_scheduling 0
		.amdhsa_exception_fp_ieee_invalid_op 0
		.amdhsa_exception_fp_denorm_src 0
		.amdhsa_exception_fp_ieee_div_zero 0
		.amdhsa_exception_fp_ieee_overflow 0
		.amdhsa_exception_fp_ieee_underflow 0
		.amdhsa_exception_fp_ieee_inexact 0
		.amdhsa_exception_int_div_zero 0
	.end_amdhsa_kernel
	.section	.text._ZN2at6native27unrolled_elementwise_kernelIZZZNS0_15gcd_kernel_cudaERNS_18TensorIteratorBaseEENKUlvE_clEvENKUlvE_clEvEUlhhE_St5arrayIPcLm3EELi4E23TrivialOffsetCalculatorILi2EjESA_ILi1EjENS0_6memory15LoadWithoutCastENSD_16StoreWithoutCastEEEviT_T0_T2_T3_T4_T5_,"axG",@progbits,_ZN2at6native27unrolled_elementwise_kernelIZZZNS0_15gcd_kernel_cudaERNS_18TensorIteratorBaseEENKUlvE_clEvENKUlvE_clEvEUlhhE_St5arrayIPcLm3EELi4E23TrivialOffsetCalculatorILi2EjESA_ILi1EjENS0_6memory15LoadWithoutCastENSD_16StoreWithoutCastEEEviT_T0_T2_T3_T4_T5_,comdat
.Lfunc_end4:
	.size	_ZN2at6native27unrolled_elementwise_kernelIZZZNS0_15gcd_kernel_cudaERNS_18TensorIteratorBaseEENKUlvE_clEvENKUlvE_clEvEUlhhE_St5arrayIPcLm3EELi4E23TrivialOffsetCalculatorILi2EjESA_ILi1EjENS0_6memory15LoadWithoutCastENSD_16StoreWithoutCastEEEviT_T0_T2_T3_T4_T5_, .Lfunc_end4-_ZN2at6native27unrolled_elementwise_kernelIZZZNS0_15gcd_kernel_cudaERNS_18TensorIteratorBaseEENKUlvE_clEvENKUlvE_clEvEUlhhE_St5arrayIPcLm3EELi4E23TrivialOffsetCalculatorILi2EjESA_ILi1EjENS0_6memory15LoadWithoutCastENSD_16StoreWithoutCastEEEviT_T0_T2_T3_T4_T5_
                                        ; -- End function
	.set _ZN2at6native27unrolled_elementwise_kernelIZZZNS0_15gcd_kernel_cudaERNS_18TensorIteratorBaseEENKUlvE_clEvENKUlvE_clEvEUlhhE_St5arrayIPcLm3EELi4E23TrivialOffsetCalculatorILi2EjESA_ILi1EjENS0_6memory15LoadWithoutCastENSD_16StoreWithoutCastEEEviT_T0_T2_T3_T4_T5_.num_vgpr, 14
	.set _ZN2at6native27unrolled_elementwise_kernelIZZZNS0_15gcd_kernel_cudaERNS_18TensorIteratorBaseEENKUlvE_clEvENKUlvE_clEvEUlhhE_St5arrayIPcLm3EELi4E23TrivialOffsetCalculatorILi2EjESA_ILi1EjENS0_6memory15LoadWithoutCastENSD_16StoreWithoutCastEEEviT_T0_T2_T3_T4_T5_.num_agpr, 0
	.set _ZN2at6native27unrolled_elementwise_kernelIZZZNS0_15gcd_kernel_cudaERNS_18TensorIteratorBaseEENKUlvE_clEvENKUlvE_clEvEUlhhE_St5arrayIPcLm3EELi4E23TrivialOffsetCalculatorILi2EjESA_ILi1EjENS0_6memory15LoadWithoutCastENSD_16StoreWithoutCastEEEviT_T0_T2_T3_T4_T5_.numbered_sgpr, 13
	.set _ZN2at6native27unrolled_elementwise_kernelIZZZNS0_15gcd_kernel_cudaERNS_18TensorIteratorBaseEENKUlvE_clEvENKUlvE_clEvEUlhhE_St5arrayIPcLm3EELi4E23TrivialOffsetCalculatorILi2EjESA_ILi1EjENS0_6memory15LoadWithoutCastENSD_16StoreWithoutCastEEEviT_T0_T2_T3_T4_T5_.num_named_barrier, 0
	.set _ZN2at6native27unrolled_elementwise_kernelIZZZNS0_15gcd_kernel_cudaERNS_18TensorIteratorBaseEENKUlvE_clEvENKUlvE_clEvEUlhhE_St5arrayIPcLm3EELi4E23TrivialOffsetCalculatorILi2EjESA_ILi1EjENS0_6memory15LoadWithoutCastENSD_16StoreWithoutCastEEEviT_T0_T2_T3_T4_T5_.private_seg_size, 0
	.set _ZN2at6native27unrolled_elementwise_kernelIZZZNS0_15gcd_kernel_cudaERNS_18TensorIteratorBaseEENKUlvE_clEvENKUlvE_clEvEUlhhE_St5arrayIPcLm3EELi4E23TrivialOffsetCalculatorILi2EjESA_ILi1EjENS0_6memory15LoadWithoutCastENSD_16StoreWithoutCastEEEviT_T0_T2_T3_T4_T5_.uses_vcc, 1
	.set _ZN2at6native27unrolled_elementwise_kernelIZZZNS0_15gcd_kernel_cudaERNS_18TensorIteratorBaseEENKUlvE_clEvENKUlvE_clEvEUlhhE_St5arrayIPcLm3EELi4E23TrivialOffsetCalculatorILi2EjESA_ILi1EjENS0_6memory15LoadWithoutCastENSD_16StoreWithoutCastEEEviT_T0_T2_T3_T4_T5_.uses_flat_scratch, 0
	.set _ZN2at6native27unrolled_elementwise_kernelIZZZNS0_15gcd_kernel_cudaERNS_18TensorIteratorBaseEENKUlvE_clEvENKUlvE_clEvEUlhhE_St5arrayIPcLm3EELi4E23TrivialOffsetCalculatorILi2EjESA_ILi1EjENS0_6memory15LoadWithoutCastENSD_16StoreWithoutCastEEEviT_T0_T2_T3_T4_T5_.has_dyn_sized_stack, 0
	.set _ZN2at6native27unrolled_elementwise_kernelIZZZNS0_15gcd_kernel_cudaERNS_18TensorIteratorBaseEENKUlvE_clEvENKUlvE_clEvEUlhhE_St5arrayIPcLm3EELi4E23TrivialOffsetCalculatorILi2EjESA_ILi1EjENS0_6memory15LoadWithoutCastENSD_16StoreWithoutCastEEEviT_T0_T2_T3_T4_T5_.has_recursion, 0
	.set _ZN2at6native27unrolled_elementwise_kernelIZZZNS0_15gcd_kernel_cudaERNS_18TensorIteratorBaseEENKUlvE_clEvENKUlvE_clEvEUlhhE_St5arrayIPcLm3EELi4E23TrivialOffsetCalculatorILi2EjESA_ILi1EjENS0_6memory15LoadWithoutCastENSD_16StoreWithoutCastEEEviT_T0_T2_T3_T4_T5_.has_indirect_call, 0
	.section	.AMDGPU.csdata,"",@progbits
; Kernel info:
; codeLenInByte = 1476
; TotalNumSgprs: 15
; NumVgprs: 14
; ScratchSize: 0
; MemoryBound: 0
; FloatMode: 240
; IeeeMode: 1
; LDSByteSize: 0 bytes/workgroup (compile time only)
; SGPRBlocks: 0
; VGPRBlocks: 0
; NumSGPRsForWavesPerEU: 15
; NumVGPRsForWavesPerEU: 14
; NamedBarCnt: 0
; Occupancy: 16
; WaveLimiterHint : 0
; COMPUTE_PGM_RSRC2:SCRATCH_EN: 0
; COMPUTE_PGM_RSRC2:USER_SGPR: 2
; COMPUTE_PGM_RSRC2:TRAP_HANDLER: 0
; COMPUTE_PGM_RSRC2:TGID_X_EN: 1
; COMPUTE_PGM_RSRC2:TGID_Y_EN: 0
; COMPUTE_PGM_RSRC2:TGID_Z_EN: 0
; COMPUTE_PGM_RSRC2:TIDIG_COMP_CNT: 0
	.section	.text._ZN2at6native32elementwise_kernel_manual_unrollILi128ELi8EZNS0_22gpu_kernel_impl_nocastIZZZNS0_15gcd_kernel_cudaERNS_18TensorIteratorBaseEENKUlvE_clEvENKUlvE_clEvEUlhhE_EEvS4_RKT_EUlibE_EEviT1_,"axG",@progbits,_ZN2at6native32elementwise_kernel_manual_unrollILi128ELi8EZNS0_22gpu_kernel_impl_nocastIZZZNS0_15gcd_kernel_cudaERNS_18TensorIteratorBaseEENKUlvE_clEvENKUlvE_clEvEUlhhE_EEvS4_RKT_EUlibE_EEviT1_,comdat
	.globl	_ZN2at6native32elementwise_kernel_manual_unrollILi128ELi8EZNS0_22gpu_kernel_impl_nocastIZZZNS0_15gcd_kernel_cudaERNS_18TensorIteratorBaseEENKUlvE_clEvENKUlvE_clEvEUlhhE_EEvS4_RKT_EUlibE_EEviT1_ ; -- Begin function _ZN2at6native32elementwise_kernel_manual_unrollILi128ELi8EZNS0_22gpu_kernel_impl_nocastIZZZNS0_15gcd_kernel_cudaERNS_18TensorIteratorBaseEENKUlvE_clEvENKUlvE_clEvEUlhhE_EEvS4_RKT_EUlibE_EEviT1_
	.p2align	8
	.type	_ZN2at6native32elementwise_kernel_manual_unrollILi128ELi8EZNS0_22gpu_kernel_impl_nocastIZZZNS0_15gcd_kernel_cudaERNS_18TensorIteratorBaseEENKUlvE_clEvENKUlvE_clEvEUlhhE_EEvS4_RKT_EUlibE_EEviT1_,@function
_ZN2at6native32elementwise_kernel_manual_unrollILi128ELi8EZNS0_22gpu_kernel_impl_nocastIZZZNS0_15gcd_kernel_cudaERNS_18TensorIteratorBaseEENKUlvE_clEvENKUlvE_clEvEUlhhE_EEvS4_RKT_EUlibE_EEviT1_: ; @_ZN2at6native32elementwise_kernel_manual_unrollILi128ELi8EZNS0_22gpu_kernel_impl_nocastIZZZNS0_15gcd_kernel_cudaERNS_18TensorIteratorBaseEENKUlvE_clEvENKUlvE_clEvEUlhhE_EEvS4_RKT_EUlibE_EEviT1_
; %bb.0:
	s_clause 0x1
	s_load_b32 s26, s[0:1], 0x8
	s_load_b32 s33, s[0:1], 0x0
	s_bfe_u32 s2, ttmp6, 0x4000c
	s_and_b32 s3, ttmp6, 15
	s_add_co_i32 s2, s2, 1
	s_getreg_b32 s4, hwreg(HW_REG_IB_STS2, 6, 4)
	s_mul_i32 s2, ttmp9, s2
	s_add_nc_u64 s[12:13], s[0:1], 8
	s_add_co_i32 s3, s3, s2
	s_cmp_eq_u32 s4, 0
	s_mov_b32 s21, 0
	s_cselect_b32 s2, ttmp9, s3
	s_wait_xcnt 0x0
	s_mov_b32 s0, exec_lo
	v_lshl_or_b32 v0, s2, 10, v0
	s_delay_alu instid0(VALU_DEP_1) | instskip(SKIP_2) | instid1(SALU_CYCLE_1)
	v_or_b32_e32 v4, 0x380, v0
	s_wait_kmcnt 0x0
	s_add_co_i32 s27, s26, -1
	s_cmp_gt_u32 s27, 1
	s_cselect_b32 s28, -1, 0
	v_cmpx_le_i32_e64 s33, v4
	s_xor_b32 s29, exec_lo, s0
	s_cbranch_execz .LBB5_130
; %bb.1:
	s_clause 0x5
	s_load_b128 s[4:7], s[12:13], 0x4
	s_load_b64 s[16:17], s[12:13], 0x14
	s_load_b128 s[8:11], s[12:13], 0xc4
	s_load_b64 s[18:19], s[12:13], 0xd4
	s_load_b64 s[14:15], s[12:13], 0x198
	s_load_b128 s[0:3], s[12:13], 0x188
	s_cmp_lg_u32 s26, 0
	s_mov_b32 s23, s21
	s_cselect_b32 s34, -1, 0
	s_min_u32 s31, s27, 15
	s_cmp_gt_u32 s26, 1
	s_cselect_b32 s30, -1, 0
	s_wait_kmcnt 0x0
	s_mov_b32 s20, s5
	s_mov_b32 s22, s16
	s_mov_b32 s5, exec_lo
	v_cmpx_gt_i32_e64 s33, v0
	s_cbranch_execnz .LBB5_9
; %bb.2:
	s_or_b32 exec_lo, exec_lo, s5
	s_delay_alu instid0(SALU_CYCLE_1)
	s_mov_b32 s5, exec_lo
	v_cmpx_gt_i32_e64 s33, v0
	s_cbranch_execnz .LBB5_24
.LBB5_3:
	s_or_b32 exec_lo, exec_lo, s5
	s_delay_alu instid0(SALU_CYCLE_1)
	s_mov_b32 s5, exec_lo
	v_cmpx_gt_i32_e64 s33, v0
	s_cbranch_execnz .LBB5_39
.LBB5_4:
	s_or_b32 exec_lo, exec_lo, s5
	s_delay_alu instid0(SALU_CYCLE_1)
	s_mov_b32 s5, exec_lo
	v_cmpx_gt_i32_e64 s33, v0
	s_cbranch_execnz .LBB5_54
.LBB5_5:
	s_or_b32 exec_lo, exec_lo, s5
	s_delay_alu instid0(SALU_CYCLE_1)
	s_mov_b32 s5, exec_lo
	v_cmpx_gt_i32_e64 s33, v0
	s_cbranch_execnz .LBB5_69
.LBB5_6:
	s_or_b32 exec_lo, exec_lo, s5
	s_delay_alu instid0(SALU_CYCLE_1)
	s_mov_b32 s5, exec_lo
	v_cmpx_gt_i32_e64 s33, v0
	s_cbranch_execnz .LBB5_84
.LBB5_7:
	s_or_b32 exec_lo, exec_lo, s5
	s_delay_alu instid0(SALU_CYCLE_1)
	s_mov_b32 s5, exec_lo
	v_cmpx_gt_i32_e64 s33, v0
	s_cbranch_execnz .LBB5_99
.LBB5_8:
	s_or_b32 exec_lo, exec_lo, s5
	s_delay_alu instid0(SALU_CYCLE_1)
	s_mov_b32 s5, exec_lo
	v_cmpx_gt_i32_e64 s33, v0
	s_cbranch_execnz .LBB5_114
	s_branch .LBB5_129
.LBB5_9:
	s_and_not1_b32 vcc_lo, exec_lo, s28
	s_cbranch_vccnz .LBB5_15
; %bb.10:
	s_and_not1_b32 vcc_lo, exec_lo, s34
	s_cbranch_vccnz .LBB5_16
; %bb.11:
	v_dual_mov_b32 v4, 0 :: v_dual_mov_b32 v1, v0
	v_dual_mov_b32 v6, 0 :: v_dual_mov_b32 v5, 0
	s_add_co_i32 s16, s31, 1
	s_mov_b64 s[24:25], 0xffffffffffffffe8
	s_and_b32 s16, s16, 30
	s_add_nc_u64 s[24:25], s[12:13], s[24:25]
.LBB5_12:                               ; =>This Inner Loop Header: Depth=1
	s_clause 0x1
	s_load_b128 s[36:39], s[24:25], 0x1c
	s_load_b64 s[44:45], s[24:25], 0x2c
	s_add_co_i32 s16, s16, -2
	s_delay_alu instid0(SALU_CYCLE_1) | instskip(SKIP_2) | instid1(VALU_DEP_1)
	s_cmp_lg_u32 s16, 0
	s_wait_kmcnt 0x0
	v_mul_hi_u32 v2, s37, v1
	v_add_nc_u32_e32 v2, v1, v2
	s_delay_alu instid0(VALU_DEP_1) | instskip(NEXT) | instid1(VALU_DEP_1)
	v_lshrrev_b32_e32 v2, s38, v2
	v_mul_hi_u32 v3, s44, v2
	v_mul_lo_u32 v7, v2, s36
	s_clause 0x1
	s_load_b128 s[40:43], s[24:25], 0xdc
	s_load_b64 s[36:37], s[24:25], 0xec
	s_wait_xcnt 0x0
	s_add_nc_u64 s[24:25], s[24:25], 24
	s_delay_alu instid0(VALU_DEP_2) | instskip(NEXT) | instid1(VALU_DEP_2)
	v_add_nc_u32_e32 v3, v2, v3
	v_sub_nc_u32_e32 v7, v1, v7
	s_delay_alu instid0(VALU_DEP_2) | instskip(SKIP_1) | instid1(VALU_DEP_2)
	v_lshrrev_b32_e32 v1, s45, v3
	s_wait_kmcnt 0x0
	v_mad_u32 v4, v7, s40, v4
	s_delay_alu instid0(VALU_DEP_2) | instskip(SKIP_2) | instid1(VALU_DEP_3)
	v_mul_lo_u32 v3, v1, s39
	v_mad_u32 v5, v7, s42, v5
	v_mad_u32 v6, v7, s41, v6
	v_sub_nc_u32_e32 v2, v2, v3
	s_delay_alu instid0(VALU_DEP_1) | instskip(NEXT) | instid1(VALU_DEP_4)
	v_mad_u32 v4, v2, s43, v4
	v_mad_u32 v5, v2, s37, v5
	s_delay_alu instid0(VALU_DEP_4)
	v_mad_u32 v6, v2, s36, v6
	s_cbranch_scc1 .LBB5_12
; %bb.13:
	s_bitcmp1_b32 s31, 0
	s_cselect_b32 s16, -1, 0
	s_delay_alu instid0(SALU_CYCLE_1)
	s_and_b32 vcc_lo, exec_lo, s16
	s_cbranch_vccnz .LBB5_17
; %bb.14:
	s_clause 0x1
	s_load_b96 s[36:38], s[24:25], 0x1c
	s_load_b96 s[40:42], s[24:25], 0xdc
	s_wait_kmcnt 0x0
	v_mul_hi_u32 v2, s37, v1
	s_delay_alu instid0(VALU_DEP_1) | instskip(NEXT) | instid1(VALU_DEP_1)
	v_add_nc_u32_e32 v2, v1, v2
	v_lshrrev_b32_e32 v2, s38, v2
	s_delay_alu instid0(VALU_DEP_1) | instskip(NEXT) | instid1(VALU_DEP_1)
	v_mul_lo_u32 v2, v2, s36
	v_sub_nc_u32_e32 v1, v1, v2
	s_delay_alu instid0(VALU_DEP_1)
	v_mad_u32 v4, v1, s40, v4
	v_mad_u32 v6, v1, s41, v6
	v_mad_u32 v5, v1, s42, v5
	s_cbranch_execz .LBB5_18
	s_branch .LBB5_20
.LBB5_15:
                                        ; implicit-def: $vgpr5
                                        ; implicit-def: $vgpr6
                                        ; implicit-def: $vgpr4
	s_branch .LBB5_18
.LBB5_16:
	v_dual_mov_b32 v5, 0 :: v_dual_mov_b32 v6, 0
	v_mov_b32_e32 v4, 0
.LBB5_17:
	s_cbranch_execnz .LBB5_20
.LBB5_18:
	v_mov_b32_e32 v1, 0
	s_and_not1_b32 vcc_lo, exec_lo, s30
	s_delay_alu instid0(VALU_DEP_1) | instskip(NEXT) | instid1(VALU_DEP_1)
	v_mul_u64_e32 v[2:3], s[20:21], v[0:1]
	v_add_nc_u32_e32 v2, v0, v3
	s_delay_alu instid0(VALU_DEP_1) | instskip(NEXT) | instid1(VALU_DEP_1)
	v_lshrrev_b32_e32 v2, s6, v2
	v_mul_lo_u32 v3, v2, s4
	s_delay_alu instid0(VALU_DEP_1) | instskip(NEXT) | instid1(VALU_DEP_1)
	v_sub_nc_u32_e32 v3, v0, v3
	v_mul_lo_u32 v4, v3, s8
	v_mul_lo_u32 v5, v3, s10
	v_mul_lo_u32 v6, v3, s9
	s_cbranch_vccnz .LBB5_20
; %bb.19:
	v_mov_b32_e32 v3, v1
	s_delay_alu instid0(VALU_DEP_1) | instskip(NEXT) | instid1(VALU_DEP_1)
	v_mul_u64_e32 v[8:9], s[22:23], v[2:3]
	v_add_nc_u32_e32 v1, v2, v9
	s_delay_alu instid0(VALU_DEP_1) | instskip(NEXT) | instid1(VALU_DEP_1)
	v_lshrrev_b32_e32 v1, s17, v1
	v_mul_lo_u32 v1, v1, s7
	s_delay_alu instid0(VALU_DEP_1) | instskip(NEXT) | instid1(VALU_DEP_1)
	v_sub_nc_u32_e32 v1, v2, v1
	v_mad_u32 v4, v1, s11, v4
	v_mad_u32 v6, v1, s18, v6
	;; [unrolled: 1-line block ×3, first 2 shown]
.LBB5_20:
	global_load_u8 v2, v6, s[2:3]
	global_load_u8 v1, v5, s[14:15]
	s_mov_b32 s24, 0
	s_mov_b32 s16, exec_lo
	s_wait_loadcnt 0x1
	s_wait_xcnt 0x0
	v_cmpx_ne_u16_e32 0, v2
	s_cbranch_execz .LBB5_23
.LBB5_21:                               ; =>This Inner Loop Header: Depth=1
	s_wait_loadcnt 0x0
	v_cvt_f32_ubyte0_e32 v6, v1
	v_mov_b32_e32 v3, v2
	s_delay_alu instid0(VALU_DEP_1) | instskip(NEXT) | instid1(VALU_DEP_1)
	v_cvt_f32_ubyte0_e32 v2, v3
	v_rcp_iflag_f32_e32 v5, v2
	v_nop
	s_delay_alu instid0(TRANS32_DEP_1) | instskip(NEXT) | instid1(VALU_DEP_1)
	v_mul_f32_e32 v5, v6, v5
	v_trunc_f32_e32 v5, v5
	s_delay_alu instid0(VALU_DEP_1) | instskip(SKIP_1) | instid1(VALU_DEP_2)
	v_fma_f32 v6, -v5, v2, v6
	v_cvt_u32_f32_e32 v5, v5
	v_cmp_ge_f32_e64 vcc_lo, |v6|, v2
	s_delay_alu instid0(VALU_DEP_1) | instskip(NEXT) | instid1(VALU_DEP_1)
	v_add_co_ci_u32_e64 v2, null, 0, v5, vcc_lo
	v_mul_lo_u32 v2, v2, v3
	s_delay_alu instid0(VALU_DEP_1) | instskip(NEXT) | instid1(VALU_DEP_1)
	v_sub_nc_u32_e32 v1, v1, v2
	v_and_b32_e32 v2, 0xff, v1
	v_mov_b32_e32 v1, v3
	s_delay_alu instid0(VALU_DEP_2) | instskip(SKIP_1) | instid1(SALU_CYCLE_1)
	v_cmp_eq_u16_e32 vcc_lo, 0, v2
	s_or_b32 s24, vcc_lo, s24
	s_and_not1_b32 exec_lo, exec_lo, s24
	s_cbranch_execnz .LBB5_21
; %bb.22:
	s_or_b32 exec_lo, exec_lo, s24
	v_mov_b32_e32 v1, v3
.LBB5_23:
	s_or_b32 exec_lo, exec_lo, s16
	v_add_nc_u32_e32 v0, 0x80, v0
	s_wait_loadcnt 0x0
	global_store_b8 v4, v1, s[0:1]
	s_wait_xcnt 0x0
	s_or_b32 exec_lo, exec_lo, s5
	s_delay_alu instid0(SALU_CYCLE_1)
	s_mov_b32 s5, exec_lo
	v_cmpx_gt_i32_e64 s33, v0
	s_cbranch_execz .LBB5_3
.LBB5_24:
	s_and_not1_b32 vcc_lo, exec_lo, s28
	s_cbranch_vccnz .LBB5_30
; %bb.25:
	s_and_not1_b32 vcc_lo, exec_lo, s34
	s_cbranch_vccnz .LBB5_31
; %bb.26:
	v_dual_mov_b32 v4, 0 :: v_dual_mov_b32 v1, v0
	v_dual_mov_b32 v6, 0 :: v_dual_mov_b32 v5, 0
	s_add_co_i32 s16, s31, 1
	s_mov_b64 s[24:25], 0xffffffffffffffe8
	s_and_b32 s16, s16, 30
	s_add_nc_u64 s[24:25], s[12:13], s[24:25]
.LBB5_27:                               ; =>This Inner Loop Header: Depth=1
	s_clause 0x1
	s_load_b128 s[36:39], s[24:25], 0x1c
	s_load_b64 s[44:45], s[24:25], 0x2c
	s_add_co_i32 s16, s16, -2
	s_delay_alu instid0(SALU_CYCLE_1) | instskip(SKIP_2) | instid1(VALU_DEP_1)
	s_cmp_eq_u32 s16, 0
	s_wait_kmcnt 0x0
	v_mul_hi_u32 v2, s37, v1
	v_add_nc_u32_e32 v2, v1, v2
	s_delay_alu instid0(VALU_DEP_1) | instskip(NEXT) | instid1(VALU_DEP_1)
	v_lshrrev_b32_e32 v2, s38, v2
	v_mul_hi_u32 v3, s44, v2
	v_mul_lo_u32 v7, v2, s36
	s_clause 0x1
	s_load_b128 s[40:43], s[24:25], 0xdc
	s_load_b64 s[36:37], s[24:25], 0xec
	s_wait_xcnt 0x0
	s_add_nc_u64 s[24:25], s[24:25], 24
	s_delay_alu instid0(VALU_DEP_2) | instskip(NEXT) | instid1(VALU_DEP_2)
	v_add_nc_u32_e32 v3, v2, v3
	v_sub_nc_u32_e32 v7, v1, v7
	s_delay_alu instid0(VALU_DEP_2) | instskip(SKIP_1) | instid1(VALU_DEP_2)
	v_lshrrev_b32_e32 v1, s45, v3
	s_wait_kmcnt 0x0
	v_mad_u32 v4, v7, s40, v4
	s_delay_alu instid0(VALU_DEP_2) | instskip(SKIP_2) | instid1(VALU_DEP_3)
	v_mul_lo_u32 v3, v1, s39
	v_mad_u32 v5, v7, s42, v5
	v_mad_u32 v6, v7, s41, v6
	v_sub_nc_u32_e32 v2, v2, v3
	s_delay_alu instid0(VALU_DEP_1) | instskip(NEXT) | instid1(VALU_DEP_4)
	v_mad_u32 v4, v2, s43, v4
	v_mad_u32 v5, v2, s37, v5
	s_delay_alu instid0(VALU_DEP_4)
	v_mad_u32 v6, v2, s36, v6
	s_cbranch_scc0 .LBB5_27
; %bb.28:
	s_bitcmp1_b32 s31, 0
	s_cselect_b32 s16, -1, 0
	s_delay_alu instid0(SALU_CYCLE_1)
	s_and_b32 vcc_lo, exec_lo, s16
	s_cbranch_vccnz .LBB5_32
; %bb.29:
	s_clause 0x1
	s_load_b96 s[36:38], s[24:25], 0x1c
	s_load_b96 s[40:42], s[24:25], 0xdc
	s_wait_kmcnt 0x0
	v_mul_hi_u32 v2, s37, v1
	s_delay_alu instid0(VALU_DEP_1) | instskip(NEXT) | instid1(VALU_DEP_1)
	v_add_nc_u32_e32 v2, v1, v2
	v_lshrrev_b32_e32 v2, s38, v2
	s_delay_alu instid0(VALU_DEP_1) | instskip(NEXT) | instid1(VALU_DEP_1)
	v_mul_lo_u32 v2, v2, s36
	v_sub_nc_u32_e32 v1, v1, v2
	s_delay_alu instid0(VALU_DEP_1)
	v_mad_u32 v4, v1, s40, v4
	v_mad_u32 v6, v1, s41, v6
	;; [unrolled: 1-line block ×3, first 2 shown]
	s_branch .LBB5_32
.LBB5_30:
                                        ; implicit-def: $vgpr5
                                        ; implicit-def: $vgpr6
                                        ; implicit-def: $vgpr4
	s_branch .LBB5_33
.LBB5_31:
	v_dual_mov_b32 v5, 0 :: v_dual_mov_b32 v6, 0
	v_mov_b32_e32 v4, 0
.LBB5_32:
	s_cbranch_execnz .LBB5_35
.LBB5_33:
	v_mov_b32_e32 v1, 0
	s_and_not1_b32 vcc_lo, exec_lo, s30
	s_delay_alu instid0(VALU_DEP_1) | instskip(NEXT) | instid1(VALU_DEP_1)
	v_mul_u64_e32 v[2:3], s[20:21], v[0:1]
	v_add_nc_u32_e32 v2, v0, v3
	s_delay_alu instid0(VALU_DEP_1) | instskip(NEXT) | instid1(VALU_DEP_1)
	v_lshrrev_b32_e32 v2, s6, v2
	v_mul_lo_u32 v3, v2, s4
	s_delay_alu instid0(VALU_DEP_1) | instskip(NEXT) | instid1(VALU_DEP_1)
	v_sub_nc_u32_e32 v3, v0, v3
	v_mul_lo_u32 v4, v3, s8
	v_mul_lo_u32 v5, v3, s10
	;; [unrolled: 1-line block ×3, first 2 shown]
	s_cbranch_vccnz .LBB5_35
; %bb.34:
	v_mov_b32_e32 v3, v1
	s_delay_alu instid0(VALU_DEP_1) | instskip(NEXT) | instid1(VALU_DEP_1)
	v_mul_u64_e32 v[8:9], s[22:23], v[2:3]
	v_add_nc_u32_e32 v1, v2, v9
	s_delay_alu instid0(VALU_DEP_1) | instskip(NEXT) | instid1(VALU_DEP_1)
	v_lshrrev_b32_e32 v1, s17, v1
	v_mul_lo_u32 v1, v1, s7
	s_delay_alu instid0(VALU_DEP_1) | instskip(NEXT) | instid1(VALU_DEP_1)
	v_sub_nc_u32_e32 v1, v2, v1
	v_mad_u32 v4, v1, s11, v4
	v_mad_u32 v6, v1, s18, v6
	;; [unrolled: 1-line block ×3, first 2 shown]
.LBB5_35:
	global_load_u8 v2, v6, s[2:3]
	global_load_u8 v1, v5, s[14:15]
	s_mov_b32 s24, 0
	s_mov_b32 s16, exec_lo
	s_wait_loadcnt 0x1
	s_wait_xcnt 0x0
	v_cmpx_ne_u16_e32 0, v2
	s_cbranch_execz .LBB5_38
.LBB5_36:                               ; =>This Inner Loop Header: Depth=1
	s_wait_loadcnt 0x0
	v_cvt_f32_ubyte0_e32 v6, v1
	v_mov_b32_e32 v3, v2
	s_delay_alu instid0(VALU_DEP_1) | instskip(NEXT) | instid1(VALU_DEP_1)
	v_cvt_f32_ubyte0_e32 v2, v3
	v_rcp_iflag_f32_e32 v5, v2
	v_nop
	s_delay_alu instid0(TRANS32_DEP_1) | instskip(NEXT) | instid1(VALU_DEP_1)
	v_mul_f32_e32 v5, v6, v5
	v_trunc_f32_e32 v5, v5
	s_delay_alu instid0(VALU_DEP_1) | instskip(SKIP_1) | instid1(VALU_DEP_2)
	v_fma_f32 v6, -v5, v2, v6
	v_cvt_u32_f32_e32 v5, v5
	v_cmp_ge_f32_e64 vcc_lo, |v6|, v2
	s_delay_alu instid0(VALU_DEP_1) | instskip(NEXT) | instid1(VALU_DEP_1)
	v_add_co_ci_u32_e64 v2, null, 0, v5, vcc_lo
	v_mul_lo_u32 v2, v2, v3
	s_delay_alu instid0(VALU_DEP_1) | instskip(NEXT) | instid1(VALU_DEP_1)
	v_sub_nc_u32_e32 v1, v1, v2
	v_and_b32_e32 v2, 0xff, v1
	v_mov_b32_e32 v1, v3
	s_delay_alu instid0(VALU_DEP_2) | instskip(SKIP_1) | instid1(SALU_CYCLE_1)
	v_cmp_eq_u16_e32 vcc_lo, 0, v2
	s_or_b32 s24, vcc_lo, s24
	s_and_not1_b32 exec_lo, exec_lo, s24
	s_cbranch_execnz .LBB5_36
; %bb.37:
	s_or_b32 exec_lo, exec_lo, s24
	v_mov_b32_e32 v1, v3
.LBB5_38:
	s_or_b32 exec_lo, exec_lo, s16
	v_add_nc_u32_e32 v0, 0x80, v0
	s_wait_loadcnt 0x0
	global_store_b8 v4, v1, s[0:1]
	s_wait_xcnt 0x0
	s_or_b32 exec_lo, exec_lo, s5
	s_delay_alu instid0(SALU_CYCLE_1)
	s_mov_b32 s5, exec_lo
	v_cmpx_gt_i32_e64 s33, v0
	s_cbranch_execz .LBB5_4
.LBB5_39:
	s_and_not1_b32 vcc_lo, exec_lo, s28
	s_cbranch_vccnz .LBB5_45
; %bb.40:
	s_and_not1_b32 vcc_lo, exec_lo, s34
	s_cbranch_vccnz .LBB5_46
; %bb.41:
	v_dual_mov_b32 v4, 0 :: v_dual_mov_b32 v1, v0
	v_dual_mov_b32 v6, 0 :: v_dual_mov_b32 v5, 0
	s_add_co_i32 s16, s31, 1
	s_mov_b64 s[24:25], 0xffffffffffffffe8
	s_and_b32 s16, s16, 30
	s_add_nc_u64 s[24:25], s[12:13], s[24:25]
.LBB5_42:                               ; =>This Inner Loop Header: Depth=1
	s_clause 0x1
	s_load_b128 s[36:39], s[24:25], 0x1c
	s_load_b64 s[44:45], s[24:25], 0x2c
	s_add_co_i32 s16, s16, -2
	s_delay_alu instid0(SALU_CYCLE_1) | instskip(SKIP_2) | instid1(VALU_DEP_1)
	s_cmp_eq_u32 s16, 0
	s_wait_kmcnt 0x0
	v_mul_hi_u32 v2, s37, v1
	v_add_nc_u32_e32 v2, v1, v2
	s_delay_alu instid0(VALU_DEP_1) | instskip(NEXT) | instid1(VALU_DEP_1)
	v_lshrrev_b32_e32 v2, s38, v2
	v_mul_hi_u32 v3, s44, v2
	v_mul_lo_u32 v7, v2, s36
	s_clause 0x1
	s_load_b128 s[40:43], s[24:25], 0xdc
	s_load_b64 s[36:37], s[24:25], 0xec
	s_wait_xcnt 0x0
	s_add_nc_u64 s[24:25], s[24:25], 24
	s_delay_alu instid0(VALU_DEP_2) | instskip(NEXT) | instid1(VALU_DEP_2)
	v_add_nc_u32_e32 v3, v2, v3
	v_sub_nc_u32_e32 v7, v1, v7
	s_delay_alu instid0(VALU_DEP_2) | instskip(SKIP_1) | instid1(VALU_DEP_2)
	v_lshrrev_b32_e32 v1, s45, v3
	s_wait_kmcnt 0x0
	v_mad_u32 v4, v7, s40, v4
	s_delay_alu instid0(VALU_DEP_2) | instskip(SKIP_2) | instid1(VALU_DEP_3)
	v_mul_lo_u32 v3, v1, s39
	v_mad_u32 v5, v7, s42, v5
	v_mad_u32 v6, v7, s41, v6
	v_sub_nc_u32_e32 v2, v2, v3
	s_delay_alu instid0(VALU_DEP_1) | instskip(NEXT) | instid1(VALU_DEP_4)
	v_mad_u32 v4, v2, s43, v4
	v_mad_u32 v5, v2, s37, v5
	s_delay_alu instid0(VALU_DEP_4)
	v_mad_u32 v6, v2, s36, v6
	s_cbranch_scc0 .LBB5_42
; %bb.43:
	s_bitcmp1_b32 s31, 0
	s_cselect_b32 s16, -1, 0
	s_delay_alu instid0(SALU_CYCLE_1)
	s_and_b32 vcc_lo, exec_lo, s16
	s_cbranch_vccnz .LBB5_47
; %bb.44:
	s_clause 0x1
	s_load_b96 s[36:38], s[24:25], 0x1c
	s_load_b96 s[40:42], s[24:25], 0xdc
	s_wait_kmcnt 0x0
	v_mul_hi_u32 v2, s37, v1
	s_delay_alu instid0(VALU_DEP_1) | instskip(NEXT) | instid1(VALU_DEP_1)
	v_add_nc_u32_e32 v2, v1, v2
	v_lshrrev_b32_e32 v2, s38, v2
	s_delay_alu instid0(VALU_DEP_1) | instskip(NEXT) | instid1(VALU_DEP_1)
	v_mul_lo_u32 v2, v2, s36
	v_sub_nc_u32_e32 v1, v1, v2
	s_delay_alu instid0(VALU_DEP_1)
	v_mad_u32 v4, v1, s40, v4
	v_mad_u32 v6, v1, s41, v6
	;; [unrolled: 1-line block ×3, first 2 shown]
	s_branch .LBB5_47
.LBB5_45:
                                        ; implicit-def: $vgpr5
                                        ; implicit-def: $vgpr6
                                        ; implicit-def: $vgpr4
	s_branch .LBB5_48
.LBB5_46:
	v_dual_mov_b32 v5, 0 :: v_dual_mov_b32 v6, 0
	v_mov_b32_e32 v4, 0
.LBB5_47:
	s_cbranch_execnz .LBB5_50
.LBB5_48:
	v_mov_b32_e32 v1, 0
	s_and_not1_b32 vcc_lo, exec_lo, s30
	s_delay_alu instid0(VALU_DEP_1) | instskip(NEXT) | instid1(VALU_DEP_1)
	v_mul_u64_e32 v[2:3], s[20:21], v[0:1]
	v_add_nc_u32_e32 v2, v0, v3
	s_delay_alu instid0(VALU_DEP_1) | instskip(NEXT) | instid1(VALU_DEP_1)
	v_lshrrev_b32_e32 v2, s6, v2
	v_mul_lo_u32 v3, v2, s4
	s_delay_alu instid0(VALU_DEP_1) | instskip(NEXT) | instid1(VALU_DEP_1)
	v_sub_nc_u32_e32 v3, v0, v3
	v_mul_lo_u32 v4, v3, s8
	v_mul_lo_u32 v5, v3, s10
	;; [unrolled: 1-line block ×3, first 2 shown]
	s_cbranch_vccnz .LBB5_50
; %bb.49:
	v_mov_b32_e32 v3, v1
	s_delay_alu instid0(VALU_DEP_1) | instskip(NEXT) | instid1(VALU_DEP_1)
	v_mul_u64_e32 v[8:9], s[22:23], v[2:3]
	v_add_nc_u32_e32 v1, v2, v9
	s_delay_alu instid0(VALU_DEP_1) | instskip(NEXT) | instid1(VALU_DEP_1)
	v_lshrrev_b32_e32 v1, s17, v1
	v_mul_lo_u32 v1, v1, s7
	s_delay_alu instid0(VALU_DEP_1) | instskip(NEXT) | instid1(VALU_DEP_1)
	v_sub_nc_u32_e32 v1, v2, v1
	v_mad_u32 v4, v1, s11, v4
	v_mad_u32 v6, v1, s18, v6
	;; [unrolled: 1-line block ×3, first 2 shown]
.LBB5_50:
	global_load_u8 v2, v6, s[2:3]
	global_load_u8 v1, v5, s[14:15]
	s_mov_b32 s24, 0
	s_mov_b32 s16, exec_lo
	s_wait_loadcnt 0x1
	s_wait_xcnt 0x0
	v_cmpx_ne_u16_e32 0, v2
	s_cbranch_execz .LBB5_53
.LBB5_51:                               ; =>This Inner Loop Header: Depth=1
	s_wait_loadcnt 0x0
	v_cvt_f32_ubyte0_e32 v6, v1
	v_mov_b32_e32 v3, v2
	s_delay_alu instid0(VALU_DEP_1) | instskip(NEXT) | instid1(VALU_DEP_1)
	v_cvt_f32_ubyte0_e32 v2, v3
	v_rcp_iflag_f32_e32 v5, v2
	v_nop
	s_delay_alu instid0(TRANS32_DEP_1) | instskip(NEXT) | instid1(VALU_DEP_1)
	v_mul_f32_e32 v5, v6, v5
	v_trunc_f32_e32 v5, v5
	s_delay_alu instid0(VALU_DEP_1) | instskip(SKIP_1) | instid1(VALU_DEP_2)
	v_fma_f32 v6, -v5, v2, v6
	v_cvt_u32_f32_e32 v5, v5
	v_cmp_ge_f32_e64 vcc_lo, |v6|, v2
	s_delay_alu instid0(VALU_DEP_1) | instskip(NEXT) | instid1(VALU_DEP_1)
	v_add_co_ci_u32_e64 v2, null, 0, v5, vcc_lo
	v_mul_lo_u32 v2, v2, v3
	s_delay_alu instid0(VALU_DEP_1) | instskip(NEXT) | instid1(VALU_DEP_1)
	v_sub_nc_u32_e32 v1, v1, v2
	v_and_b32_e32 v2, 0xff, v1
	v_mov_b32_e32 v1, v3
	s_delay_alu instid0(VALU_DEP_2) | instskip(SKIP_1) | instid1(SALU_CYCLE_1)
	v_cmp_eq_u16_e32 vcc_lo, 0, v2
	s_or_b32 s24, vcc_lo, s24
	s_and_not1_b32 exec_lo, exec_lo, s24
	s_cbranch_execnz .LBB5_51
; %bb.52:
	s_or_b32 exec_lo, exec_lo, s24
	v_mov_b32_e32 v1, v3
.LBB5_53:
	s_or_b32 exec_lo, exec_lo, s16
	v_add_nc_u32_e32 v0, 0x80, v0
	s_wait_loadcnt 0x0
	global_store_b8 v4, v1, s[0:1]
	s_wait_xcnt 0x0
	s_or_b32 exec_lo, exec_lo, s5
	s_delay_alu instid0(SALU_CYCLE_1)
	s_mov_b32 s5, exec_lo
	v_cmpx_gt_i32_e64 s33, v0
	s_cbranch_execz .LBB5_5
.LBB5_54:
	s_and_not1_b32 vcc_lo, exec_lo, s28
	s_cbranch_vccnz .LBB5_60
; %bb.55:
	s_and_not1_b32 vcc_lo, exec_lo, s34
	s_cbranch_vccnz .LBB5_61
; %bb.56:
	v_dual_mov_b32 v4, 0 :: v_dual_mov_b32 v1, v0
	v_dual_mov_b32 v6, 0 :: v_dual_mov_b32 v5, 0
	s_add_co_i32 s16, s31, 1
	s_mov_b64 s[24:25], 0xffffffffffffffe8
	s_and_b32 s16, s16, 30
	s_add_nc_u64 s[24:25], s[12:13], s[24:25]
.LBB5_57:                               ; =>This Inner Loop Header: Depth=1
	s_clause 0x1
	s_load_b128 s[36:39], s[24:25], 0x1c
	s_load_b64 s[44:45], s[24:25], 0x2c
	s_add_co_i32 s16, s16, -2
	s_delay_alu instid0(SALU_CYCLE_1) | instskip(SKIP_2) | instid1(VALU_DEP_1)
	s_cmp_eq_u32 s16, 0
	s_wait_kmcnt 0x0
	v_mul_hi_u32 v2, s37, v1
	v_add_nc_u32_e32 v2, v1, v2
	s_delay_alu instid0(VALU_DEP_1) | instskip(NEXT) | instid1(VALU_DEP_1)
	v_lshrrev_b32_e32 v2, s38, v2
	v_mul_hi_u32 v3, s44, v2
	v_mul_lo_u32 v7, v2, s36
	s_clause 0x1
	s_load_b128 s[40:43], s[24:25], 0xdc
	s_load_b64 s[36:37], s[24:25], 0xec
	s_wait_xcnt 0x0
	s_add_nc_u64 s[24:25], s[24:25], 24
	s_delay_alu instid0(VALU_DEP_2) | instskip(NEXT) | instid1(VALU_DEP_2)
	v_add_nc_u32_e32 v3, v2, v3
	v_sub_nc_u32_e32 v7, v1, v7
	s_delay_alu instid0(VALU_DEP_2) | instskip(SKIP_1) | instid1(VALU_DEP_2)
	v_lshrrev_b32_e32 v1, s45, v3
	s_wait_kmcnt 0x0
	v_mad_u32 v4, v7, s40, v4
	s_delay_alu instid0(VALU_DEP_2) | instskip(SKIP_2) | instid1(VALU_DEP_3)
	v_mul_lo_u32 v3, v1, s39
	v_mad_u32 v5, v7, s42, v5
	v_mad_u32 v6, v7, s41, v6
	v_sub_nc_u32_e32 v2, v2, v3
	s_delay_alu instid0(VALU_DEP_1) | instskip(NEXT) | instid1(VALU_DEP_4)
	v_mad_u32 v4, v2, s43, v4
	v_mad_u32 v5, v2, s37, v5
	s_delay_alu instid0(VALU_DEP_4)
	v_mad_u32 v6, v2, s36, v6
	s_cbranch_scc0 .LBB5_57
; %bb.58:
	s_bitcmp1_b32 s31, 0
	s_cselect_b32 s16, -1, 0
	s_delay_alu instid0(SALU_CYCLE_1)
	s_and_b32 vcc_lo, exec_lo, s16
	s_cbranch_vccnz .LBB5_62
; %bb.59:
	s_clause 0x1
	s_load_b96 s[36:38], s[24:25], 0x1c
	s_load_b96 s[40:42], s[24:25], 0xdc
	s_wait_kmcnt 0x0
	v_mul_hi_u32 v2, s37, v1
	s_delay_alu instid0(VALU_DEP_1) | instskip(NEXT) | instid1(VALU_DEP_1)
	v_add_nc_u32_e32 v2, v1, v2
	v_lshrrev_b32_e32 v2, s38, v2
	s_delay_alu instid0(VALU_DEP_1) | instskip(NEXT) | instid1(VALU_DEP_1)
	v_mul_lo_u32 v2, v2, s36
	v_sub_nc_u32_e32 v1, v1, v2
	s_delay_alu instid0(VALU_DEP_1)
	v_mad_u32 v4, v1, s40, v4
	v_mad_u32 v6, v1, s41, v6
	;; [unrolled: 1-line block ×3, first 2 shown]
	s_branch .LBB5_62
.LBB5_60:
                                        ; implicit-def: $vgpr5
                                        ; implicit-def: $vgpr6
                                        ; implicit-def: $vgpr4
	s_branch .LBB5_63
.LBB5_61:
	v_dual_mov_b32 v5, 0 :: v_dual_mov_b32 v6, 0
	v_mov_b32_e32 v4, 0
.LBB5_62:
	s_cbranch_execnz .LBB5_65
.LBB5_63:
	v_mov_b32_e32 v1, 0
	s_and_not1_b32 vcc_lo, exec_lo, s30
	s_delay_alu instid0(VALU_DEP_1) | instskip(NEXT) | instid1(VALU_DEP_1)
	v_mul_u64_e32 v[2:3], s[20:21], v[0:1]
	v_add_nc_u32_e32 v2, v0, v3
	s_delay_alu instid0(VALU_DEP_1) | instskip(NEXT) | instid1(VALU_DEP_1)
	v_lshrrev_b32_e32 v2, s6, v2
	v_mul_lo_u32 v3, v2, s4
	s_delay_alu instid0(VALU_DEP_1) | instskip(NEXT) | instid1(VALU_DEP_1)
	v_sub_nc_u32_e32 v3, v0, v3
	v_mul_lo_u32 v4, v3, s8
	v_mul_lo_u32 v5, v3, s10
	;; [unrolled: 1-line block ×3, first 2 shown]
	s_cbranch_vccnz .LBB5_65
; %bb.64:
	v_mov_b32_e32 v3, v1
	s_delay_alu instid0(VALU_DEP_1) | instskip(NEXT) | instid1(VALU_DEP_1)
	v_mul_u64_e32 v[8:9], s[22:23], v[2:3]
	v_add_nc_u32_e32 v1, v2, v9
	s_delay_alu instid0(VALU_DEP_1) | instskip(NEXT) | instid1(VALU_DEP_1)
	v_lshrrev_b32_e32 v1, s17, v1
	v_mul_lo_u32 v1, v1, s7
	s_delay_alu instid0(VALU_DEP_1) | instskip(NEXT) | instid1(VALU_DEP_1)
	v_sub_nc_u32_e32 v1, v2, v1
	v_mad_u32 v4, v1, s11, v4
	v_mad_u32 v6, v1, s18, v6
	;; [unrolled: 1-line block ×3, first 2 shown]
.LBB5_65:
	global_load_u8 v2, v6, s[2:3]
	global_load_u8 v1, v5, s[14:15]
	s_mov_b32 s24, 0
	s_mov_b32 s16, exec_lo
	s_wait_loadcnt 0x1
	s_wait_xcnt 0x0
	v_cmpx_ne_u16_e32 0, v2
	s_cbranch_execz .LBB5_68
.LBB5_66:                               ; =>This Inner Loop Header: Depth=1
	s_wait_loadcnt 0x0
	v_cvt_f32_ubyte0_e32 v6, v1
	v_mov_b32_e32 v3, v2
	s_delay_alu instid0(VALU_DEP_1) | instskip(NEXT) | instid1(VALU_DEP_1)
	v_cvt_f32_ubyte0_e32 v2, v3
	v_rcp_iflag_f32_e32 v5, v2
	v_nop
	s_delay_alu instid0(TRANS32_DEP_1) | instskip(NEXT) | instid1(VALU_DEP_1)
	v_mul_f32_e32 v5, v6, v5
	v_trunc_f32_e32 v5, v5
	s_delay_alu instid0(VALU_DEP_1) | instskip(SKIP_1) | instid1(VALU_DEP_2)
	v_fma_f32 v6, -v5, v2, v6
	v_cvt_u32_f32_e32 v5, v5
	v_cmp_ge_f32_e64 vcc_lo, |v6|, v2
	s_delay_alu instid0(VALU_DEP_1) | instskip(NEXT) | instid1(VALU_DEP_1)
	v_add_co_ci_u32_e64 v2, null, 0, v5, vcc_lo
	v_mul_lo_u32 v2, v2, v3
	s_delay_alu instid0(VALU_DEP_1) | instskip(NEXT) | instid1(VALU_DEP_1)
	v_sub_nc_u32_e32 v1, v1, v2
	v_and_b32_e32 v2, 0xff, v1
	v_mov_b32_e32 v1, v3
	s_delay_alu instid0(VALU_DEP_2) | instskip(SKIP_1) | instid1(SALU_CYCLE_1)
	v_cmp_eq_u16_e32 vcc_lo, 0, v2
	s_or_b32 s24, vcc_lo, s24
	s_and_not1_b32 exec_lo, exec_lo, s24
	s_cbranch_execnz .LBB5_66
; %bb.67:
	s_or_b32 exec_lo, exec_lo, s24
	v_mov_b32_e32 v1, v3
.LBB5_68:
	s_or_b32 exec_lo, exec_lo, s16
	v_add_nc_u32_e32 v0, 0x80, v0
	s_wait_loadcnt 0x0
	global_store_b8 v4, v1, s[0:1]
	s_wait_xcnt 0x0
	s_or_b32 exec_lo, exec_lo, s5
	s_delay_alu instid0(SALU_CYCLE_1)
	s_mov_b32 s5, exec_lo
	v_cmpx_gt_i32_e64 s33, v0
	s_cbranch_execz .LBB5_6
.LBB5_69:
	s_and_not1_b32 vcc_lo, exec_lo, s28
	s_cbranch_vccnz .LBB5_75
; %bb.70:
	s_and_not1_b32 vcc_lo, exec_lo, s34
	s_cbranch_vccnz .LBB5_76
; %bb.71:
	v_dual_mov_b32 v4, 0 :: v_dual_mov_b32 v1, v0
	v_dual_mov_b32 v6, 0 :: v_dual_mov_b32 v5, 0
	s_add_co_i32 s16, s31, 1
	s_mov_b64 s[24:25], 0xffffffffffffffe8
	s_and_b32 s16, s16, 30
	s_add_nc_u64 s[24:25], s[12:13], s[24:25]
.LBB5_72:                               ; =>This Inner Loop Header: Depth=1
	s_clause 0x1
	s_load_b128 s[36:39], s[24:25], 0x1c
	s_load_b64 s[44:45], s[24:25], 0x2c
	s_add_co_i32 s16, s16, -2
	s_delay_alu instid0(SALU_CYCLE_1) | instskip(SKIP_2) | instid1(VALU_DEP_1)
	s_cmp_eq_u32 s16, 0
	s_wait_kmcnt 0x0
	v_mul_hi_u32 v2, s37, v1
	v_add_nc_u32_e32 v2, v1, v2
	s_delay_alu instid0(VALU_DEP_1) | instskip(NEXT) | instid1(VALU_DEP_1)
	v_lshrrev_b32_e32 v2, s38, v2
	v_mul_hi_u32 v3, s44, v2
	v_mul_lo_u32 v7, v2, s36
	s_clause 0x1
	s_load_b128 s[40:43], s[24:25], 0xdc
	s_load_b64 s[36:37], s[24:25], 0xec
	s_wait_xcnt 0x0
	s_add_nc_u64 s[24:25], s[24:25], 24
	s_delay_alu instid0(VALU_DEP_2) | instskip(NEXT) | instid1(VALU_DEP_2)
	v_add_nc_u32_e32 v3, v2, v3
	v_sub_nc_u32_e32 v7, v1, v7
	s_delay_alu instid0(VALU_DEP_2) | instskip(SKIP_1) | instid1(VALU_DEP_2)
	v_lshrrev_b32_e32 v1, s45, v3
	s_wait_kmcnt 0x0
	v_mad_u32 v4, v7, s40, v4
	s_delay_alu instid0(VALU_DEP_2) | instskip(SKIP_2) | instid1(VALU_DEP_3)
	v_mul_lo_u32 v3, v1, s39
	v_mad_u32 v5, v7, s42, v5
	v_mad_u32 v6, v7, s41, v6
	v_sub_nc_u32_e32 v2, v2, v3
	s_delay_alu instid0(VALU_DEP_1) | instskip(NEXT) | instid1(VALU_DEP_4)
	v_mad_u32 v4, v2, s43, v4
	v_mad_u32 v5, v2, s37, v5
	s_delay_alu instid0(VALU_DEP_4)
	v_mad_u32 v6, v2, s36, v6
	s_cbranch_scc0 .LBB5_72
; %bb.73:
	s_bitcmp1_b32 s31, 0
	s_cselect_b32 s16, -1, 0
	s_delay_alu instid0(SALU_CYCLE_1)
	s_and_b32 vcc_lo, exec_lo, s16
	s_cbranch_vccnz .LBB5_77
; %bb.74:
	s_clause 0x1
	s_load_b96 s[36:38], s[24:25], 0x1c
	s_load_b96 s[40:42], s[24:25], 0xdc
	s_wait_kmcnt 0x0
	v_mul_hi_u32 v2, s37, v1
	s_delay_alu instid0(VALU_DEP_1) | instskip(NEXT) | instid1(VALU_DEP_1)
	v_add_nc_u32_e32 v2, v1, v2
	v_lshrrev_b32_e32 v2, s38, v2
	s_delay_alu instid0(VALU_DEP_1) | instskip(NEXT) | instid1(VALU_DEP_1)
	v_mul_lo_u32 v2, v2, s36
	v_sub_nc_u32_e32 v1, v1, v2
	s_delay_alu instid0(VALU_DEP_1)
	v_mad_u32 v4, v1, s40, v4
	v_mad_u32 v6, v1, s41, v6
	;; [unrolled: 1-line block ×3, first 2 shown]
	s_branch .LBB5_77
.LBB5_75:
                                        ; implicit-def: $vgpr5
                                        ; implicit-def: $vgpr6
                                        ; implicit-def: $vgpr4
	s_branch .LBB5_78
.LBB5_76:
	v_dual_mov_b32 v5, 0 :: v_dual_mov_b32 v6, 0
	v_mov_b32_e32 v4, 0
.LBB5_77:
	s_cbranch_execnz .LBB5_80
.LBB5_78:
	v_mov_b32_e32 v1, 0
	s_and_not1_b32 vcc_lo, exec_lo, s30
	s_delay_alu instid0(VALU_DEP_1) | instskip(NEXT) | instid1(VALU_DEP_1)
	v_mul_u64_e32 v[2:3], s[20:21], v[0:1]
	v_add_nc_u32_e32 v2, v0, v3
	s_delay_alu instid0(VALU_DEP_1) | instskip(NEXT) | instid1(VALU_DEP_1)
	v_lshrrev_b32_e32 v2, s6, v2
	v_mul_lo_u32 v3, v2, s4
	s_delay_alu instid0(VALU_DEP_1) | instskip(NEXT) | instid1(VALU_DEP_1)
	v_sub_nc_u32_e32 v3, v0, v3
	v_mul_lo_u32 v4, v3, s8
	v_mul_lo_u32 v5, v3, s10
	;; [unrolled: 1-line block ×3, first 2 shown]
	s_cbranch_vccnz .LBB5_80
; %bb.79:
	v_mov_b32_e32 v3, v1
	s_delay_alu instid0(VALU_DEP_1) | instskip(NEXT) | instid1(VALU_DEP_1)
	v_mul_u64_e32 v[8:9], s[22:23], v[2:3]
	v_add_nc_u32_e32 v1, v2, v9
	s_delay_alu instid0(VALU_DEP_1) | instskip(NEXT) | instid1(VALU_DEP_1)
	v_lshrrev_b32_e32 v1, s17, v1
	v_mul_lo_u32 v1, v1, s7
	s_delay_alu instid0(VALU_DEP_1) | instskip(NEXT) | instid1(VALU_DEP_1)
	v_sub_nc_u32_e32 v1, v2, v1
	v_mad_u32 v4, v1, s11, v4
	v_mad_u32 v6, v1, s18, v6
	;; [unrolled: 1-line block ×3, first 2 shown]
.LBB5_80:
	global_load_u8 v2, v6, s[2:3]
	global_load_u8 v1, v5, s[14:15]
	s_mov_b32 s24, 0
	s_mov_b32 s16, exec_lo
	s_wait_loadcnt 0x1
	s_wait_xcnt 0x0
	v_cmpx_ne_u16_e32 0, v2
	s_cbranch_execz .LBB5_83
.LBB5_81:                               ; =>This Inner Loop Header: Depth=1
	s_wait_loadcnt 0x0
	v_cvt_f32_ubyte0_e32 v6, v1
	v_mov_b32_e32 v3, v2
	s_delay_alu instid0(VALU_DEP_1) | instskip(NEXT) | instid1(VALU_DEP_1)
	v_cvt_f32_ubyte0_e32 v2, v3
	v_rcp_iflag_f32_e32 v5, v2
	v_nop
	s_delay_alu instid0(TRANS32_DEP_1) | instskip(NEXT) | instid1(VALU_DEP_1)
	v_mul_f32_e32 v5, v6, v5
	v_trunc_f32_e32 v5, v5
	s_delay_alu instid0(VALU_DEP_1) | instskip(SKIP_1) | instid1(VALU_DEP_2)
	v_fma_f32 v6, -v5, v2, v6
	v_cvt_u32_f32_e32 v5, v5
	v_cmp_ge_f32_e64 vcc_lo, |v6|, v2
	s_delay_alu instid0(VALU_DEP_1) | instskip(NEXT) | instid1(VALU_DEP_1)
	v_add_co_ci_u32_e64 v2, null, 0, v5, vcc_lo
	v_mul_lo_u32 v2, v2, v3
	s_delay_alu instid0(VALU_DEP_1) | instskip(NEXT) | instid1(VALU_DEP_1)
	v_sub_nc_u32_e32 v1, v1, v2
	v_and_b32_e32 v2, 0xff, v1
	v_mov_b32_e32 v1, v3
	s_delay_alu instid0(VALU_DEP_2) | instskip(SKIP_1) | instid1(SALU_CYCLE_1)
	v_cmp_eq_u16_e32 vcc_lo, 0, v2
	s_or_b32 s24, vcc_lo, s24
	s_and_not1_b32 exec_lo, exec_lo, s24
	s_cbranch_execnz .LBB5_81
; %bb.82:
	s_or_b32 exec_lo, exec_lo, s24
	v_mov_b32_e32 v1, v3
.LBB5_83:
	s_or_b32 exec_lo, exec_lo, s16
	v_add_nc_u32_e32 v0, 0x80, v0
	s_wait_loadcnt 0x0
	global_store_b8 v4, v1, s[0:1]
	s_wait_xcnt 0x0
	s_or_b32 exec_lo, exec_lo, s5
	s_delay_alu instid0(SALU_CYCLE_1)
	s_mov_b32 s5, exec_lo
	v_cmpx_gt_i32_e64 s33, v0
	s_cbranch_execz .LBB5_7
.LBB5_84:
	s_and_not1_b32 vcc_lo, exec_lo, s28
	s_cbranch_vccnz .LBB5_90
; %bb.85:
	s_and_not1_b32 vcc_lo, exec_lo, s34
	s_cbranch_vccnz .LBB5_91
; %bb.86:
	v_dual_mov_b32 v4, 0 :: v_dual_mov_b32 v1, v0
	v_dual_mov_b32 v6, 0 :: v_dual_mov_b32 v5, 0
	s_add_co_i32 s16, s31, 1
	s_mov_b64 s[24:25], 0xffffffffffffffe8
	s_and_b32 s16, s16, 30
	s_add_nc_u64 s[24:25], s[12:13], s[24:25]
.LBB5_87:                               ; =>This Inner Loop Header: Depth=1
	s_clause 0x1
	s_load_b128 s[36:39], s[24:25], 0x1c
	s_load_b64 s[44:45], s[24:25], 0x2c
	s_add_co_i32 s16, s16, -2
	s_delay_alu instid0(SALU_CYCLE_1) | instskip(SKIP_2) | instid1(VALU_DEP_1)
	s_cmp_eq_u32 s16, 0
	s_wait_kmcnt 0x0
	v_mul_hi_u32 v2, s37, v1
	v_add_nc_u32_e32 v2, v1, v2
	s_delay_alu instid0(VALU_DEP_1) | instskip(NEXT) | instid1(VALU_DEP_1)
	v_lshrrev_b32_e32 v2, s38, v2
	v_mul_hi_u32 v3, s44, v2
	v_mul_lo_u32 v7, v2, s36
	s_clause 0x1
	s_load_b128 s[40:43], s[24:25], 0xdc
	s_load_b64 s[36:37], s[24:25], 0xec
	s_wait_xcnt 0x0
	s_add_nc_u64 s[24:25], s[24:25], 24
	s_delay_alu instid0(VALU_DEP_2) | instskip(NEXT) | instid1(VALU_DEP_2)
	v_add_nc_u32_e32 v3, v2, v3
	v_sub_nc_u32_e32 v7, v1, v7
	s_delay_alu instid0(VALU_DEP_2) | instskip(SKIP_1) | instid1(VALU_DEP_2)
	v_lshrrev_b32_e32 v1, s45, v3
	s_wait_kmcnt 0x0
	v_mad_u32 v4, v7, s40, v4
	s_delay_alu instid0(VALU_DEP_2) | instskip(SKIP_2) | instid1(VALU_DEP_3)
	v_mul_lo_u32 v3, v1, s39
	v_mad_u32 v5, v7, s42, v5
	v_mad_u32 v6, v7, s41, v6
	v_sub_nc_u32_e32 v2, v2, v3
	s_delay_alu instid0(VALU_DEP_1) | instskip(NEXT) | instid1(VALU_DEP_4)
	v_mad_u32 v4, v2, s43, v4
	v_mad_u32 v5, v2, s37, v5
	s_delay_alu instid0(VALU_DEP_4)
	v_mad_u32 v6, v2, s36, v6
	s_cbranch_scc0 .LBB5_87
; %bb.88:
	s_bitcmp1_b32 s31, 0
	s_cselect_b32 s16, -1, 0
	s_delay_alu instid0(SALU_CYCLE_1)
	s_and_b32 vcc_lo, exec_lo, s16
	s_cbranch_vccnz .LBB5_92
; %bb.89:
	s_clause 0x1
	s_load_b96 s[36:38], s[24:25], 0x1c
	s_load_b96 s[40:42], s[24:25], 0xdc
	s_wait_kmcnt 0x0
	v_mul_hi_u32 v2, s37, v1
	s_delay_alu instid0(VALU_DEP_1) | instskip(NEXT) | instid1(VALU_DEP_1)
	v_add_nc_u32_e32 v2, v1, v2
	v_lshrrev_b32_e32 v2, s38, v2
	s_delay_alu instid0(VALU_DEP_1) | instskip(NEXT) | instid1(VALU_DEP_1)
	v_mul_lo_u32 v2, v2, s36
	v_sub_nc_u32_e32 v1, v1, v2
	s_delay_alu instid0(VALU_DEP_1)
	v_mad_u32 v4, v1, s40, v4
	v_mad_u32 v6, v1, s41, v6
	;; [unrolled: 1-line block ×3, first 2 shown]
	s_branch .LBB5_92
.LBB5_90:
                                        ; implicit-def: $vgpr5
                                        ; implicit-def: $vgpr6
                                        ; implicit-def: $vgpr4
	s_branch .LBB5_93
.LBB5_91:
	v_dual_mov_b32 v5, 0 :: v_dual_mov_b32 v6, 0
	v_mov_b32_e32 v4, 0
.LBB5_92:
	s_cbranch_execnz .LBB5_95
.LBB5_93:
	v_mov_b32_e32 v1, 0
	s_and_not1_b32 vcc_lo, exec_lo, s30
	s_delay_alu instid0(VALU_DEP_1) | instskip(NEXT) | instid1(VALU_DEP_1)
	v_mul_u64_e32 v[2:3], s[20:21], v[0:1]
	v_add_nc_u32_e32 v2, v0, v3
	s_delay_alu instid0(VALU_DEP_1) | instskip(NEXT) | instid1(VALU_DEP_1)
	v_lshrrev_b32_e32 v2, s6, v2
	v_mul_lo_u32 v3, v2, s4
	s_delay_alu instid0(VALU_DEP_1) | instskip(NEXT) | instid1(VALU_DEP_1)
	v_sub_nc_u32_e32 v3, v0, v3
	v_mul_lo_u32 v4, v3, s8
	v_mul_lo_u32 v5, v3, s10
	;; [unrolled: 1-line block ×3, first 2 shown]
	s_cbranch_vccnz .LBB5_95
; %bb.94:
	v_mov_b32_e32 v3, v1
	s_delay_alu instid0(VALU_DEP_1) | instskip(NEXT) | instid1(VALU_DEP_1)
	v_mul_u64_e32 v[8:9], s[22:23], v[2:3]
	v_add_nc_u32_e32 v1, v2, v9
	s_delay_alu instid0(VALU_DEP_1) | instskip(NEXT) | instid1(VALU_DEP_1)
	v_lshrrev_b32_e32 v1, s17, v1
	v_mul_lo_u32 v1, v1, s7
	s_delay_alu instid0(VALU_DEP_1) | instskip(NEXT) | instid1(VALU_DEP_1)
	v_sub_nc_u32_e32 v1, v2, v1
	v_mad_u32 v4, v1, s11, v4
	v_mad_u32 v6, v1, s18, v6
	;; [unrolled: 1-line block ×3, first 2 shown]
.LBB5_95:
	global_load_u8 v2, v6, s[2:3]
	global_load_u8 v1, v5, s[14:15]
	s_mov_b32 s24, 0
	s_mov_b32 s16, exec_lo
	s_wait_loadcnt 0x1
	s_wait_xcnt 0x0
	v_cmpx_ne_u16_e32 0, v2
	s_cbranch_execz .LBB5_98
.LBB5_96:                               ; =>This Inner Loop Header: Depth=1
	s_wait_loadcnt 0x0
	v_cvt_f32_ubyte0_e32 v6, v1
	v_mov_b32_e32 v3, v2
	s_delay_alu instid0(VALU_DEP_1) | instskip(NEXT) | instid1(VALU_DEP_1)
	v_cvt_f32_ubyte0_e32 v2, v3
	v_rcp_iflag_f32_e32 v5, v2
	v_nop
	s_delay_alu instid0(TRANS32_DEP_1) | instskip(NEXT) | instid1(VALU_DEP_1)
	v_mul_f32_e32 v5, v6, v5
	v_trunc_f32_e32 v5, v5
	s_delay_alu instid0(VALU_DEP_1) | instskip(SKIP_1) | instid1(VALU_DEP_2)
	v_fma_f32 v6, -v5, v2, v6
	v_cvt_u32_f32_e32 v5, v5
	v_cmp_ge_f32_e64 vcc_lo, |v6|, v2
	s_delay_alu instid0(VALU_DEP_1) | instskip(NEXT) | instid1(VALU_DEP_1)
	v_add_co_ci_u32_e64 v2, null, 0, v5, vcc_lo
	v_mul_lo_u32 v2, v2, v3
	s_delay_alu instid0(VALU_DEP_1) | instskip(NEXT) | instid1(VALU_DEP_1)
	v_sub_nc_u32_e32 v1, v1, v2
	v_and_b32_e32 v2, 0xff, v1
	v_mov_b32_e32 v1, v3
	s_delay_alu instid0(VALU_DEP_2) | instskip(SKIP_1) | instid1(SALU_CYCLE_1)
	v_cmp_eq_u16_e32 vcc_lo, 0, v2
	s_or_b32 s24, vcc_lo, s24
	s_and_not1_b32 exec_lo, exec_lo, s24
	s_cbranch_execnz .LBB5_96
; %bb.97:
	s_or_b32 exec_lo, exec_lo, s24
	v_mov_b32_e32 v1, v3
.LBB5_98:
	s_or_b32 exec_lo, exec_lo, s16
	v_add_nc_u32_e32 v0, 0x80, v0
	s_wait_loadcnt 0x0
	global_store_b8 v4, v1, s[0:1]
	s_wait_xcnt 0x0
	s_or_b32 exec_lo, exec_lo, s5
	s_delay_alu instid0(SALU_CYCLE_1)
	s_mov_b32 s5, exec_lo
	v_cmpx_gt_i32_e64 s33, v0
	s_cbranch_execz .LBB5_8
.LBB5_99:
	s_and_not1_b32 vcc_lo, exec_lo, s28
	s_cbranch_vccnz .LBB5_105
; %bb.100:
	s_and_not1_b32 vcc_lo, exec_lo, s34
	s_cbranch_vccnz .LBB5_106
; %bb.101:
	v_dual_mov_b32 v4, 0 :: v_dual_mov_b32 v1, v0
	v_dual_mov_b32 v6, 0 :: v_dual_mov_b32 v5, 0
	s_add_co_i32 s16, s31, 1
	s_mov_b64 s[24:25], 0xffffffffffffffe8
	s_and_b32 s16, s16, 30
	s_add_nc_u64 s[24:25], s[12:13], s[24:25]
.LBB5_102:                              ; =>This Inner Loop Header: Depth=1
	s_clause 0x1
	s_load_b128 s[36:39], s[24:25], 0x1c
	s_load_b64 s[44:45], s[24:25], 0x2c
	s_add_co_i32 s16, s16, -2
	s_delay_alu instid0(SALU_CYCLE_1) | instskip(SKIP_2) | instid1(VALU_DEP_1)
	s_cmp_eq_u32 s16, 0
	s_wait_kmcnt 0x0
	v_mul_hi_u32 v2, s37, v1
	v_add_nc_u32_e32 v2, v1, v2
	s_delay_alu instid0(VALU_DEP_1) | instskip(NEXT) | instid1(VALU_DEP_1)
	v_lshrrev_b32_e32 v2, s38, v2
	v_mul_hi_u32 v3, s44, v2
	v_mul_lo_u32 v7, v2, s36
	s_clause 0x1
	s_load_b128 s[40:43], s[24:25], 0xdc
	s_load_b64 s[36:37], s[24:25], 0xec
	s_wait_xcnt 0x0
	s_add_nc_u64 s[24:25], s[24:25], 24
	s_delay_alu instid0(VALU_DEP_2) | instskip(NEXT) | instid1(VALU_DEP_2)
	v_add_nc_u32_e32 v3, v2, v3
	v_sub_nc_u32_e32 v7, v1, v7
	s_delay_alu instid0(VALU_DEP_2) | instskip(SKIP_1) | instid1(VALU_DEP_2)
	v_lshrrev_b32_e32 v1, s45, v3
	s_wait_kmcnt 0x0
	v_mad_u32 v4, v7, s40, v4
	s_delay_alu instid0(VALU_DEP_2) | instskip(SKIP_2) | instid1(VALU_DEP_3)
	v_mul_lo_u32 v3, v1, s39
	v_mad_u32 v5, v7, s42, v5
	v_mad_u32 v6, v7, s41, v6
	v_sub_nc_u32_e32 v2, v2, v3
	s_delay_alu instid0(VALU_DEP_1) | instskip(NEXT) | instid1(VALU_DEP_4)
	v_mad_u32 v4, v2, s43, v4
	v_mad_u32 v5, v2, s37, v5
	s_delay_alu instid0(VALU_DEP_4)
	v_mad_u32 v6, v2, s36, v6
	s_cbranch_scc0 .LBB5_102
; %bb.103:
	s_bitcmp1_b32 s31, 0
	s_cselect_b32 s16, -1, 0
	s_delay_alu instid0(SALU_CYCLE_1)
	s_and_b32 vcc_lo, exec_lo, s16
	s_cbranch_vccnz .LBB5_107
; %bb.104:
	s_clause 0x1
	s_load_b96 s[36:38], s[24:25], 0x1c
	s_load_b96 s[40:42], s[24:25], 0xdc
	s_wait_kmcnt 0x0
	v_mul_hi_u32 v2, s37, v1
	s_delay_alu instid0(VALU_DEP_1) | instskip(NEXT) | instid1(VALU_DEP_1)
	v_add_nc_u32_e32 v2, v1, v2
	v_lshrrev_b32_e32 v2, s38, v2
	s_delay_alu instid0(VALU_DEP_1) | instskip(NEXT) | instid1(VALU_DEP_1)
	v_mul_lo_u32 v2, v2, s36
	v_sub_nc_u32_e32 v1, v1, v2
	s_delay_alu instid0(VALU_DEP_1)
	v_mad_u32 v4, v1, s40, v4
	v_mad_u32 v6, v1, s41, v6
	;; [unrolled: 1-line block ×3, first 2 shown]
	s_branch .LBB5_107
.LBB5_105:
                                        ; implicit-def: $vgpr5
                                        ; implicit-def: $vgpr6
                                        ; implicit-def: $vgpr4
	s_branch .LBB5_108
.LBB5_106:
	v_dual_mov_b32 v5, 0 :: v_dual_mov_b32 v6, 0
	v_mov_b32_e32 v4, 0
.LBB5_107:
	s_cbranch_execnz .LBB5_110
.LBB5_108:
	v_mov_b32_e32 v1, 0
	s_and_not1_b32 vcc_lo, exec_lo, s30
	s_delay_alu instid0(VALU_DEP_1) | instskip(NEXT) | instid1(VALU_DEP_1)
	v_mul_u64_e32 v[2:3], s[20:21], v[0:1]
	v_add_nc_u32_e32 v2, v0, v3
	s_delay_alu instid0(VALU_DEP_1) | instskip(NEXT) | instid1(VALU_DEP_1)
	v_lshrrev_b32_e32 v2, s6, v2
	v_mul_lo_u32 v3, v2, s4
	s_delay_alu instid0(VALU_DEP_1) | instskip(NEXT) | instid1(VALU_DEP_1)
	v_sub_nc_u32_e32 v3, v0, v3
	v_mul_lo_u32 v4, v3, s8
	v_mul_lo_u32 v5, v3, s10
	;; [unrolled: 1-line block ×3, first 2 shown]
	s_cbranch_vccnz .LBB5_110
; %bb.109:
	v_mov_b32_e32 v3, v1
	s_delay_alu instid0(VALU_DEP_1) | instskip(NEXT) | instid1(VALU_DEP_1)
	v_mul_u64_e32 v[8:9], s[22:23], v[2:3]
	v_add_nc_u32_e32 v1, v2, v9
	s_delay_alu instid0(VALU_DEP_1) | instskip(NEXT) | instid1(VALU_DEP_1)
	v_lshrrev_b32_e32 v1, s17, v1
	v_mul_lo_u32 v1, v1, s7
	s_delay_alu instid0(VALU_DEP_1) | instskip(NEXT) | instid1(VALU_DEP_1)
	v_sub_nc_u32_e32 v1, v2, v1
	v_mad_u32 v4, v1, s11, v4
	v_mad_u32 v6, v1, s18, v6
	;; [unrolled: 1-line block ×3, first 2 shown]
.LBB5_110:
	global_load_u8 v2, v6, s[2:3]
	global_load_u8 v1, v5, s[14:15]
	s_mov_b32 s24, 0
	s_mov_b32 s16, exec_lo
	s_wait_loadcnt 0x1
	s_wait_xcnt 0x0
	v_cmpx_ne_u16_e32 0, v2
	s_cbranch_execz .LBB5_113
.LBB5_111:                              ; =>This Inner Loop Header: Depth=1
	s_wait_loadcnt 0x0
	v_cvt_f32_ubyte0_e32 v6, v1
	v_mov_b32_e32 v3, v2
	s_delay_alu instid0(VALU_DEP_1) | instskip(NEXT) | instid1(VALU_DEP_1)
	v_cvt_f32_ubyte0_e32 v2, v3
	v_rcp_iflag_f32_e32 v5, v2
	v_nop
	s_delay_alu instid0(TRANS32_DEP_1) | instskip(NEXT) | instid1(VALU_DEP_1)
	v_mul_f32_e32 v5, v6, v5
	v_trunc_f32_e32 v5, v5
	s_delay_alu instid0(VALU_DEP_1) | instskip(SKIP_1) | instid1(VALU_DEP_2)
	v_fma_f32 v6, -v5, v2, v6
	v_cvt_u32_f32_e32 v5, v5
	v_cmp_ge_f32_e64 vcc_lo, |v6|, v2
	s_delay_alu instid0(VALU_DEP_1) | instskip(NEXT) | instid1(VALU_DEP_1)
	v_add_co_ci_u32_e64 v2, null, 0, v5, vcc_lo
	v_mul_lo_u32 v2, v2, v3
	s_delay_alu instid0(VALU_DEP_1) | instskip(NEXT) | instid1(VALU_DEP_1)
	v_sub_nc_u32_e32 v1, v1, v2
	v_and_b32_e32 v2, 0xff, v1
	v_mov_b32_e32 v1, v3
	s_delay_alu instid0(VALU_DEP_2) | instskip(SKIP_1) | instid1(SALU_CYCLE_1)
	v_cmp_eq_u16_e32 vcc_lo, 0, v2
	s_or_b32 s24, vcc_lo, s24
	s_and_not1_b32 exec_lo, exec_lo, s24
	s_cbranch_execnz .LBB5_111
; %bb.112:
	s_or_b32 exec_lo, exec_lo, s24
	v_mov_b32_e32 v1, v3
.LBB5_113:
	s_or_b32 exec_lo, exec_lo, s16
	v_add_nc_u32_e32 v0, 0x80, v0
	s_wait_loadcnt 0x0
	global_store_b8 v4, v1, s[0:1]
	s_wait_xcnt 0x0
	s_or_b32 exec_lo, exec_lo, s5
	s_delay_alu instid0(SALU_CYCLE_1)
	s_mov_b32 s5, exec_lo
	v_cmpx_gt_i32_e64 s33, v0
	s_cbranch_execz .LBB5_129
.LBB5_114:
	s_and_not1_b32 vcc_lo, exec_lo, s28
	s_cbranch_vccnz .LBB5_120
; %bb.115:
	s_and_not1_b32 vcc_lo, exec_lo, s34
	s_cbranch_vccnz .LBB5_121
; %bb.116:
	v_dual_mov_b32 v4, 0 :: v_dual_mov_b32 v1, v0
	v_dual_mov_b32 v6, 0 :: v_dual_mov_b32 v5, 0
	s_add_co_i32 s16, s31, 1
	s_mov_b64 s[24:25], 0xffffffffffffffe8
	s_and_b32 s16, s16, 30
	s_add_nc_u64 s[24:25], s[12:13], s[24:25]
.LBB5_117:                              ; =>This Inner Loop Header: Depth=1
	s_clause 0x1
	s_load_b128 s[36:39], s[24:25], 0x1c
	s_load_b64 s[34:35], s[24:25], 0x2c
	s_add_co_i32 s16, s16, -2
	s_delay_alu instid0(SALU_CYCLE_1) | instskip(SKIP_2) | instid1(VALU_DEP_1)
	s_cmp_eq_u32 s16, 0
	s_wait_kmcnt 0x0
	v_mul_hi_u32 v2, s37, v1
	v_add_nc_u32_e32 v2, v1, v2
	s_delay_alu instid0(VALU_DEP_1) | instskip(NEXT) | instid1(VALU_DEP_1)
	v_lshrrev_b32_e32 v2, s38, v2
	v_mul_hi_u32 v3, s34, v2
	v_mul_lo_u32 v7, v2, s36
	s_clause 0x1
	s_load_b128 s[40:43], s[24:25], 0xdc
	s_load_b64 s[36:37], s[24:25], 0xec
	s_wait_xcnt 0x0
	s_add_nc_u64 s[24:25], s[24:25], 24
	s_delay_alu instid0(VALU_DEP_2) | instskip(NEXT) | instid1(VALU_DEP_2)
	v_add_nc_u32_e32 v3, v2, v3
	v_sub_nc_u32_e32 v7, v1, v7
	s_delay_alu instid0(VALU_DEP_2) | instskip(SKIP_1) | instid1(VALU_DEP_2)
	v_lshrrev_b32_e32 v1, s35, v3
	s_wait_kmcnt 0x0
	v_mad_u32 v4, v7, s40, v4
	s_delay_alu instid0(VALU_DEP_2) | instskip(SKIP_2) | instid1(VALU_DEP_3)
	v_mul_lo_u32 v3, v1, s39
	v_mad_u32 v5, v7, s42, v5
	v_mad_u32 v6, v7, s41, v6
	v_sub_nc_u32_e32 v2, v2, v3
	s_delay_alu instid0(VALU_DEP_1) | instskip(NEXT) | instid1(VALU_DEP_4)
	v_mad_u32 v4, v2, s43, v4
	v_mad_u32 v5, v2, s37, v5
	s_delay_alu instid0(VALU_DEP_4)
	v_mad_u32 v6, v2, s36, v6
	s_cbranch_scc0 .LBB5_117
; %bb.118:
	s_bitcmp1_b32 s31, 0
	s_cselect_b32 s16, -1, 0
	s_delay_alu instid0(SALU_CYCLE_1)
	s_and_b32 vcc_lo, exec_lo, s16
	s_cbranch_vccnz .LBB5_122
; %bb.119:
	s_clause 0x1
	s_load_b96 s[36:38], s[24:25], 0x1c
	s_load_b96 s[40:42], s[24:25], 0xdc
	s_wait_kmcnt 0x0
	v_mul_hi_u32 v2, s37, v1
	s_delay_alu instid0(VALU_DEP_1) | instskip(NEXT) | instid1(VALU_DEP_1)
	v_add_nc_u32_e32 v2, v1, v2
	v_lshrrev_b32_e32 v2, s38, v2
	s_delay_alu instid0(VALU_DEP_1) | instskip(NEXT) | instid1(VALU_DEP_1)
	v_mul_lo_u32 v2, v2, s36
	v_sub_nc_u32_e32 v1, v1, v2
	s_delay_alu instid0(VALU_DEP_1)
	v_mad_u32 v4, v1, s40, v4
	v_mad_u32 v6, v1, s41, v6
	;; [unrolled: 1-line block ×3, first 2 shown]
	s_branch .LBB5_122
.LBB5_120:
                                        ; implicit-def: $vgpr5
                                        ; implicit-def: $vgpr6
                                        ; implicit-def: $vgpr4
	s_branch .LBB5_123
.LBB5_121:
	v_dual_mov_b32 v5, 0 :: v_dual_mov_b32 v6, 0
	v_mov_b32_e32 v4, 0
.LBB5_122:
	s_cbranch_execnz .LBB5_125
.LBB5_123:
	v_mov_b32_e32 v1, 0
	s_and_not1_b32 vcc_lo, exec_lo, s30
	s_delay_alu instid0(VALU_DEP_1) | instskip(NEXT) | instid1(VALU_DEP_1)
	v_mul_u64_e32 v[2:3], s[20:21], v[0:1]
	v_add_nc_u32_e32 v2, v0, v3
	s_delay_alu instid0(VALU_DEP_1) | instskip(NEXT) | instid1(VALU_DEP_1)
	v_lshrrev_b32_e32 v2, s6, v2
	v_mul_lo_u32 v3, v2, s4
	s_delay_alu instid0(VALU_DEP_1) | instskip(NEXT) | instid1(VALU_DEP_1)
	v_sub_nc_u32_e32 v0, v0, v3
	v_mul_lo_u32 v4, v0, s8
	v_mul_lo_u32 v5, v0, s10
	;; [unrolled: 1-line block ×3, first 2 shown]
	s_cbranch_vccnz .LBB5_125
; %bb.124:
	v_mov_b32_e32 v3, v1
	s_delay_alu instid0(VALU_DEP_1) | instskip(NEXT) | instid1(VALU_DEP_1)
	v_mul_u64_e32 v[0:1], s[22:23], v[2:3]
	v_add_nc_u32_e32 v0, v2, v1
	s_delay_alu instid0(VALU_DEP_1) | instskip(NEXT) | instid1(VALU_DEP_1)
	v_lshrrev_b32_e32 v0, s17, v0
	v_mul_lo_u32 v0, v0, s7
	s_delay_alu instid0(VALU_DEP_1) | instskip(NEXT) | instid1(VALU_DEP_1)
	v_sub_nc_u32_e32 v0, v2, v0
	v_mad_u32 v4, v0, s11, v4
	v_mad_u32 v6, v0, s18, v6
	;; [unrolled: 1-line block ×3, first 2 shown]
.LBB5_125:
	global_load_u8 v1, v6, s[2:3]
	global_load_u8 v0, v5, s[14:15]
	s_wait_xcnt 0x1
	s_mov_b32 s3, 0
	s_mov_b32 s2, exec_lo
	s_wait_loadcnt 0x1
	s_wait_xcnt 0x0
	v_cmpx_ne_u16_e32 0, v1
	s_cbranch_execz .LBB5_128
.LBB5_126:                              ; =>This Inner Loop Header: Depth=1
	s_wait_loadcnt 0x0
	v_cvt_f32_ubyte0_e32 v5, v0
	v_mov_b32_e32 v2, v1
	s_delay_alu instid0(VALU_DEP_1) | instskip(NEXT) | instid1(VALU_DEP_1)
	v_cvt_f32_ubyte0_e32 v1, v2
	v_rcp_iflag_f32_e32 v3, v1
	v_nop
	s_delay_alu instid0(TRANS32_DEP_1) | instskip(NEXT) | instid1(VALU_DEP_1)
	v_mul_f32_e32 v3, v5, v3
	v_trunc_f32_e32 v3, v3
	s_delay_alu instid0(VALU_DEP_1) | instskip(SKIP_1) | instid1(VALU_DEP_2)
	v_fma_f32 v5, -v3, v1, v5
	v_cvt_u32_f32_e32 v3, v3
	v_cmp_ge_f32_e64 vcc_lo, |v5|, v1
	s_delay_alu instid0(VALU_DEP_1) | instskip(NEXT) | instid1(VALU_DEP_1)
	v_add_co_ci_u32_e64 v1, null, 0, v3, vcc_lo
	v_mul_lo_u32 v1, v1, v2
	s_delay_alu instid0(VALU_DEP_1) | instskip(NEXT) | instid1(VALU_DEP_1)
	v_sub_nc_u32_e32 v0, v0, v1
	v_and_b32_e32 v1, 0xff, v0
	v_mov_b32_e32 v0, v2
	s_delay_alu instid0(VALU_DEP_2) | instskip(SKIP_1) | instid1(SALU_CYCLE_1)
	v_cmp_eq_u16_e32 vcc_lo, 0, v1
	s_or_b32 s3, vcc_lo, s3
	s_and_not1_b32 exec_lo, exec_lo, s3
	s_cbranch_execnz .LBB5_126
; %bb.127:
	s_or_b32 exec_lo, exec_lo, s3
	v_mov_b32_e32 v0, v2
.LBB5_128:
	s_or_b32 exec_lo, exec_lo, s2
	s_wait_loadcnt 0x0
	global_store_b8 v4, v0, s[0:1]
.LBB5_129:
	s_wait_xcnt 0x0
	s_or_b32 exec_lo, exec_lo, s5
                                        ; implicit-def: $vgpr4
                                        ; implicit-def: $vgpr0
.LBB5_130:
	s_and_not1_saveexec_b32 s0, s29
	s_cbranch_execz .LBB5_137
; %bb.131:
	v_cndmask_b32_e64 v9, 0, 1, s28
	s_and_not1_b32 vcc_lo, exec_lo, s28
	s_cbranch_vccnz .LBB5_138
; %bb.132:
	s_cmp_lg_u32 s26, 0
	s_mov_b32 s2, 0
	s_cbranch_scc0 .LBB5_142
; %bb.133:
	s_min_u32 s3, s27, 15
	v_dual_mov_b32 v1, 0 :: v_dual_mov_b32 v2, v0
	v_dual_mov_b32 v6, 0 :: v_dual_mov_b32 v5, 0
	s_add_co_i32 s4, s3, 1
	s_mov_b64 s[0:1], 0xffffffffffffffe8
	s_and_b32 s4, s4, 30
	s_add_nc_u64 s[0:1], s[12:13], s[0:1]
.LBB5_134:                              ; =>This Inner Loop Header: Depth=1
	s_clause 0x1
	s_load_b128 s[8:11], s[0:1], 0x1c
	s_load_b64 s[6:7], s[0:1], 0x2c
	s_add_co_i32 s4, s4, -2
	s_delay_alu instid0(SALU_CYCLE_1) | instskip(SKIP_2) | instid1(VALU_DEP_1)
	s_cmp_lg_u32 s4, 0
	s_wait_kmcnt 0x0
	v_mul_hi_u32 v3, s9, v2
	v_add_nc_u32_e32 v3, v2, v3
	s_delay_alu instid0(VALU_DEP_1) | instskip(NEXT) | instid1(VALU_DEP_1)
	v_lshrrev_b32_e32 v3, s10, v3
	v_mul_hi_u32 v7, s6, v3
	v_mul_lo_u32 v8, v3, s8
	s_clause 0x1
	s_load_b128 s[16:19], s[0:1], 0xdc
	s_load_b64 s[8:9], s[0:1], 0xec
	s_wait_xcnt 0x0
	s_add_nc_u64 s[0:1], s[0:1], 24
	s_delay_alu instid0(VALU_DEP_1) | instskip(NEXT) | instid1(VALU_DEP_1)
	v_dual_add_nc_u32 v7, v3, v7 :: v_dual_sub_nc_u32 v8, v2, v8
	v_lshrrev_b32_e32 v2, s7, v7
	s_wait_kmcnt 0x0
	s_delay_alu instid0(VALU_DEP_2) | instskip(NEXT) | instid1(VALU_DEP_2)
	v_mad_u32 v1, v8, s16, v1
	v_mul_lo_u32 v7, v2, s11
	v_mad_u32 v5, v8, s18, v5
	v_mad_u32 v6, v8, s17, v6
	s_delay_alu instid0(VALU_DEP_3) | instskip(NEXT) | instid1(VALU_DEP_1)
	v_sub_nc_u32_e32 v3, v3, v7
	v_mad_u32 v1, v3, s19, v1
	s_delay_alu instid0(VALU_DEP_4) | instskip(NEXT) | instid1(VALU_DEP_4)
	v_mad_u32 v5, v3, s9, v5
	v_mad_u32 v6, v3, s8, v6
	s_cbranch_scc1 .LBB5_134
; %bb.135:
	s_bitcmp1_b32 s3, 0
	s_cselect_b32 s3, -1, 0
	s_delay_alu instid0(SALU_CYCLE_1)
	s_and_b32 vcc_lo, exec_lo, s3
	s_cbranch_vccnz .LBB5_139
; %bb.136:
	s_clause 0x1
	s_load_b96 s[4:6], s[0:1], 0x1c
	s_load_b96 s[8:10], s[0:1], 0xdc
	s_wait_kmcnt 0x0
	v_mul_hi_u32 v3, s5, v2
	s_delay_alu instid0(VALU_DEP_1) | instskip(NEXT) | instid1(VALU_DEP_1)
	v_add_nc_u32_e32 v3, v2, v3
	v_lshrrev_b32_e32 v3, s6, v3
	s_delay_alu instid0(VALU_DEP_1) | instskip(NEXT) | instid1(VALU_DEP_1)
	v_mul_lo_u32 v3, v3, s4
	v_sub_nc_u32_e32 v2, v2, v3
	s_delay_alu instid0(VALU_DEP_1)
	v_mad_u32 v1, v2, s8, v1
	v_mad_u32 v6, v2, s9, v6
	;; [unrolled: 1-line block ×3, first 2 shown]
	s_and_not1_b32 vcc_lo, exec_lo, s2
	s_cbranch_vccz .LBB5_140
	s_branch .LBB5_143
.LBB5_137:
	s_endpgm
.LBB5_138:
	s_mov_b32 s2, -1
                                        ; implicit-def: $vgpr5
                                        ; implicit-def: $vgpr6
                                        ; implicit-def: $vgpr1
.LBB5_139:
	s_delay_alu instid0(SALU_CYCLE_1)
	s_and_not1_b32 vcc_lo, exec_lo, s2
	s_cbranch_vccnz .LBB5_143
.LBB5_140:
	s_clause 0x1
	s_load_b96 s[0:2], s[12:13], 0x4
	s_load_b96 s[4:6], s[12:13], 0xc4
	s_cmp_lt_u32 s26, 2
	s_wait_kmcnt 0x0
	v_mul_hi_u32 v1, s1, v0
	s_delay_alu instid0(VALU_DEP_1) | instskip(NEXT) | instid1(VALU_DEP_1)
	v_add_nc_u32_e32 v1, v0, v1
	v_lshrrev_b32_e32 v2, s2, v1
	s_delay_alu instid0(VALU_DEP_1) | instskip(NEXT) | instid1(VALU_DEP_1)
	v_mul_lo_u32 v1, v2, s0
	v_sub_nc_u32_e32 v3, v0, v1
	s_delay_alu instid0(VALU_DEP_1)
	v_mul_lo_u32 v1, v3, s4
	v_mul_lo_u32 v5, v3, s6
	v_mul_lo_u32 v6, v3, s5
	s_cbranch_scc1 .LBB5_143
; %bb.141:
	s_clause 0x1
	s_load_b96 s[0:2], s[12:13], 0x10
	s_load_b96 s[4:6], s[12:13], 0xd0
	s_wait_kmcnt 0x0
	v_mul_hi_u32 v3, s1, v2
	s_delay_alu instid0(VALU_DEP_1) | instskip(NEXT) | instid1(VALU_DEP_1)
	v_add_nc_u32_e32 v3, v2, v3
	v_lshrrev_b32_e32 v3, s2, v3
	s_delay_alu instid0(VALU_DEP_1) | instskip(NEXT) | instid1(VALU_DEP_1)
	v_mul_lo_u32 v3, v3, s0
	v_sub_nc_u32_e32 v2, v2, v3
	s_delay_alu instid0(VALU_DEP_1)
	v_mad_u32 v1, v2, s4, v1
	v_mad_u32 v6, v2, s5, v6
	;; [unrolled: 1-line block ×3, first 2 shown]
	s_branch .LBB5_143
.LBB5_142:
	v_dual_mov_b32 v5, 0 :: v_dual_mov_b32 v6, 0
	v_mov_b32_e32 v1, 0
	s_and_not1_b32 vcc_lo, exec_lo, s2
	s_cbranch_vccz .LBB5_140
.LBB5_143:
	v_cmp_ne_u32_e32 vcc_lo, 1, v9
	v_add_nc_u32_e32 v3, 0x80, v0
	s_cbranch_vccnz .LBB5_149
; %bb.144:
	s_cmp_lg_u32 s26, 0
	s_mov_b32 s2, 0
	s_cbranch_scc0 .LBB5_153
; %bb.145:
	s_min_u32 s3, s27, 15
	v_dual_mov_b32 v2, 0 :: v_dual_mov_b32 v10, v3
	v_dual_mov_b32 v8, 0 :: v_dual_mov_b32 v7, 0
	s_add_co_i32 s4, s3, 1
	s_mov_b64 s[0:1], 0xffffffffffffffe8
	s_and_b32 s4, s4, 30
	s_add_nc_u64 s[0:1], s[12:13], s[0:1]
.LBB5_146:                              ; =>This Inner Loop Header: Depth=1
	s_clause 0x1
	s_load_b128 s[8:11], s[0:1], 0x1c
	s_load_b64 s[6:7], s[0:1], 0x2c
	s_add_co_i32 s4, s4, -2
	s_delay_alu instid0(SALU_CYCLE_1) | instskip(SKIP_2) | instid1(VALU_DEP_1)
	s_cmp_lg_u32 s4, 0
	s_wait_kmcnt 0x0
	v_mul_hi_u32 v11, s9, v10
	v_add_nc_u32_e32 v11, v10, v11
	s_delay_alu instid0(VALU_DEP_1) | instskip(NEXT) | instid1(VALU_DEP_1)
	v_lshrrev_b32_e32 v11, s10, v11
	v_mul_hi_u32 v12, s6, v11
	v_mul_lo_u32 v13, v11, s8
	s_clause 0x1
	s_load_b128 s[16:19], s[0:1], 0xdc
	s_load_b64 s[8:9], s[0:1], 0xec
	s_wait_xcnt 0x0
	s_add_nc_u64 s[0:1], s[0:1], 24
	s_delay_alu instid0(VALU_DEP_1) | instskip(NEXT) | instid1(VALU_DEP_1)
	v_dual_add_nc_u32 v12, v11, v12 :: v_dual_sub_nc_u32 v13, v10, v13
	v_lshrrev_b32_e32 v10, s7, v12
	s_wait_kmcnt 0x0
	s_delay_alu instid0(VALU_DEP_2) | instskip(NEXT) | instid1(VALU_DEP_2)
	v_mad_u32 v2, v13, s16, v2
	v_mul_lo_u32 v12, v10, s11
	v_mad_u32 v7, v13, s18, v7
	v_mad_u32 v8, v13, s17, v8
	s_delay_alu instid0(VALU_DEP_3) | instskip(NEXT) | instid1(VALU_DEP_1)
	v_sub_nc_u32_e32 v11, v11, v12
	v_mad_u32 v2, v11, s19, v2
	s_delay_alu instid0(VALU_DEP_4) | instskip(NEXT) | instid1(VALU_DEP_4)
	v_mad_u32 v7, v11, s9, v7
	v_mad_u32 v8, v11, s8, v8
	s_cbranch_scc1 .LBB5_146
; %bb.147:
	s_bitcmp1_b32 s3, 0
	s_cselect_b32 s3, -1, 0
	s_delay_alu instid0(SALU_CYCLE_1)
	s_and_b32 vcc_lo, exec_lo, s3
	s_cbranch_vccnz .LBB5_150
; %bb.148:
	s_clause 0x1
	s_load_b96 s[4:6], s[0:1], 0x1c
	s_load_b96 s[8:10], s[0:1], 0xdc
	s_wait_kmcnt 0x0
	v_mul_hi_u32 v11, s5, v10
	s_delay_alu instid0(VALU_DEP_1) | instskip(NEXT) | instid1(VALU_DEP_1)
	v_add_nc_u32_e32 v11, v10, v11
	v_lshrrev_b32_e32 v11, s6, v11
	s_delay_alu instid0(VALU_DEP_1) | instskip(NEXT) | instid1(VALU_DEP_1)
	v_mul_lo_u32 v11, v11, s4
	v_sub_nc_u32_e32 v10, v10, v11
	s_delay_alu instid0(VALU_DEP_1)
	v_mad_u32 v2, v10, s8, v2
	v_mad_u32 v8, v10, s9, v8
	;; [unrolled: 1-line block ×3, first 2 shown]
	s_and_not1_b32 vcc_lo, exec_lo, s2
	s_cbranch_vccz .LBB5_151
	s_branch .LBB5_154
.LBB5_149:
	s_mov_b32 s2, -1
                                        ; implicit-def: $vgpr7
                                        ; implicit-def: $vgpr8
                                        ; implicit-def: $vgpr2
.LBB5_150:
	s_delay_alu instid0(SALU_CYCLE_1)
	s_and_not1_b32 vcc_lo, exec_lo, s2
	s_cbranch_vccnz .LBB5_154
.LBB5_151:
	s_clause 0x1
	s_load_b96 s[0:2], s[12:13], 0x4
	s_load_b96 s[4:6], s[12:13], 0xc4
	s_cmp_lt_u32 s26, 2
	s_wait_kmcnt 0x0
	v_mul_hi_u32 v2, s1, v3
	s_delay_alu instid0(VALU_DEP_1) | instskip(NEXT) | instid1(VALU_DEP_1)
	v_add_nc_u32_e32 v2, v3, v2
	v_lshrrev_b32_e32 v10, s2, v2
	s_delay_alu instid0(VALU_DEP_1) | instskip(NEXT) | instid1(VALU_DEP_1)
	v_mul_lo_u32 v2, v10, s0
	v_sub_nc_u32_e32 v3, v3, v2
	s_delay_alu instid0(VALU_DEP_1)
	v_mul_lo_u32 v2, v3, s4
	v_mul_lo_u32 v7, v3, s6
	;; [unrolled: 1-line block ×3, first 2 shown]
	s_cbranch_scc1 .LBB5_154
; %bb.152:
	s_clause 0x1
	s_load_b96 s[0:2], s[12:13], 0x10
	s_load_b96 s[4:6], s[12:13], 0xd0
	s_wait_kmcnt 0x0
	v_mul_hi_u32 v3, s1, v10
	s_delay_alu instid0(VALU_DEP_1) | instskip(NEXT) | instid1(VALU_DEP_1)
	v_add_nc_u32_e32 v3, v10, v3
	v_lshrrev_b32_e32 v3, s2, v3
	s_delay_alu instid0(VALU_DEP_1) | instskip(NEXT) | instid1(VALU_DEP_1)
	v_mul_lo_u32 v3, v3, s0
	v_sub_nc_u32_e32 v3, v10, v3
	s_delay_alu instid0(VALU_DEP_1)
	v_mad_u32 v2, v3, s4, v2
	v_mad_u32 v8, v3, s5, v8
	;; [unrolled: 1-line block ×3, first 2 shown]
	s_branch .LBB5_154
.LBB5_153:
	v_dual_mov_b32 v7, 0 :: v_dual_mov_b32 v8, 0
	v_mov_b32_e32 v2, 0
	s_and_not1_b32 vcc_lo, exec_lo, s2
	s_cbranch_vccz .LBB5_151
.LBB5_154:
	v_cmp_ne_u32_e32 vcc_lo, 1, v9
	v_add_nc_u32_e32 v10, 0x100, v0
	s_cbranch_vccnz .LBB5_160
; %bb.155:
	s_cmp_lg_u32 s26, 0
	s_mov_b32 s2, 0
	s_cbranch_scc0 .LBB5_164
; %bb.156:
	s_min_u32 s3, s27, 15
	v_dual_mov_b32 v3, 0 :: v_dual_mov_b32 v13, v10
	v_dual_mov_b32 v12, 0 :: v_dual_mov_b32 v11, 0
	s_add_co_i32 s4, s3, 1
	s_mov_b64 s[0:1], 0xffffffffffffffe8
	s_and_b32 s4, s4, 30
	s_add_nc_u64 s[0:1], s[12:13], s[0:1]
.LBB5_157:                              ; =>This Inner Loop Header: Depth=1
	s_clause 0x1
	s_load_b128 s[8:11], s[0:1], 0x1c
	s_load_b64 s[6:7], s[0:1], 0x2c
	s_add_co_i32 s4, s4, -2
	s_delay_alu instid0(SALU_CYCLE_1) | instskip(SKIP_2) | instid1(VALU_DEP_1)
	s_cmp_lg_u32 s4, 0
	s_wait_kmcnt 0x0
	v_mul_hi_u32 v14, s9, v13
	v_add_nc_u32_e32 v14, v13, v14
	s_delay_alu instid0(VALU_DEP_1) | instskip(NEXT) | instid1(VALU_DEP_1)
	v_lshrrev_b32_e32 v14, s10, v14
	v_mul_hi_u32 v15, s6, v14
	v_mul_lo_u32 v16, v14, s8
	s_clause 0x1
	s_load_b128 s[16:19], s[0:1], 0xdc
	s_load_b64 s[8:9], s[0:1], 0xec
	s_wait_xcnt 0x0
	s_add_nc_u64 s[0:1], s[0:1], 24
	s_delay_alu instid0(VALU_DEP_1) | instskip(NEXT) | instid1(VALU_DEP_1)
	v_dual_add_nc_u32 v15, v14, v15 :: v_dual_sub_nc_u32 v16, v13, v16
	v_lshrrev_b32_e32 v13, s7, v15
	s_wait_kmcnt 0x0
	s_delay_alu instid0(VALU_DEP_2) | instskip(NEXT) | instid1(VALU_DEP_2)
	v_mad_u32 v3, v16, s16, v3
	v_mul_lo_u32 v15, v13, s11
	v_mad_u32 v11, v16, s18, v11
	v_mad_u32 v12, v16, s17, v12
	s_delay_alu instid0(VALU_DEP_3) | instskip(NEXT) | instid1(VALU_DEP_1)
	v_sub_nc_u32_e32 v14, v14, v15
	v_mad_u32 v3, v14, s19, v3
	s_delay_alu instid0(VALU_DEP_4) | instskip(NEXT) | instid1(VALU_DEP_4)
	v_mad_u32 v11, v14, s9, v11
	v_mad_u32 v12, v14, s8, v12
	s_cbranch_scc1 .LBB5_157
; %bb.158:
	s_bitcmp1_b32 s3, 0
	s_cselect_b32 s3, -1, 0
	s_delay_alu instid0(SALU_CYCLE_1)
	s_and_b32 vcc_lo, exec_lo, s3
	s_cbranch_vccnz .LBB5_161
; %bb.159:
	s_clause 0x1
	s_load_b96 s[4:6], s[0:1], 0x1c
	s_load_b96 s[8:10], s[0:1], 0xdc
	s_wait_kmcnt 0x0
	v_mul_hi_u32 v14, s5, v13
	s_delay_alu instid0(VALU_DEP_1) | instskip(NEXT) | instid1(VALU_DEP_1)
	v_add_nc_u32_e32 v14, v13, v14
	v_lshrrev_b32_e32 v14, s6, v14
	s_delay_alu instid0(VALU_DEP_1) | instskip(NEXT) | instid1(VALU_DEP_1)
	v_mul_lo_u32 v14, v14, s4
	v_sub_nc_u32_e32 v13, v13, v14
	s_delay_alu instid0(VALU_DEP_1)
	v_mad_u32 v3, v13, s8, v3
	v_mad_u32 v12, v13, s9, v12
	;; [unrolled: 1-line block ×3, first 2 shown]
	s_and_not1_b32 vcc_lo, exec_lo, s2
	s_cbranch_vccz .LBB5_162
	s_branch .LBB5_165
.LBB5_160:
	s_mov_b32 s2, -1
                                        ; implicit-def: $vgpr11
                                        ; implicit-def: $vgpr12
                                        ; implicit-def: $vgpr3
.LBB5_161:
	s_delay_alu instid0(SALU_CYCLE_1)
	s_and_not1_b32 vcc_lo, exec_lo, s2
	s_cbranch_vccnz .LBB5_165
.LBB5_162:
	s_clause 0x1
	s_load_b96 s[0:2], s[12:13], 0x4
	s_load_b96 s[4:6], s[12:13], 0xc4
	s_cmp_lt_u32 s26, 2
	s_wait_kmcnt 0x0
	v_mul_hi_u32 v3, s1, v10
	s_delay_alu instid0(VALU_DEP_1) | instskip(NEXT) | instid1(VALU_DEP_1)
	v_add_nc_u32_e32 v3, v10, v3
	v_lshrrev_b32_e32 v13, s2, v3
	s_delay_alu instid0(VALU_DEP_1) | instskip(NEXT) | instid1(VALU_DEP_1)
	v_mul_lo_u32 v3, v13, s0
	v_sub_nc_u32_e32 v10, v10, v3
	s_delay_alu instid0(VALU_DEP_1)
	v_mul_lo_u32 v3, v10, s4
	v_mul_lo_u32 v11, v10, s6
	;; [unrolled: 1-line block ×3, first 2 shown]
	s_cbranch_scc1 .LBB5_165
; %bb.163:
	s_clause 0x1
	s_load_b96 s[0:2], s[12:13], 0x10
	s_load_b96 s[4:6], s[12:13], 0xd0
	s_wait_kmcnt 0x0
	v_mul_hi_u32 v10, s1, v13
	s_delay_alu instid0(VALU_DEP_1) | instskip(NEXT) | instid1(VALU_DEP_1)
	v_add_nc_u32_e32 v10, v13, v10
	v_lshrrev_b32_e32 v10, s2, v10
	s_delay_alu instid0(VALU_DEP_1) | instskip(NEXT) | instid1(VALU_DEP_1)
	v_mul_lo_u32 v10, v10, s0
	v_sub_nc_u32_e32 v10, v13, v10
	s_delay_alu instid0(VALU_DEP_1)
	v_mad_u32 v3, v10, s4, v3
	v_mad_u32 v12, v10, s5, v12
	;; [unrolled: 1-line block ×3, first 2 shown]
	s_branch .LBB5_165
.LBB5_164:
	v_dual_mov_b32 v11, 0 :: v_dual_mov_b32 v12, 0
	v_mov_b32_e32 v3, 0
	s_and_not1_b32 vcc_lo, exec_lo, s2
	s_cbranch_vccz .LBB5_162
.LBB5_165:
	v_cmp_ne_u32_e32 vcc_lo, 1, v9
	v_add_nc_u32_e32 v13, 0x180, v0
	s_cbranch_vccnz .LBB5_171
; %bb.166:
	s_cmp_lg_u32 s26, 0
	s_mov_b32 s2, 0
	s_cbranch_scc0 .LBB5_175
; %bb.167:
	s_min_u32 s3, s27, 15
	v_dual_mov_b32 v10, 0 :: v_dual_mov_b32 v16, v13
	v_dual_mov_b32 v15, 0 :: v_dual_mov_b32 v14, 0
	s_add_co_i32 s4, s3, 1
	s_mov_b64 s[0:1], 0xffffffffffffffe8
	s_and_b32 s4, s4, 30
	s_add_nc_u64 s[0:1], s[12:13], s[0:1]
.LBB5_168:                              ; =>This Inner Loop Header: Depth=1
	s_clause 0x1
	s_load_b128 s[8:11], s[0:1], 0x1c
	s_load_b64 s[6:7], s[0:1], 0x2c
	s_add_co_i32 s4, s4, -2
	s_delay_alu instid0(SALU_CYCLE_1) | instskip(SKIP_2) | instid1(VALU_DEP_1)
	s_cmp_lg_u32 s4, 0
	s_wait_kmcnt 0x0
	v_mul_hi_u32 v17, s9, v16
	v_add_nc_u32_e32 v17, v16, v17
	s_delay_alu instid0(VALU_DEP_1) | instskip(NEXT) | instid1(VALU_DEP_1)
	v_lshrrev_b32_e32 v17, s10, v17
	v_mul_hi_u32 v18, s6, v17
	v_mul_lo_u32 v19, v17, s8
	s_clause 0x1
	s_load_b128 s[16:19], s[0:1], 0xdc
	s_load_b64 s[8:9], s[0:1], 0xec
	s_wait_xcnt 0x0
	s_add_nc_u64 s[0:1], s[0:1], 24
	s_delay_alu instid0(VALU_DEP_1) | instskip(NEXT) | instid1(VALU_DEP_1)
	v_dual_add_nc_u32 v18, v17, v18 :: v_dual_sub_nc_u32 v19, v16, v19
	v_lshrrev_b32_e32 v16, s7, v18
	s_wait_kmcnt 0x0
	s_delay_alu instid0(VALU_DEP_2) | instskip(NEXT) | instid1(VALU_DEP_2)
	v_mad_u32 v10, v19, s16, v10
	v_mul_lo_u32 v18, v16, s11
	v_mad_u32 v14, v19, s18, v14
	v_mad_u32 v15, v19, s17, v15
	s_delay_alu instid0(VALU_DEP_3) | instskip(NEXT) | instid1(VALU_DEP_1)
	v_sub_nc_u32_e32 v17, v17, v18
	v_mad_u32 v10, v17, s19, v10
	s_delay_alu instid0(VALU_DEP_4) | instskip(NEXT) | instid1(VALU_DEP_4)
	v_mad_u32 v14, v17, s9, v14
	v_mad_u32 v15, v17, s8, v15
	s_cbranch_scc1 .LBB5_168
; %bb.169:
	s_bitcmp1_b32 s3, 0
	s_cselect_b32 s3, -1, 0
	s_delay_alu instid0(SALU_CYCLE_1)
	s_and_b32 vcc_lo, exec_lo, s3
	s_cbranch_vccnz .LBB5_172
; %bb.170:
	s_clause 0x1
	s_load_b96 s[4:6], s[0:1], 0x1c
	s_load_b96 s[8:10], s[0:1], 0xdc
	s_wait_kmcnt 0x0
	v_mul_hi_u32 v17, s5, v16
	s_delay_alu instid0(VALU_DEP_1) | instskip(NEXT) | instid1(VALU_DEP_1)
	v_add_nc_u32_e32 v17, v16, v17
	v_lshrrev_b32_e32 v17, s6, v17
	s_delay_alu instid0(VALU_DEP_1) | instskip(NEXT) | instid1(VALU_DEP_1)
	v_mul_lo_u32 v17, v17, s4
	v_sub_nc_u32_e32 v16, v16, v17
	s_delay_alu instid0(VALU_DEP_1)
	v_mad_u32 v10, v16, s8, v10
	v_mad_u32 v15, v16, s9, v15
	;; [unrolled: 1-line block ×3, first 2 shown]
	s_and_not1_b32 vcc_lo, exec_lo, s2
	s_cbranch_vccz .LBB5_173
	s_branch .LBB5_176
.LBB5_171:
	s_mov_b32 s2, -1
                                        ; implicit-def: $vgpr14
                                        ; implicit-def: $vgpr15
                                        ; implicit-def: $vgpr10
.LBB5_172:
	s_delay_alu instid0(SALU_CYCLE_1)
	s_and_not1_b32 vcc_lo, exec_lo, s2
	s_cbranch_vccnz .LBB5_176
.LBB5_173:
	s_clause 0x1
	s_load_b96 s[0:2], s[12:13], 0x4
	s_load_b96 s[4:6], s[12:13], 0xc4
	s_cmp_lt_u32 s26, 2
	s_wait_kmcnt 0x0
	v_mul_hi_u32 v10, s1, v13
	s_delay_alu instid0(VALU_DEP_1) | instskip(NEXT) | instid1(VALU_DEP_1)
	v_add_nc_u32_e32 v10, v13, v10
	v_lshrrev_b32_e32 v16, s2, v10
	s_delay_alu instid0(VALU_DEP_1) | instskip(NEXT) | instid1(VALU_DEP_1)
	v_mul_lo_u32 v10, v16, s0
	v_sub_nc_u32_e32 v13, v13, v10
	s_delay_alu instid0(VALU_DEP_1)
	v_mul_lo_u32 v10, v13, s4
	v_mul_lo_u32 v14, v13, s6
	;; [unrolled: 1-line block ×3, first 2 shown]
	s_cbranch_scc1 .LBB5_176
; %bb.174:
	s_clause 0x1
	s_load_b96 s[0:2], s[12:13], 0x10
	s_load_b96 s[4:6], s[12:13], 0xd0
	s_wait_kmcnt 0x0
	v_mul_hi_u32 v13, s1, v16
	s_delay_alu instid0(VALU_DEP_1) | instskip(NEXT) | instid1(VALU_DEP_1)
	v_add_nc_u32_e32 v13, v16, v13
	v_lshrrev_b32_e32 v13, s2, v13
	s_delay_alu instid0(VALU_DEP_1) | instskip(NEXT) | instid1(VALU_DEP_1)
	v_mul_lo_u32 v13, v13, s0
	v_sub_nc_u32_e32 v13, v16, v13
	s_delay_alu instid0(VALU_DEP_1)
	v_mad_u32 v10, v13, s4, v10
	v_mad_u32 v15, v13, s5, v15
	;; [unrolled: 1-line block ×3, first 2 shown]
	s_branch .LBB5_176
.LBB5_175:
	v_dual_mov_b32 v14, 0 :: v_dual_mov_b32 v15, 0
	v_mov_b32_e32 v10, 0
	s_and_not1_b32 vcc_lo, exec_lo, s2
	s_cbranch_vccz .LBB5_173
.LBB5_176:
	v_cmp_ne_u32_e32 vcc_lo, 1, v9
	v_add_nc_u32_e32 v16, 0x200, v0
	s_cbranch_vccnz .LBB5_182
; %bb.177:
	s_cmp_lg_u32 s26, 0
	s_mov_b32 s2, 0
	s_cbranch_scc0 .LBB5_186
; %bb.178:
	s_min_u32 s3, s27, 15
	v_dual_mov_b32 v13, 0 :: v_dual_mov_b32 v19, v16
	v_dual_mov_b32 v18, 0 :: v_dual_mov_b32 v17, 0
	s_add_co_i32 s4, s3, 1
	s_mov_b64 s[0:1], 0xffffffffffffffe8
	s_and_b32 s4, s4, 30
	s_add_nc_u64 s[0:1], s[12:13], s[0:1]
.LBB5_179:                              ; =>This Inner Loop Header: Depth=1
	s_clause 0x1
	s_load_b128 s[8:11], s[0:1], 0x1c
	s_load_b64 s[6:7], s[0:1], 0x2c
	s_add_co_i32 s4, s4, -2
	s_delay_alu instid0(SALU_CYCLE_1) | instskip(SKIP_2) | instid1(VALU_DEP_1)
	s_cmp_lg_u32 s4, 0
	s_wait_kmcnt 0x0
	v_mul_hi_u32 v20, s9, v19
	v_add_nc_u32_e32 v20, v19, v20
	s_delay_alu instid0(VALU_DEP_1) | instskip(NEXT) | instid1(VALU_DEP_1)
	v_lshrrev_b32_e32 v20, s10, v20
	v_mul_hi_u32 v21, s6, v20
	v_mul_lo_u32 v22, v20, s8
	s_clause 0x1
	s_load_b128 s[16:19], s[0:1], 0xdc
	s_load_b64 s[8:9], s[0:1], 0xec
	s_wait_xcnt 0x0
	s_add_nc_u64 s[0:1], s[0:1], 24
	s_delay_alu instid0(VALU_DEP_1) | instskip(NEXT) | instid1(VALU_DEP_1)
	v_dual_add_nc_u32 v21, v20, v21 :: v_dual_sub_nc_u32 v22, v19, v22
	v_lshrrev_b32_e32 v19, s7, v21
	s_wait_kmcnt 0x0
	s_delay_alu instid0(VALU_DEP_2) | instskip(NEXT) | instid1(VALU_DEP_2)
	v_mad_u32 v13, v22, s16, v13
	v_mul_lo_u32 v21, v19, s11
	v_mad_u32 v17, v22, s18, v17
	v_mad_u32 v18, v22, s17, v18
	s_delay_alu instid0(VALU_DEP_3) | instskip(NEXT) | instid1(VALU_DEP_1)
	v_sub_nc_u32_e32 v20, v20, v21
	v_mad_u32 v13, v20, s19, v13
	s_delay_alu instid0(VALU_DEP_4) | instskip(NEXT) | instid1(VALU_DEP_4)
	v_mad_u32 v17, v20, s9, v17
	v_mad_u32 v18, v20, s8, v18
	s_cbranch_scc1 .LBB5_179
; %bb.180:
	s_bitcmp1_b32 s3, 0
	s_cselect_b32 s3, -1, 0
	s_delay_alu instid0(SALU_CYCLE_1)
	s_and_b32 vcc_lo, exec_lo, s3
	s_cbranch_vccnz .LBB5_183
; %bb.181:
	s_clause 0x1
	s_load_b96 s[4:6], s[0:1], 0x1c
	s_load_b96 s[8:10], s[0:1], 0xdc
	s_wait_kmcnt 0x0
	v_mul_hi_u32 v20, s5, v19
	s_delay_alu instid0(VALU_DEP_1) | instskip(NEXT) | instid1(VALU_DEP_1)
	v_add_nc_u32_e32 v20, v19, v20
	v_lshrrev_b32_e32 v20, s6, v20
	s_delay_alu instid0(VALU_DEP_1) | instskip(NEXT) | instid1(VALU_DEP_1)
	v_mul_lo_u32 v20, v20, s4
	v_sub_nc_u32_e32 v19, v19, v20
	s_delay_alu instid0(VALU_DEP_1)
	v_mad_u32 v13, v19, s8, v13
	v_mad_u32 v18, v19, s9, v18
	;; [unrolled: 1-line block ×3, first 2 shown]
	s_and_not1_b32 vcc_lo, exec_lo, s2
	s_cbranch_vccz .LBB5_184
	s_branch .LBB5_187
.LBB5_182:
	s_mov_b32 s2, -1
                                        ; implicit-def: $vgpr17
                                        ; implicit-def: $vgpr18
                                        ; implicit-def: $vgpr13
.LBB5_183:
	s_delay_alu instid0(SALU_CYCLE_1)
	s_and_not1_b32 vcc_lo, exec_lo, s2
	s_cbranch_vccnz .LBB5_187
.LBB5_184:
	s_clause 0x1
	s_load_b96 s[0:2], s[12:13], 0x4
	s_load_b96 s[4:6], s[12:13], 0xc4
	s_cmp_lt_u32 s26, 2
	s_wait_kmcnt 0x0
	v_mul_hi_u32 v13, s1, v16
	s_delay_alu instid0(VALU_DEP_1) | instskip(NEXT) | instid1(VALU_DEP_1)
	v_add_nc_u32_e32 v13, v16, v13
	v_lshrrev_b32_e32 v19, s2, v13
	s_delay_alu instid0(VALU_DEP_1) | instskip(NEXT) | instid1(VALU_DEP_1)
	v_mul_lo_u32 v13, v19, s0
	v_sub_nc_u32_e32 v16, v16, v13
	s_delay_alu instid0(VALU_DEP_1)
	v_mul_lo_u32 v13, v16, s4
	v_mul_lo_u32 v17, v16, s6
	;; [unrolled: 1-line block ×3, first 2 shown]
	s_cbranch_scc1 .LBB5_187
; %bb.185:
	s_clause 0x1
	s_load_b96 s[0:2], s[12:13], 0x10
	s_load_b96 s[4:6], s[12:13], 0xd0
	s_wait_kmcnt 0x0
	v_mul_hi_u32 v16, s1, v19
	s_delay_alu instid0(VALU_DEP_1) | instskip(NEXT) | instid1(VALU_DEP_1)
	v_add_nc_u32_e32 v16, v19, v16
	v_lshrrev_b32_e32 v16, s2, v16
	s_delay_alu instid0(VALU_DEP_1) | instskip(NEXT) | instid1(VALU_DEP_1)
	v_mul_lo_u32 v16, v16, s0
	v_sub_nc_u32_e32 v16, v19, v16
	s_delay_alu instid0(VALU_DEP_1)
	v_mad_u32 v13, v16, s4, v13
	v_mad_u32 v18, v16, s5, v18
	;; [unrolled: 1-line block ×3, first 2 shown]
	s_branch .LBB5_187
.LBB5_186:
	v_dual_mov_b32 v17, 0 :: v_dual_mov_b32 v18, 0
	v_mov_b32_e32 v13, 0
	s_and_not1_b32 vcc_lo, exec_lo, s2
	s_cbranch_vccz .LBB5_184
.LBB5_187:
	v_cmp_ne_u32_e32 vcc_lo, 1, v9
	v_add_nc_u32_e32 v21, 0x280, v0
	s_cbranch_vccnz .LBB5_193
; %bb.188:
	s_cmp_lg_u32 s26, 0
	s_mov_b32 s2, 0
	s_cbranch_scc0 .LBB5_197
; %bb.189:
	s_min_u32 s3, s27, 15
	v_dual_mov_b32 v16, 0 :: v_dual_mov_b32 v22, v21
	v_dual_mov_b32 v20, 0 :: v_dual_mov_b32 v19, 0
	s_add_co_i32 s4, s3, 1
	s_mov_b64 s[0:1], 0xffffffffffffffe8
	s_and_b32 s4, s4, 30
	s_add_nc_u64 s[0:1], s[12:13], s[0:1]
.LBB5_190:                              ; =>This Inner Loop Header: Depth=1
	s_clause 0x1
	s_load_b128 s[8:11], s[0:1], 0x1c
	s_load_b64 s[6:7], s[0:1], 0x2c
	s_add_co_i32 s4, s4, -2
	s_delay_alu instid0(SALU_CYCLE_1) | instskip(SKIP_2) | instid1(VALU_DEP_1)
	s_cmp_lg_u32 s4, 0
	s_wait_kmcnt 0x0
	v_mul_hi_u32 v23, s9, v22
	v_add_nc_u32_e32 v23, v22, v23
	s_delay_alu instid0(VALU_DEP_1) | instskip(NEXT) | instid1(VALU_DEP_1)
	v_lshrrev_b32_e32 v23, s10, v23
	v_mul_hi_u32 v24, s6, v23
	v_mul_lo_u32 v25, v23, s8
	s_clause 0x1
	s_load_b128 s[16:19], s[0:1], 0xdc
	s_load_b64 s[8:9], s[0:1], 0xec
	s_wait_xcnt 0x0
	s_add_nc_u64 s[0:1], s[0:1], 24
	s_delay_alu instid0(VALU_DEP_1) | instskip(NEXT) | instid1(VALU_DEP_1)
	v_dual_add_nc_u32 v24, v23, v24 :: v_dual_sub_nc_u32 v25, v22, v25
	v_lshrrev_b32_e32 v22, s7, v24
	s_wait_kmcnt 0x0
	s_delay_alu instid0(VALU_DEP_2) | instskip(NEXT) | instid1(VALU_DEP_2)
	v_mad_u32 v16, v25, s16, v16
	v_mul_lo_u32 v24, v22, s11
	v_mad_u32 v19, v25, s18, v19
	v_mad_u32 v20, v25, s17, v20
	s_delay_alu instid0(VALU_DEP_3) | instskip(NEXT) | instid1(VALU_DEP_1)
	v_sub_nc_u32_e32 v23, v23, v24
	v_mad_u32 v16, v23, s19, v16
	s_delay_alu instid0(VALU_DEP_4) | instskip(NEXT) | instid1(VALU_DEP_4)
	v_mad_u32 v19, v23, s9, v19
	v_mad_u32 v20, v23, s8, v20
	s_cbranch_scc1 .LBB5_190
; %bb.191:
	s_bitcmp1_b32 s3, 0
	s_cselect_b32 s3, -1, 0
	s_delay_alu instid0(SALU_CYCLE_1)
	s_and_b32 vcc_lo, exec_lo, s3
	s_cbranch_vccnz .LBB5_194
; %bb.192:
	s_clause 0x1
	s_load_b96 s[4:6], s[0:1], 0x1c
	s_load_b96 s[8:10], s[0:1], 0xdc
	s_wait_kmcnt 0x0
	v_mul_hi_u32 v23, s5, v22
	s_delay_alu instid0(VALU_DEP_1) | instskip(NEXT) | instid1(VALU_DEP_1)
	v_add_nc_u32_e32 v23, v22, v23
	v_lshrrev_b32_e32 v23, s6, v23
	s_delay_alu instid0(VALU_DEP_1) | instskip(NEXT) | instid1(VALU_DEP_1)
	v_mul_lo_u32 v23, v23, s4
	v_sub_nc_u32_e32 v22, v22, v23
	s_delay_alu instid0(VALU_DEP_1)
	v_mad_u32 v16, v22, s8, v16
	v_mad_u32 v20, v22, s9, v20
	;; [unrolled: 1-line block ×3, first 2 shown]
	s_and_not1_b32 vcc_lo, exec_lo, s2
	s_cbranch_vccz .LBB5_195
	s_branch .LBB5_198
.LBB5_193:
	s_mov_b32 s2, -1
                                        ; implicit-def: $vgpr19
                                        ; implicit-def: $vgpr20
                                        ; implicit-def: $vgpr16
.LBB5_194:
	s_delay_alu instid0(SALU_CYCLE_1)
	s_and_not1_b32 vcc_lo, exec_lo, s2
	s_cbranch_vccnz .LBB5_198
.LBB5_195:
	s_clause 0x1
	s_load_b96 s[0:2], s[12:13], 0x4
	s_load_b96 s[4:6], s[12:13], 0xc4
	s_cmp_lt_u32 s26, 2
	s_wait_kmcnt 0x0
	v_mul_hi_u32 v16, s1, v21
	s_delay_alu instid0(VALU_DEP_1) | instskip(NEXT) | instid1(VALU_DEP_1)
	v_add_nc_u32_e32 v16, v21, v16
	v_lshrrev_b32_e32 v22, s2, v16
	s_delay_alu instid0(VALU_DEP_1) | instskip(NEXT) | instid1(VALU_DEP_1)
	v_mul_lo_u32 v16, v22, s0
	v_sub_nc_u32_e32 v20, v21, v16
	s_delay_alu instid0(VALU_DEP_1)
	v_mul_lo_u32 v16, v20, s4
	v_mul_lo_u32 v19, v20, s6
	;; [unrolled: 1-line block ×3, first 2 shown]
	s_cbranch_scc1 .LBB5_198
; %bb.196:
	s_clause 0x1
	s_load_b96 s[0:2], s[12:13], 0x10
	s_load_b96 s[4:6], s[12:13], 0xd0
	s_wait_kmcnt 0x0
	v_mul_hi_u32 v21, s1, v22
	s_delay_alu instid0(VALU_DEP_1) | instskip(NEXT) | instid1(VALU_DEP_1)
	v_add_nc_u32_e32 v21, v22, v21
	v_lshrrev_b32_e32 v21, s2, v21
	s_delay_alu instid0(VALU_DEP_1) | instskip(NEXT) | instid1(VALU_DEP_1)
	v_mul_lo_u32 v21, v21, s0
	v_sub_nc_u32_e32 v21, v22, v21
	s_delay_alu instid0(VALU_DEP_1)
	v_mad_u32 v16, v21, s4, v16
	v_mad_u32 v20, v21, s5, v20
	;; [unrolled: 1-line block ×3, first 2 shown]
	s_branch .LBB5_198
.LBB5_197:
	v_dual_mov_b32 v19, 0 :: v_dual_mov_b32 v20, 0
	v_mov_b32_e32 v16, 0
	s_and_not1_b32 vcc_lo, exec_lo, s2
	s_cbranch_vccz .LBB5_195
.LBB5_198:
	v_cmp_ne_u32_e32 vcc_lo, 1, v9
	v_add_nc_u32_e32 v23, 0x300, v0
	s_cbranch_vccnz .LBB5_204
; %bb.199:
	s_cmp_lg_u32 s26, 0
	s_mov_b32 s2, 0
	s_cbranch_scc0 .LBB5_208
; %bb.200:
	s_min_u32 s3, s27, 15
	v_dual_mov_b32 v0, 0 :: v_dual_mov_b32 v24, v23
	v_dual_mov_b32 v22, 0 :: v_dual_mov_b32 v21, 0
	s_add_co_i32 s4, s3, 1
	s_mov_b64 s[0:1], 0xffffffffffffffe8
	s_and_b32 s4, s4, 30
	s_add_nc_u64 s[0:1], s[12:13], s[0:1]
.LBB5_201:                              ; =>This Inner Loop Header: Depth=1
	s_clause 0x1
	s_load_b128 s[8:11], s[0:1], 0x1c
	s_load_b64 s[6:7], s[0:1], 0x2c
	s_add_co_i32 s4, s4, -2
	s_delay_alu instid0(SALU_CYCLE_1) | instskip(SKIP_2) | instid1(VALU_DEP_1)
	s_cmp_lg_u32 s4, 0
	s_wait_kmcnt 0x0
	v_mul_hi_u32 v25, s9, v24
	v_add_nc_u32_e32 v25, v24, v25
	s_delay_alu instid0(VALU_DEP_1) | instskip(NEXT) | instid1(VALU_DEP_1)
	v_lshrrev_b32_e32 v25, s10, v25
	v_mul_hi_u32 v26, s6, v25
	v_mul_lo_u32 v27, v25, s8
	s_clause 0x1
	s_load_b128 s[16:19], s[0:1], 0xdc
	s_load_b64 s[8:9], s[0:1], 0xec
	s_wait_xcnt 0x0
	s_add_nc_u64 s[0:1], s[0:1], 24
	s_delay_alu instid0(VALU_DEP_1) | instskip(NEXT) | instid1(VALU_DEP_1)
	v_dual_add_nc_u32 v26, v25, v26 :: v_dual_sub_nc_u32 v27, v24, v27
	v_lshrrev_b32_e32 v24, s7, v26
	s_wait_kmcnt 0x0
	s_delay_alu instid0(VALU_DEP_2) | instskip(NEXT) | instid1(VALU_DEP_2)
	v_mad_u32 v0, v27, s16, v0
	v_mul_lo_u32 v26, v24, s11
	v_mad_u32 v21, v27, s18, v21
	v_mad_u32 v22, v27, s17, v22
	s_delay_alu instid0(VALU_DEP_3) | instskip(NEXT) | instid1(VALU_DEP_1)
	v_sub_nc_u32_e32 v25, v25, v26
	v_mad_u32 v0, v25, s19, v0
	s_delay_alu instid0(VALU_DEP_4) | instskip(NEXT) | instid1(VALU_DEP_4)
	v_mad_u32 v21, v25, s9, v21
	v_mad_u32 v22, v25, s8, v22
	s_cbranch_scc1 .LBB5_201
; %bb.202:
	s_bitcmp1_b32 s3, 0
	s_cselect_b32 s3, -1, 0
	s_delay_alu instid0(SALU_CYCLE_1)
	s_and_b32 vcc_lo, exec_lo, s3
	s_cbranch_vccnz .LBB5_205
; %bb.203:
	s_clause 0x1
	s_load_b96 s[4:6], s[0:1], 0x1c
	s_load_b96 s[8:10], s[0:1], 0xdc
	s_wait_kmcnt 0x0
	v_mul_hi_u32 v25, s5, v24
	s_delay_alu instid0(VALU_DEP_1) | instskip(NEXT) | instid1(VALU_DEP_1)
	v_add_nc_u32_e32 v25, v24, v25
	v_lshrrev_b32_e32 v25, s6, v25
	s_delay_alu instid0(VALU_DEP_1) | instskip(NEXT) | instid1(VALU_DEP_1)
	v_mul_lo_u32 v25, v25, s4
	v_sub_nc_u32_e32 v24, v24, v25
	s_delay_alu instid0(VALU_DEP_1)
	v_mad_u32 v0, v24, s8, v0
	v_mad_u32 v22, v24, s9, v22
	;; [unrolled: 1-line block ×3, first 2 shown]
	s_and_not1_b32 vcc_lo, exec_lo, s2
	s_cbranch_vccz .LBB5_206
	s_branch .LBB5_209
.LBB5_204:
	s_mov_b32 s2, -1
                                        ; implicit-def: $vgpr21
                                        ; implicit-def: $vgpr22
                                        ; implicit-def: $vgpr0
.LBB5_205:
	s_delay_alu instid0(SALU_CYCLE_1)
	s_and_not1_b32 vcc_lo, exec_lo, s2
	s_cbranch_vccnz .LBB5_209
.LBB5_206:
	s_clause 0x1
	s_load_b96 s[0:2], s[12:13], 0x4
	s_load_b96 s[4:6], s[12:13], 0xc4
	s_cmp_lt_u32 s26, 2
	s_wait_kmcnt 0x0
	v_mul_hi_u32 v0, s1, v23
	s_delay_alu instid0(VALU_DEP_1) | instskip(NEXT) | instid1(VALU_DEP_1)
	v_add_nc_u32_e32 v0, v23, v0
	v_lshrrev_b32_e32 v24, s2, v0
	s_delay_alu instid0(VALU_DEP_1) | instskip(NEXT) | instid1(VALU_DEP_1)
	v_mul_lo_u32 v0, v24, s0
	v_sub_nc_u32_e32 v22, v23, v0
	s_delay_alu instid0(VALU_DEP_1)
	v_mul_lo_u32 v0, v22, s4
	v_mul_lo_u32 v21, v22, s6
	;; [unrolled: 1-line block ×3, first 2 shown]
	s_cbranch_scc1 .LBB5_209
; %bb.207:
	s_clause 0x1
	s_load_b96 s[0:2], s[12:13], 0x10
	s_load_b96 s[4:6], s[12:13], 0xd0
	s_wait_kmcnt 0x0
	v_mul_hi_u32 v23, s1, v24
	s_delay_alu instid0(VALU_DEP_1) | instskip(NEXT) | instid1(VALU_DEP_1)
	v_add_nc_u32_e32 v23, v24, v23
	v_lshrrev_b32_e32 v23, s2, v23
	s_delay_alu instid0(VALU_DEP_1) | instskip(NEXT) | instid1(VALU_DEP_1)
	v_mul_lo_u32 v23, v23, s0
	v_sub_nc_u32_e32 v23, v24, v23
	s_delay_alu instid0(VALU_DEP_1)
	v_mad_u32 v0, v23, s4, v0
	v_mad_u32 v22, v23, s5, v22
	;; [unrolled: 1-line block ×3, first 2 shown]
	s_branch .LBB5_209
.LBB5_208:
	v_dual_mov_b32 v21, 0 :: v_dual_mov_b32 v22, 0
	v_mov_b32_e32 v0, 0
	s_and_not1_b32 vcc_lo, exec_lo, s2
	s_cbranch_vccz .LBB5_206
.LBB5_209:
	v_cmp_ne_u32_e32 vcc_lo, 1, v9
	s_cbranch_vccnz .LBB5_215
; %bb.210:
	s_cmp_lg_u32 s26, 0
	s_mov_b32 s2, 0
	s_cbranch_scc0 .LBB5_219
; %bb.211:
	s_min_u32 s3, s27, 15
	v_dual_mov_b32 v9, 0 :: v_dual_mov_b32 v25, v4
	v_dual_mov_b32 v23, 0 :: v_dual_mov_b32 v24, 0
	s_add_co_i32 s4, s3, 1
	s_mov_b64 s[0:1], 0xffffffffffffffe8
	s_and_b32 s4, s4, 30
	s_add_nc_u64 s[0:1], s[12:13], s[0:1]
.LBB5_212:                              ; =>This Inner Loop Header: Depth=1
	s_clause 0x1
	s_load_b128 s[8:11], s[0:1], 0x1c
	s_load_b64 s[6:7], s[0:1], 0x2c
	s_add_co_i32 s4, s4, -2
	s_delay_alu instid0(SALU_CYCLE_1) | instskip(SKIP_2) | instid1(VALU_DEP_1)
	s_cmp_lg_u32 s4, 0
	s_wait_kmcnt 0x0
	v_mul_hi_u32 v26, s9, v25
	v_add_nc_u32_e32 v26, v25, v26
	s_delay_alu instid0(VALU_DEP_1) | instskip(NEXT) | instid1(VALU_DEP_1)
	v_lshrrev_b32_e32 v26, s10, v26
	v_mul_hi_u32 v27, s6, v26
	v_mul_lo_u32 v28, v26, s8
	s_clause 0x1
	s_load_b128 s[16:19], s[0:1], 0xdc
	s_load_b64 s[8:9], s[0:1], 0xec
	s_wait_xcnt 0x0
	s_add_nc_u64 s[0:1], s[0:1], 24
	s_delay_alu instid0(VALU_DEP_1) | instskip(NEXT) | instid1(VALU_DEP_1)
	v_dual_add_nc_u32 v27, v26, v27 :: v_dual_sub_nc_u32 v28, v25, v28
	v_lshrrev_b32_e32 v25, s7, v27
	s_wait_kmcnt 0x0
	s_delay_alu instid0(VALU_DEP_2) | instskip(NEXT) | instid1(VALU_DEP_2)
	v_mad_u32 v9, v28, s16, v9
	v_mul_lo_u32 v27, v25, s11
	v_mad_u32 v24, v28, s18, v24
	v_mad_u32 v23, v28, s17, v23
	s_delay_alu instid0(VALU_DEP_3) | instskip(NEXT) | instid1(VALU_DEP_1)
	v_sub_nc_u32_e32 v26, v26, v27
	v_mad_u32 v9, v26, s19, v9
	s_delay_alu instid0(VALU_DEP_4) | instskip(NEXT) | instid1(VALU_DEP_4)
	v_mad_u32 v24, v26, s9, v24
	v_mad_u32 v23, v26, s8, v23
	s_cbranch_scc1 .LBB5_212
; %bb.213:
	s_bitcmp1_b32 s3, 0
	s_cselect_b32 s3, -1, 0
	s_delay_alu instid0(SALU_CYCLE_1)
	s_and_b32 vcc_lo, exec_lo, s3
	s_cbranch_vccnz .LBB5_216
; %bb.214:
	s_clause 0x1
	s_load_b96 s[4:6], s[0:1], 0x1c
	s_load_b96 s[8:10], s[0:1], 0xdc
	s_wait_kmcnt 0x0
	v_mul_hi_u32 v26, s5, v25
	s_delay_alu instid0(VALU_DEP_1) | instskip(NEXT) | instid1(VALU_DEP_1)
	v_add_nc_u32_e32 v26, v25, v26
	v_lshrrev_b32_e32 v26, s6, v26
	s_delay_alu instid0(VALU_DEP_1) | instskip(NEXT) | instid1(VALU_DEP_1)
	v_mul_lo_u32 v26, v26, s4
	v_sub_nc_u32_e32 v25, v25, v26
	s_delay_alu instid0(VALU_DEP_1)
	v_mad_u32 v9, v25, s8, v9
	v_mad_u32 v23, v25, s9, v23
	;; [unrolled: 1-line block ×3, first 2 shown]
	s_and_not1_b32 vcc_lo, exec_lo, s2
	s_cbranch_vccz .LBB5_217
	s_branch .LBB5_220
.LBB5_215:
	s_mov_b32 s2, -1
                                        ; implicit-def: $vgpr24
                                        ; implicit-def: $vgpr23
                                        ; implicit-def: $vgpr9
.LBB5_216:
	s_delay_alu instid0(SALU_CYCLE_1)
	s_and_not1_b32 vcc_lo, exec_lo, s2
	s_cbranch_vccnz .LBB5_220
.LBB5_217:
	s_clause 0x1
	s_load_b96 s[0:2], s[12:13], 0x4
	s_load_b96 s[4:6], s[12:13], 0xc4
	s_cmp_lt_u32 s26, 2
	s_wait_kmcnt 0x0
	v_mul_hi_u32 v9, s1, v4
	s_delay_alu instid0(VALU_DEP_1) | instskip(NEXT) | instid1(VALU_DEP_1)
	v_add_nc_u32_e32 v9, v4, v9
	v_lshrrev_b32_e32 v25, s2, v9
	s_delay_alu instid0(VALU_DEP_1) | instskip(NEXT) | instid1(VALU_DEP_1)
	v_mul_lo_u32 v9, v25, s0
	v_sub_nc_u32_e32 v4, v4, v9
	s_delay_alu instid0(VALU_DEP_1)
	v_mul_lo_u32 v9, v4, s4
	v_mul_lo_u32 v24, v4, s6
	;; [unrolled: 1-line block ×3, first 2 shown]
	s_cbranch_scc1 .LBB5_220
; %bb.218:
	s_clause 0x1
	s_load_b96 s[0:2], s[12:13], 0x10
	s_load_b96 s[4:6], s[12:13], 0xd0
	s_wait_kmcnt 0x0
	v_mul_hi_u32 v4, s1, v25
	s_delay_alu instid0(VALU_DEP_1) | instskip(NEXT) | instid1(VALU_DEP_1)
	v_add_nc_u32_e32 v4, v25, v4
	v_lshrrev_b32_e32 v4, s2, v4
	s_delay_alu instid0(VALU_DEP_1) | instskip(NEXT) | instid1(VALU_DEP_1)
	v_mul_lo_u32 v4, v4, s0
	v_sub_nc_u32_e32 v4, v25, v4
	s_delay_alu instid0(VALU_DEP_1)
	v_mad_u32 v9, v4, s4, v9
	v_mad_u32 v23, v4, s5, v23
	;; [unrolled: 1-line block ×3, first 2 shown]
	s_branch .LBB5_220
.LBB5_219:
	v_dual_mov_b32 v24, 0 :: v_dual_mov_b32 v23, 0
	v_mov_b32_e32 v9, 0
	s_and_not1_b32 vcc_lo, exec_lo, s2
	s_cbranch_vccz .LBB5_217
.LBB5_220:
	s_clause 0x1
	s_load_b128 s[0:3], s[12:13], 0x188
	s_load_b64 s[4:5], s[12:13], 0x198
	s_mov_b32 s7, 0
	s_mov_b32 s6, exec_lo
	s_wait_kmcnt 0x0
	global_load_u8 v25, v6, s[2:3]
	global_load_u8 v4, v5, s[4:5]
	s_wait_loadcnt 0x1
	s_wait_xcnt 0x0
	v_cmpx_ne_u16_e32 0, v25
	s_cbranch_execz .LBB5_223
.LBB5_221:                              ; =>This Inner Loop Header: Depth=1
	s_wait_loadcnt 0x0
	v_cvt_f32_ubyte0_e32 v26, v4
	v_mov_b32_e32 v5, v25
	s_delay_alu instid0(VALU_DEP_1) | instskip(NEXT) | instid1(VALU_DEP_1)
	v_cvt_f32_ubyte0_e32 v6, v5
	v_rcp_iflag_f32_e32 v25, v6
	v_nop
	s_delay_alu instid0(TRANS32_DEP_1) | instskip(NEXT) | instid1(VALU_DEP_1)
	v_mul_f32_e32 v25, v26, v25
	v_trunc_f32_e32 v25, v25
	s_delay_alu instid0(VALU_DEP_1) | instskip(SKIP_1) | instid1(VALU_DEP_2)
	v_fma_f32 v26, -v25, v6, v26
	v_cvt_u32_f32_e32 v25, v25
	v_cmp_ge_f32_e64 vcc_lo, |v26|, v6
	s_delay_alu instid0(VALU_DEP_1) | instskip(NEXT) | instid1(VALU_DEP_1)
	v_add_co_ci_u32_e64 v6, null, 0, v25, vcc_lo
	v_mul_lo_u32 v6, v6, v5
	s_delay_alu instid0(VALU_DEP_1) | instskip(NEXT) | instid1(VALU_DEP_1)
	v_sub_nc_u32_e32 v4, v4, v6
	v_and_b32_e32 v25, 0xff, v4
	v_mov_b32_e32 v4, v5
	s_delay_alu instid0(VALU_DEP_2) | instskip(SKIP_1) | instid1(SALU_CYCLE_1)
	v_cmp_eq_u16_e32 vcc_lo, 0, v25
	s_or_b32 s7, vcc_lo, s7
	s_and_not1_b32 exec_lo, exec_lo, s7
	s_cbranch_execnz .LBB5_221
; %bb.222:
	s_or_b32 exec_lo, exec_lo, s7
	v_mov_b32_e32 v4, v5
.LBB5_223:
	s_or_b32 exec_lo, exec_lo, s6
	global_load_u8 v6, v8, s[2:3]
	global_load_u8 v5, v7, s[4:5]
	s_mov_b32 s7, 0
	s_mov_b32 s6, exec_lo
	s_wait_loadcnt 0x1
	s_wait_xcnt 0x0
	v_cmpx_ne_u16_e32 0, v6
	s_cbranch_execz .LBB5_226
.LBB5_224:                              ; =>This Inner Loop Header: Depth=1
	s_wait_loadcnt 0x0
	v_cvt_f32_ubyte0_e32 v25, v5
	v_mov_b32_e32 v7, v6
	s_delay_alu instid0(VALU_DEP_1) | instskip(NEXT) | instid1(VALU_DEP_1)
	v_cvt_f32_ubyte0_e32 v6, v7
	v_rcp_iflag_f32_e32 v8, v6
	v_nop
	s_delay_alu instid0(TRANS32_DEP_1) | instskip(NEXT) | instid1(VALU_DEP_1)
	v_mul_f32_e32 v8, v25, v8
	v_trunc_f32_e32 v8, v8
	s_delay_alu instid0(VALU_DEP_1) | instskip(SKIP_1) | instid1(VALU_DEP_2)
	v_fma_f32 v25, -v8, v6, v25
	v_cvt_u32_f32_e32 v8, v8
	v_cmp_ge_f32_e64 vcc_lo, |v25|, v6
	s_delay_alu instid0(VALU_DEP_1) | instskip(NEXT) | instid1(VALU_DEP_1)
	v_add_co_ci_u32_e64 v6, null, 0, v8, vcc_lo
	v_mul_lo_u32 v6, v6, v7
	s_delay_alu instid0(VALU_DEP_1) | instskip(NEXT) | instid1(VALU_DEP_1)
	v_sub_nc_u32_e32 v5, v5, v6
	v_and_b32_e32 v6, 0xff, v5
	v_mov_b32_e32 v5, v7
	s_delay_alu instid0(VALU_DEP_2) | instskip(SKIP_1) | instid1(SALU_CYCLE_1)
	v_cmp_eq_u16_e32 vcc_lo, 0, v6
	s_or_b32 s7, vcc_lo, s7
	s_and_not1_b32 exec_lo, exec_lo, s7
	s_cbranch_execnz .LBB5_224
; %bb.225:
	s_or_b32 exec_lo, exec_lo, s7
	v_mov_b32_e32 v5, v7
.LBB5_226:
	s_or_b32 exec_lo, exec_lo, s6
	global_load_u8 v7, v12, s[2:3]
	global_load_u8 v6, v11, s[4:5]
	s_mov_b32 s7, 0
	s_mov_b32 s6, exec_lo
	;; [unrolled: 40-line block ×6, first 2 shown]
	s_wait_loadcnt 0x1
	s_wait_xcnt 0x0
	v_cmpx_ne_u16_e32 0, v14
	s_cbranch_execz .LBB5_241
.LBB5_239:                              ; =>This Inner Loop Header: Depth=1
	s_wait_loadcnt 0x0
	v_cvt_f32_ubyte0_e32 v18, v12
	v_mov_b32_e32 v15, v14
	s_delay_alu instid0(VALU_DEP_1) | instskip(NEXT) | instid1(VALU_DEP_1)
	v_cvt_f32_ubyte0_e32 v14, v15
	v_rcp_iflag_f32_e32 v17, v14
	v_nop
	s_delay_alu instid0(TRANS32_DEP_1) | instskip(NEXT) | instid1(VALU_DEP_1)
	v_mul_f32_e32 v17, v18, v17
	v_trunc_f32_e32 v17, v17
	s_delay_alu instid0(VALU_DEP_1) | instskip(SKIP_1) | instid1(VALU_DEP_2)
	v_fma_f32 v18, -v17, v14, v18
	v_cvt_u32_f32_e32 v17, v17
	v_cmp_ge_f32_e64 vcc_lo, |v18|, v14
	s_delay_alu instid0(VALU_DEP_1) | instskip(NEXT) | instid1(VALU_DEP_1)
	v_add_co_ci_u32_e64 v14, null, 0, v17, vcc_lo
	v_mul_lo_u32 v14, v14, v15
	s_delay_alu instid0(VALU_DEP_1) | instskip(NEXT) | instid1(VALU_DEP_1)
	v_sub_nc_u32_e32 v12, v12, v14
	v_and_b32_e32 v14, 0xff, v12
	v_mov_b32_e32 v12, v15
	s_delay_alu instid0(VALU_DEP_2) | instskip(SKIP_1) | instid1(SALU_CYCLE_1)
	v_cmp_eq_u16_e32 vcc_lo, 0, v14
	s_or_b32 s7, vcc_lo, s7
	s_and_not1_b32 exec_lo, exec_lo, s7
	s_cbranch_execnz .LBB5_239
; %bb.240:
	s_or_b32 exec_lo, exec_lo, s7
	v_mov_b32_e32 v12, v15
.LBB5_241:
	s_or_b32 exec_lo, exec_lo, s6
	global_load_u8 v15, v23, s[2:3]
	global_load_u8 v14, v24, s[4:5]
	s_wait_xcnt 0x1
	s_mov_b32 s3, 0
	s_mov_b32 s2, exec_lo
	s_wait_loadcnt 0x1
	s_wait_xcnt 0x0
	v_cmpx_ne_u16_e32 0, v15
	s_cbranch_execz .LBB5_244
.LBB5_242:                              ; =>This Inner Loop Header: Depth=1
	s_wait_loadcnt 0x0
	v_cvt_f32_ubyte0_e32 v19, v14
	v_mov_b32_e32 v17, v15
	s_delay_alu instid0(VALU_DEP_1) | instskip(NEXT) | instid1(VALU_DEP_1)
	v_cvt_f32_ubyte0_e32 v15, v17
	v_rcp_iflag_f32_e32 v18, v15
	v_nop
	s_delay_alu instid0(TRANS32_DEP_1) | instskip(NEXT) | instid1(VALU_DEP_1)
	v_mul_f32_e32 v18, v19, v18
	v_trunc_f32_e32 v18, v18
	s_delay_alu instid0(VALU_DEP_1) | instskip(SKIP_1) | instid1(VALU_DEP_2)
	v_fma_f32 v19, -v18, v15, v19
	v_cvt_u32_f32_e32 v18, v18
	v_cmp_ge_f32_e64 vcc_lo, |v19|, v15
	s_delay_alu instid0(VALU_DEP_1) | instskip(NEXT) | instid1(VALU_DEP_1)
	v_add_co_ci_u32_e64 v15, null, 0, v18, vcc_lo
	v_mul_lo_u32 v15, v15, v17
	s_delay_alu instid0(VALU_DEP_1) | instskip(NEXT) | instid1(VALU_DEP_1)
	v_sub_nc_u32_e32 v14, v14, v15
	v_and_b32_e32 v15, 0xff, v14
	v_mov_b32_e32 v14, v17
	s_delay_alu instid0(VALU_DEP_2) | instskip(SKIP_1) | instid1(SALU_CYCLE_1)
	v_cmp_eq_u16_e32 vcc_lo, 0, v15
	s_or_b32 s3, vcc_lo, s3
	s_and_not1_b32 exec_lo, exec_lo, s3
	s_cbranch_execnz .LBB5_242
; %bb.243:
	s_or_b32 exec_lo, exec_lo, s3
	v_mov_b32_e32 v14, v17
.LBB5_244:
	s_or_b32 exec_lo, exec_lo, s2
	s_clause 0x6
	global_store_b8 v1, v4, s[0:1]
	global_store_b8 v2, v5, s[0:1]
	;; [unrolled: 1-line block ×7, first 2 shown]
	s_wait_loadcnt 0x0
	global_store_b8 v9, v14, s[0:1]
	s_endpgm
	.section	.rodata,"a",@progbits
	.p2align	6, 0x0
	.amdhsa_kernel _ZN2at6native32elementwise_kernel_manual_unrollILi128ELi8EZNS0_22gpu_kernel_impl_nocastIZZZNS0_15gcd_kernel_cudaERNS_18TensorIteratorBaseEENKUlvE_clEvENKUlvE_clEvEUlhhE_EEvS4_RKT_EUlibE_EEviT1_
		.amdhsa_group_segment_fixed_size 0
		.amdhsa_private_segment_fixed_size 0
		.amdhsa_kernarg_size 432
		.amdhsa_user_sgpr_count 2
		.amdhsa_user_sgpr_dispatch_ptr 0
		.amdhsa_user_sgpr_queue_ptr 0
		.amdhsa_user_sgpr_kernarg_segment_ptr 1
		.amdhsa_user_sgpr_dispatch_id 0
		.amdhsa_user_sgpr_kernarg_preload_length 0
		.amdhsa_user_sgpr_kernarg_preload_offset 0
		.amdhsa_user_sgpr_private_segment_size 0
		.amdhsa_wavefront_size32 1
		.amdhsa_uses_dynamic_stack 0
		.amdhsa_enable_private_segment 0
		.amdhsa_system_sgpr_workgroup_id_x 1
		.amdhsa_system_sgpr_workgroup_id_y 0
		.amdhsa_system_sgpr_workgroup_id_z 0
		.amdhsa_system_sgpr_workgroup_info 0
		.amdhsa_system_vgpr_workitem_id 0
		.amdhsa_next_free_vgpr 29
		.amdhsa_next_free_sgpr 46
		.amdhsa_named_barrier_count 0
		.amdhsa_reserve_vcc 1
		.amdhsa_float_round_mode_32 0
		.amdhsa_float_round_mode_16_64 0
		.amdhsa_float_denorm_mode_32 3
		.amdhsa_float_denorm_mode_16_64 3
		.amdhsa_fp16_overflow 0
		.amdhsa_memory_ordered 1
		.amdhsa_forward_progress 1
		.amdhsa_inst_pref_size 102
		.amdhsa_round_robin_scheduling 0
		.amdhsa_exception_fp_ieee_invalid_op 0
		.amdhsa_exception_fp_denorm_src 0
		.amdhsa_exception_fp_ieee_div_zero 0
		.amdhsa_exception_fp_ieee_overflow 0
		.amdhsa_exception_fp_ieee_underflow 0
		.amdhsa_exception_fp_ieee_inexact 0
		.amdhsa_exception_int_div_zero 0
	.end_amdhsa_kernel
	.section	.text._ZN2at6native32elementwise_kernel_manual_unrollILi128ELi8EZNS0_22gpu_kernel_impl_nocastIZZZNS0_15gcd_kernel_cudaERNS_18TensorIteratorBaseEENKUlvE_clEvENKUlvE_clEvEUlhhE_EEvS4_RKT_EUlibE_EEviT1_,"axG",@progbits,_ZN2at6native32elementwise_kernel_manual_unrollILi128ELi8EZNS0_22gpu_kernel_impl_nocastIZZZNS0_15gcd_kernel_cudaERNS_18TensorIteratorBaseEENKUlvE_clEvENKUlvE_clEvEUlhhE_EEvS4_RKT_EUlibE_EEviT1_,comdat
.Lfunc_end5:
	.size	_ZN2at6native32elementwise_kernel_manual_unrollILi128ELi8EZNS0_22gpu_kernel_impl_nocastIZZZNS0_15gcd_kernel_cudaERNS_18TensorIteratorBaseEENKUlvE_clEvENKUlvE_clEvEUlhhE_EEvS4_RKT_EUlibE_EEviT1_, .Lfunc_end5-_ZN2at6native32elementwise_kernel_manual_unrollILi128ELi8EZNS0_22gpu_kernel_impl_nocastIZZZNS0_15gcd_kernel_cudaERNS_18TensorIteratorBaseEENKUlvE_clEvENKUlvE_clEvEUlhhE_EEvS4_RKT_EUlibE_EEviT1_
                                        ; -- End function
	.set _ZN2at6native32elementwise_kernel_manual_unrollILi128ELi8EZNS0_22gpu_kernel_impl_nocastIZZZNS0_15gcd_kernel_cudaERNS_18TensorIteratorBaseEENKUlvE_clEvENKUlvE_clEvEUlhhE_EEvS4_RKT_EUlibE_EEviT1_.num_vgpr, 29
	.set _ZN2at6native32elementwise_kernel_manual_unrollILi128ELi8EZNS0_22gpu_kernel_impl_nocastIZZZNS0_15gcd_kernel_cudaERNS_18TensorIteratorBaseEENKUlvE_clEvENKUlvE_clEvEUlhhE_EEvS4_RKT_EUlibE_EEviT1_.num_agpr, 0
	.set _ZN2at6native32elementwise_kernel_manual_unrollILi128ELi8EZNS0_22gpu_kernel_impl_nocastIZZZNS0_15gcd_kernel_cudaERNS_18TensorIteratorBaseEENKUlvE_clEvENKUlvE_clEvEUlhhE_EEvS4_RKT_EUlibE_EEviT1_.numbered_sgpr, 46
	.set _ZN2at6native32elementwise_kernel_manual_unrollILi128ELi8EZNS0_22gpu_kernel_impl_nocastIZZZNS0_15gcd_kernel_cudaERNS_18TensorIteratorBaseEENKUlvE_clEvENKUlvE_clEvEUlhhE_EEvS4_RKT_EUlibE_EEviT1_.num_named_barrier, 0
	.set _ZN2at6native32elementwise_kernel_manual_unrollILi128ELi8EZNS0_22gpu_kernel_impl_nocastIZZZNS0_15gcd_kernel_cudaERNS_18TensorIteratorBaseEENKUlvE_clEvENKUlvE_clEvEUlhhE_EEvS4_RKT_EUlibE_EEviT1_.private_seg_size, 0
	.set _ZN2at6native32elementwise_kernel_manual_unrollILi128ELi8EZNS0_22gpu_kernel_impl_nocastIZZZNS0_15gcd_kernel_cudaERNS_18TensorIteratorBaseEENKUlvE_clEvENKUlvE_clEvEUlhhE_EEvS4_RKT_EUlibE_EEviT1_.uses_vcc, 1
	.set _ZN2at6native32elementwise_kernel_manual_unrollILi128ELi8EZNS0_22gpu_kernel_impl_nocastIZZZNS0_15gcd_kernel_cudaERNS_18TensorIteratorBaseEENKUlvE_clEvENKUlvE_clEvEUlhhE_EEvS4_RKT_EUlibE_EEviT1_.uses_flat_scratch, 0
	.set _ZN2at6native32elementwise_kernel_manual_unrollILi128ELi8EZNS0_22gpu_kernel_impl_nocastIZZZNS0_15gcd_kernel_cudaERNS_18TensorIteratorBaseEENKUlvE_clEvENKUlvE_clEvEUlhhE_EEvS4_RKT_EUlibE_EEviT1_.has_dyn_sized_stack, 0
	.set _ZN2at6native32elementwise_kernel_manual_unrollILi128ELi8EZNS0_22gpu_kernel_impl_nocastIZZZNS0_15gcd_kernel_cudaERNS_18TensorIteratorBaseEENKUlvE_clEvENKUlvE_clEvEUlhhE_EEvS4_RKT_EUlibE_EEviT1_.has_recursion, 0
	.set _ZN2at6native32elementwise_kernel_manual_unrollILi128ELi8EZNS0_22gpu_kernel_impl_nocastIZZZNS0_15gcd_kernel_cudaERNS_18TensorIteratorBaseEENKUlvE_clEvENKUlvE_clEvEUlhhE_EEvS4_RKT_EUlibE_EEviT1_.has_indirect_call, 0
	.section	.AMDGPU.csdata,"",@progbits
; Kernel info:
; codeLenInByte = 12964
; TotalNumSgprs: 48
; NumVgprs: 29
; ScratchSize: 0
; MemoryBound: 0
; FloatMode: 240
; IeeeMode: 1
; LDSByteSize: 0 bytes/workgroup (compile time only)
; SGPRBlocks: 0
; VGPRBlocks: 1
; NumSGPRsForWavesPerEU: 48
; NumVGPRsForWavesPerEU: 29
; NamedBarCnt: 0
; Occupancy: 16
; WaveLimiterHint : 1
; COMPUTE_PGM_RSRC2:SCRATCH_EN: 0
; COMPUTE_PGM_RSRC2:USER_SGPR: 2
; COMPUTE_PGM_RSRC2:TRAP_HANDLER: 0
; COMPUTE_PGM_RSRC2:TGID_X_EN: 1
; COMPUTE_PGM_RSRC2:TGID_Y_EN: 0
; COMPUTE_PGM_RSRC2:TGID_Z_EN: 0
; COMPUTE_PGM_RSRC2:TIDIG_COMP_CNT: 0
	.section	.text._ZN2at6native32elementwise_kernel_manual_unrollILi128ELi4EZNS0_15gpu_kernel_implIZZZNS0_15gcd_kernel_cudaERNS_18TensorIteratorBaseEENKUlvE_clEvENKUlvE_clEvEUlhhE_EEvS4_RKT_EUlibE_EEviT1_,"axG",@progbits,_ZN2at6native32elementwise_kernel_manual_unrollILi128ELi4EZNS0_15gpu_kernel_implIZZZNS0_15gcd_kernel_cudaERNS_18TensorIteratorBaseEENKUlvE_clEvENKUlvE_clEvEUlhhE_EEvS4_RKT_EUlibE_EEviT1_,comdat
	.globl	_ZN2at6native32elementwise_kernel_manual_unrollILi128ELi4EZNS0_15gpu_kernel_implIZZZNS0_15gcd_kernel_cudaERNS_18TensorIteratorBaseEENKUlvE_clEvENKUlvE_clEvEUlhhE_EEvS4_RKT_EUlibE_EEviT1_ ; -- Begin function _ZN2at6native32elementwise_kernel_manual_unrollILi128ELi4EZNS0_15gpu_kernel_implIZZZNS0_15gcd_kernel_cudaERNS_18TensorIteratorBaseEENKUlvE_clEvENKUlvE_clEvEUlhhE_EEvS4_RKT_EUlibE_EEviT1_
	.p2align	8
	.type	_ZN2at6native32elementwise_kernel_manual_unrollILi128ELi4EZNS0_15gpu_kernel_implIZZZNS0_15gcd_kernel_cudaERNS_18TensorIteratorBaseEENKUlvE_clEvENKUlvE_clEvEUlhhE_EEvS4_RKT_EUlibE_EEviT1_,@function
_ZN2at6native32elementwise_kernel_manual_unrollILi128ELi4EZNS0_15gpu_kernel_implIZZZNS0_15gcd_kernel_cudaERNS_18TensorIteratorBaseEENKUlvE_clEvENKUlvE_clEvEUlhhE_EEvS4_RKT_EUlibE_EEviT1_: ; @_ZN2at6native32elementwise_kernel_manual_unrollILi128ELi4EZNS0_15gpu_kernel_implIZZZNS0_15gcd_kernel_cudaERNS_18TensorIteratorBaseEENKUlvE_clEvENKUlvE_clEvEUlhhE_EEvS4_RKT_EUlibE_EEviT1_
; %bb.0:
	v_mov_b32_e32 v1, 0
	s_bfe_u32 s4, ttmp6, 0x4000c
	s_load_b32 s16, s[0:1], 0x0
	s_add_co_i32 s13, s4, 1
	s_load_b128 s[4:7], s[0:1], 0x8
	s_clause 0x1
	global_load_u16 v2, v1, s[0:1] offset:45
	global_load_i8 v3, v1, s[0:1] offset:47
	s_clause 0x1
	s_load_b64 s[2:3], s[0:1], 0x18
	s_load_b96 s[8:10], s[0:1], 0x20
	s_and_b32 s12, ttmp6, 15
	s_wait_xcnt 0x0
	s_mul_i32 s0, ttmp9, s13
	s_getreg_b32 s14, hwreg(HW_REG_IB_STS2, 6, 4)
	s_add_co_i32 s12, s12, s0
	s_mov_b32 s15, 0
	s_wait_loadcnt 0x1
	v_readfirstlane_b32 s11, v2
	s_wait_loadcnt 0x0
	v_readfirstlane_b32 s1, v3
	s_lshr_b32 s13, s11, 8
	s_cmp_eq_u32 s14, 0
	s_cselect_b32 s0, ttmp9, s12
	s_mov_b32 s12, 0
	v_lshl_or_b32 v14, s0, 9, v0
	s_mov_b32 s0, exec_lo
	s_delay_alu instid0(VALU_DEP_1) | instskip(SKIP_1) | instid1(VALU_DEP_1)
	v_or_b32_e32 v0, 0x180, v14
	s_wait_kmcnt 0x0
	v_cmpx_le_i32_e64 s16, v0
	s_xor_b32 s14, exec_lo, s0
	s_cbranch_execz .LBB6_1527
; %bb.1:
	s_mov_b32 s23, -1
	s_mov_b32 s20, 0
	s_mov_b32 s18, 0
	;; [unrolled: 1-line block ×3, first 2 shown]
	s_mov_b32 s19, exec_lo
	v_cmpx_gt_i32_e64 s16, v14
	s_cbranch_execz .LBB6_377
; %bb.2:
	v_mul_lo_u32 v0, v14, s9
	s_and_b32 s0, s13, 0xff
	s_delay_alu instid0(SALU_CYCLE_1) | instskip(NEXT) | instid1(VALU_DEP_1)
	s_cmp_lt_i32 s0, 11
	v_ashrrev_i32_e32 v1, 31, v0
	s_delay_alu instid0(VALU_DEP_1)
	v_add_nc_u64_e32 v[2:3], s[6:7], v[0:1]
	s_cbranch_scc1 .LBB6_9
; %bb.3:
	s_and_b32 s15, 0xffff, s0
	s_delay_alu instid0(SALU_CYCLE_1)
	s_cmp_gt_i32 s15, 25
	s_cbranch_scc0 .LBB6_18
; %bb.4:
	s_cmp_gt_i32 s15, 28
	s_cbranch_scc0 .LBB6_31
; %bb.5:
	s_cmp_gt_i32 s15, 43
	s_cbranch_scc0 .LBB6_34
; %bb.6:
	s_cmp_gt_i32 s15, 45
	s_cbranch_scc0 .LBB6_37
; %bb.7:
	s_cmp_eq_u32 s15, 46
	s_mov_b32 s21, 0
	s_cbranch_scc0 .LBB6_40
; %bb.8:
	global_load_b32 v0, v[2:3], off
	s_mov_b32 s17, -1
	s_wait_loadcnt 0x0
	v_lshlrev_b32_e32 v0, 16, v0
	s_delay_alu instid0(VALU_DEP_1) | instskip(NEXT) | instid1(VALU_DEP_1)
	v_trunc_f32_e32 v0, v0
	v_mul_f32_e64 v1, 0x2f800000, |v0|
	s_delay_alu instid0(VALU_DEP_1) | instskip(NEXT) | instid1(VALU_DEP_1)
	v_floor_f32_e32 v1, v1
	v_fma_f32 v1, 0xcf800000, v1, |v0|
	v_ashrrev_i32_e32 v0, 31, v0
	s_delay_alu instid0(VALU_DEP_2) | instskip(NEXT) | instid1(VALU_DEP_1)
	v_cvt_u32_f32_e32 v1, v1
	v_xor_b32_e32 v1, v1, v0
	s_delay_alu instid0(VALU_DEP_1)
	v_sub_nc_u32_e32 v0, v1, v0
	s_branch .LBB6_42
.LBB6_9:
                                        ; implicit-def: $vgpr0
	s_cbranch_execnz .LBB6_104
.LBB6_10:
	s_and_not1_b32 vcc_lo, exec_lo, s17
	s_cbranch_vccnz .LBB6_151
.LBB6_11:
	s_wait_xcnt 0x0
	v_mul_lo_u32 v2, v14, s10
	s_and_b32 s0, s1, 0xff
	s_delay_alu instid0(SALU_CYCLE_1) | instskip(NEXT) | instid1(VALU_DEP_1)
	s_cmp_lt_i32 s0, 11
	v_ashrrev_i32_e32 v3, 31, v2
	s_delay_alu instid0(VALU_DEP_1)
	v_add_nc_u64_e32 v[4:5], s[2:3], v[2:3]
	s_cbranch_scc1 .LBB6_19
; %bb.12:
	s_and_b32 s15, 0xffff, s0
	s_delay_alu instid0(SALU_CYCLE_1)
	s_cmp_gt_i32 s15, 25
	s_cbranch_scc0 .LBB6_32
; %bb.13:
	s_cmp_gt_i32 s15, 28
	s_cbranch_scc0 .LBB6_35
; %bb.14:
	;; [unrolled: 3-line block ×4, first 2 shown]
	s_cmp_eq_u32 s15, 46
	s_mov_b32 s22, 0
	s_cbranch_scc0 .LBB6_152
; %bb.17:
	s_wait_loadcnt 0x0
	global_load_b32 v1, v[4:5], off
	s_mov_b32 s21, -1
	s_mov_b32 s17, 0
	s_wait_loadcnt 0x0
	v_lshlrev_b32_e32 v1, 16, v1
	s_delay_alu instid0(VALU_DEP_1) | instskip(NEXT) | instid1(VALU_DEP_1)
	v_trunc_f32_e32 v1, v1
	v_mul_f32_e64 v2, 0x2f800000, |v1|
	s_delay_alu instid0(VALU_DEP_1) | instskip(NEXT) | instid1(VALU_DEP_1)
	v_floor_f32_e32 v2, v2
	v_fma_f32 v2, 0xcf800000, v2, |v1|
	v_ashrrev_i32_e32 v1, 31, v1
	s_delay_alu instid0(VALU_DEP_2) | instskip(NEXT) | instid1(VALU_DEP_1)
	v_cvt_u32_f32_e32 v2, v2
	v_xor_b32_e32 v2, v2, v1
	s_delay_alu instid0(VALU_DEP_1)
	v_sub_nc_u32_e32 v2, v2, v1
	s_branch .LBB6_154
.LBB6_18:
                                        ; implicit-def: $vgpr0
	s_cbranch_execnz .LBB6_71
	s_branch .LBB6_103
.LBB6_19:
	s_mov_b32 s17, 0
	s_mov_b32 s21, 0
                                        ; implicit-def: $vgpr2
	s_cbranch_execnz .LBB6_326
.LBB6_20:
	s_and_not1_b32 vcc_lo, exec_lo, s21
	s_cbranch_vccnz .LBB6_374
.LBB6_21:
	s_wait_loadcnt 0x0
	s_delay_alu instid0(VALU_DEP_4) | instskip(SKIP_2) | instid1(VALU_DEP_1)
	v_and_b32_e32 v1, 0xff, v0
	s_mov_b32 s15, 0
	s_mov_b32 s0, exec_lo
	v_cmpx_ne_u16_e32 0, v1
	s_cbranch_execz .LBB6_24
.LBB6_22:                               ; =>This Inner Loop Header: Depth=1
	s_delay_alu instid0(VALU_DEP_3) | instskip(SKIP_1) | instid1(VALU_DEP_1)
	v_cvt_f32_ubyte0_e32 v4, v2
	v_mov_b32_e32 v1, v0
	v_cvt_f32_ubyte0_e32 v0, v1
	s_delay_alu instid0(VALU_DEP_1) | instskip(SKIP_1) | instid1(TRANS32_DEP_1)
	v_rcp_iflag_f32_e32 v3, v0
	v_nop
	v_mul_f32_e32 v3, v4, v3
	s_delay_alu instid0(VALU_DEP_1) | instskip(NEXT) | instid1(VALU_DEP_1)
	v_trunc_f32_e32 v3, v3
	v_fma_f32 v4, -v3, v0, v4
	v_cvt_u32_f32_e32 v3, v3
	s_delay_alu instid0(VALU_DEP_2) | instskip(NEXT) | instid1(VALU_DEP_1)
	v_cmp_ge_f32_e64 vcc_lo, |v4|, v0
	v_add_co_ci_u32_e64 v0, null, 0, v3, vcc_lo
	s_delay_alu instid0(VALU_DEP_1) | instskip(NEXT) | instid1(VALU_DEP_1)
	v_mul_lo_u32 v0, v0, v1
	v_dual_sub_nc_u32 v0, v2, v0 :: v_dual_mov_b32 v2, v1
	s_delay_alu instid0(VALU_DEP_1) | instskip(NEXT) | instid1(VALU_DEP_1)
	v_and_b32_e32 v0, 0xff, v0
	v_cmp_eq_u16_e32 vcc_lo, 0, v0
	s_or_b32 s15, vcc_lo, s15
	s_delay_alu instid0(SALU_CYCLE_1)
	s_and_not1_b32 exec_lo, exec_lo, s15
	s_cbranch_execnz .LBB6_22
; %bb.23:
	s_or_b32 exec_lo, exec_lo, s15
	v_mov_b32_e32 v2, v1
.LBB6_24:
	s_or_b32 exec_lo, exec_lo, s0
	v_mul_lo_u32 v0, v14, s8
	s_and_b32 s15, s11, 0xff
	s_delay_alu instid0(SALU_CYCLE_1) | instskip(NEXT) | instid1(VALU_DEP_1)
	s_cmp_lt_i32 s15, 11
	v_ashrrev_i32_e32 v1, 31, v0
	s_delay_alu instid0(VALU_DEP_1)
	v_add_nc_u64_e32 v[0:1], s[4:5], v[0:1]
	s_cbranch_scc1 .LBB6_33
; %bb.25:
	s_and_b32 s21, 0xffff, s15
	s_delay_alu instid0(SALU_CYCLE_1)
	s_cmp_gt_i32 s21, 25
	s_cbranch_scc0 .LBB6_36
; %bb.26:
	s_cmp_gt_i32 s21, 28
	s_cbranch_scc0 .LBB6_39
; %bb.27:
	;; [unrolled: 3-line block ×4, first 2 shown]
	s_mov_b32 s23, 0
	s_mov_b32 s0, -1
	s_cmp_eq_u32 s21, 46
	s_mov_b32 s22, 0
	s_cbranch_scc0 .LBB6_158
; %bb.30:
	v_cvt_f32_ubyte0_e32 v3, v2
	s_mov_b32 s22, -1
	s_mov_b32 s0, 0
	s_delay_alu instid0(VALU_DEP_1) | instskip(NEXT) | instid1(VALU_DEP_1)
	v_bfe_u32 v4, v3, 16, 1
	v_add3_u32 v3, v3, v4, 0x7fff
	s_delay_alu instid0(VALU_DEP_1)
	v_lshrrev_b32_e32 v3, 16, v3
	global_store_b32 v[0:1], v3, off
	s_branch .LBB6_158
.LBB6_31:
	s_mov_b32 s21, -1
                                        ; implicit-def: $vgpr0
	s_branch .LBB6_54
.LBB6_32:
	s_mov_b32 s22, -1
	s_mov_b32 s17, 0
	s_mov_b32 s21, 0
                                        ; implicit-def: $vgpr2
	s_branch .LBB6_292
.LBB6_33:
	s_mov_b32 s21, -1
	s_mov_b32 s0, 0
	s_mov_b32 s22, 0
	s_branch .LBB6_227
.LBB6_34:
	s_mov_b32 s21, -1
                                        ; implicit-def: $vgpr0
	s_branch .LBB6_49
.LBB6_35:
	s_mov_b32 s22, -1
	s_mov_b32 s17, 0
	s_mov_b32 s21, 0
                                        ; implicit-def: $vgpr2
	s_branch .LBB6_275
.LBB6_36:
	s_mov_b32 s23, -1
	s_mov_b32 s0, 0
	s_mov_b32 s22, 0
	s_branch .LBB6_185
.LBB6_37:
	s_mov_b32 s21, -1
	s_branch .LBB6_41
.LBB6_38:
	s_mov_b32 s22, -1
	s_mov_b32 s17, 0
	s_mov_b32 s21, 0
                                        ; implicit-def: $vgpr2
	s_branch .LBB6_270
.LBB6_39:
	s_mov_b32 s23, -1
	s_mov_b32 s0, 0
	s_mov_b32 s22, 0
	s_branch .LBB6_168
.LBB6_40:
	s_mov_b32 s18, -1
.LBB6_41:
                                        ; implicit-def: $vgpr0
.LBB6_42:
	s_and_b32 vcc_lo, exec_lo, s21
	s_cbranch_vccz .LBB6_48
; %bb.43:
	s_cmp_eq_u32 s15, 44
	s_cbranch_scc0 .LBB6_47
; %bb.44:
	global_load_u8 v0, v[2:3], off
	s_mov_b32 s18, 0
	s_mov_b32 s17, -1
	s_wait_loadcnt 0x0
	v_lshlrev_b32_e32 v1, 23, v0
	v_cmp_ne_u32_e32 vcc_lo, 0, v0
	s_delay_alu instid0(VALU_DEP_2) | instskip(NEXT) | instid1(VALU_DEP_1)
	v_trunc_f32_e32 v1, v1
	v_mul_f32_e64 v4, 0x2f800000, |v1|
	s_delay_alu instid0(VALU_DEP_1) | instskip(NEXT) | instid1(VALU_DEP_1)
	v_floor_f32_e32 v4, v4
	v_fma_f32 v4, 0xcf800000, v4, |v1|
	v_ashrrev_i32_e32 v1, 31, v1
	s_delay_alu instid0(VALU_DEP_2) | instskip(NEXT) | instid1(VALU_DEP_1)
	v_cvt_u32_f32_e32 v4, v4
	v_xor_b32_e32 v4, v4, v1
	s_delay_alu instid0(VALU_DEP_1) | instskip(NEXT) | instid1(VALU_DEP_1)
	v_sub_nc_u32_e32 v1, v4, v1
	v_cndmask_b32_e32 v0, 0, v1, vcc_lo
	s_branch .LBB6_48
.LBB6_45:
	s_mov_b32 s22, -1
	s_mov_b32 s17, 0
	s_branch .LBB6_153
.LBB6_46:
	s_mov_b32 s23, -1
	s_mov_b32 s0, 0
	s_mov_b32 s22, 0
	s_branch .LBB6_164
.LBB6_47:
	s_mov_b32 s18, -1
                                        ; implicit-def: $vgpr0
.LBB6_48:
	s_mov_b32 s21, 0
.LBB6_49:
	s_delay_alu instid0(SALU_CYCLE_1)
	s_and_b32 vcc_lo, exec_lo, s21
	s_cbranch_vccz .LBB6_53
; %bb.50:
	s_cmp_eq_u32 s15, 29
	s_cbranch_scc0 .LBB6_52
; %bb.51:
	global_load_b64 v[0:1], v[2:3], off
	s_mov_b32 s17, -1
	s_mov_b32 s18, 0
	s_branch .LBB6_53
.LBB6_52:
	s_mov_b32 s18, -1
                                        ; implicit-def: $vgpr0
.LBB6_53:
	s_mov_b32 s21, 0
.LBB6_54:
	s_delay_alu instid0(SALU_CYCLE_1)
	s_and_b32 vcc_lo, exec_lo, s21
	s_cbranch_vccz .LBB6_70
; %bb.55:
	s_cmp_lt_i32 s15, 27
	s_cbranch_scc1 .LBB6_58
; %bb.56:
	s_cmp_gt_i32 s15, 27
	s_cbranch_scc0 .LBB6_59
; %bb.57:
	s_wait_loadcnt 0x0
	global_load_b32 v0, v[2:3], off
	s_mov_b32 s17, 0
	s_branch .LBB6_60
.LBB6_58:
	s_mov_b32 s17, -1
                                        ; implicit-def: $vgpr0
	s_branch .LBB6_63
.LBB6_59:
	s_mov_b32 s17, -1
                                        ; implicit-def: $vgpr0
.LBB6_60:
	s_delay_alu instid0(SALU_CYCLE_1)
	s_and_not1_b32 vcc_lo, exec_lo, s17
	s_cbranch_vccnz .LBB6_62
; %bb.61:
	s_wait_loadcnt 0x0
	global_load_u16 v0, v[2:3], off
.LBB6_62:
	s_mov_b32 s17, 0
.LBB6_63:
	s_delay_alu instid0(SALU_CYCLE_1)
	s_and_not1_b32 vcc_lo, exec_lo, s17
	s_cbranch_vccnz .LBB6_69
; %bb.64:
	s_wait_loadcnt 0x0
	global_load_u8 v1, v[2:3], off
	s_mov_b32 s21, 0
	s_mov_b32 s17, exec_lo
	s_wait_loadcnt 0x0
	v_cmpx_lt_i16_e32 0x7f, v1
	s_xor_b32 s17, exec_lo, s17
	s_cbranch_execz .LBB6_80
; %bb.65:
	v_cmp_ne_u16_e32 vcc_lo, 0x80, v1
	s_and_b32 s21, vcc_lo, exec_lo
	s_and_not1_saveexec_b32 s17, s17
	s_cbranch_execnz .LBB6_81
.LBB6_66:
	s_or_b32 exec_lo, exec_lo, s17
	v_mov_b32_e32 v0, 0
	s_and_saveexec_b32 s17, s21
	s_cbranch_execz .LBB6_68
.LBB6_67:
	v_and_b32_e32 v0, 0xffff, v1
	s_delay_alu instid0(VALU_DEP_1) | instskip(SKIP_1) | instid1(VALU_DEP_2)
	v_and_b32_e32 v4, 7, v0
	v_bfe_u32 v7, v0, 3, 4
	v_clz_i32_u32_e32 v5, v4
	s_delay_alu instid0(VALU_DEP_2) | instskip(NEXT) | instid1(VALU_DEP_2)
	v_cmp_eq_u32_e32 vcc_lo, 0, v7
	v_min_u32_e32 v5, 32, v5
	s_delay_alu instid0(VALU_DEP_1) | instskip(NEXT) | instid1(VALU_DEP_1)
	v_subrev_nc_u32_e32 v6, 28, v5
	v_dual_lshlrev_b32 v0, v6, v0 :: v_dual_sub_nc_u32 v5, 29, v5
	s_delay_alu instid0(VALU_DEP_1) | instskip(NEXT) | instid1(VALU_DEP_1)
	v_dual_lshlrev_b32 v1, 24, v1 :: v_dual_bitop2_b32 v0, 7, v0 bitop3:0x40
	v_dual_cndmask_b32 v0, v4, v0 :: v_dual_cndmask_b32 v5, v7, v5
	s_delay_alu instid0(VALU_DEP_2) | instskip(NEXT) | instid1(VALU_DEP_2)
	v_and_b32_e32 v1, 0x80000000, v1
	v_lshlrev_b32_e32 v0, 20, v0
	s_delay_alu instid0(VALU_DEP_3) | instskip(NEXT) | instid1(VALU_DEP_1)
	v_lshl_add_u32 v4, v5, 23, 0x3b800000
	v_or3_b32 v0, v1, v4, v0
	s_delay_alu instid0(VALU_DEP_1) | instskip(NEXT) | instid1(VALU_DEP_1)
	v_trunc_f32_e32 v0, v0
	v_mul_f32_e64 v1, 0x2f800000, |v0|
	s_delay_alu instid0(VALU_DEP_1) | instskip(NEXT) | instid1(VALU_DEP_1)
	v_floor_f32_e32 v1, v1
	v_fma_f32 v1, 0xcf800000, v1, |v0|
	v_ashrrev_i32_e32 v0, 31, v0
	s_delay_alu instid0(VALU_DEP_2) | instskip(NEXT) | instid1(VALU_DEP_1)
	v_cvt_u32_f32_e32 v1, v1
	v_xor_b32_e32 v1, v1, v0
	s_delay_alu instid0(VALU_DEP_1)
	v_sub_nc_u32_e32 v0, v1, v0
.LBB6_68:
	s_or_b32 exec_lo, exec_lo, s17
.LBB6_69:
	s_mov_b32 s17, -1
.LBB6_70:
	s_branch .LBB6_103
.LBB6_71:
	s_cmp_gt_i32 s15, 22
	s_cbranch_scc0 .LBB6_79
; %bb.72:
	s_cmp_lt_i32 s15, 24
	s_cbranch_scc1 .LBB6_82
; %bb.73:
	s_cmp_gt_i32 s15, 24
	s_cbranch_scc0 .LBB6_83
; %bb.74:
	s_wait_loadcnt 0x0
	global_load_u8 v1, v[2:3], off
	s_mov_b32 s21, 0
	s_mov_b32 s17, exec_lo
	s_wait_loadcnt 0x0
	v_cmpx_lt_i16_e32 0x7f, v1
	s_xor_b32 s17, exec_lo, s17
	s_cbranch_execz .LBB6_95
; %bb.75:
	v_cmp_ne_u16_e32 vcc_lo, 0x80, v1
	s_and_b32 s21, vcc_lo, exec_lo
	s_and_not1_saveexec_b32 s17, s17
	s_cbranch_execnz .LBB6_96
.LBB6_76:
	s_or_b32 exec_lo, exec_lo, s17
	v_mov_b32_e32 v0, 0
	s_and_saveexec_b32 s17, s21
	s_cbranch_execz .LBB6_78
.LBB6_77:
	v_and_b32_e32 v0, 0xffff, v1
	s_delay_alu instid0(VALU_DEP_1) | instskip(SKIP_1) | instid1(VALU_DEP_2)
	v_and_b32_e32 v4, 3, v0
	v_bfe_u32 v7, v0, 2, 5
	v_clz_i32_u32_e32 v5, v4
	s_delay_alu instid0(VALU_DEP_2) | instskip(NEXT) | instid1(VALU_DEP_2)
	v_cmp_eq_u32_e32 vcc_lo, 0, v7
	v_min_u32_e32 v5, 32, v5
	s_delay_alu instid0(VALU_DEP_1) | instskip(NEXT) | instid1(VALU_DEP_1)
	v_subrev_nc_u32_e32 v6, 29, v5
	v_dual_lshlrev_b32 v0, v6, v0 :: v_dual_sub_nc_u32 v5, 30, v5
	s_delay_alu instid0(VALU_DEP_1) | instskip(NEXT) | instid1(VALU_DEP_1)
	v_dual_lshlrev_b32 v1, 24, v1 :: v_dual_bitop2_b32 v0, 3, v0 bitop3:0x40
	v_dual_cndmask_b32 v0, v4, v0 :: v_dual_cndmask_b32 v5, v7, v5
	s_delay_alu instid0(VALU_DEP_2) | instskip(NEXT) | instid1(VALU_DEP_2)
	v_and_b32_e32 v1, 0x80000000, v1
	v_lshlrev_b32_e32 v0, 21, v0
	s_delay_alu instid0(VALU_DEP_3) | instskip(NEXT) | instid1(VALU_DEP_1)
	v_lshl_add_u32 v4, v5, 23, 0x37800000
	v_or3_b32 v0, v1, v4, v0
	s_delay_alu instid0(VALU_DEP_1) | instskip(NEXT) | instid1(VALU_DEP_1)
	v_trunc_f32_e32 v0, v0
	v_mul_f32_e64 v1, 0x2f800000, |v0|
	s_delay_alu instid0(VALU_DEP_1) | instskip(NEXT) | instid1(VALU_DEP_1)
	v_floor_f32_e32 v1, v1
	v_fma_f32 v1, 0xcf800000, v1, |v0|
	v_ashrrev_i32_e32 v0, 31, v0
	s_delay_alu instid0(VALU_DEP_2) | instskip(NEXT) | instid1(VALU_DEP_1)
	v_cvt_u32_f32_e32 v1, v1
	v_xor_b32_e32 v1, v1, v0
	s_delay_alu instid0(VALU_DEP_1)
	v_sub_nc_u32_e32 v0, v1, v0
.LBB6_78:
	s_or_b32 exec_lo, exec_lo, s17
	s_mov_b32 s17, 0
	s_branch .LBB6_84
.LBB6_79:
	s_mov_b32 s21, -1
                                        ; implicit-def: $vgpr0
	s_branch .LBB6_90
.LBB6_80:
	s_and_not1_saveexec_b32 s17, s17
	s_cbranch_execz .LBB6_66
.LBB6_81:
	v_cmp_ne_u16_e32 vcc_lo, 0, v1
	s_and_not1_b32 s21, s21, exec_lo
	s_and_b32 s22, vcc_lo, exec_lo
	s_delay_alu instid0(SALU_CYCLE_1)
	s_or_b32 s21, s21, s22
	s_or_b32 exec_lo, exec_lo, s17
	v_mov_b32_e32 v0, 0
	s_and_saveexec_b32 s17, s21
	s_cbranch_execnz .LBB6_67
	s_branch .LBB6_68
.LBB6_82:
	s_mov_b32 s17, -1
                                        ; implicit-def: $vgpr0
	s_branch .LBB6_87
.LBB6_83:
	s_mov_b32 s17, -1
                                        ; implicit-def: $vgpr0
.LBB6_84:
	s_delay_alu instid0(SALU_CYCLE_1)
	s_and_b32 vcc_lo, exec_lo, s17
	s_cbranch_vccz .LBB6_86
; %bb.85:
	s_wait_loadcnt 0x0
	global_load_u8 v0, v[2:3], off
	s_wait_loadcnt 0x0
	v_lshlrev_b32_e32 v0, 24, v0
	s_delay_alu instid0(VALU_DEP_1) | instskip(NEXT) | instid1(VALU_DEP_1)
	v_and_b32_e32 v1, 0x7f000000, v0
	v_clz_i32_u32_e32 v4, v1
	v_cmp_ne_u32_e32 vcc_lo, 0, v1
	v_add_nc_u32_e32 v6, 0x1000000, v1
	s_delay_alu instid0(VALU_DEP_3) | instskip(NEXT) | instid1(VALU_DEP_1)
	v_min_u32_e32 v4, 32, v4
	v_sub_nc_u32_e64 v4, v4, 4 clamp
	s_delay_alu instid0(VALU_DEP_1) | instskip(NEXT) | instid1(VALU_DEP_1)
	v_dual_lshlrev_b32 v5, v4, v1 :: v_dual_lshlrev_b32 v4, 23, v4
	v_lshrrev_b32_e32 v5, 4, v5
	s_delay_alu instid0(VALU_DEP_1) | instskip(NEXT) | instid1(VALU_DEP_1)
	v_dual_sub_nc_u32 v4, v5, v4 :: v_dual_ashrrev_i32 v5, 8, v6
	v_add_nc_u32_e32 v4, 0x3c000000, v4
	s_delay_alu instid0(VALU_DEP_1) | instskip(NEXT) | instid1(VALU_DEP_1)
	v_and_or_b32 v4, 0x7f800000, v5, v4
	v_cndmask_b32_e32 v1, 0, v4, vcc_lo
	s_delay_alu instid0(VALU_DEP_1) | instskip(NEXT) | instid1(VALU_DEP_1)
	v_and_or_b32 v0, 0x80000000, v0, v1
	v_trunc_f32_e32 v0, v0
	s_delay_alu instid0(VALU_DEP_1) | instskip(NEXT) | instid1(VALU_DEP_1)
	v_mul_f32_e64 v1, 0x2f800000, |v0|
	v_floor_f32_e32 v1, v1
	s_delay_alu instid0(VALU_DEP_1) | instskip(SKIP_1) | instid1(VALU_DEP_2)
	v_fma_f32 v1, 0xcf800000, v1, |v0|
	v_ashrrev_i32_e32 v0, 31, v0
	v_cvt_u32_f32_e32 v1, v1
	s_delay_alu instid0(VALU_DEP_1) | instskip(NEXT) | instid1(VALU_DEP_1)
	v_xor_b32_e32 v1, v1, v0
	v_sub_nc_u32_e32 v0, v1, v0
.LBB6_86:
	s_mov_b32 s17, 0
.LBB6_87:
	s_delay_alu instid0(SALU_CYCLE_1)
	s_and_not1_b32 vcc_lo, exec_lo, s17
	s_cbranch_vccnz .LBB6_89
; %bb.88:
	s_wait_loadcnt 0x0
	global_load_u8 v0, v[2:3], off
	s_wait_loadcnt 0x0
	v_lshlrev_b32_e32 v1, 25, v0
	v_lshlrev_b16 v0, 8, v0
	s_delay_alu instid0(VALU_DEP_1) | instskip(SKIP_1) | instid1(VALU_DEP_2)
	v_and_or_b32 v5, 0x7f00, v0, 0.5
	v_bfe_i32 v0, v0, 0, 16
	v_add_f32_e32 v5, -0.5, v5
	v_lshrrev_b32_e32 v4, 4, v1
	v_cmp_gt_u32_e32 vcc_lo, 0x8000000, v1
	s_delay_alu instid0(VALU_DEP_2) | instskip(NEXT) | instid1(VALU_DEP_1)
	v_or_b32_e32 v4, 0x70000000, v4
	v_mul_f32_e32 v4, 0x7800000, v4
	s_delay_alu instid0(VALU_DEP_1) | instskip(NEXT) | instid1(VALU_DEP_1)
	v_cndmask_b32_e32 v1, v4, v5, vcc_lo
	v_and_or_b32 v0, 0x80000000, v0, v1
	s_delay_alu instid0(VALU_DEP_1) | instskip(NEXT) | instid1(VALU_DEP_1)
	v_trunc_f32_e32 v0, v0
	v_mul_f32_e64 v1, 0x2f800000, |v0|
	s_delay_alu instid0(VALU_DEP_1) | instskip(NEXT) | instid1(VALU_DEP_1)
	v_floor_f32_e32 v1, v1
	v_fma_f32 v1, 0xcf800000, v1, |v0|
	v_ashrrev_i32_e32 v0, 31, v0
	s_delay_alu instid0(VALU_DEP_2) | instskip(NEXT) | instid1(VALU_DEP_1)
	v_cvt_u32_f32_e32 v1, v1
	v_xor_b32_e32 v1, v1, v0
	s_delay_alu instid0(VALU_DEP_1)
	v_sub_nc_u32_e32 v0, v1, v0
.LBB6_89:
	s_mov_b32 s21, 0
	s_mov_b32 s17, -1
.LBB6_90:
	s_and_not1_b32 vcc_lo, exec_lo, s21
	s_cbranch_vccnz .LBB6_103
; %bb.91:
	s_cmp_gt_i32 s15, 14
	s_cbranch_scc0 .LBB6_94
; %bb.92:
	s_cmp_eq_u32 s15, 15
	s_cbranch_scc0 .LBB6_97
; %bb.93:
	s_wait_loadcnt 0x0
	global_load_u16 v0, v[2:3], off
	s_mov_b32 s17, -1
	s_mov_b32 s18, 0
	s_wait_loadcnt 0x0
	v_lshlrev_b32_e32 v0, 16, v0
	s_delay_alu instid0(VALU_DEP_1) | instskip(NEXT) | instid1(VALU_DEP_1)
	v_trunc_f32_e32 v0, v0
	v_mul_f32_e64 v1, 0x2f800000, |v0|
	s_delay_alu instid0(VALU_DEP_1) | instskip(NEXT) | instid1(VALU_DEP_1)
	v_floor_f32_e32 v1, v1
	v_fma_f32 v1, 0xcf800000, v1, |v0|
	v_ashrrev_i32_e32 v0, 31, v0
	s_delay_alu instid0(VALU_DEP_2) | instskip(NEXT) | instid1(VALU_DEP_1)
	v_cvt_u32_f32_e32 v1, v1
	v_xor_b32_e32 v1, v1, v0
	s_delay_alu instid0(VALU_DEP_1)
	v_sub_nc_u32_e32 v0, v1, v0
	s_branch .LBB6_98
.LBB6_94:
	s_mov_b32 s21, -1
                                        ; implicit-def: $vgpr0
	s_branch .LBB6_99
.LBB6_95:
	s_and_not1_saveexec_b32 s17, s17
	s_cbranch_execz .LBB6_76
.LBB6_96:
	v_cmp_ne_u16_e32 vcc_lo, 0, v1
	s_and_not1_b32 s21, s21, exec_lo
	s_and_b32 s22, vcc_lo, exec_lo
	s_delay_alu instid0(SALU_CYCLE_1)
	s_or_b32 s21, s21, s22
	s_or_b32 exec_lo, exec_lo, s17
	v_mov_b32_e32 v0, 0
	s_and_saveexec_b32 s17, s21
	s_cbranch_execnz .LBB6_77
	s_branch .LBB6_78
.LBB6_97:
	s_mov_b32 s18, -1
                                        ; implicit-def: $vgpr0
.LBB6_98:
	s_mov_b32 s21, 0
.LBB6_99:
	s_delay_alu instid0(SALU_CYCLE_1)
	s_and_b32 vcc_lo, exec_lo, s21
	s_cbranch_vccz .LBB6_103
; %bb.100:
	s_cmp_eq_u32 s15, 11
	s_cbranch_scc0 .LBB6_102
; %bb.101:
	s_wait_loadcnt 0x0
	global_load_u8 v0, v[2:3], off
	s_mov_b32 s18, 0
	s_mov_b32 s17, -1
	s_wait_loadcnt 0x0
	v_cmp_ne_u16_e32 vcc_lo, 0, v0
	v_cndmask_b32_e64 v0, 0, 1, vcc_lo
	s_branch .LBB6_103
.LBB6_102:
	s_mov_b32 s18, -1
                                        ; implicit-def: $vgpr0
.LBB6_103:
	s_branch .LBB6_10
.LBB6_104:
	s_and_b32 s0, 0xffff, s0
	s_delay_alu instid0(SALU_CYCLE_1)
	s_cmp_lt_i32 s0, 5
	s_cbranch_scc1 .LBB6_109
; %bb.105:
	s_cmp_lt_i32 s0, 8
	s_cbranch_scc1 .LBB6_110
; %bb.106:
	;; [unrolled: 3-line block ×3, first 2 shown]
	s_cmp_gt_i32 s0, 9
	s_cbranch_scc0 .LBB6_112
; %bb.108:
	s_wait_loadcnt 0x0
	global_load_b64 v[0:1], v[2:3], off
	s_mov_b32 s15, 0
	s_wait_loadcnt 0x0
	v_trunc_f64_e32 v[0:1], v[0:1]
	s_delay_alu instid0(VALU_DEP_1) | instskip(NEXT) | instid1(VALU_DEP_1)
	v_ldexp_f64 v[4:5], v[0:1], 0xffffffe0
	v_floor_f64_e32 v[4:5], v[4:5]
	s_delay_alu instid0(VALU_DEP_1) | instskip(NEXT) | instid1(VALU_DEP_1)
	v_fmamk_f64 v[0:1], v[4:5], 0xc1f00000, v[0:1]
	v_cvt_u32_f64_e32 v0, v[0:1]
	s_branch .LBB6_113
.LBB6_109:
                                        ; implicit-def: $vgpr0
	s_branch .LBB6_131
.LBB6_110:
	s_mov_b32 s15, -1
                                        ; implicit-def: $vgpr0
	s_branch .LBB6_119
.LBB6_111:
	s_mov_b32 s15, -1
                                        ; implicit-def: $vgpr0
	s_branch .LBB6_116
.LBB6_112:
	s_mov_b32 s15, -1
                                        ; implicit-def: $vgpr0
.LBB6_113:
	s_delay_alu instid0(SALU_CYCLE_1)
	s_and_not1_b32 vcc_lo, exec_lo, s15
	s_cbranch_vccnz .LBB6_115
; %bb.114:
	s_wait_loadcnt 0x0
	global_load_b32 v0, v[2:3], off
	s_wait_loadcnt 0x0
	v_trunc_f32_e32 v0, v0
	s_delay_alu instid0(VALU_DEP_1) | instskip(NEXT) | instid1(VALU_DEP_1)
	v_mul_f32_e64 v1, 0x2f800000, |v0|
	v_floor_f32_e32 v1, v1
	s_delay_alu instid0(VALU_DEP_1) | instskip(SKIP_1) | instid1(VALU_DEP_2)
	v_fma_f32 v1, 0xcf800000, v1, |v0|
	v_ashrrev_i32_e32 v0, 31, v0
	v_cvt_u32_f32_e32 v1, v1
	s_delay_alu instid0(VALU_DEP_1) | instskip(NEXT) | instid1(VALU_DEP_1)
	v_xor_b32_e32 v1, v1, v0
	v_sub_nc_u32_e32 v0, v1, v0
.LBB6_115:
	s_mov_b32 s15, 0
.LBB6_116:
	s_delay_alu instid0(SALU_CYCLE_1)
	s_and_not1_b32 vcc_lo, exec_lo, s15
	s_cbranch_vccnz .LBB6_118
; %bb.117:
	s_wait_loadcnt 0x0
	global_load_b32 v0, v[2:3], off
	s_wait_loadcnt 0x0
	v_cvt_f32_f16_e32 v0, v0
	s_delay_alu instid0(VALU_DEP_1)
	v_cvt_i32_f32_e32 v0, v0
.LBB6_118:
	s_mov_b32 s15, 0
.LBB6_119:
	s_delay_alu instid0(SALU_CYCLE_1)
	s_and_not1_b32 vcc_lo, exec_lo, s15
	s_cbranch_vccnz .LBB6_130
; %bb.120:
	s_cmp_lt_i32 s0, 6
	s_cbranch_scc1 .LBB6_123
; %bb.121:
	s_cmp_gt_i32 s0, 6
	s_cbranch_scc0 .LBB6_124
; %bb.122:
	s_wait_loadcnt 0x0
	global_load_b64 v[0:1], v[2:3], off
	s_mov_b32 s15, 0
	s_wait_loadcnt 0x0
	v_trunc_f64_e32 v[0:1], v[0:1]
	s_delay_alu instid0(VALU_DEP_1) | instskip(NEXT) | instid1(VALU_DEP_1)
	v_ldexp_f64 v[4:5], v[0:1], 0xffffffe0
	v_floor_f64_e32 v[4:5], v[4:5]
	s_delay_alu instid0(VALU_DEP_1) | instskip(NEXT) | instid1(VALU_DEP_1)
	v_fmamk_f64 v[0:1], v[4:5], 0xc1f00000, v[0:1]
	v_cvt_u32_f64_e32 v0, v[0:1]
	s_branch .LBB6_125
.LBB6_123:
	s_mov_b32 s15, -1
                                        ; implicit-def: $vgpr0
	s_branch .LBB6_128
.LBB6_124:
	s_mov_b32 s15, -1
                                        ; implicit-def: $vgpr0
.LBB6_125:
	s_delay_alu instid0(SALU_CYCLE_1)
	s_and_not1_b32 vcc_lo, exec_lo, s15
	s_cbranch_vccnz .LBB6_127
; %bb.126:
	s_wait_loadcnt 0x0
	global_load_b32 v0, v[2:3], off
	s_wait_loadcnt 0x0
	v_trunc_f32_e32 v0, v0
	s_delay_alu instid0(VALU_DEP_1) | instskip(NEXT) | instid1(VALU_DEP_1)
	v_mul_f32_e64 v1, 0x2f800000, |v0|
	v_floor_f32_e32 v1, v1
	s_delay_alu instid0(VALU_DEP_1) | instskip(SKIP_1) | instid1(VALU_DEP_2)
	v_fma_f32 v1, 0xcf800000, v1, |v0|
	v_ashrrev_i32_e32 v0, 31, v0
	v_cvt_u32_f32_e32 v1, v1
	s_delay_alu instid0(VALU_DEP_1) | instskip(NEXT) | instid1(VALU_DEP_1)
	v_xor_b32_e32 v1, v1, v0
	v_sub_nc_u32_e32 v0, v1, v0
.LBB6_127:
	s_mov_b32 s15, 0
.LBB6_128:
	s_delay_alu instid0(SALU_CYCLE_1)
	s_and_not1_b32 vcc_lo, exec_lo, s15
	s_cbranch_vccnz .LBB6_130
; %bb.129:
	s_wait_loadcnt 0x0
	global_load_u16 v0, v[2:3], off
	s_wait_loadcnt 0x0
	v_cvt_f32_f16_e32 v0, v0
	s_delay_alu instid0(VALU_DEP_1)
	v_cvt_i32_f32_e32 v0, v0
.LBB6_130:
	s_cbranch_execnz .LBB6_150
.LBB6_131:
	s_cmp_lt_i32 s0, 2
	s_cbranch_scc1 .LBB6_135
; %bb.132:
	s_cmp_lt_i32 s0, 3
	s_cbranch_scc1 .LBB6_136
; %bb.133:
	s_cmp_gt_i32 s0, 3
	s_cbranch_scc0 .LBB6_137
; %bb.134:
	s_wait_loadcnt 0x0
	global_load_b64 v[0:1], v[2:3], off
	s_mov_b32 s15, 0
	s_branch .LBB6_138
.LBB6_135:
	s_mov_b32 s15, -1
                                        ; implicit-def: $vgpr0
	s_branch .LBB6_144
.LBB6_136:
	s_mov_b32 s15, -1
                                        ; implicit-def: $vgpr0
	s_branch .LBB6_141
.LBB6_137:
	s_mov_b32 s15, -1
                                        ; implicit-def: $vgpr0
.LBB6_138:
	s_delay_alu instid0(SALU_CYCLE_1)
	s_and_not1_b32 vcc_lo, exec_lo, s15
	s_cbranch_vccnz .LBB6_140
; %bb.139:
	s_wait_loadcnt 0x0
	global_load_b32 v0, v[2:3], off
.LBB6_140:
	s_mov_b32 s15, 0
.LBB6_141:
	s_delay_alu instid0(SALU_CYCLE_1)
	s_and_not1_b32 vcc_lo, exec_lo, s15
	s_cbranch_vccnz .LBB6_143
; %bb.142:
	s_wait_loadcnt 0x0
	global_load_u16 v0, v[2:3], off
.LBB6_143:
	s_mov_b32 s15, 0
.LBB6_144:
	s_delay_alu instid0(SALU_CYCLE_1)
	s_and_not1_b32 vcc_lo, exec_lo, s15
	s_cbranch_vccnz .LBB6_150
; %bb.145:
	s_cmp_gt_i32 s0, 0
	s_mov_b32 s0, 0
	s_cbranch_scc0 .LBB6_147
; %bb.146:
	s_wait_loadcnt 0x0
	global_load_u8 v0, v[2:3], off
	s_branch .LBB6_148
.LBB6_147:
	s_mov_b32 s0, -1
                                        ; implicit-def: $vgpr0
.LBB6_148:
	s_delay_alu instid0(SALU_CYCLE_1)
	s_and_not1_b32 vcc_lo, exec_lo, s0
	s_cbranch_vccnz .LBB6_150
; %bb.149:
	s_wait_loadcnt 0x0
	global_load_u8 v0, v[2:3], off
.LBB6_150:
	s_branch .LBB6_11
.LBB6_151:
	s_mov_b32 s0, 0
	s_mov_b32 s17, 0
	s_branch .LBB6_375
.LBB6_152:
	s_mov_b32 s17, -1
.LBB6_153:
	s_mov_b32 s21, 0
                                        ; implicit-def: $vgpr2
.LBB6_154:
	s_and_b32 vcc_lo, exec_lo, s22
	s_cbranch_vccz .LBB6_269
; %bb.155:
	s_cmp_eq_u32 s15, 44
	s_cbranch_scc0 .LBB6_268
; %bb.156:
	s_wait_loadcnt 0x0
	global_load_u8 v1, v[4:5], off
	s_mov_b32 s17, 0
	s_mov_b32 s21, -1
	s_wait_loadcnt 0x0
	v_lshlrev_b32_e32 v2, 23, v1
	v_cmp_ne_u32_e32 vcc_lo, 0, v1
	s_delay_alu instid0(VALU_DEP_2) | instskip(NEXT) | instid1(VALU_DEP_1)
	v_trunc_f32_e32 v2, v2
	v_mul_f32_e64 v3, 0x2f800000, |v2|
	s_delay_alu instid0(VALU_DEP_1) | instskip(NEXT) | instid1(VALU_DEP_1)
	v_floor_f32_e32 v3, v3
	v_fma_f32 v3, 0xcf800000, v3, |v2|
	v_ashrrev_i32_e32 v2, 31, v2
	s_delay_alu instid0(VALU_DEP_2) | instskip(NEXT) | instid1(VALU_DEP_1)
	v_cvt_u32_f32_e32 v3, v3
	v_xor_b32_e32 v3, v3, v2
	s_delay_alu instid0(VALU_DEP_1) | instskip(NEXT) | instid1(VALU_DEP_1)
	v_sub_nc_u32_e32 v2, v3, v2
	v_cndmask_b32_e32 v2, 0, v2, vcc_lo
	s_branch .LBB6_269
.LBB6_157:
	s_mov_b32 s23, -1
	s_mov_b32 s0, 0
	s_mov_b32 s22, 0
.LBB6_158:
	s_and_b32 vcc_lo, exec_lo, s23
	s_cbranch_vccz .LBB6_163
; %bb.159:
	s_cmp_eq_u32 s21, 44
	s_mov_b32 s0, -1
	s_cbranch_scc0 .LBB6_163
; %bb.160:
	v_cvt_f32_ubyte0_e32 v5, v2
	s_mov_b32 s22, exec_lo
	s_wait_xcnt 0x0
	s_delay_alu instid0(VALU_DEP_1) | instskip(NEXT) | instid1(VALU_DEP_1)
	v_dual_mov_b32 v4, 0xff :: v_dual_lshrrev_b32 v3, 23, v5
	v_cmpx_ne_u32_e32 0xff, v3
; %bb.161:
	v_and_b32_e32 v4, 0x400000, v5
	v_and_or_b32 v5, 0x3fffff, v5, v3
	s_delay_alu instid0(VALU_DEP_2) | instskip(NEXT) | instid1(VALU_DEP_2)
	v_cmp_ne_u32_e32 vcc_lo, 0, v4
	v_cmp_ne_u32_e64 s0, 0, v5
	s_and_b32 s0, vcc_lo, s0
	s_delay_alu instid0(SALU_CYCLE_1) | instskip(NEXT) | instid1(VALU_DEP_1)
	v_cndmask_b32_e64 v4, 0, 1, s0
	v_add_nc_u32_e32 v4, v3, v4
; %bb.162:
	s_or_b32 exec_lo, exec_lo, s22
	s_mov_b32 s22, -1
	s_mov_b32 s0, 0
	global_store_b8 v[0:1], v4, off
.LBB6_163:
	s_mov_b32 s23, 0
.LBB6_164:
	s_delay_alu instid0(SALU_CYCLE_1)
	s_and_b32 vcc_lo, exec_lo, s23
	s_cbranch_vccz .LBB6_167
; %bb.165:
	s_cmp_eq_u32 s21, 29
	s_mov_b32 s0, -1
	s_cbranch_scc0 .LBB6_167
; %bb.166:
	s_wait_xcnt 0x0
	v_and_b32_e32 v4, 0xff, v2
	v_mov_b32_e32 v5, 0
	s_mov_b32 s22, -1
	s_mov_b32 s0, 0
	s_mov_b32 s23, 0
	global_store_b64 v[0:1], v[4:5], off
	s_branch .LBB6_168
.LBB6_167:
	s_mov_b32 s23, 0
.LBB6_168:
	s_delay_alu instid0(SALU_CYCLE_1)
	s_and_b32 vcc_lo, exec_lo, s23
	s_cbranch_vccz .LBB6_184
; %bb.169:
	s_cmp_lt_i32 s21, 27
	s_mov_b32 s22, -1
	s_cbranch_scc1 .LBB6_175
; %bb.170:
	s_cmp_gt_i32 s21, 27
	s_cbranch_scc0 .LBB6_172
; %bb.171:
	s_wait_xcnt 0x0
	v_and_b32_e32 v3, 0xff, v2
	s_mov_b32 s22, 0
	global_store_b32 v[0:1], v3, off
.LBB6_172:
	s_and_not1_b32 vcc_lo, exec_lo, s22
	s_cbranch_vccnz .LBB6_174
; %bb.173:
	s_wait_xcnt 0x0
	v_and_b32_e32 v3, 0xff, v2
	global_store_b16 v[0:1], v3, off
.LBB6_174:
	s_mov_b32 s22, 0
.LBB6_175:
	s_delay_alu instid0(SALU_CYCLE_1)
	s_and_not1_b32 vcc_lo, exec_lo, s22
	s_cbranch_vccnz .LBB6_183
; %bb.176:
	s_wait_xcnt 0x0
	v_cvt_f32_ubyte0_e32 v4, v2
	v_mov_b32_e32 v5, 0x80
	s_mov_b32 s22, exec_lo
	s_delay_alu instid0(VALU_DEP_2)
	v_cmpx_gt_u32_e32 0x43800000, v4
	s_cbranch_execz .LBB6_182
; %bb.177:
	s_mov_b32 s23, 0
	s_mov_b32 s24, exec_lo
                                        ; implicit-def: $vgpr3
	v_cmpx_lt_u32_e32 0x3bffffff, v4
	s_xor_b32 s24, exec_lo, s24
	s_cbranch_execz .LBB6_406
; %bb.178:
	v_bfe_u32 v3, v4, 20, 1
	s_mov_b32 s23, exec_lo
	s_delay_alu instid0(VALU_DEP_1) | instskip(NEXT) | instid1(VALU_DEP_1)
	v_add3_u32 v3, v4, v3, 0x487ffff
                                        ; implicit-def: $vgpr4
	v_lshrrev_b32_e32 v3, 20, v3
	s_and_not1_saveexec_b32 s24, s24
	s_cbranch_execnz .LBB6_407
.LBB6_179:
	s_or_b32 exec_lo, exec_lo, s24
	v_mov_b32_e32 v5, 0
	s_and_saveexec_b32 s24, s23
.LBB6_180:
	v_mov_b32_e32 v5, v3
.LBB6_181:
	s_or_b32 exec_lo, exec_lo, s24
.LBB6_182:
	s_delay_alu instid0(SALU_CYCLE_1)
	s_or_b32 exec_lo, exec_lo, s22
	global_store_b8 v[0:1], v5, off
.LBB6_183:
	s_mov_b32 s22, -1
.LBB6_184:
	s_mov_b32 s23, 0
.LBB6_185:
	s_delay_alu instid0(SALU_CYCLE_1)
	s_and_b32 vcc_lo, exec_lo, s23
	s_cbranch_vccz .LBB6_226
; %bb.186:
	s_cmp_gt_i32 s21, 22
	s_mov_b32 s23, -1
	s_cbranch_scc0 .LBB6_218
; %bb.187:
	s_cmp_lt_i32 s21, 24
	s_mov_b32 s22, -1
	s_cbranch_scc1 .LBB6_207
; %bb.188:
	s_cmp_gt_i32 s21, 24
	s_cbranch_scc0 .LBB6_196
; %bb.189:
	s_wait_xcnt 0x0
	v_cvt_f32_ubyte0_e32 v4, v2
	v_mov_b32_e32 v5, 0x80
	s_mov_b32 s22, exec_lo
	s_delay_alu instid0(VALU_DEP_2)
	v_cmpx_gt_u32_e32 0x47800000, v4
	s_cbranch_execz .LBB6_195
; %bb.190:
	s_mov_b32 s23, 0
	s_mov_b32 s24, exec_lo
                                        ; implicit-def: $vgpr3
	v_cmpx_lt_u32_e32 0x37ffffff, v4
	s_xor_b32 s24, exec_lo, s24
	s_cbranch_execz .LBB6_521
; %bb.191:
	v_bfe_u32 v3, v4, 21, 1
	s_mov_b32 s23, exec_lo
	s_delay_alu instid0(VALU_DEP_1) | instskip(NEXT) | instid1(VALU_DEP_1)
	v_add3_u32 v3, v4, v3, 0x88fffff
                                        ; implicit-def: $vgpr4
	v_lshrrev_b32_e32 v3, 21, v3
	s_and_not1_saveexec_b32 s24, s24
	s_cbranch_execnz .LBB6_522
.LBB6_192:
	s_or_b32 exec_lo, exec_lo, s24
	v_mov_b32_e32 v5, 0
	s_and_saveexec_b32 s24, s23
.LBB6_193:
	v_mov_b32_e32 v5, v3
.LBB6_194:
	s_or_b32 exec_lo, exec_lo, s24
.LBB6_195:
	s_delay_alu instid0(SALU_CYCLE_1)
	s_or_b32 exec_lo, exec_lo, s22
	s_mov_b32 s22, 0
	global_store_b8 v[0:1], v5, off
.LBB6_196:
	s_and_b32 vcc_lo, exec_lo, s22
	s_cbranch_vccz .LBB6_206
; %bb.197:
	s_wait_xcnt 0x0
	v_cvt_f32_ubyte0_e32 v4, v2
	s_mov_b32 s22, exec_lo
                                        ; implicit-def: $vgpr3
	s_delay_alu instid0(VALU_DEP_1)
	v_cmpx_gt_u32_e32 0x43f00000, v4
	s_xor_b32 s22, exec_lo, s22
	s_cbranch_execz .LBB6_203
; %bb.198:
	s_mov_b32 s23, exec_lo
                                        ; implicit-def: $vgpr3
	v_cmpx_lt_u32_e32 0x3c7fffff, v4
	s_xor_b32 s23, exec_lo, s23
; %bb.199:
	v_bfe_u32 v3, v4, 20, 1
	s_delay_alu instid0(VALU_DEP_1) | instskip(NEXT) | instid1(VALU_DEP_1)
	v_add3_u32 v3, v4, v3, 0x407ffff
	v_and_b32_e32 v4, 0xff00000, v3
	v_lshrrev_b32_e32 v3, 20, v3
	s_delay_alu instid0(VALU_DEP_2) | instskip(NEXT) | instid1(VALU_DEP_2)
	v_cmp_ne_u32_e32 vcc_lo, 0x7f00000, v4
                                        ; implicit-def: $vgpr4
	v_cndmask_b32_e32 v3, 0x7e, v3, vcc_lo
; %bb.200:
	s_and_not1_saveexec_b32 s23, s23
; %bb.201:
	v_add_f32_e32 v3, 0x46800000, v4
; %bb.202:
	s_or_b32 exec_lo, exec_lo, s23
                                        ; implicit-def: $vgpr4
.LBB6_203:
	s_and_not1_saveexec_b32 s22, s22
; %bb.204:
	v_mov_b32_e32 v3, 0x7f
	v_cmp_lt_u32_e32 vcc_lo, 0x7f800000, v4
	s_delay_alu instid0(VALU_DEP_2)
	v_cndmask_b32_e32 v3, 0x7e, v3, vcc_lo
; %bb.205:
	s_or_b32 exec_lo, exec_lo, s22
	global_store_b8 v[0:1], v3, off
.LBB6_206:
	s_mov_b32 s22, 0
.LBB6_207:
	s_delay_alu instid0(SALU_CYCLE_1)
	s_and_not1_b32 vcc_lo, exec_lo, s22
	s_cbranch_vccnz .LBB6_217
; %bb.208:
	s_wait_xcnt 0x0
	v_cvt_f32_ubyte0_e32 v4, v2
	s_mov_b32 s22, exec_lo
                                        ; implicit-def: $vgpr3
	s_delay_alu instid0(VALU_DEP_1)
	v_cmpx_gt_u32_e32 0x47800000, v4
	s_xor_b32 s22, exec_lo, s22
	s_cbranch_execz .LBB6_214
; %bb.209:
	s_mov_b32 s23, exec_lo
                                        ; implicit-def: $vgpr3
	v_cmpx_lt_u32_e32 0x387fffff, v4
	s_xor_b32 s23, exec_lo, s23
; %bb.210:
	v_bfe_u32 v3, v4, 21, 1
	s_delay_alu instid0(VALU_DEP_1) | instskip(NEXT) | instid1(VALU_DEP_1)
	v_add3_u32 v3, v4, v3, 0x80fffff
                                        ; implicit-def: $vgpr4
	v_lshrrev_b32_e32 v3, 21, v3
; %bb.211:
	s_and_not1_saveexec_b32 s23, s23
; %bb.212:
	v_add_f32_e32 v3, 0x43000000, v4
; %bb.213:
	s_or_b32 exec_lo, exec_lo, s23
                                        ; implicit-def: $vgpr4
.LBB6_214:
	s_and_not1_saveexec_b32 s22, s22
; %bb.215:
	v_mov_b32_e32 v3, 0x7f
	v_cmp_lt_u32_e32 vcc_lo, 0x7f800000, v4
	s_delay_alu instid0(VALU_DEP_2)
	v_cndmask_b32_e32 v3, 0x7c, v3, vcc_lo
; %bb.216:
	s_or_b32 exec_lo, exec_lo, s22
	global_store_b8 v[0:1], v3, off
.LBB6_217:
	s_mov_b32 s23, 0
	s_mov_b32 s22, -1
.LBB6_218:
	s_and_not1_b32 vcc_lo, exec_lo, s23
	s_cbranch_vccnz .LBB6_226
; %bb.219:
	s_cmp_gt_i32 s21, 14
	s_mov_b32 s23, -1
	s_cbranch_scc0 .LBB6_223
; %bb.220:
	s_cmp_eq_u32 s21, 15
	s_mov_b32 s0, -1
	s_cbranch_scc0 .LBB6_222
; %bb.221:
	s_wait_xcnt 0x0
	v_cvt_f32_ubyte0_e32 v3, v2
	s_mov_b32 s22, -1
	s_mov_b32 s0, 0
	s_delay_alu instid0(VALU_DEP_1) | instskip(NEXT) | instid1(VALU_DEP_1)
	v_bfe_u32 v4, v3, 16, 1
	v_add3_u32 v3, v3, v4, 0x7fff
	global_store_d16_hi_b16 v[0:1], v3, off
.LBB6_222:
	s_mov_b32 s23, 0
.LBB6_223:
	s_delay_alu instid0(SALU_CYCLE_1)
	s_and_b32 vcc_lo, exec_lo, s23
	s_cbranch_vccz .LBB6_226
; %bb.224:
	s_cmp_eq_u32 s21, 11
	s_mov_b32 s0, -1
	s_cbranch_scc0 .LBB6_226
; %bb.225:
	s_wait_xcnt 0x0
	v_and_b32_e32 v3, 0xff, v2
	s_mov_b32 s0, 0
	s_mov_b32 s22, -1
	s_delay_alu instid0(VALU_DEP_1)
	v_cmp_ne_u16_e32 vcc_lo, 0, v3
	v_cndmask_b32_e64 v3, 0, 1, vcc_lo
	global_store_b8 v[0:1], v3, off
.LBB6_226:
	s_mov_b32 s21, 0
.LBB6_227:
	s_delay_alu instid0(SALU_CYCLE_1)
	s_and_b32 vcc_lo, exec_lo, s21
	s_cbranch_vccz .LBB6_266
; %bb.228:
	s_and_b32 s15, 0xffff, s15
	s_mov_b32 s21, -1
	s_cmp_lt_i32 s15, 5
	s_cbranch_scc1 .LBB6_249
; %bb.229:
	s_cmp_lt_i32 s15, 8
	s_cbranch_scc1 .LBB6_239
; %bb.230:
	;; [unrolled: 3-line block ×3, first 2 shown]
	s_cmp_gt_i32 s15, 9
	s_cbranch_scc0 .LBB6_233
; %bb.232:
	s_wait_xcnt 0x0
	v_and_b32_e32 v3, 0xff, v2
	v_mov_b32_e32 v6, 0
	s_mov_b32 s21, 0
	s_delay_alu instid0(VALU_DEP_2) | instskip(NEXT) | instid1(VALU_DEP_2)
	v_and_b32_e32 v3, 0xffff, v3
	v_mov_b32_e32 v7, v6
	s_delay_alu instid0(VALU_DEP_2)
	v_cvt_f64_u32_e32 v[4:5], v3
	global_store_b128 v[0:1], v[4:7], off
.LBB6_233:
	s_and_not1_b32 vcc_lo, exec_lo, s21
	s_cbranch_vccnz .LBB6_235
; %bb.234:
	s_wait_xcnt 0x0
	v_cvt_f32_ubyte0_e32 v4, v2
	v_mov_b32_e32 v5, 0
	global_store_b64 v[0:1], v[4:5], off
.LBB6_235:
	s_mov_b32 s21, 0
.LBB6_236:
	s_delay_alu instid0(SALU_CYCLE_1)
	s_and_not1_b32 vcc_lo, exec_lo, s21
	s_cbranch_vccnz .LBB6_238
; %bb.237:
	s_wait_xcnt 0x0
	v_and_b32_e32 v3, 0xff, v2
	s_delay_alu instid0(VALU_DEP_1) | instskip(NEXT) | instid1(VALU_DEP_1)
	v_cvt_f16_u16_e32 v3, v3
	v_and_b32_e32 v3, 0xffff, v3
	global_store_b32 v[0:1], v3, off
.LBB6_238:
	s_mov_b32 s21, 0
.LBB6_239:
	s_delay_alu instid0(SALU_CYCLE_1)
	s_and_not1_b32 vcc_lo, exec_lo, s21
	s_cbranch_vccnz .LBB6_248
; %bb.240:
	s_cmp_lt_i32 s15, 6
	s_mov_b32 s21, -1
	s_cbranch_scc1 .LBB6_246
; %bb.241:
	s_cmp_gt_i32 s15, 6
	s_cbranch_scc0 .LBB6_243
; %bb.242:
	s_wait_xcnt 0x0
	v_and_b32_e32 v3, 0xff, v2
	s_mov_b32 s21, 0
	s_delay_alu instid0(VALU_DEP_1) | instskip(NEXT) | instid1(VALU_DEP_1)
	v_and_b32_e32 v3, 0xffff, v3
	v_cvt_f64_u32_e32 v[4:5], v3
	global_store_b64 v[0:1], v[4:5], off
.LBB6_243:
	s_and_not1_b32 vcc_lo, exec_lo, s21
	s_cbranch_vccnz .LBB6_245
; %bb.244:
	s_wait_xcnt 0x0
	v_cvt_f32_ubyte0_e32 v3, v2
	global_store_b32 v[0:1], v3, off
.LBB6_245:
	s_mov_b32 s21, 0
.LBB6_246:
	s_delay_alu instid0(SALU_CYCLE_1)
	s_and_not1_b32 vcc_lo, exec_lo, s21
	s_cbranch_vccnz .LBB6_248
; %bb.247:
	s_wait_xcnt 0x0
	v_and_b32_e32 v3, 0xff, v2
	s_delay_alu instid0(VALU_DEP_1)
	v_cvt_f16_u16_e32 v3, v3
	global_store_b16 v[0:1], v3, off
.LBB6_248:
	s_mov_b32 s21, 0
.LBB6_249:
	s_delay_alu instid0(SALU_CYCLE_1)
	s_and_not1_b32 vcc_lo, exec_lo, s21
	s_cbranch_vccnz .LBB6_265
; %bb.250:
	s_cmp_lt_i32 s15, 2
	s_mov_b32 s21, -1
	s_cbranch_scc1 .LBB6_260
; %bb.251:
	s_cmp_lt_i32 s15, 3
	s_cbranch_scc1 .LBB6_257
; %bb.252:
	s_cmp_gt_i32 s15, 3
	s_cbranch_scc0 .LBB6_254
; %bb.253:
	s_wait_xcnt 0x0
	v_and_b32_e32 v4, 0xff, v2
	v_mov_b32_e32 v5, 0
	s_mov_b32 s21, 0
	global_store_b64 v[0:1], v[4:5], off
.LBB6_254:
	s_and_not1_b32 vcc_lo, exec_lo, s21
	s_cbranch_vccnz .LBB6_256
; %bb.255:
	s_wait_xcnt 0x0
	v_and_b32_e32 v3, 0xff, v2
	global_store_b32 v[0:1], v3, off
.LBB6_256:
	s_mov_b32 s21, 0
.LBB6_257:
	s_delay_alu instid0(SALU_CYCLE_1)
	s_and_not1_b32 vcc_lo, exec_lo, s21
	s_cbranch_vccnz .LBB6_259
; %bb.258:
	s_wait_xcnt 0x0
	v_and_b32_e32 v3, 0xff, v2
	global_store_b16 v[0:1], v3, off
.LBB6_259:
	s_mov_b32 s21, 0
.LBB6_260:
	s_delay_alu instid0(SALU_CYCLE_1)
	s_and_not1_b32 vcc_lo, exec_lo, s21
	s_cbranch_vccnz .LBB6_265
; %bb.261:
	s_cmp_gt_i32 s15, 0
	s_mov_b32 s15, -1
	s_cbranch_scc0 .LBB6_263
; %bb.262:
	s_mov_b32 s15, 0
	global_store_b8 v[0:1], v2, off
.LBB6_263:
	s_and_not1_b32 vcc_lo, exec_lo, s15
	s_cbranch_vccnz .LBB6_265
; %bb.264:
	global_store_b8 v[0:1], v2, off
.LBB6_265:
	s_mov_b32 s22, -1
.LBB6_266:
	s_delay_alu instid0(SALU_CYCLE_1)
	s_and_not1_b32 vcc_lo, exec_lo, s22
	s_cbranch_vccnz .LBB6_375
; %bb.267:
	v_add_nc_u32_e32 v14, 0x80, v14
	s_mov_b32 s21, -1
	s_branch .LBB6_376
.LBB6_268:
	s_mov_b32 s17, -1
                                        ; implicit-def: $vgpr2
.LBB6_269:
	s_mov_b32 s22, 0
.LBB6_270:
	s_delay_alu instid0(SALU_CYCLE_1)
	s_and_b32 vcc_lo, exec_lo, s22
	s_cbranch_vccz .LBB6_274
; %bb.271:
	s_cmp_eq_u32 s15, 29
	s_cbranch_scc0 .LBB6_273
; %bb.272:
	global_load_b64 v[2:3], v[4:5], off
	s_mov_b32 s21, -1
	s_mov_b32 s17, 0
	s_branch .LBB6_274
.LBB6_273:
	s_mov_b32 s17, -1
                                        ; implicit-def: $vgpr2
.LBB6_274:
	s_mov_b32 s22, 0
.LBB6_275:
	s_delay_alu instid0(SALU_CYCLE_1)
	s_and_b32 vcc_lo, exec_lo, s22
	s_cbranch_vccz .LBB6_291
; %bb.276:
	s_cmp_lt_i32 s15, 27
	s_cbranch_scc1 .LBB6_279
; %bb.277:
	s_cmp_gt_i32 s15, 27
	s_cbranch_scc0 .LBB6_280
; %bb.278:
	s_wait_loadcnt 0x0
	global_load_b32 v2, v[4:5], off
	s_mov_b32 s21, 0
	s_branch .LBB6_281
.LBB6_279:
	s_mov_b32 s21, -1
                                        ; implicit-def: $vgpr2
	s_branch .LBB6_284
.LBB6_280:
	s_mov_b32 s21, -1
                                        ; implicit-def: $vgpr2
.LBB6_281:
	s_delay_alu instid0(SALU_CYCLE_1)
	s_and_not1_b32 vcc_lo, exec_lo, s21
	s_cbranch_vccnz .LBB6_283
; %bb.282:
	s_wait_loadcnt 0x0
	global_load_u16 v2, v[4:5], off
.LBB6_283:
	s_mov_b32 s21, 0
.LBB6_284:
	s_delay_alu instid0(SALU_CYCLE_1)
	s_and_not1_b32 vcc_lo, exec_lo, s21
	s_cbranch_vccnz .LBB6_290
; %bb.285:
	s_wait_loadcnt 0x0
	global_load_u8 v1, v[4:5], off
	s_mov_b32 s22, 0
	s_mov_b32 s21, exec_lo
	s_wait_loadcnt 0x0
	v_cmpx_lt_i16_e32 0x7f, v1
	s_xor_b32 s21, exec_lo, s21
	s_cbranch_execz .LBB6_302
; %bb.286:
	v_cmp_ne_u16_e32 vcc_lo, 0x80, v1
	s_and_b32 s22, vcc_lo, exec_lo
	s_and_not1_saveexec_b32 s21, s21
	s_cbranch_execnz .LBB6_303
.LBB6_287:
	s_or_b32 exec_lo, exec_lo, s21
	v_mov_b32_e32 v2, 0
	s_and_saveexec_b32 s21, s22
	s_cbranch_execz .LBB6_289
.LBB6_288:
	v_and_b32_e32 v2, 0xffff, v1
	s_delay_alu instid0(VALU_DEP_1) | instskip(SKIP_1) | instid1(VALU_DEP_2)
	v_dual_lshlrev_b32 v1, 24, v1 :: v_dual_bitop2_b32 v3, 7, v2 bitop3:0x40
	v_bfe_u32 v8, v2, 3, 4
	v_and_b32_e32 v1, 0x80000000, v1
	s_delay_alu instid0(VALU_DEP_3) | instskip(NEXT) | instid1(VALU_DEP_3)
	v_clz_i32_u32_e32 v6, v3
	v_cmp_eq_u32_e32 vcc_lo, 0, v8
	s_delay_alu instid0(VALU_DEP_2) | instskip(NEXT) | instid1(VALU_DEP_1)
	v_min_u32_e32 v6, 32, v6
	v_subrev_nc_u32_e32 v7, 28, v6
	v_sub_nc_u32_e32 v6, 29, v6
	s_delay_alu instid0(VALU_DEP_2) | instskip(NEXT) | instid1(VALU_DEP_2)
	v_lshlrev_b32_e32 v2, v7, v2
	v_cndmask_b32_e32 v6, v8, v6, vcc_lo
	s_delay_alu instid0(VALU_DEP_2) | instskip(NEXT) | instid1(VALU_DEP_1)
	v_and_b32_e32 v2, 7, v2
	v_cndmask_b32_e32 v2, v3, v2, vcc_lo
	s_delay_alu instid0(VALU_DEP_3) | instskip(NEXT) | instid1(VALU_DEP_2)
	v_lshl_add_u32 v3, v6, 23, 0x3b800000
	v_lshlrev_b32_e32 v2, 20, v2
	s_delay_alu instid0(VALU_DEP_1) | instskip(NEXT) | instid1(VALU_DEP_1)
	v_or3_b32 v1, v1, v3, v2
	v_trunc_f32_e32 v1, v1
	s_delay_alu instid0(VALU_DEP_1) | instskip(NEXT) | instid1(VALU_DEP_1)
	v_mul_f32_e64 v2, 0x2f800000, |v1|
	v_floor_f32_e32 v2, v2
	s_delay_alu instid0(VALU_DEP_1) | instskip(SKIP_1) | instid1(VALU_DEP_2)
	v_fma_f32 v2, 0xcf800000, v2, |v1|
	v_ashrrev_i32_e32 v1, 31, v1
	v_cvt_u32_f32_e32 v2, v2
	s_delay_alu instid0(VALU_DEP_1) | instskip(NEXT) | instid1(VALU_DEP_1)
	v_xor_b32_e32 v2, v2, v1
	v_sub_nc_u32_e32 v2, v2, v1
.LBB6_289:
	s_or_b32 exec_lo, exec_lo, s21
.LBB6_290:
	s_mov_b32 s21, -1
.LBB6_291:
	s_mov_b32 s22, 0
.LBB6_292:
	s_delay_alu instid0(SALU_CYCLE_1)
	s_and_b32 vcc_lo, exec_lo, s22
	s_cbranch_vccz .LBB6_325
; %bb.293:
	s_cmp_gt_i32 s15, 22
	s_cbranch_scc0 .LBB6_301
; %bb.294:
	s_cmp_lt_i32 s15, 24
	s_cbranch_scc1 .LBB6_304
; %bb.295:
	s_cmp_gt_i32 s15, 24
	s_cbranch_scc0 .LBB6_305
; %bb.296:
	s_wait_loadcnt 0x0
	global_load_u8 v1, v[4:5], off
	s_mov_b32 s22, 0
	s_mov_b32 s21, exec_lo
	s_wait_loadcnt 0x0
	v_cmpx_lt_i16_e32 0x7f, v1
	s_xor_b32 s21, exec_lo, s21
	s_cbranch_execz .LBB6_317
; %bb.297:
	v_cmp_ne_u16_e32 vcc_lo, 0x80, v1
	s_and_b32 s22, vcc_lo, exec_lo
	s_and_not1_saveexec_b32 s21, s21
	s_cbranch_execnz .LBB6_318
.LBB6_298:
	s_or_b32 exec_lo, exec_lo, s21
	v_mov_b32_e32 v2, 0
	s_and_saveexec_b32 s21, s22
	s_cbranch_execz .LBB6_300
.LBB6_299:
	v_and_b32_e32 v2, 0xffff, v1
	s_delay_alu instid0(VALU_DEP_1) | instskip(SKIP_1) | instid1(VALU_DEP_2)
	v_dual_lshlrev_b32 v1, 24, v1 :: v_dual_bitop2_b32 v3, 3, v2 bitop3:0x40
	v_bfe_u32 v8, v2, 2, 5
	v_and_b32_e32 v1, 0x80000000, v1
	s_delay_alu instid0(VALU_DEP_3) | instskip(NEXT) | instid1(VALU_DEP_3)
	v_clz_i32_u32_e32 v6, v3
	v_cmp_eq_u32_e32 vcc_lo, 0, v8
	s_delay_alu instid0(VALU_DEP_2) | instskip(NEXT) | instid1(VALU_DEP_1)
	v_min_u32_e32 v6, 32, v6
	v_subrev_nc_u32_e32 v7, 29, v6
	v_sub_nc_u32_e32 v6, 30, v6
	s_delay_alu instid0(VALU_DEP_2) | instskip(NEXT) | instid1(VALU_DEP_2)
	v_lshlrev_b32_e32 v2, v7, v2
	v_cndmask_b32_e32 v6, v8, v6, vcc_lo
	s_delay_alu instid0(VALU_DEP_2) | instskip(NEXT) | instid1(VALU_DEP_1)
	v_and_b32_e32 v2, 3, v2
	v_cndmask_b32_e32 v2, v3, v2, vcc_lo
	s_delay_alu instid0(VALU_DEP_3) | instskip(NEXT) | instid1(VALU_DEP_2)
	v_lshl_add_u32 v3, v6, 23, 0x37800000
	v_lshlrev_b32_e32 v2, 21, v2
	s_delay_alu instid0(VALU_DEP_1) | instskip(NEXT) | instid1(VALU_DEP_1)
	v_or3_b32 v1, v1, v3, v2
	v_trunc_f32_e32 v1, v1
	s_delay_alu instid0(VALU_DEP_1) | instskip(NEXT) | instid1(VALU_DEP_1)
	v_mul_f32_e64 v2, 0x2f800000, |v1|
	v_floor_f32_e32 v2, v2
	s_delay_alu instid0(VALU_DEP_1) | instskip(SKIP_1) | instid1(VALU_DEP_2)
	v_fma_f32 v2, 0xcf800000, v2, |v1|
	v_ashrrev_i32_e32 v1, 31, v1
	v_cvt_u32_f32_e32 v2, v2
	s_delay_alu instid0(VALU_DEP_1) | instskip(NEXT) | instid1(VALU_DEP_1)
	v_xor_b32_e32 v2, v2, v1
	v_sub_nc_u32_e32 v2, v2, v1
.LBB6_300:
	s_or_b32 exec_lo, exec_lo, s21
	s_mov_b32 s21, 0
	s_branch .LBB6_306
.LBB6_301:
	s_mov_b32 s22, -1
                                        ; implicit-def: $vgpr2
	s_branch .LBB6_312
.LBB6_302:
	s_and_not1_saveexec_b32 s21, s21
	s_cbranch_execz .LBB6_287
.LBB6_303:
	v_cmp_ne_u16_e32 vcc_lo, 0, v1
	s_and_not1_b32 s22, s22, exec_lo
	s_and_b32 s23, vcc_lo, exec_lo
	s_delay_alu instid0(SALU_CYCLE_1)
	s_or_b32 s22, s22, s23
	s_or_b32 exec_lo, exec_lo, s21
	v_mov_b32_e32 v2, 0
	s_and_saveexec_b32 s21, s22
	s_cbranch_execnz .LBB6_288
	s_branch .LBB6_289
.LBB6_304:
	s_mov_b32 s21, -1
                                        ; implicit-def: $vgpr2
	s_branch .LBB6_309
.LBB6_305:
	s_mov_b32 s21, -1
                                        ; implicit-def: $vgpr2
.LBB6_306:
	s_delay_alu instid0(SALU_CYCLE_1)
	s_and_b32 vcc_lo, exec_lo, s21
	s_cbranch_vccz .LBB6_308
; %bb.307:
	s_wait_loadcnt 0x0
	global_load_u8 v1, v[4:5], off
	s_wait_loadcnt 0x0
	v_lshlrev_b32_e32 v1, 24, v1
	s_delay_alu instid0(VALU_DEP_1) | instskip(NEXT) | instid1(VALU_DEP_1)
	v_and_b32_e32 v2, 0x7f000000, v1
	v_clz_i32_u32_e32 v3, v2
	v_cmp_ne_u32_e32 vcc_lo, 0, v2
	v_add_nc_u32_e32 v7, 0x1000000, v2
	s_delay_alu instid0(VALU_DEP_3) | instskip(NEXT) | instid1(VALU_DEP_1)
	v_min_u32_e32 v3, 32, v3
	v_sub_nc_u32_e64 v3, v3, 4 clamp
	s_delay_alu instid0(VALU_DEP_1) | instskip(NEXT) | instid1(VALU_DEP_1)
	v_dual_lshlrev_b32 v6, v3, v2 :: v_dual_lshlrev_b32 v3, 23, v3
	v_lshrrev_b32_e32 v6, 4, v6
	s_delay_alu instid0(VALU_DEP_1) | instskip(SKIP_1) | instid1(VALU_DEP_2)
	v_sub_nc_u32_e32 v3, v6, v3
	v_ashrrev_i32_e32 v6, 8, v7
	v_add_nc_u32_e32 v3, 0x3c000000, v3
	s_delay_alu instid0(VALU_DEP_1) | instskip(NEXT) | instid1(VALU_DEP_1)
	v_and_or_b32 v3, 0x7f800000, v6, v3
	v_cndmask_b32_e32 v2, 0, v3, vcc_lo
	s_delay_alu instid0(VALU_DEP_1) | instskip(NEXT) | instid1(VALU_DEP_1)
	v_and_or_b32 v1, 0x80000000, v1, v2
	v_trunc_f32_e32 v1, v1
	s_delay_alu instid0(VALU_DEP_1) | instskip(NEXT) | instid1(VALU_DEP_1)
	v_mul_f32_e64 v2, 0x2f800000, |v1|
	v_floor_f32_e32 v2, v2
	s_delay_alu instid0(VALU_DEP_1) | instskip(SKIP_1) | instid1(VALU_DEP_2)
	v_fma_f32 v2, 0xcf800000, v2, |v1|
	v_ashrrev_i32_e32 v1, 31, v1
	v_cvt_u32_f32_e32 v2, v2
	s_delay_alu instid0(VALU_DEP_1) | instskip(NEXT) | instid1(VALU_DEP_1)
	v_xor_b32_e32 v2, v2, v1
	v_sub_nc_u32_e32 v2, v2, v1
.LBB6_308:
	s_mov_b32 s21, 0
.LBB6_309:
	s_delay_alu instid0(SALU_CYCLE_1)
	s_and_not1_b32 vcc_lo, exec_lo, s21
	s_cbranch_vccnz .LBB6_311
; %bb.310:
	s_wait_loadcnt 0x0
	global_load_u8 v1, v[4:5], off
	s_wait_loadcnt 0x0
	v_lshlrev_b32_e32 v2, 25, v1
	v_lshlrev_b16 v1, 8, v1
	s_delay_alu instid0(VALU_DEP_1) | instskip(SKIP_1) | instid1(VALU_DEP_2)
	v_and_or_b32 v6, 0x7f00, v1, 0.5
	v_bfe_i32 v1, v1, 0, 16
	v_add_f32_e32 v6, -0.5, v6
	v_lshrrev_b32_e32 v3, 4, v2
	v_cmp_gt_u32_e32 vcc_lo, 0x8000000, v2
	s_delay_alu instid0(VALU_DEP_2) | instskip(NEXT) | instid1(VALU_DEP_1)
	v_or_b32_e32 v3, 0x70000000, v3
	v_mul_f32_e32 v3, 0x7800000, v3
	s_delay_alu instid0(VALU_DEP_1) | instskip(NEXT) | instid1(VALU_DEP_1)
	v_cndmask_b32_e32 v2, v3, v6, vcc_lo
	v_and_or_b32 v1, 0x80000000, v1, v2
	s_delay_alu instid0(VALU_DEP_1) | instskip(NEXT) | instid1(VALU_DEP_1)
	v_trunc_f32_e32 v1, v1
	v_mul_f32_e64 v2, 0x2f800000, |v1|
	s_delay_alu instid0(VALU_DEP_1) | instskip(NEXT) | instid1(VALU_DEP_1)
	v_floor_f32_e32 v2, v2
	v_fma_f32 v2, 0xcf800000, v2, |v1|
	v_ashrrev_i32_e32 v1, 31, v1
	s_delay_alu instid0(VALU_DEP_2) | instskip(NEXT) | instid1(VALU_DEP_1)
	v_cvt_u32_f32_e32 v2, v2
	v_xor_b32_e32 v2, v2, v1
	s_delay_alu instid0(VALU_DEP_1)
	v_sub_nc_u32_e32 v2, v2, v1
.LBB6_311:
	s_mov_b32 s22, 0
	s_mov_b32 s21, -1
.LBB6_312:
	s_and_not1_b32 vcc_lo, exec_lo, s22
	s_cbranch_vccnz .LBB6_325
; %bb.313:
	s_cmp_gt_i32 s15, 14
	s_cbranch_scc0 .LBB6_316
; %bb.314:
	s_cmp_eq_u32 s15, 15
	s_cbranch_scc0 .LBB6_319
; %bb.315:
	s_wait_loadcnt 0x0
	global_load_u16 v1, v[4:5], off
	s_mov_b32 s21, -1
	s_mov_b32 s17, 0
	s_wait_loadcnt 0x0
	v_lshlrev_b32_e32 v1, 16, v1
	s_delay_alu instid0(VALU_DEP_1) | instskip(NEXT) | instid1(VALU_DEP_1)
	v_trunc_f32_e32 v1, v1
	v_mul_f32_e64 v2, 0x2f800000, |v1|
	s_delay_alu instid0(VALU_DEP_1) | instskip(NEXT) | instid1(VALU_DEP_1)
	v_floor_f32_e32 v2, v2
	v_fma_f32 v2, 0xcf800000, v2, |v1|
	v_ashrrev_i32_e32 v1, 31, v1
	s_delay_alu instid0(VALU_DEP_2) | instskip(NEXT) | instid1(VALU_DEP_1)
	v_cvt_u32_f32_e32 v2, v2
	v_xor_b32_e32 v2, v2, v1
	s_delay_alu instid0(VALU_DEP_1)
	v_sub_nc_u32_e32 v2, v2, v1
	s_branch .LBB6_320
.LBB6_316:
	s_mov_b32 s22, -1
                                        ; implicit-def: $vgpr2
	s_branch .LBB6_321
.LBB6_317:
	s_and_not1_saveexec_b32 s21, s21
	s_cbranch_execz .LBB6_298
.LBB6_318:
	v_cmp_ne_u16_e32 vcc_lo, 0, v1
	s_and_not1_b32 s22, s22, exec_lo
	s_and_b32 s23, vcc_lo, exec_lo
	s_delay_alu instid0(SALU_CYCLE_1)
	s_or_b32 s22, s22, s23
	s_or_b32 exec_lo, exec_lo, s21
	v_mov_b32_e32 v2, 0
	s_and_saveexec_b32 s21, s22
	s_cbranch_execnz .LBB6_299
	s_branch .LBB6_300
.LBB6_319:
	s_mov_b32 s17, -1
                                        ; implicit-def: $vgpr2
.LBB6_320:
	s_mov_b32 s22, 0
.LBB6_321:
	s_delay_alu instid0(SALU_CYCLE_1)
	s_and_b32 vcc_lo, exec_lo, s22
	s_cbranch_vccz .LBB6_325
; %bb.322:
	s_cmp_eq_u32 s15, 11
	s_cbranch_scc0 .LBB6_324
; %bb.323:
	s_wait_loadcnt 0x0
	global_load_u8 v1, v[4:5], off
	s_mov_b32 s17, 0
	s_mov_b32 s21, -1
	s_wait_loadcnt 0x0
	v_cmp_ne_u16_e32 vcc_lo, 0, v1
	v_cndmask_b32_e64 v2, 0, 1, vcc_lo
	s_branch .LBB6_325
.LBB6_324:
	s_mov_b32 s17, -1
                                        ; implicit-def: $vgpr2
.LBB6_325:
	s_branch .LBB6_20
.LBB6_326:
	s_and_b32 s0, 0xffff, s0
	s_delay_alu instid0(SALU_CYCLE_1)
	s_cmp_lt_i32 s0, 5
	s_cbranch_scc1 .LBB6_331
; %bb.327:
	s_cmp_lt_i32 s0, 8
	s_cbranch_scc1 .LBB6_332
; %bb.328:
	;; [unrolled: 3-line block ×3, first 2 shown]
	s_cmp_gt_i32 s0, 9
	s_cbranch_scc0 .LBB6_334
; %bb.330:
	s_wait_loadcnt 0x0
	global_load_b64 v[2:3], v[4:5], off
	s_mov_b32 s15, 0
	s_wait_loadcnt 0x0
	v_trunc_f64_e32 v[2:3], v[2:3]
	s_delay_alu instid0(VALU_DEP_1) | instskip(NEXT) | instid1(VALU_DEP_1)
	v_ldexp_f64 v[6:7], v[2:3], 0xffffffe0
	v_floor_f64_e32 v[6:7], v[6:7]
	s_delay_alu instid0(VALU_DEP_1) | instskip(NEXT) | instid1(VALU_DEP_1)
	v_fmamk_f64 v[2:3], v[6:7], 0xc1f00000, v[2:3]
	v_cvt_u32_f64_e32 v2, v[2:3]
	s_branch .LBB6_335
.LBB6_331:
	s_mov_b32 s15, -1
                                        ; implicit-def: $vgpr2
	s_branch .LBB6_353
.LBB6_332:
	s_mov_b32 s15, -1
                                        ; implicit-def: $vgpr2
	s_branch .LBB6_341
.LBB6_333:
	s_mov_b32 s15, -1
                                        ; implicit-def: $vgpr2
	s_branch .LBB6_338
.LBB6_334:
	s_mov_b32 s15, -1
                                        ; implicit-def: $vgpr2
.LBB6_335:
	s_delay_alu instid0(SALU_CYCLE_1)
	s_and_not1_b32 vcc_lo, exec_lo, s15
	s_cbranch_vccnz .LBB6_337
; %bb.336:
	s_wait_loadcnt 0x0
	global_load_b32 v1, v[4:5], off
	s_wait_loadcnt 0x0
	v_trunc_f32_e32 v1, v1
	s_delay_alu instid0(VALU_DEP_1) | instskip(NEXT) | instid1(VALU_DEP_1)
	v_mul_f32_e64 v2, 0x2f800000, |v1|
	v_floor_f32_e32 v2, v2
	s_delay_alu instid0(VALU_DEP_1) | instskip(SKIP_1) | instid1(VALU_DEP_2)
	v_fma_f32 v2, 0xcf800000, v2, |v1|
	v_ashrrev_i32_e32 v1, 31, v1
	v_cvt_u32_f32_e32 v2, v2
	s_delay_alu instid0(VALU_DEP_1) | instskip(NEXT) | instid1(VALU_DEP_1)
	v_xor_b32_e32 v2, v2, v1
	v_sub_nc_u32_e32 v2, v2, v1
.LBB6_337:
	s_mov_b32 s15, 0
.LBB6_338:
	s_delay_alu instid0(SALU_CYCLE_1)
	s_and_not1_b32 vcc_lo, exec_lo, s15
	s_cbranch_vccnz .LBB6_340
; %bb.339:
	s_wait_loadcnt 0x0
	global_load_b32 v1, v[4:5], off
	s_wait_loadcnt 0x0
	v_cvt_f32_f16_e32 v1, v1
	s_delay_alu instid0(VALU_DEP_1)
	v_cvt_i32_f32_e32 v2, v1
.LBB6_340:
	s_mov_b32 s15, 0
.LBB6_341:
	s_delay_alu instid0(SALU_CYCLE_1)
	s_and_not1_b32 vcc_lo, exec_lo, s15
	s_cbranch_vccnz .LBB6_352
; %bb.342:
	s_cmp_lt_i32 s0, 6
	s_cbranch_scc1 .LBB6_345
; %bb.343:
	s_cmp_gt_i32 s0, 6
	s_cbranch_scc0 .LBB6_346
; %bb.344:
	s_wait_loadcnt 0x0
	global_load_b64 v[2:3], v[4:5], off
	s_mov_b32 s15, 0
	s_wait_loadcnt 0x0
	v_trunc_f64_e32 v[2:3], v[2:3]
	s_delay_alu instid0(VALU_DEP_1) | instskip(NEXT) | instid1(VALU_DEP_1)
	v_ldexp_f64 v[6:7], v[2:3], 0xffffffe0
	v_floor_f64_e32 v[6:7], v[6:7]
	s_delay_alu instid0(VALU_DEP_1) | instskip(NEXT) | instid1(VALU_DEP_1)
	v_fmamk_f64 v[2:3], v[6:7], 0xc1f00000, v[2:3]
	v_cvt_u32_f64_e32 v2, v[2:3]
	s_branch .LBB6_347
.LBB6_345:
	s_mov_b32 s15, -1
                                        ; implicit-def: $vgpr2
	s_branch .LBB6_350
.LBB6_346:
	s_mov_b32 s15, -1
                                        ; implicit-def: $vgpr2
.LBB6_347:
	s_delay_alu instid0(SALU_CYCLE_1)
	s_and_not1_b32 vcc_lo, exec_lo, s15
	s_cbranch_vccnz .LBB6_349
; %bb.348:
	s_wait_loadcnt 0x0
	global_load_b32 v1, v[4:5], off
	s_wait_loadcnt 0x0
	v_trunc_f32_e32 v1, v1
	s_delay_alu instid0(VALU_DEP_1) | instskip(NEXT) | instid1(VALU_DEP_1)
	v_mul_f32_e64 v2, 0x2f800000, |v1|
	v_floor_f32_e32 v2, v2
	s_delay_alu instid0(VALU_DEP_1) | instskip(SKIP_1) | instid1(VALU_DEP_2)
	v_fma_f32 v2, 0xcf800000, v2, |v1|
	v_ashrrev_i32_e32 v1, 31, v1
	v_cvt_u32_f32_e32 v2, v2
	s_delay_alu instid0(VALU_DEP_1) | instskip(NEXT) | instid1(VALU_DEP_1)
	v_xor_b32_e32 v2, v2, v1
	v_sub_nc_u32_e32 v2, v2, v1
.LBB6_349:
	s_mov_b32 s15, 0
.LBB6_350:
	s_delay_alu instid0(SALU_CYCLE_1)
	s_and_not1_b32 vcc_lo, exec_lo, s15
	s_cbranch_vccnz .LBB6_352
; %bb.351:
	s_wait_loadcnt 0x0
	global_load_u16 v1, v[4:5], off
	s_wait_loadcnt 0x0
	v_cvt_f32_f16_e32 v1, v1
	s_delay_alu instid0(VALU_DEP_1)
	v_cvt_i32_f32_e32 v2, v1
.LBB6_352:
	s_mov_b32 s15, 0
.LBB6_353:
	s_delay_alu instid0(SALU_CYCLE_1)
	s_and_not1_b32 vcc_lo, exec_lo, s15
	s_cbranch_vccnz .LBB6_373
; %bb.354:
	s_cmp_lt_i32 s0, 2
	s_cbranch_scc1 .LBB6_358
; %bb.355:
	s_cmp_lt_i32 s0, 3
	s_cbranch_scc1 .LBB6_359
; %bb.356:
	s_cmp_gt_i32 s0, 3
	s_cbranch_scc0 .LBB6_360
; %bb.357:
	s_wait_loadcnt 0x0
	global_load_b64 v[2:3], v[4:5], off
	s_mov_b32 s15, 0
	s_branch .LBB6_361
.LBB6_358:
	s_mov_b32 s15, -1
                                        ; implicit-def: $vgpr2
	s_branch .LBB6_367
.LBB6_359:
	s_mov_b32 s15, -1
                                        ; implicit-def: $vgpr2
	s_branch .LBB6_364
.LBB6_360:
	s_mov_b32 s15, -1
                                        ; implicit-def: $vgpr2
.LBB6_361:
	s_delay_alu instid0(SALU_CYCLE_1)
	s_and_not1_b32 vcc_lo, exec_lo, s15
	s_cbranch_vccnz .LBB6_363
; %bb.362:
	s_wait_loadcnt 0x0
	global_load_b32 v2, v[4:5], off
.LBB6_363:
	s_mov_b32 s15, 0
.LBB6_364:
	s_delay_alu instid0(SALU_CYCLE_1)
	s_and_not1_b32 vcc_lo, exec_lo, s15
	s_cbranch_vccnz .LBB6_366
; %bb.365:
	s_wait_loadcnt 0x0
	global_load_u16 v2, v[4:5], off
.LBB6_366:
	s_mov_b32 s15, 0
.LBB6_367:
	s_delay_alu instid0(SALU_CYCLE_1)
	s_and_not1_b32 vcc_lo, exec_lo, s15
	s_cbranch_vccnz .LBB6_373
; %bb.368:
	s_cmp_gt_i32 s0, 0
	s_mov_b32 s0, 0
	s_cbranch_scc0 .LBB6_370
; %bb.369:
	s_wait_loadcnt 0x0
	global_load_u8 v2, v[4:5], off
	s_branch .LBB6_371
.LBB6_370:
	s_mov_b32 s0, -1
                                        ; implicit-def: $vgpr2
.LBB6_371:
	s_delay_alu instid0(SALU_CYCLE_1)
	s_and_not1_b32 vcc_lo, exec_lo, s0
	s_cbranch_vccnz .LBB6_373
; %bb.372:
	s_wait_loadcnt 0x0
	global_load_u8 v2, v[4:5], off
.LBB6_373:
	s_branch .LBB6_21
.LBB6_374:
	s_mov_b32 s0, 0
.LBB6_375:
	s_mov_b32 s21, 0
                                        ; implicit-def: $vgpr14
.LBB6_376:
	s_and_b32 s15, s0, exec_lo
	s_and_b32 s17, s17, exec_lo
	;; [unrolled: 1-line block ×3, first 2 shown]
	s_or_not1_b32 s23, s21, exec_lo
.LBB6_377:
	s_wait_xcnt 0x0
	s_or_b32 exec_lo, exec_lo, s19
	s_mov_b32 s22, 0
	s_mov_b32 s21, 0
                                        ; implicit-def: $sgpr0
                                        ; implicit-def: $vgpr2_vgpr3
                                        ; implicit-def: $vgpr0
	s_and_saveexec_b32 s19, s23
	s_cbranch_execz .LBB6_386
; %bb.378:
	s_mov_b32 s25, -1
	s_mov_b32 s20, s18
	s_mov_b32 s22, s17
	;; [unrolled: 1-line block ×3, first 2 shown]
	s_mov_b32 s23, exec_lo
	v_cmpx_gt_i32_e64 s16, v14
	s_cbranch_execz .LBB6_765
; %bb.379:
	s_wait_loadcnt 0x0
	v_mul_lo_u32 v0, v14, s9
	s_and_b32 s0, s13, 0xff
	s_delay_alu instid0(SALU_CYCLE_1) | instskip(NEXT) | instid1(VALU_DEP_1)
	s_cmp_lt_i32 s0, 11
	v_ashrrev_i32_e32 v1, 31, v0
	s_delay_alu instid0(VALU_DEP_1)
	v_add_nc_u64_e32 v[2:3], s[6:7], v[0:1]
	s_cbranch_scc1 .LBB6_389
; %bb.380:
	s_and_b32 s21, 0xffff, s0
	s_delay_alu instid0(SALU_CYCLE_1)
	s_cmp_gt_i32 s21, 25
	s_cbranch_scc0 .LBB6_398
; %bb.381:
	s_cmp_gt_i32 s21, 28
	s_cbranch_scc0 .LBB6_400
; %bb.382:
	;; [unrolled: 3-line block ×4, first 2 shown]
	s_cmp_eq_u32 s21, 46
	s_mov_b32 s24, 0
	s_cbranch_scc0 .LBB6_408
; %bb.385:
	global_load_b32 v0, v[2:3], off
	s_mov_b32 s22, -1
	s_mov_b32 s20, 0
	s_wait_loadcnt 0x0
	v_lshlrev_b32_e32 v0, 16, v0
	s_delay_alu instid0(VALU_DEP_1) | instskip(NEXT) | instid1(VALU_DEP_1)
	v_trunc_f32_e32 v0, v0
	v_mul_f32_e64 v1, 0x2f800000, |v0|
	s_delay_alu instid0(VALU_DEP_1) | instskip(NEXT) | instid1(VALU_DEP_1)
	v_floor_f32_e32 v1, v1
	v_fma_f32 v1, 0xcf800000, v1, |v0|
	v_ashrrev_i32_e32 v0, 31, v0
	s_delay_alu instid0(VALU_DEP_2) | instskip(NEXT) | instid1(VALU_DEP_1)
	v_cvt_u32_f32_e32 v1, v1
	v_xor_b32_e32 v1, v1, v0
	s_delay_alu instid0(VALU_DEP_1)
	v_sub_nc_u32_e32 v0, v1, v0
	s_branch .LBB6_410
.LBB6_386:
	s_or_b32 exec_lo, exec_lo, s19
	s_mov_b32 s16, 0
	s_and_saveexec_b32 s19, s18
	s_cbranch_execnz .LBB6_1232
.LBB6_387:
	s_or_b32 exec_lo, exec_lo, s19
	s_and_saveexec_b32 s18, s20
	s_delay_alu instid0(SALU_CYCLE_1)
	s_xor_b32 s18, exec_lo, s18
	s_cbranch_execz .LBB6_1233
.LBB6_388:
	s_wait_loadcnt 0x0
	global_load_u8 v0, v[2:3], off
	s_or_b32 s21, s21, exec_lo
	s_wait_loadcnt 0x0
	v_cmp_ne_u16_e32 vcc_lo, 0, v0
	v_cndmask_b32_e64 v0, 0, 1, vcc_lo
	s_wait_xcnt 0x0
	s_or_b32 exec_lo, exec_lo, s18
	s_and_saveexec_b32 s18, s22
	s_cbranch_execz .LBB6_1279
	s_branch .LBB6_1234
.LBB6_389:
	s_mov_b32 s22, 0
	s_mov_b32 s20, s18
                                        ; implicit-def: $vgpr0
	s_cbranch_execnz .LBB6_472
.LBB6_390:
	s_and_not1_b32 vcc_lo, exec_lo, s22
	s_cbranch_vccnz .LBB6_520
.LBB6_391:
	s_wait_xcnt 0x0
	v_mul_lo_u32 v2, v14, s10
	s_and_b32 s0, s1, 0xff
	s_delay_alu instid0(SALU_CYCLE_1) | instskip(NEXT) | instid1(VALU_DEP_1)
	s_cmp_lt_i32 s0, 11
	v_ashrrev_i32_e32 v3, 31, v2
	s_delay_alu instid0(VALU_DEP_1)
	v_add_nc_u64_e32 v[4:5], s[2:3], v[2:3]
	s_cbranch_scc1 .LBB6_399
; %bb.392:
	s_and_b32 s21, 0xffff, s0
	s_delay_alu instid0(SALU_CYCLE_1)
	s_cmp_gt_i32 s21, 25
	s_cbranch_scc0 .LBB6_401
; %bb.393:
	s_cmp_gt_i32 s21, 28
	s_cbranch_scc0 .LBB6_403
; %bb.394:
	;; [unrolled: 3-line block ×4, first 2 shown]
	s_cmp_eq_u32 s21, 46
	s_mov_b32 s25, 0
	s_cbranch_scc0 .LBB6_523
; %bb.397:
	s_wait_loadcnt 0x0
	global_load_b32 v1, v[4:5], off
	s_mov_b32 s24, -1
	s_mov_b32 s22, 0
	s_wait_loadcnt 0x0
	v_lshlrev_b32_e32 v1, 16, v1
	s_delay_alu instid0(VALU_DEP_1) | instskip(NEXT) | instid1(VALU_DEP_1)
	v_trunc_f32_e32 v1, v1
	v_mul_f32_e64 v2, 0x2f800000, |v1|
	s_delay_alu instid0(VALU_DEP_1) | instskip(NEXT) | instid1(VALU_DEP_1)
	v_floor_f32_e32 v2, v2
	v_fma_f32 v2, 0xcf800000, v2, |v1|
	v_ashrrev_i32_e32 v1, 31, v1
	s_delay_alu instid0(VALU_DEP_2) | instskip(NEXT) | instid1(VALU_DEP_1)
	v_cvt_u32_f32_e32 v2, v2
	v_xor_b32_e32 v2, v2, v1
	s_delay_alu instid0(VALU_DEP_1)
	v_sub_nc_u32_e32 v2, v2, v1
	s_branch .LBB6_525
.LBB6_398:
	s_mov_b32 s24, -1
	s_mov_b32 s22, 0
	s_mov_b32 s20, s18
                                        ; implicit-def: $vgpr0
	s_branch .LBB6_438
.LBB6_399:
	s_mov_b32 s21, -1
	s_mov_b32 s24, 0
	s_mov_b32 s22, s17
                                        ; implicit-def: $vgpr2
	s_branch .LBB6_586
.LBB6_400:
	s_mov_b32 s24, -1
	s_mov_b32 s22, 0
	s_mov_b32 s20, s18
                                        ; implicit-def: $vgpr0
	s_branch .LBB6_421
.LBB6_401:
	s_mov_b32 s25, -1
	s_mov_b32 s24, 0
	s_mov_b32 s22, s17
                                        ; implicit-def: $vgpr2
	s_branch .LBB6_552
.LBB6_402:
	s_mov_b32 s24, -1
	s_mov_b32 s22, 0
	s_mov_b32 s20, s18
                                        ; implicit-def: $vgpr0
	s_branch .LBB6_416
.LBB6_403:
	s_mov_b32 s25, -1
	s_mov_b32 s24, 0
	s_mov_b32 s22, s17
                                        ; implicit-def: $vgpr2
	s_branch .LBB6_535
.LBB6_404:
	s_mov_b32 s24, -1
	s_mov_b32 s22, 0
	s_mov_b32 s20, s18
	s_branch .LBB6_409
.LBB6_405:
	s_mov_b32 s25, -1
	s_mov_b32 s24, 0
	s_mov_b32 s22, s17
                                        ; implicit-def: $vgpr2
	s_branch .LBB6_530
.LBB6_406:
	s_and_not1_saveexec_b32 s24, s24
	s_cbranch_execz .LBB6_179
.LBB6_407:
	v_add_f32_e32 v3, 0x46000000, v4
	s_and_not1_b32 s23, s23, exec_lo
	s_delay_alu instid0(VALU_DEP_1) | instskip(NEXT) | instid1(VALU_DEP_1)
	v_and_b32_e32 v3, 0xff, v3
	v_cmp_ne_u32_e32 vcc_lo, 0, v3
	s_and_b32 s25, vcc_lo, exec_lo
	s_delay_alu instid0(SALU_CYCLE_1)
	s_or_b32 s23, s23, s25
	s_or_b32 exec_lo, exec_lo, s24
	v_mov_b32_e32 v5, 0
	s_and_saveexec_b32 s24, s23
	s_cbranch_execnz .LBB6_180
	s_branch .LBB6_181
.LBB6_408:
	s_mov_b32 s20, -1
	s_mov_b32 s22, 0
.LBB6_409:
                                        ; implicit-def: $vgpr0
.LBB6_410:
	s_and_b32 vcc_lo, exec_lo, s24
	s_cbranch_vccz .LBB6_415
; %bb.411:
	s_cmp_eq_u32 s21, 44
	s_cbranch_scc0 .LBB6_414
; %bb.412:
	global_load_u8 v0, v[2:3], off
	s_mov_b32 s20, 0
	s_mov_b32 s22, -1
	s_wait_loadcnt 0x0
	v_lshlrev_b32_e32 v1, 23, v0
	v_cmp_ne_u32_e32 vcc_lo, 0, v0
	s_delay_alu instid0(VALU_DEP_2) | instskip(NEXT) | instid1(VALU_DEP_1)
	v_trunc_f32_e32 v1, v1
	v_mul_f32_e64 v4, 0x2f800000, |v1|
	s_delay_alu instid0(VALU_DEP_1) | instskip(NEXT) | instid1(VALU_DEP_1)
	v_floor_f32_e32 v4, v4
	v_fma_f32 v4, 0xcf800000, v4, |v1|
	v_ashrrev_i32_e32 v1, 31, v1
	s_delay_alu instid0(VALU_DEP_2) | instskip(NEXT) | instid1(VALU_DEP_1)
	v_cvt_u32_f32_e32 v4, v4
	v_xor_b32_e32 v4, v4, v1
	s_delay_alu instid0(VALU_DEP_1) | instskip(NEXT) | instid1(VALU_DEP_1)
	v_sub_nc_u32_e32 v1, v4, v1
	v_cndmask_b32_e32 v0, 0, v1, vcc_lo
	s_branch .LBB6_415
.LBB6_413:
	s_mov_b32 s25, -1
	s_mov_b32 s24, 0
	s_mov_b32 s22, s17
	s_branch .LBB6_524
.LBB6_414:
	s_mov_b32 s20, -1
                                        ; implicit-def: $vgpr0
.LBB6_415:
	s_mov_b32 s24, 0
.LBB6_416:
	s_delay_alu instid0(SALU_CYCLE_1)
	s_and_b32 vcc_lo, exec_lo, s24
	s_cbranch_vccz .LBB6_420
; %bb.417:
	s_cmp_eq_u32 s21, 29
	s_cbranch_scc0 .LBB6_419
; %bb.418:
	global_load_b64 v[0:1], v[2:3], off
	s_mov_b32 s22, -1
	s_mov_b32 s20, 0
	s_branch .LBB6_420
.LBB6_419:
	s_mov_b32 s20, -1
                                        ; implicit-def: $vgpr0
.LBB6_420:
	s_mov_b32 s24, 0
.LBB6_421:
	s_delay_alu instid0(SALU_CYCLE_1)
	s_and_b32 vcc_lo, exec_lo, s24
	s_cbranch_vccz .LBB6_437
; %bb.422:
	s_cmp_lt_i32 s21, 27
	s_cbranch_scc1 .LBB6_425
; %bb.423:
	s_cmp_gt_i32 s21, 27
	s_cbranch_scc0 .LBB6_426
; %bb.424:
	s_wait_loadcnt 0x0
	global_load_b32 v0, v[2:3], off
	s_mov_b32 s22, 0
	s_branch .LBB6_427
.LBB6_425:
	s_mov_b32 s22, -1
                                        ; implicit-def: $vgpr0
	s_branch .LBB6_430
.LBB6_426:
	s_mov_b32 s22, -1
                                        ; implicit-def: $vgpr0
.LBB6_427:
	s_delay_alu instid0(SALU_CYCLE_1)
	s_and_not1_b32 vcc_lo, exec_lo, s22
	s_cbranch_vccnz .LBB6_429
; %bb.428:
	s_wait_loadcnt 0x0
	global_load_u16 v0, v[2:3], off
.LBB6_429:
	s_mov_b32 s22, 0
.LBB6_430:
	s_delay_alu instid0(SALU_CYCLE_1)
	s_and_not1_b32 vcc_lo, exec_lo, s22
	s_cbranch_vccnz .LBB6_436
; %bb.431:
	s_wait_loadcnt 0x0
	global_load_u8 v1, v[2:3], off
	s_mov_b32 s24, 0
	s_mov_b32 s22, exec_lo
	s_wait_loadcnt 0x0
	v_cmpx_lt_i16_e32 0x7f, v1
	s_xor_b32 s22, exec_lo, s22
	s_cbranch_execz .LBB6_448
; %bb.432:
	v_cmp_ne_u16_e32 vcc_lo, 0x80, v1
	s_and_b32 s24, vcc_lo, exec_lo
	s_and_not1_saveexec_b32 s22, s22
	s_cbranch_execnz .LBB6_449
.LBB6_433:
	s_or_b32 exec_lo, exec_lo, s22
	v_mov_b32_e32 v0, 0
	s_and_saveexec_b32 s22, s24
	s_cbranch_execz .LBB6_435
.LBB6_434:
	v_and_b32_e32 v0, 0xffff, v1
	s_delay_alu instid0(VALU_DEP_1) | instskip(SKIP_1) | instid1(VALU_DEP_2)
	v_and_b32_e32 v4, 7, v0
	v_bfe_u32 v7, v0, 3, 4
	v_clz_i32_u32_e32 v5, v4
	s_delay_alu instid0(VALU_DEP_2) | instskip(NEXT) | instid1(VALU_DEP_2)
	v_cmp_eq_u32_e32 vcc_lo, 0, v7
	v_min_u32_e32 v5, 32, v5
	s_delay_alu instid0(VALU_DEP_1) | instskip(NEXT) | instid1(VALU_DEP_1)
	v_subrev_nc_u32_e32 v6, 28, v5
	v_dual_lshlrev_b32 v0, v6, v0 :: v_dual_sub_nc_u32 v5, 29, v5
	s_delay_alu instid0(VALU_DEP_1) | instskip(NEXT) | instid1(VALU_DEP_1)
	v_dual_lshlrev_b32 v1, 24, v1 :: v_dual_bitop2_b32 v0, 7, v0 bitop3:0x40
	v_dual_cndmask_b32 v0, v4, v0 :: v_dual_cndmask_b32 v5, v7, v5
	s_delay_alu instid0(VALU_DEP_2) | instskip(NEXT) | instid1(VALU_DEP_2)
	v_and_b32_e32 v1, 0x80000000, v1
	v_lshlrev_b32_e32 v0, 20, v0
	s_delay_alu instid0(VALU_DEP_3) | instskip(NEXT) | instid1(VALU_DEP_1)
	v_lshl_add_u32 v4, v5, 23, 0x3b800000
	v_or3_b32 v0, v1, v4, v0
	s_delay_alu instid0(VALU_DEP_1) | instskip(NEXT) | instid1(VALU_DEP_1)
	v_trunc_f32_e32 v0, v0
	v_mul_f32_e64 v1, 0x2f800000, |v0|
	s_delay_alu instid0(VALU_DEP_1) | instskip(NEXT) | instid1(VALU_DEP_1)
	v_floor_f32_e32 v1, v1
	v_fma_f32 v1, 0xcf800000, v1, |v0|
	v_ashrrev_i32_e32 v0, 31, v0
	s_delay_alu instid0(VALU_DEP_2) | instskip(NEXT) | instid1(VALU_DEP_1)
	v_cvt_u32_f32_e32 v1, v1
	v_xor_b32_e32 v1, v1, v0
	s_delay_alu instid0(VALU_DEP_1)
	v_sub_nc_u32_e32 v0, v1, v0
.LBB6_435:
	s_or_b32 exec_lo, exec_lo, s22
.LBB6_436:
	s_mov_b32 s22, -1
.LBB6_437:
	s_mov_b32 s24, 0
.LBB6_438:
	s_delay_alu instid0(SALU_CYCLE_1)
	s_and_b32 vcc_lo, exec_lo, s24
	s_cbranch_vccz .LBB6_471
; %bb.439:
	s_cmp_gt_i32 s21, 22
	s_cbranch_scc0 .LBB6_447
; %bb.440:
	s_cmp_lt_i32 s21, 24
	s_cbranch_scc1 .LBB6_450
; %bb.441:
	s_cmp_gt_i32 s21, 24
	s_cbranch_scc0 .LBB6_451
; %bb.442:
	s_wait_loadcnt 0x0
	global_load_u8 v1, v[2:3], off
	s_mov_b32 s24, 0
	s_mov_b32 s22, exec_lo
	s_wait_loadcnt 0x0
	v_cmpx_lt_i16_e32 0x7f, v1
	s_xor_b32 s22, exec_lo, s22
	s_cbranch_execz .LBB6_463
; %bb.443:
	v_cmp_ne_u16_e32 vcc_lo, 0x80, v1
	s_and_b32 s24, vcc_lo, exec_lo
	s_and_not1_saveexec_b32 s22, s22
	s_cbranch_execnz .LBB6_464
.LBB6_444:
	s_or_b32 exec_lo, exec_lo, s22
	v_mov_b32_e32 v0, 0
	s_and_saveexec_b32 s22, s24
	s_cbranch_execz .LBB6_446
.LBB6_445:
	v_and_b32_e32 v0, 0xffff, v1
	s_delay_alu instid0(VALU_DEP_1) | instskip(SKIP_1) | instid1(VALU_DEP_2)
	v_and_b32_e32 v4, 3, v0
	v_bfe_u32 v7, v0, 2, 5
	v_clz_i32_u32_e32 v5, v4
	s_delay_alu instid0(VALU_DEP_2) | instskip(NEXT) | instid1(VALU_DEP_2)
	v_cmp_eq_u32_e32 vcc_lo, 0, v7
	v_min_u32_e32 v5, 32, v5
	s_delay_alu instid0(VALU_DEP_1) | instskip(NEXT) | instid1(VALU_DEP_1)
	v_subrev_nc_u32_e32 v6, 29, v5
	v_dual_lshlrev_b32 v0, v6, v0 :: v_dual_sub_nc_u32 v5, 30, v5
	s_delay_alu instid0(VALU_DEP_1) | instskip(NEXT) | instid1(VALU_DEP_1)
	v_dual_lshlrev_b32 v1, 24, v1 :: v_dual_bitop2_b32 v0, 3, v0 bitop3:0x40
	v_dual_cndmask_b32 v0, v4, v0 :: v_dual_cndmask_b32 v5, v7, v5
	s_delay_alu instid0(VALU_DEP_2) | instskip(NEXT) | instid1(VALU_DEP_2)
	v_and_b32_e32 v1, 0x80000000, v1
	v_lshlrev_b32_e32 v0, 21, v0
	s_delay_alu instid0(VALU_DEP_3) | instskip(NEXT) | instid1(VALU_DEP_1)
	v_lshl_add_u32 v4, v5, 23, 0x37800000
	v_or3_b32 v0, v1, v4, v0
	s_delay_alu instid0(VALU_DEP_1) | instskip(NEXT) | instid1(VALU_DEP_1)
	v_trunc_f32_e32 v0, v0
	v_mul_f32_e64 v1, 0x2f800000, |v0|
	s_delay_alu instid0(VALU_DEP_1) | instskip(NEXT) | instid1(VALU_DEP_1)
	v_floor_f32_e32 v1, v1
	v_fma_f32 v1, 0xcf800000, v1, |v0|
	v_ashrrev_i32_e32 v0, 31, v0
	s_delay_alu instid0(VALU_DEP_2) | instskip(NEXT) | instid1(VALU_DEP_1)
	v_cvt_u32_f32_e32 v1, v1
	v_xor_b32_e32 v1, v1, v0
	s_delay_alu instid0(VALU_DEP_1)
	v_sub_nc_u32_e32 v0, v1, v0
.LBB6_446:
	s_or_b32 exec_lo, exec_lo, s22
	s_mov_b32 s22, 0
	s_branch .LBB6_452
.LBB6_447:
	s_mov_b32 s24, -1
                                        ; implicit-def: $vgpr0
	s_branch .LBB6_458
.LBB6_448:
	s_and_not1_saveexec_b32 s22, s22
	s_cbranch_execz .LBB6_433
.LBB6_449:
	v_cmp_ne_u16_e32 vcc_lo, 0, v1
	s_and_not1_b32 s24, s24, exec_lo
	s_and_b32 s25, vcc_lo, exec_lo
	s_delay_alu instid0(SALU_CYCLE_1)
	s_or_b32 s24, s24, s25
	s_or_b32 exec_lo, exec_lo, s22
	v_mov_b32_e32 v0, 0
	s_and_saveexec_b32 s22, s24
	s_cbranch_execnz .LBB6_434
	s_branch .LBB6_435
.LBB6_450:
	s_mov_b32 s22, -1
                                        ; implicit-def: $vgpr0
	s_branch .LBB6_455
.LBB6_451:
	s_mov_b32 s22, -1
                                        ; implicit-def: $vgpr0
.LBB6_452:
	s_delay_alu instid0(SALU_CYCLE_1)
	s_and_b32 vcc_lo, exec_lo, s22
	s_cbranch_vccz .LBB6_454
; %bb.453:
	s_wait_loadcnt 0x0
	global_load_u8 v0, v[2:3], off
	s_wait_loadcnt 0x0
	v_lshlrev_b32_e32 v0, 24, v0
	s_delay_alu instid0(VALU_DEP_1) | instskip(NEXT) | instid1(VALU_DEP_1)
	v_and_b32_e32 v1, 0x7f000000, v0
	v_clz_i32_u32_e32 v4, v1
	v_cmp_ne_u32_e32 vcc_lo, 0, v1
	v_add_nc_u32_e32 v6, 0x1000000, v1
	s_delay_alu instid0(VALU_DEP_3) | instskip(NEXT) | instid1(VALU_DEP_1)
	v_min_u32_e32 v4, 32, v4
	v_sub_nc_u32_e64 v4, v4, 4 clamp
	s_delay_alu instid0(VALU_DEP_1) | instskip(NEXT) | instid1(VALU_DEP_1)
	v_dual_lshlrev_b32 v5, v4, v1 :: v_dual_lshlrev_b32 v4, 23, v4
	v_lshrrev_b32_e32 v5, 4, v5
	s_delay_alu instid0(VALU_DEP_1) | instskip(NEXT) | instid1(VALU_DEP_1)
	v_dual_sub_nc_u32 v4, v5, v4 :: v_dual_ashrrev_i32 v5, 8, v6
	v_add_nc_u32_e32 v4, 0x3c000000, v4
	s_delay_alu instid0(VALU_DEP_1) | instskip(NEXT) | instid1(VALU_DEP_1)
	v_and_or_b32 v4, 0x7f800000, v5, v4
	v_cndmask_b32_e32 v1, 0, v4, vcc_lo
	s_delay_alu instid0(VALU_DEP_1) | instskip(NEXT) | instid1(VALU_DEP_1)
	v_and_or_b32 v0, 0x80000000, v0, v1
	v_trunc_f32_e32 v0, v0
	s_delay_alu instid0(VALU_DEP_1) | instskip(NEXT) | instid1(VALU_DEP_1)
	v_mul_f32_e64 v1, 0x2f800000, |v0|
	v_floor_f32_e32 v1, v1
	s_delay_alu instid0(VALU_DEP_1) | instskip(SKIP_1) | instid1(VALU_DEP_2)
	v_fma_f32 v1, 0xcf800000, v1, |v0|
	v_ashrrev_i32_e32 v0, 31, v0
	v_cvt_u32_f32_e32 v1, v1
	s_delay_alu instid0(VALU_DEP_1) | instskip(NEXT) | instid1(VALU_DEP_1)
	v_xor_b32_e32 v1, v1, v0
	v_sub_nc_u32_e32 v0, v1, v0
.LBB6_454:
	s_mov_b32 s22, 0
.LBB6_455:
	s_delay_alu instid0(SALU_CYCLE_1)
	s_and_not1_b32 vcc_lo, exec_lo, s22
	s_cbranch_vccnz .LBB6_457
; %bb.456:
	s_wait_loadcnt 0x0
	global_load_u8 v0, v[2:3], off
	s_wait_loadcnt 0x0
	v_lshlrev_b32_e32 v1, 25, v0
	v_lshlrev_b16 v0, 8, v0
	s_delay_alu instid0(VALU_DEP_1) | instskip(SKIP_1) | instid1(VALU_DEP_2)
	v_and_or_b32 v5, 0x7f00, v0, 0.5
	v_bfe_i32 v0, v0, 0, 16
	v_add_f32_e32 v5, -0.5, v5
	v_lshrrev_b32_e32 v4, 4, v1
	v_cmp_gt_u32_e32 vcc_lo, 0x8000000, v1
	s_delay_alu instid0(VALU_DEP_2) | instskip(NEXT) | instid1(VALU_DEP_1)
	v_or_b32_e32 v4, 0x70000000, v4
	v_mul_f32_e32 v4, 0x7800000, v4
	s_delay_alu instid0(VALU_DEP_1) | instskip(NEXT) | instid1(VALU_DEP_1)
	v_cndmask_b32_e32 v1, v4, v5, vcc_lo
	v_and_or_b32 v0, 0x80000000, v0, v1
	s_delay_alu instid0(VALU_DEP_1) | instskip(NEXT) | instid1(VALU_DEP_1)
	v_trunc_f32_e32 v0, v0
	v_mul_f32_e64 v1, 0x2f800000, |v0|
	s_delay_alu instid0(VALU_DEP_1) | instskip(NEXT) | instid1(VALU_DEP_1)
	v_floor_f32_e32 v1, v1
	v_fma_f32 v1, 0xcf800000, v1, |v0|
	v_ashrrev_i32_e32 v0, 31, v0
	s_delay_alu instid0(VALU_DEP_2) | instskip(NEXT) | instid1(VALU_DEP_1)
	v_cvt_u32_f32_e32 v1, v1
	v_xor_b32_e32 v1, v1, v0
	s_delay_alu instid0(VALU_DEP_1)
	v_sub_nc_u32_e32 v0, v1, v0
.LBB6_457:
	s_mov_b32 s24, 0
	s_mov_b32 s22, -1
.LBB6_458:
	s_and_not1_b32 vcc_lo, exec_lo, s24
	s_cbranch_vccnz .LBB6_471
; %bb.459:
	s_cmp_gt_i32 s21, 14
	s_cbranch_scc0 .LBB6_462
; %bb.460:
	s_cmp_eq_u32 s21, 15
	s_cbranch_scc0 .LBB6_465
; %bb.461:
	s_wait_loadcnt 0x0
	global_load_u16 v0, v[2:3], off
	s_mov_b32 s22, -1
	s_mov_b32 s20, 0
	s_wait_loadcnt 0x0
	v_lshlrev_b32_e32 v0, 16, v0
	s_delay_alu instid0(VALU_DEP_1) | instskip(NEXT) | instid1(VALU_DEP_1)
	v_trunc_f32_e32 v0, v0
	v_mul_f32_e64 v1, 0x2f800000, |v0|
	s_delay_alu instid0(VALU_DEP_1) | instskip(NEXT) | instid1(VALU_DEP_1)
	v_floor_f32_e32 v1, v1
	v_fma_f32 v1, 0xcf800000, v1, |v0|
	v_ashrrev_i32_e32 v0, 31, v0
	s_delay_alu instid0(VALU_DEP_2) | instskip(NEXT) | instid1(VALU_DEP_1)
	v_cvt_u32_f32_e32 v1, v1
	v_xor_b32_e32 v1, v1, v0
	s_delay_alu instid0(VALU_DEP_1)
	v_sub_nc_u32_e32 v0, v1, v0
	s_branch .LBB6_466
.LBB6_462:
	s_mov_b32 s24, -1
                                        ; implicit-def: $vgpr0
	s_branch .LBB6_467
.LBB6_463:
	s_and_not1_saveexec_b32 s22, s22
	s_cbranch_execz .LBB6_444
.LBB6_464:
	v_cmp_ne_u16_e32 vcc_lo, 0, v1
	s_and_not1_b32 s24, s24, exec_lo
	s_and_b32 s25, vcc_lo, exec_lo
	s_delay_alu instid0(SALU_CYCLE_1)
	s_or_b32 s24, s24, s25
	s_or_b32 exec_lo, exec_lo, s22
	v_mov_b32_e32 v0, 0
	s_and_saveexec_b32 s22, s24
	s_cbranch_execnz .LBB6_445
	s_branch .LBB6_446
.LBB6_465:
	s_mov_b32 s20, -1
                                        ; implicit-def: $vgpr0
.LBB6_466:
	s_mov_b32 s24, 0
.LBB6_467:
	s_delay_alu instid0(SALU_CYCLE_1)
	s_and_b32 vcc_lo, exec_lo, s24
	s_cbranch_vccz .LBB6_471
; %bb.468:
	s_cmp_eq_u32 s21, 11
	s_cbranch_scc0 .LBB6_470
; %bb.469:
	s_wait_loadcnt 0x0
	global_load_u8 v0, v[2:3], off
	s_mov_b32 s20, 0
	s_mov_b32 s22, -1
	s_wait_loadcnt 0x0
	v_cmp_ne_u16_e32 vcc_lo, 0, v0
	v_cndmask_b32_e64 v0, 0, 1, vcc_lo
	s_branch .LBB6_471
.LBB6_470:
	s_mov_b32 s20, -1
                                        ; implicit-def: $vgpr0
.LBB6_471:
	s_branch .LBB6_390
.LBB6_472:
	s_and_b32 s0, 0xffff, s0
	s_delay_alu instid0(SALU_CYCLE_1)
	s_cmp_lt_i32 s0, 5
	s_cbranch_scc1 .LBB6_477
; %bb.473:
	s_cmp_lt_i32 s0, 8
	s_cbranch_scc1 .LBB6_478
; %bb.474:
	;; [unrolled: 3-line block ×3, first 2 shown]
	s_cmp_gt_i32 s0, 9
	s_cbranch_scc0 .LBB6_480
; %bb.476:
	s_wait_loadcnt 0x0
	global_load_b64 v[0:1], v[2:3], off
	s_mov_b32 s21, 0
	s_wait_loadcnt 0x0
	v_trunc_f64_e32 v[0:1], v[0:1]
	s_delay_alu instid0(VALU_DEP_1) | instskip(NEXT) | instid1(VALU_DEP_1)
	v_ldexp_f64 v[4:5], v[0:1], 0xffffffe0
	v_floor_f64_e32 v[4:5], v[4:5]
	s_delay_alu instid0(VALU_DEP_1) | instskip(NEXT) | instid1(VALU_DEP_1)
	v_fmamk_f64 v[0:1], v[4:5], 0xc1f00000, v[0:1]
	v_cvt_u32_f64_e32 v0, v[0:1]
	s_branch .LBB6_481
.LBB6_477:
	s_mov_b32 s21, -1
                                        ; implicit-def: $vgpr0
	s_branch .LBB6_499
.LBB6_478:
	s_mov_b32 s21, -1
                                        ; implicit-def: $vgpr0
	s_branch .LBB6_487
.LBB6_479:
	s_mov_b32 s21, -1
                                        ; implicit-def: $vgpr0
	s_branch .LBB6_484
.LBB6_480:
	s_mov_b32 s21, -1
                                        ; implicit-def: $vgpr0
.LBB6_481:
	s_delay_alu instid0(SALU_CYCLE_1)
	s_and_not1_b32 vcc_lo, exec_lo, s21
	s_cbranch_vccnz .LBB6_483
; %bb.482:
	s_wait_loadcnt 0x0
	global_load_b32 v0, v[2:3], off
	s_wait_loadcnt 0x0
	v_trunc_f32_e32 v0, v0
	s_delay_alu instid0(VALU_DEP_1) | instskip(NEXT) | instid1(VALU_DEP_1)
	v_mul_f32_e64 v1, 0x2f800000, |v0|
	v_floor_f32_e32 v1, v1
	s_delay_alu instid0(VALU_DEP_1) | instskip(SKIP_1) | instid1(VALU_DEP_2)
	v_fma_f32 v1, 0xcf800000, v1, |v0|
	v_ashrrev_i32_e32 v0, 31, v0
	v_cvt_u32_f32_e32 v1, v1
	s_delay_alu instid0(VALU_DEP_1) | instskip(NEXT) | instid1(VALU_DEP_1)
	v_xor_b32_e32 v1, v1, v0
	v_sub_nc_u32_e32 v0, v1, v0
.LBB6_483:
	s_mov_b32 s21, 0
.LBB6_484:
	s_delay_alu instid0(SALU_CYCLE_1)
	s_and_not1_b32 vcc_lo, exec_lo, s21
	s_cbranch_vccnz .LBB6_486
; %bb.485:
	s_wait_loadcnt 0x0
	global_load_b32 v0, v[2:3], off
	s_wait_loadcnt 0x0
	v_cvt_f32_f16_e32 v0, v0
	s_delay_alu instid0(VALU_DEP_1)
	v_cvt_i32_f32_e32 v0, v0
.LBB6_486:
	s_mov_b32 s21, 0
.LBB6_487:
	s_delay_alu instid0(SALU_CYCLE_1)
	s_and_not1_b32 vcc_lo, exec_lo, s21
	s_cbranch_vccnz .LBB6_498
; %bb.488:
	s_cmp_lt_i32 s0, 6
	s_cbranch_scc1 .LBB6_491
; %bb.489:
	s_cmp_gt_i32 s0, 6
	s_cbranch_scc0 .LBB6_492
; %bb.490:
	s_wait_loadcnt 0x0
	global_load_b64 v[0:1], v[2:3], off
	s_mov_b32 s21, 0
	s_wait_loadcnt 0x0
	v_trunc_f64_e32 v[0:1], v[0:1]
	s_delay_alu instid0(VALU_DEP_1) | instskip(NEXT) | instid1(VALU_DEP_1)
	v_ldexp_f64 v[4:5], v[0:1], 0xffffffe0
	v_floor_f64_e32 v[4:5], v[4:5]
	s_delay_alu instid0(VALU_DEP_1) | instskip(NEXT) | instid1(VALU_DEP_1)
	v_fmamk_f64 v[0:1], v[4:5], 0xc1f00000, v[0:1]
	v_cvt_u32_f64_e32 v0, v[0:1]
	s_branch .LBB6_493
.LBB6_491:
	s_mov_b32 s21, -1
                                        ; implicit-def: $vgpr0
	s_branch .LBB6_496
.LBB6_492:
	s_mov_b32 s21, -1
                                        ; implicit-def: $vgpr0
.LBB6_493:
	s_delay_alu instid0(SALU_CYCLE_1)
	s_and_not1_b32 vcc_lo, exec_lo, s21
	s_cbranch_vccnz .LBB6_495
; %bb.494:
	s_wait_loadcnt 0x0
	global_load_b32 v0, v[2:3], off
	s_wait_loadcnt 0x0
	v_trunc_f32_e32 v0, v0
	s_delay_alu instid0(VALU_DEP_1) | instskip(NEXT) | instid1(VALU_DEP_1)
	v_mul_f32_e64 v1, 0x2f800000, |v0|
	v_floor_f32_e32 v1, v1
	s_delay_alu instid0(VALU_DEP_1) | instskip(SKIP_1) | instid1(VALU_DEP_2)
	v_fma_f32 v1, 0xcf800000, v1, |v0|
	v_ashrrev_i32_e32 v0, 31, v0
	v_cvt_u32_f32_e32 v1, v1
	s_delay_alu instid0(VALU_DEP_1) | instskip(NEXT) | instid1(VALU_DEP_1)
	v_xor_b32_e32 v1, v1, v0
	v_sub_nc_u32_e32 v0, v1, v0
.LBB6_495:
	s_mov_b32 s21, 0
.LBB6_496:
	s_delay_alu instid0(SALU_CYCLE_1)
	s_and_not1_b32 vcc_lo, exec_lo, s21
	s_cbranch_vccnz .LBB6_498
; %bb.497:
	s_wait_loadcnt 0x0
	global_load_u16 v0, v[2:3], off
	s_wait_loadcnt 0x0
	v_cvt_f32_f16_e32 v0, v0
	s_delay_alu instid0(VALU_DEP_1)
	v_cvt_i32_f32_e32 v0, v0
.LBB6_498:
	s_mov_b32 s21, 0
.LBB6_499:
	s_delay_alu instid0(SALU_CYCLE_1)
	s_and_not1_b32 vcc_lo, exec_lo, s21
	s_cbranch_vccnz .LBB6_519
; %bb.500:
	s_cmp_lt_i32 s0, 2
	s_cbranch_scc1 .LBB6_504
; %bb.501:
	s_cmp_lt_i32 s0, 3
	s_cbranch_scc1 .LBB6_505
; %bb.502:
	s_cmp_gt_i32 s0, 3
	s_cbranch_scc0 .LBB6_506
; %bb.503:
	s_wait_loadcnt 0x0
	global_load_b64 v[0:1], v[2:3], off
	s_mov_b32 s21, 0
	s_branch .LBB6_507
.LBB6_504:
	s_mov_b32 s21, -1
                                        ; implicit-def: $vgpr0
	s_branch .LBB6_513
.LBB6_505:
	s_mov_b32 s21, -1
                                        ; implicit-def: $vgpr0
	s_branch .LBB6_510
.LBB6_506:
	s_mov_b32 s21, -1
                                        ; implicit-def: $vgpr0
.LBB6_507:
	s_delay_alu instid0(SALU_CYCLE_1)
	s_and_not1_b32 vcc_lo, exec_lo, s21
	s_cbranch_vccnz .LBB6_509
; %bb.508:
	s_wait_loadcnt 0x0
	global_load_b32 v0, v[2:3], off
.LBB6_509:
	s_mov_b32 s21, 0
.LBB6_510:
	s_delay_alu instid0(SALU_CYCLE_1)
	s_and_not1_b32 vcc_lo, exec_lo, s21
	s_cbranch_vccnz .LBB6_512
; %bb.511:
	s_wait_loadcnt 0x0
	global_load_u16 v0, v[2:3], off
.LBB6_512:
	s_mov_b32 s21, 0
.LBB6_513:
	s_delay_alu instid0(SALU_CYCLE_1)
	s_and_not1_b32 vcc_lo, exec_lo, s21
	s_cbranch_vccnz .LBB6_519
; %bb.514:
	s_cmp_gt_i32 s0, 0
	s_mov_b32 s0, 0
	s_cbranch_scc0 .LBB6_516
; %bb.515:
	s_wait_loadcnt 0x0
	global_load_u8 v0, v[2:3], off
	s_branch .LBB6_517
.LBB6_516:
	s_mov_b32 s0, -1
                                        ; implicit-def: $vgpr0
.LBB6_517:
	s_delay_alu instid0(SALU_CYCLE_1)
	s_and_not1_b32 vcc_lo, exec_lo, s0
	s_cbranch_vccnz .LBB6_519
; %bb.518:
	s_wait_loadcnt 0x0
	global_load_u8 v0, v[2:3], off
.LBB6_519:
	s_branch .LBB6_391
.LBB6_520:
	s_mov_b32 s24, 0
	s_mov_b32 s0, s15
	s_mov_b32 s22, s17
	s_branch .LBB6_763
.LBB6_521:
	s_and_not1_saveexec_b32 s24, s24
	s_cbranch_execz .LBB6_192
.LBB6_522:
	v_add_f32_e32 v3, 0x42800000, v4
	s_and_not1_b32 s23, s23, exec_lo
	s_delay_alu instid0(VALU_DEP_1) | instskip(NEXT) | instid1(VALU_DEP_1)
	v_and_b32_e32 v3, 0xff, v3
	v_cmp_ne_u32_e32 vcc_lo, 0, v3
	s_and_b32 s25, vcc_lo, exec_lo
	s_delay_alu instid0(SALU_CYCLE_1)
	s_or_b32 s23, s23, s25
	s_or_b32 exec_lo, exec_lo, s24
	v_mov_b32_e32 v5, 0
	s_and_saveexec_b32 s24, s23
	s_cbranch_execnz .LBB6_193
	s_branch .LBB6_194
.LBB6_523:
	s_mov_b32 s22, -1
	s_mov_b32 s24, 0
.LBB6_524:
                                        ; implicit-def: $vgpr2
.LBB6_525:
	s_and_b32 vcc_lo, exec_lo, s25
	s_cbranch_vccz .LBB6_529
; %bb.526:
	s_cmp_eq_u32 s21, 44
	s_cbranch_scc0 .LBB6_528
; %bb.527:
	s_wait_loadcnt 0x0
	global_load_u8 v1, v[4:5], off
	s_mov_b32 s22, 0
	s_mov_b32 s24, -1
	s_wait_loadcnt 0x0
	v_lshlrev_b32_e32 v2, 23, v1
	v_cmp_ne_u32_e32 vcc_lo, 0, v1
	s_delay_alu instid0(VALU_DEP_2) | instskip(NEXT) | instid1(VALU_DEP_1)
	v_trunc_f32_e32 v2, v2
	v_mul_f32_e64 v3, 0x2f800000, |v2|
	s_delay_alu instid0(VALU_DEP_1) | instskip(NEXT) | instid1(VALU_DEP_1)
	v_floor_f32_e32 v3, v3
	v_fma_f32 v3, 0xcf800000, v3, |v2|
	v_ashrrev_i32_e32 v2, 31, v2
	s_delay_alu instid0(VALU_DEP_2) | instskip(NEXT) | instid1(VALU_DEP_1)
	v_cvt_u32_f32_e32 v3, v3
	v_xor_b32_e32 v3, v3, v2
	s_delay_alu instid0(VALU_DEP_1) | instskip(NEXT) | instid1(VALU_DEP_1)
	v_sub_nc_u32_e32 v2, v3, v2
	v_cndmask_b32_e32 v2, 0, v2, vcc_lo
	s_branch .LBB6_529
.LBB6_528:
	s_mov_b32 s22, -1
                                        ; implicit-def: $vgpr2
.LBB6_529:
	s_mov_b32 s25, 0
.LBB6_530:
	s_delay_alu instid0(SALU_CYCLE_1)
	s_and_b32 vcc_lo, exec_lo, s25
	s_cbranch_vccz .LBB6_534
; %bb.531:
	s_cmp_eq_u32 s21, 29
	s_cbranch_scc0 .LBB6_533
; %bb.532:
	global_load_b64 v[2:3], v[4:5], off
	s_mov_b32 s24, -1
	s_mov_b32 s22, 0
	s_branch .LBB6_534
.LBB6_533:
	s_mov_b32 s22, -1
                                        ; implicit-def: $vgpr2
.LBB6_534:
	s_mov_b32 s25, 0
.LBB6_535:
	s_delay_alu instid0(SALU_CYCLE_1)
	s_and_b32 vcc_lo, exec_lo, s25
	s_cbranch_vccz .LBB6_551
; %bb.536:
	s_cmp_lt_i32 s21, 27
	s_cbranch_scc1 .LBB6_539
; %bb.537:
	s_cmp_gt_i32 s21, 27
	s_cbranch_scc0 .LBB6_540
; %bb.538:
	s_wait_loadcnt 0x0
	global_load_b32 v2, v[4:5], off
	s_mov_b32 s24, 0
	s_branch .LBB6_541
.LBB6_539:
	s_mov_b32 s24, -1
                                        ; implicit-def: $vgpr2
	s_branch .LBB6_544
.LBB6_540:
	s_mov_b32 s24, -1
                                        ; implicit-def: $vgpr2
.LBB6_541:
	s_delay_alu instid0(SALU_CYCLE_1)
	s_and_not1_b32 vcc_lo, exec_lo, s24
	s_cbranch_vccnz .LBB6_543
; %bb.542:
	s_wait_loadcnt 0x0
	global_load_u16 v2, v[4:5], off
.LBB6_543:
	s_mov_b32 s24, 0
.LBB6_544:
	s_delay_alu instid0(SALU_CYCLE_1)
	s_and_not1_b32 vcc_lo, exec_lo, s24
	s_cbranch_vccnz .LBB6_550
; %bb.545:
	s_wait_loadcnt 0x0
	global_load_u8 v1, v[4:5], off
	s_mov_b32 s25, 0
	s_mov_b32 s24, exec_lo
	s_wait_loadcnt 0x0
	v_cmpx_lt_i16_e32 0x7f, v1
	s_xor_b32 s24, exec_lo, s24
	s_cbranch_execz .LBB6_562
; %bb.546:
	v_cmp_ne_u16_e32 vcc_lo, 0x80, v1
	s_and_b32 s25, vcc_lo, exec_lo
	s_and_not1_saveexec_b32 s24, s24
	s_cbranch_execnz .LBB6_563
.LBB6_547:
	s_or_b32 exec_lo, exec_lo, s24
	v_mov_b32_e32 v2, 0
	s_and_saveexec_b32 s24, s25
	s_cbranch_execz .LBB6_549
.LBB6_548:
	v_and_b32_e32 v2, 0xffff, v1
	s_delay_alu instid0(VALU_DEP_1) | instskip(SKIP_1) | instid1(VALU_DEP_2)
	v_dual_lshlrev_b32 v1, 24, v1 :: v_dual_bitop2_b32 v3, 7, v2 bitop3:0x40
	v_bfe_u32 v8, v2, 3, 4
	v_and_b32_e32 v1, 0x80000000, v1
	s_delay_alu instid0(VALU_DEP_3) | instskip(NEXT) | instid1(VALU_DEP_3)
	v_clz_i32_u32_e32 v6, v3
	v_cmp_eq_u32_e32 vcc_lo, 0, v8
	s_delay_alu instid0(VALU_DEP_2) | instskip(NEXT) | instid1(VALU_DEP_1)
	v_min_u32_e32 v6, 32, v6
	v_subrev_nc_u32_e32 v7, 28, v6
	v_sub_nc_u32_e32 v6, 29, v6
	s_delay_alu instid0(VALU_DEP_2) | instskip(NEXT) | instid1(VALU_DEP_2)
	v_lshlrev_b32_e32 v2, v7, v2
	v_cndmask_b32_e32 v6, v8, v6, vcc_lo
	s_delay_alu instid0(VALU_DEP_2) | instskip(NEXT) | instid1(VALU_DEP_1)
	v_and_b32_e32 v2, 7, v2
	v_cndmask_b32_e32 v2, v3, v2, vcc_lo
	s_delay_alu instid0(VALU_DEP_3) | instskip(NEXT) | instid1(VALU_DEP_2)
	v_lshl_add_u32 v3, v6, 23, 0x3b800000
	v_lshlrev_b32_e32 v2, 20, v2
	s_delay_alu instid0(VALU_DEP_1) | instskip(NEXT) | instid1(VALU_DEP_1)
	v_or3_b32 v1, v1, v3, v2
	v_trunc_f32_e32 v1, v1
	s_delay_alu instid0(VALU_DEP_1) | instskip(NEXT) | instid1(VALU_DEP_1)
	v_mul_f32_e64 v2, 0x2f800000, |v1|
	v_floor_f32_e32 v2, v2
	s_delay_alu instid0(VALU_DEP_1) | instskip(SKIP_1) | instid1(VALU_DEP_2)
	v_fma_f32 v2, 0xcf800000, v2, |v1|
	v_ashrrev_i32_e32 v1, 31, v1
	v_cvt_u32_f32_e32 v2, v2
	s_delay_alu instid0(VALU_DEP_1) | instskip(NEXT) | instid1(VALU_DEP_1)
	v_xor_b32_e32 v2, v2, v1
	v_sub_nc_u32_e32 v2, v2, v1
.LBB6_549:
	s_or_b32 exec_lo, exec_lo, s24
.LBB6_550:
	s_mov_b32 s24, -1
.LBB6_551:
	s_mov_b32 s25, 0
.LBB6_552:
	s_delay_alu instid0(SALU_CYCLE_1)
	s_and_b32 vcc_lo, exec_lo, s25
	s_cbranch_vccz .LBB6_585
; %bb.553:
	s_cmp_gt_i32 s21, 22
	s_cbranch_scc0 .LBB6_561
; %bb.554:
	s_cmp_lt_i32 s21, 24
	s_cbranch_scc1 .LBB6_564
; %bb.555:
	s_cmp_gt_i32 s21, 24
	s_cbranch_scc0 .LBB6_565
; %bb.556:
	s_wait_loadcnt 0x0
	global_load_u8 v1, v[4:5], off
	s_mov_b32 s25, 0
	s_mov_b32 s24, exec_lo
	s_wait_loadcnt 0x0
	v_cmpx_lt_i16_e32 0x7f, v1
	s_xor_b32 s24, exec_lo, s24
	s_cbranch_execz .LBB6_577
; %bb.557:
	v_cmp_ne_u16_e32 vcc_lo, 0x80, v1
	s_and_b32 s25, vcc_lo, exec_lo
	s_and_not1_saveexec_b32 s24, s24
	s_cbranch_execnz .LBB6_578
.LBB6_558:
	s_or_b32 exec_lo, exec_lo, s24
	v_mov_b32_e32 v2, 0
	s_and_saveexec_b32 s24, s25
	s_cbranch_execz .LBB6_560
.LBB6_559:
	v_and_b32_e32 v2, 0xffff, v1
	s_delay_alu instid0(VALU_DEP_1) | instskip(SKIP_1) | instid1(VALU_DEP_2)
	v_dual_lshlrev_b32 v1, 24, v1 :: v_dual_bitop2_b32 v3, 3, v2 bitop3:0x40
	v_bfe_u32 v8, v2, 2, 5
	v_and_b32_e32 v1, 0x80000000, v1
	s_delay_alu instid0(VALU_DEP_3) | instskip(NEXT) | instid1(VALU_DEP_3)
	v_clz_i32_u32_e32 v6, v3
	v_cmp_eq_u32_e32 vcc_lo, 0, v8
	s_delay_alu instid0(VALU_DEP_2) | instskip(NEXT) | instid1(VALU_DEP_1)
	v_min_u32_e32 v6, 32, v6
	v_subrev_nc_u32_e32 v7, 29, v6
	v_sub_nc_u32_e32 v6, 30, v6
	s_delay_alu instid0(VALU_DEP_2) | instskip(NEXT) | instid1(VALU_DEP_2)
	v_lshlrev_b32_e32 v2, v7, v2
	v_cndmask_b32_e32 v6, v8, v6, vcc_lo
	s_delay_alu instid0(VALU_DEP_2) | instskip(NEXT) | instid1(VALU_DEP_1)
	v_and_b32_e32 v2, 3, v2
	v_cndmask_b32_e32 v2, v3, v2, vcc_lo
	s_delay_alu instid0(VALU_DEP_3) | instskip(NEXT) | instid1(VALU_DEP_2)
	v_lshl_add_u32 v3, v6, 23, 0x37800000
	v_lshlrev_b32_e32 v2, 21, v2
	s_delay_alu instid0(VALU_DEP_1) | instskip(NEXT) | instid1(VALU_DEP_1)
	v_or3_b32 v1, v1, v3, v2
	v_trunc_f32_e32 v1, v1
	s_delay_alu instid0(VALU_DEP_1) | instskip(NEXT) | instid1(VALU_DEP_1)
	v_mul_f32_e64 v2, 0x2f800000, |v1|
	v_floor_f32_e32 v2, v2
	s_delay_alu instid0(VALU_DEP_1) | instskip(SKIP_1) | instid1(VALU_DEP_2)
	v_fma_f32 v2, 0xcf800000, v2, |v1|
	v_ashrrev_i32_e32 v1, 31, v1
	v_cvt_u32_f32_e32 v2, v2
	s_delay_alu instid0(VALU_DEP_1) | instskip(NEXT) | instid1(VALU_DEP_1)
	v_xor_b32_e32 v2, v2, v1
	v_sub_nc_u32_e32 v2, v2, v1
.LBB6_560:
	s_or_b32 exec_lo, exec_lo, s24
	s_mov_b32 s24, 0
	s_branch .LBB6_566
.LBB6_561:
	s_mov_b32 s25, -1
                                        ; implicit-def: $vgpr2
	s_branch .LBB6_572
.LBB6_562:
	s_and_not1_saveexec_b32 s24, s24
	s_cbranch_execz .LBB6_547
.LBB6_563:
	v_cmp_ne_u16_e32 vcc_lo, 0, v1
	s_and_not1_b32 s25, s25, exec_lo
	s_and_b32 s26, vcc_lo, exec_lo
	s_delay_alu instid0(SALU_CYCLE_1)
	s_or_b32 s25, s25, s26
	s_or_b32 exec_lo, exec_lo, s24
	v_mov_b32_e32 v2, 0
	s_and_saveexec_b32 s24, s25
	s_cbranch_execnz .LBB6_548
	s_branch .LBB6_549
.LBB6_564:
	s_mov_b32 s24, -1
                                        ; implicit-def: $vgpr2
	s_branch .LBB6_569
.LBB6_565:
	s_mov_b32 s24, -1
                                        ; implicit-def: $vgpr2
.LBB6_566:
	s_delay_alu instid0(SALU_CYCLE_1)
	s_and_b32 vcc_lo, exec_lo, s24
	s_cbranch_vccz .LBB6_568
; %bb.567:
	s_wait_loadcnt 0x0
	global_load_u8 v1, v[4:5], off
	s_wait_loadcnt 0x0
	v_lshlrev_b32_e32 v1, 24, v1
	s_delay_alu instid0(VALU_DEP_1) | instskip(NEXT) | instid1(VALU_DEP_1)
	v_and_b32_e32 v2, 0x7f000000, v1
	v_clz_i32_u32_e32 v3, v2
	v_cmp_ne_u32_e32 vcc_lo, 0, v2
	v_add_nc_u32_e32 v7, 0x1000000, v2
	s_delay_alu instid0(VALU_DEP_3) | instskip(NEXT) | instid1(VALU_DEP_1)
	v_min_u32_e32 v3, 32, v3
	v_sub_nc_u32_e64 v3, v3, 4 clamp
	s_delay_alu instid0(VALU_DEP_1) | instskip(NEXT) | instid1(VALU_DEP_1)
	v_dual_lshlrev_b32 v6, v3, v2 :: v_dual_lshlrev_b32 v3, 23, v3
	v_lshrrev_b32_e32 v6, 4, v6
	s_delay_alu instid0(VALU_DEP_1) | instskip(SKIP_1) | instid1(VALU_DEP_2)
	v_sub_nc_u32_e32 v3, v6, v3
	v_ashrrev_i32_e32 v6, 8, v7
	v_add_nc_u32_e32 v3, 0x3c000000, v3
	s_delay_alu instid0(VALU_DEP_1) | instskip(NEXT) | instid1(VALU_DEP_1)
	v_and_or_b32 v3, 0x7f800000, v6, v3
	v_cndmask_b32_e32 v2, 0, v3, vcc_lo
	s_delay_alu instid0(VALU_DEP_1) | instskip(NEXT) | instid1(VALU_DEP_1)
	v_and_or_b32 v1, 0x80000000, v1, v2
	v_trunc_f32_e32 v1, v1
	s_delay_alu instid0(VALU_DEP_1) | instskip(NEXT) | instid1(VALU_DEP_1)
	v_mul_f32_e64 v2, 0x2f800000, |v1|
	v_floor_f32_e32 v2, v2
	s_delay_alu instid0(VALU_DEP_1) | instskip(SKIP_1) | instid1(VALU_DEP_2)
	v_fma_f32 v2, 0xcf800000, v2, |v1|
	v_ashrrev_i32_e32 v1, 31, v1
	v_cvt_u32_f32_e32 v2, v2
	s_delay_alu instid0(VALU_DEP_1) | instskip(NEXT) | instid1(VALU_DEP_1)
	v_xor_b32_e32 v2, v2, v1
	v_sub_nc_u32_e32 v2, v2, v1
.LBB6_568:
	s_mov_b32 s24, 0
.LBB6_569:
	s_delay_alu instid0(SALU_CYCLE_1)
	s_and_not1_b32 vcc_lo, exec_lo, s24
	s_cbranch_vccnz .LBB6_571
; %bb.570:
	s_wait_loadcnt 0x0
	global_load_u8 v1, v[4:5], off
	s_wait_loadcnt 0x0
	v_lshlrev_b32_e32 v2, 25, v1
	v_lshlrev_b16 v1, 8, v1
	s_delay_alu instid0(VALU_DEP_1) | instskip(SKIP_1) | instid1(VALU_DEP_2)
	v_and_or_b32 v6, 0x7f00, v1, 0.5
	v_bfe_i32 v1, v1, 0, 16
	v_add_f32_e32 v6, -0.5, v6
	v_lshrrev_b32_e32 v3, 4, v2
	v_cmp_gt_u32_e32 vcc_lo, 0x8000000, v2
	s_delay_alu instid0(VALU_DEP_2) | instskip(NEXT) | instid1(VALU_DEP_1)
	v_or_b32_e32 v3, 0x70000000, v3
	v_mul_f32_e32 v3, 0x7800000, v3
	s_delay_alu instid0(VALU_DEP_1) | instskip(NEXT) | instid1(VALU_DEP_1)
	v_cndmask_b32_e32 v2, v3, v6, vcc_lo
	v_and_or_b32 v1, 0x80000000, v1, v2
	s_delay_alu instid0(VALU_DEP_1) | instskip(NEXT) | instid1(VALU_DEP_1)
	v_trunc_f32_e32 v1, v1
	v_mul_f32_e64 v2, 0x2f800000, |v1|
	s_delay_alu instid0(VALU_DEP_1) | instskip(NEXT) | instid1(VALU_DEP_1)
	v_floor_f32_e32 v2, v2
	v_fma_f32 v2, 0xcf800000, v2, |v1|
	v_ashrrev_i32_e32 v1, 31, v1
	s_delay_alu instid0(VALU_DEP_2) | instskip(NEXT) | instid1(VALU_DEP_1)
	v_cvt_u32_f32_e32 v2, v2
	v_xor_b32_e32 v2, v2, v1
	s_delay_alu instid0(VALU_DEP_1)
	v_sub_nc_u32_e32 v2, v2, v1
.LBB6_571:
	s_mov_b32 s25, 0
	s_mov_b32 s24, -1
.LBB6_572:
	s_and_not1_b32 vcc_lo, exec_lo, s25
	s_cbranch_vccnz .LBB6_585
; %bb.573:
	s_cmp_gt_i32 s21, 14
	s_cbranch_scc0 .LBB6_576
; %bb.574:
	s_cmp_eq_u32 s21, 15
	s_cbranch_scc0 .LBB6_579
; %bb.575:
	s_wait_loadcnt 0x0
	global_load_u16 v1, v[4:5], off
	s_mov_b32 s24, -1
	s_mov_b32 s22, 0
	s_wait_loadcnt 0x0
	v_lshlrev_b32_e32 v1, 16, v1
	s_delay_alu instid0(VALU_DEP_1) | instskip(NEXT) | instid1(VALU_DEP_1)
	v_trunc_f32_e32 v1, v1
	v_mul_f32_e64 v2, 0x2f800000, |v1|
	s_delay_alu instid0(VALU_DEP_1) | instskip(NEXT) | instid1(VALU_DEP_1)
	v_floor_f32_e32 v2, v2
	v_fma_f32 v2, 0xcf800000, v2, |v1|
	v_ashrrev_i32_e32 v1, 31, v1
	s_delay_alu instid0(VALU_DEP_2) | instskip(NEXT) | instid1(VALU_DEP_1)
	v_cvt_u32_f32_e32 v2, v2
	v_xor_b32_e32 v2, v2, v1
	s_delay_alu instid0(VALU_DEP_1)
	v_sub_nc_u32_e32 v2, v2, v1
	s_branch .LBB6_580
.LBB6_576:
	s_mov_b32 s25, -1
                                        ; implicit-def: $vgpr2
	s_branch .LBB6_581
.LBB6_577:
	s_and_not1_saveexec_b32 s24, s24
	s_cbranch_execz .LBB6_558
.LBB6_578:
	v_cmp_ne_u16_e32 vcc_lo, 0, v1
	s_and_not1_b32 s25, s25, exec_lo
	s_and_b32 s26, vcc_lo, exec_lo
	s_delay_alu instid0(SALU_CYCLE_1)
	s_or_b32 s25, s25, s26
	s_or_b32 exec_lo, exec_lo, s24
	v_mov_b32_e32 v2, 0
	s_and_saveexec_b32 s24, s25
	s_cbranch_execnz .LBB6_559
	s_branch .LBB6_560
.LBB6_579:
	s_mov_b32 s22, -1
                                        ; implicit-def: $vgpr2
.LBB6_580:
	s_mov_b32 s25, 0
.LBB6_581:
	s_delay_alu instid0(SALU_CYCLE_1)
	s_and_b32 vcc_lo, exec_lo, s25
	s_cbranch_vccz .LBB6_585
; %bb.582:
	s_cmp_eq_u32 s21, 11
	s_cbranch_scc0 .LBB6_584
; %bb.583:
	s_wait_loadcnt 0x0
	global_load_u8 v1, v[4:5], off
	s_mov_b32 s22, 0
	s_mov_b32 s24, -1
	s_wait_loadcnt 0x0
	v_cmp_ne_u16_e32 vcc_lo, 0, v1
	v_cndmask_b32_e64 v2, 0, 1, vcc_lo
	s_branch .LBB6_585
.LBB6_584:
	s_mov_b32 s22, -1
                                        ; implicit-def: $vgpr2
.LBB6_585:
	s_mov_b32 s21, 0
.LBB6_586:
	s_delay_alu instid0(SALU_CYCLE_1)
	s_and_b32 vcc_lo, exec_lo, s21
	s_cbranch_vccz .LBB6_635
; %bb.587:
	s_and_b32 s0, 0xffff, s0
	s_delay_alu instid0(SALU_CYCLE_1)
	s_cmp_lt_i32 s0, 5
	s_cbranch_scc1 .LBB6_592
; %bb.588:
	s_cmp_lt_i32 s0, 8
	s_cbranch_scc1 .LBB6_593
; %bb.589:
	;; [unrolled: 3-line block ×3, first 2 shown]
	s_cmp_gt_i32 s0, 9
	s_cbranch_scc0 .LBB6_595
; %bb.591:
	s_wait_loadcnt 0x0
	global_load_b64 v[2:3], v[4:5], off
	s_mov_b32 s21, 0
	s_wait_loadcnt 0x0
	v_trunc_f64_e32 v[2:3], v[2:3]
	s_delay_alu instid0(VALU_DEP_1) | instskip(NEXT) | instid1(VALU_DEP_1)
	v_ldexp_f64 v[6:7], v[2:3], 0xffffffe0
	v_floor_f64_e32 v[6:7], v[6:7]
	s_delay_alu instid0(VALU_DEP_1) | instskip(NEXT) | instid1(VALU_DEP_1)
	v_fmamk_f64 v[2:3], v[6:7], 0xc1f00000, v[2:3]
	v_cvt_u32_f64_e32 v2, v[2:3]
	s_branch .LBB6_596
.LBB6_592:
	s_mov_b32 s21, -1
                                        ; implicit-def: $vgpr2
	s_branch .LBB6_614
.LBB6_593:
	s_mov_b32 s21, -1
                                        ; implicit-def: $vgpr2
	s_branch .LBB6_602
.LBB6_594:
	s_mov_b32 s21, -1
                                        ; implicit-def: $vgpr2
	s_branch .LBB6_599
.LBB6_595:
	s_mov_b32 s21, -1
                                        ; implicit-def: $vgpr2
.LBB6_596:
	s_delay_alu instid0(SALU_CYCLE_1)
	s_and_not1_b32 vcc_lo, exec_lo, s21
	s_cbranch_vccnz .LBB6_598
; %bb.597:
	s_wait_loadcnt 0x0
	global_load_b32 v1, v[4:5], off
	s_wait_loadcnt 0x0
	v_trunc_f32_e32 v1, v1
	s_delay_alu instid0(VALU_DEP_1) | instskip(NEXT) | instid1(VALU_DEP_1)
	v_mul_f32_e64 v2, 0x2f800000, |v1|
	v_floor_f32_e32 v2, v2
	s_delay_alu instid0(VALU_DEP_1) | instskip(SKIP_1) | instid1(VALU_DEP_2)
	v_fma_f32 v2, 0xcf800000, v2, |v1|
	v_ashrrev_i32_e32 v1, 31, v1
	v_cvt_u32_f32_e32 v2, v2
	s_delay_alu instid0(VALU_DEP_1) | instskip(NEXT) | instid1(VALU_DEP_1)
	v_xor_b32_e32 v2, v2, v1
	v_sub_nc_u32_e32 v2, v2, v1
.LBB6_598:
	s_mov_b32 s21, 0
.LBB6_599:
	s_delay_alu instid0(SALU_CYCLE_1)
	s_and_not1_b32 vcc_lo, exec_lo, s21
	s_cbranch_vccnz .LBB6_601
; %bb.600:
	s_wait_loadcnt 0x0
	global_load_b32 v1, v[4:5], off
	s_wait_loadcnt 0x0
	v_cvt_f32_f16_e32 v1, v1
	s_delay_alu instid0(VALU_DEP_1)
	v_cvt_i32_f32_e32 v2, v1
.LBB6_601:
	s_mov_b32 s21, 0
.LBB6_602:
	s_delay_alu instid0(SALU_CYCLE_1)
	s_and_not1_b32 vcc_lo, exec_lo, s21
	s_cbranch_vccnz .LBB6_613
; %bb.603:
	s_cmp_lt_i32 s0, 6
	s_cbranch_scc1 .LBB6_606
; %bb.604:
	s_cmp_gt_i32 s0, 6
	s_cbranch_scc0 .LBB6_607
; %bb.605:
	s_wait_loadcnt 0x0
	global_load_b64 v[2:3], v[4:5], off
	s_mov_b32 s21, 0
	s_wait_loadcnt 0x0
	v_trunc_f64_e32 v[2:3], v[2:3]
	s_delay_alu instid0(VALU_DEP_1) | instskip(NEXT) | instid1(VALU_DEP_1)
	v_ldexp_f64 v[6:7], v[2:3], 0xffffffe0
	v_floor_f64_e32 v[6:7], v[6:7]
	s_delay_alu instid0(VALU_DEP_1) | instskip(NEXT) | instid1(VALU_DEP_1)
	v_fmamk_f64 v[2:3], v[6:7], 0xc1f00000, v[2:3]
	v_cvt_u32_f64_e32 v2, v[2:3]
	s_branch .LBB6_608
.LBB6_606:
	s_mov_b32 s21, -1
                                        ; implicit-def: $vgpr2
	s_branch .LBB6_611
.LBB6_607:
	s_mov_b32 s21, -1
                                        ; implicit-def: $vgpr2
.LBB6_608:
	s_delay_alu instid0(SALU_CYCLE_1)
	s_and_not1_b32 vcc_lo, exec_lo, s21
	s_cbranch_vccnz .LBB6_610
; %bb.609:
	s_wait_loadcnt 0x0
	global_load_b32 v1, v[4:5], off
	s_wait_loadcnt 0x0
	v_trunc_f32_e32 v1, v1
	s_delay_alu instid0(VALU_DEP_1) | instskip(NEXT) | instid1(VALU_DEP_1)
	v_mul_f32_e64 v2, 0x2f800000, |v1|
	v_floor_f32_e32 v2, v2
	s_delay_alu instid0(VALU_DEP_1) | instskip(SKIP_1) | instid1(VALU_DEP_2)
	v_fma_f32 v2, 0xcf800000, v2, |v1|
	v_ashrrev_i32_e32 v1, 31, v1
	v_cvt_u32_f32_e32 v2, v2
	s_delay_alu instid0(VALU_DEP_1) | instskip(NEXT) | instid1(VALU_DEP_1)
	v_xor_b32_e32 v2, v2, v1
	v_sub_nc_u32_e32 v2, v2, v1
.LBB6_610:
	s_mov_b32 s21, 0
.LBB6_611:
	s_delay_alu instid0(SALU_CYCLE_1)
	s_and_not1_b32 vcc_lo, exec_lo, s21
	s_cbranch_vccnz .LBB6_613
; %bb.612:
	s_wait_loadcnt 0x0
	global_load_u16 v1, v[4:5], off
	s_wait_loadcnt 0x0
	v_cvt_f32_f16_e32 v1, v1
	s_delay_alu instid0(VALU_DEP_1)
	v_cvt_i32_f32_e32 v2, v1
.LBB6_613:
	s_mov_b32 s21, 0
.LBB6_614:
	s_delay_alu instid0(SALU_CYCLE_1)
	s_and_not1_b32 vcc_lo, exec_lo, s21
	s_cbranch_vccnz .LBB6_634
; %bb.615:
	s_cmp_lt_i32 s0, 2
	s_cbranch_scc1 .LBB6_619
; %bb.616:
	s_cmp_lt_i32 s0, 3
	s_cbranch_scc1 .LBB6_620
; %bb.617:
	s_cmp_gt_i32 s0, 3
	s_cbranch_scc0 .LBB6_621
; %bb.618:
	s_wait_loadcnt 0x0
	global_load_b64 v[2:3], v[4:5], off
	s_mov_b32 s21, 0
	s_branch .LBB6_622
.LBB6_619:
	s_mov_b32 s21, -1
                                        ; implicit-def: $vgpr2
	s_branch .LBB6_628
.LBB6_620:
	s_mov_b32 s21, -1
                                        ; implicit-def: $vgpr2
	s_branch .LBB6_625
.LBB6_621:
	s_mov_b32 s21, -1
                                        ; implicit-def: $vgpr2
.LBB6_622:
	s_delay_alu instid0(SALU_CYCLE_1)
	s_and_not1_b32 vcc_lo, exec_lo, s21
	s_cbranch_vccnz .LBB6_624
; %bb.623:
	s_wait_loadcnt 0x0
	global_load_b32 v2, v[4:5], off
.LBB6_624:
	s_mov_b32 s21, 0
.LBB6_625:
	s_delay_alu instid0(SALU_CYCLE_1)
	s_and_not1_b32 vcc_lo, exec_lo, s21
	s_cbranch_vccnz .LBB6_627
; %bb.626:
	s_wait_loadcnt 0x0
	global_load_u16 v2, v[4:5], off
.LBB6_627:
	s_mov_b32 s21, 0
.LBB6_628:
	s_delay_alu instid0(SALU_CYCLE_1)
	s_and_not1_b32 vcc_lo, exec_lo, s21
	s_cbranch_vccnz .LBB6_634
; %bb.629:
	s_cmp_gt_i32 s0, 0
	s_mov_b32 s0, 0
	s_cbranch_scc0 .LBB6_631
; %bb.630:
	s_wait_loadcnt 0x0
	global_load_u8 v2, v[4:5], off
	s_branch .LBB6_632
.LBB6_631:
	s_mov_b32 s0, -1
                                        ; implicit-def: $vgpr2
.LBB6_632:
	s_delay_alu instid0(SALU_CYCLE_1)
	s_and_not1_b32 vcc_lo, exec_lo, s0
	s_cbranch_vccnz .LBB6_634
; %bb.633:
	s_wait_loadcnt 0x0
	global_load_u8 v2, v[4:5], off
.LBB6_634:
	s_mov_b32 s24, -1
.LBB6_635:
	s_delay_alu instid0(SALU_CYCLE_1)
	s_and_not1_b32 vcc_lo, exec_lo, s24
	s_cbranch_vccnz .LBB6_646
; %bb.636:
	s_wait_loadcnt 0x0
	s_delay_alu instid0(VALU_DEP_4) | instskip(SKIP_3) | instid1(VALU_DEP_1)
	v_and_b32_e32 v1, 0xff, v0
	s_mov_b32 s21, 0
	s_mov_b32 s0, exec_lo
	s_wait_xcnt 0x0
	v_cmpx_ne_u16_e32 0, v1
	s_cbranch_execz .LBB6_639
.LBB6_637:                              ; =>This Inner Loop Header: Depth=1
	s_delay_alu instid0(VALU_DEP_3) | instskip(SKIP_1) | instid1(VALU_DEP_1)
	v_cvt_f32_ubyte0_e32 v4, v2
	v_mov_b32_e32 v1, v0
	v_cvt_f32_ubyte0_e32 v0, v1
	s_delay_alu instid0(VALU_DEP_1) | instskip(SKIP_1) | instid1(TRANS32_DEP_1)
	v_rcp_iflag_f32_e32 v3, v0
	v_nop
	v_mul_f32_e32 v3, v4, v3
	s_delay_alu instid0(VALU_DEP_1) | instskip(NEXT) | instid1(VALU_DEP_1)
	v_trunc_f32_e32 v3, v3
	v_fma_f32 v4, -v3, v0, v4
	v_cvt_u32_f32_e32 v3, v3
	s_delay_alu instid0(VALU_DEP_2) | instskip(NEXT) | instid1(VALU_DEP_1)
	v_cmp_ge_f32_e64 vcc_lo, |v4|, v0
	v_add_co_ci_u32_e64 v0, null, 0, v3, vcc_lo
	s_delay_alu instid0(VALU_DEP_1) | instskip(NEXT) | instid1(VALU_DEP_1)
	v_mul_lo_u32 v0, v0, v1
	v_dual_sub_nc_u32 v0, v2, v0 :: v_dual_mov_b32 v2, v1
	s_delay_alu instid0(VALU_DEP_1) | instskip(NEXT) | instid1(VALU_DEP_1)
	v_and_b32_e32 v0, 0xff, v0
	v_cmp_eq_u16_e32 vcc_lo, 0, v0
	s_or_b32 s21, vcc_lo, s21
	s_delay_alu instid0(SALU_CYCLE_1)
	s_and_not1_b32 exec_lo, exec_lo, s21
	s_cbranch_execnz .LBB6_637
; %bb.638:
	s_or_b32 exec_lo, exec_lo, s21
	v_mov_b32_e32 v2, v1
.LBB6_639:
	s_or_b32 exec_lo, exec_lo, s0
	v_mul_lo_u32 v0, v14, s8
	s_and_b32 s21, s11, 0xff
	s_delay_alu instid0(SALU_CYCLE_1) | instskip(NEXT) | instid1(VALU_DEP_1)
	s_cmp_lt_i32 s21, 11
	v_ashrrev_i32_e32 v1, 31, v0
	s_delay_alu instid0(VALU_DEP_1)
	v_add_nc_u64_e32 v[0:1], s[4:5], v[0:1]
	s_cbranch_scc1 .LBB6_647
; %bb.640:
	s_and_b32 s24, 0xffff, s21
	s_delay_alu instid0(SALU_CYCLE_1)
	s_cmp_gt_i32 s24, 25
	s_cbranch_scc0 .LBB6_648
; %bb.641:
	s_cmp_gt_i32 s24, 28
	s_cbranch_scc0 .LBB6_649
; %bb.642:
	;; [unrolled: 3-line block ×4, first 2 shown]
	s_mov_b32 s26, 0
	s_mov_b32 s0, -1
	s_cmp_eq_u32 s24, 46
	s_mov_b32 s25, 0
	s_cbranch_scc0 .LBB6_652
; %bb.645:
	v_cvt_f32_ubyte0_e32 v3, v2
	s_mov_b32 s25, -1
	s_mov_b32 s0, 0
	s_delay_alu instid0(VALU_DEP_1) | instskip(NEXT) | instid1(VALU_DEP_1)
	v_bfe_u32 v4, v3, 16, 1
	v_add3_u32 v3, v3, v4, 0x7fff
	s_delay_alu instid0(VALU_DEP_1)
	v_lshrrev_b32_e32 v3, 16, v3
	global_store_b32 v[0:1], v3, off
	s_branch .LBB6_652
.LBB6_646:
	s_mov_b32 s24, 0
	s_mov_b32 s0, s15
	s_branch .LBB6_763
.LBB6_647:
	s_mov_b32 s24, -1
	s_mov_b32 s25, 0
	s_mov_b32 s0, s15
	s_branch .LBB6_721
.LBB6_648:
	s_mov_b32 s26, -1
	s_mov_b32 s25, 0
	s_mov_b32 s0, s15
	s_branch .LBB6_679
.LBB6_649:
	s_mov_b32 s26, -1
	s_mov_b32 s25, 0
	s_mov_b32 s0, s15
	s_branch .LBB6_662
.LBB6_650:
	s_mov_b32 s26, -1
	s_mov_b32 s25, 0
	s_mov_b32 s0, s15
	s_branch .LBB6_658
.LBB6_651:
	s_mov_b32 s26, -1
	s_mov_b32 s25, 0
	s_mov_b32 s0, s15
.LBB6_652:
	s_and_b32 vcc_lo, exec_lo, s26
	s_cbranch_vccz .LBB6_657
; %bb.653:
	s_cmp_eq_u32 s24, 44
	s_mov_b32 s0, -1
	s_cbranch_scc0 .LBB6_657
; %bb.654:
	v_cvt_f32_ubyte0_e32 v5, v2
	s_mov_b32 s25, exec_lo
	s_wait_xcnt 0x0
	s_delay_alu instid0(VALU_DEP_1) | instskip(NEXT) | instid1(VALU_DEP_1)
	v_dual_mov_b32 v4, 0xff :: v_dual_lshrrev_b32 v3, 23, v5
	v_cmpx_ne_u32_e32 0xff, v3
; %bb.655:
	v_and_b32_e32 v4, 0x400000, v5
	v_and_or_b32 v5, 0x3fffff, v5, v3
	s_delay_alu instid0(VALU_DEP_2) | instskip(NEXT) | instid1(VALU_DEP_2)
	v_cmp_ne_u32_e32 vcc_lo, 0, v4
	v_cmp_ne_u32_e64 s0, 0, v5
	s_and_b32 s0, vcc_lo, s0
	s_delay_alu instid0(SALU_CYCLE_1) | instskip(NEXT) | instid1(VALU_DEP_1)
	v_cndmask_b32_e64 v4, 0, 1, s0
	v_add_nc_u32_e32 v4, v3, v4
; %bb.656:
	s_or_b32 exec_lo, exec_lo, s25
	s_mov_b32 s25, -1
	s_mov_b32 s0, 0
	global_store_b8 v[0:1], v4, off
.LBB6_657:
	s_mov_b32 s26, 0
.LBB6_658:
	s_delay_alu instid0(SALU_CYCLE_1)
	s_and_b32 vcc_lo, exec_lo, s26
	s_cbranch_vccz .LBB6_661
; %bb.659:
	s_cmp_eq_u32 s24, 29
	s_mov_b32 s0, -1
	s_cbranch_scc0 .LBB6_661
; %bb.660:
	s_wait_xcnt 0x0
	v_and_b32_e32 v4, 0xff, v2
	v_mov_b32_e32 v5, 0
	s_mov_b32 s25, -1
	s_mov_b32 s0, 0
	s_mov_b32 s26, 0
	global_store_b64 v[0:1], v[4:5], off
	s_branch .LBB6_662
.LBB6_661:
	s_mov_b32 s26, 0
.LBB6_662:
	s_delay_alu instid0(SALU_CYCLE_1)
	s_and_b32 vcc_lo, exec_lo, s26
	s_cbranch_vccz .LBB6_678
; %bb.663:
	s_cmp_lt_i32 s24, 27
	s_mov_b32 s25, -1
	s_cbranch_scc1 .LBB6_669
; %bb.664:
	s_cmp_gt_i32 s24, 27
	s_cbranch_scc0 .LBB6_666
; %bb.665:
	s_wait_xcnt 0x0
	v_and_b32_e32 v3, 0xff, v2
	s_mov_b32 s25, 0
	global_store_b32 v[0:1], v3, off
.LBB6_666:
	s_and_not1_b32 vcc_lo, exec_lo, s25
	s_cbranch_vccnz .LBB6_668
; %bb.667:
	s_wait_xcnt 0x0
	v_and_b32_e32 v3, 0xff, v2
	global_store_b16 v[0:1], v3, off
.LBB6_668:
	s_mov_b32 s25, 0
.LBB6_669:
	s_delay_alu instid0(SALU_CYCLE_1)
	s_and_not1_b32 vcc_lo, exec_lo, s25
	s_cbranch_vccnz .LBB6_677
; %bb.670:
	s_wait_xcnt 0x0
	v_cvt_f32_ubyte0_e32 v4, v2
	v_mov_b32_e32 v5, 0x80
	s_mov_b32 s25, exec_lo
	s_delay_alu instid0(VALU_DEP_2)
	v_cmpx_gt_u32_e32 0x43800000, v4
	s_cbranch_execz .LBB6_676
; %bb.671:
	s_mov_b32 s26, 0
	s_mov_b32 s27, exec_lo
                                        ; implicit-def: $vgpr3
	v_cmpx_lt_u32_e32 0x3bffffff, v4
	s_xor_b32 s27, exec_lo, s27
	s_cbranch_execz .LBB6_779
; %bb.672:
	v_bfe_u32 v3, v4, 20, 1
	s_mov_b32 s26, exec_lo
	s_delay_alu instid0(VALU_DEP_1) | instskip(NEXT) | instid1(VALU_DEP_1)
	v_add3_u32 v3, v4, v3, 0x487ffff
                                        ; implicit-def: $vgpr4
	v_lshrrev_b32_e32 v3, 20, v3
	s_and_not1_saveexec_b32 s27, s27
	s_cbranch_execnz .LBB6_780
.LBB6_673:
	s_or_b32 exec_lo, exec_lo, s27
	v_mov_b32_e32 v5, 0
	s_and_saveexec_b32 s27, s26
.LBB6_674:
	v_mov_b32_e32 v5, v3
.LBB6_675:
	s_or_b32 exec_lo, exec_lo, s27
.LBB6_676:
	s_delay_alu instid0(SALU_CYCLE_1)
	s_or_b32 exec_lo, exec_lo, s25
	global_store_b8 v[0:1], v5, off
.LBB6_677:
	s_mov_b32 s25, -1
.LBB6_678:
	s_mov_b32 s26, 0
.LBB6_679:
	s_delay_alu instid0(SALU_CYCLE_1)
	s_and_b32 vcc_lo, exec_lo, s26
	s_cbranch_vccz .LBB6_720
; %bb.680:
	s_cmp_gt_i32 s24, 22
	s_mov_b32 s26, -1
	s_cbranch_scc0 .LBB6_712
; %bb.681:
	s_cmp_lt_i32 s24, 24
	s_mov_b32 s25, -1
	s_cbranch_scc1 .LBB6_701
; %bb.682:
	s_cmp_gt_i32 s24, 24
	s_cbranch_scc0 .LBB6_690
; %bb.683:
	s_wait_xcnt 0x0
	v_cvt_f32_ubyte0_e32 v4, v2
	v_mov_b32_e32 v5, 0x80
	s_mov_b32 s25, exec_lo
	s_delay_alu instid0(VALU_DEP_2)
	v_cmpx_gt_u32_e32 0x47800000, v4
	s_cbranch_execz .LBB6_689
; %bb.684:
	s_mov_b32 s26, 0
	s_mov_b32 s27, exec_lo
                                        ; implicit-def: $vgpr3
	v_cmpx_lt_u32_e32 0x37ffffff, v4
	s_xor_b32 s27, exec_lo, s27
	s_cbranch_execz .LBB6_907
; %bb.685:
	v_bfe_u32 v3, v4, 21, 1
	s_mov_b32 s26, exec_lo
	s_delay_alu instid0(VALU_DEP_1) | instskip(NEXT) | instid1(VALU_DEP_1)
	v_add3_u32 v3, v4, v3, 0x88fffff
                                        ; implicit-def: $vgpr4
	v_lshrrev_b32_e32 v3, 21, v3
	s_and_not1_saveexec_b32 s27, s27
	s_cbranch_execnz .LBB6_908
.LBB6_686:
	s_or_b32 exec_lo, exec_lo, s27
	v_mov_b32_e32 v5, 0
	s_and_saveexec_b32 s27, s26
.LBB6_687:
	v_mov_b32_e32 v5, v3
.LBB6_688:
	s_or_b32 exec_lo, exec_lo, s27
.LBB6_689:
	s_delay_alu instid0(SALU_CYCLE_1)
	s_or_b32 exec_lo, exec_lo, s25
	s_mov_b32 s25, 0
	global_store_b8 v[0:1], v5, off
.LBB6_690:
	s_and_b32 vcc_lo, exec_lo, s25
	s_cbranch_vccz .LBB6_700
; %bb.691:
	s_wait_xcnt 0x0
	v_cvt_f32_ubyte0_e32 v4, v2
	s_mov_b32 s25, exec_lo
                                        ; implicit-def: $vgpr3
	s_delay_alu instid0(VALU_DEP_1)
	v_cmpx_gt_u32_e32 0x43f00000, v4
	s_xor_b32 s25, exec_lo, s25
	s_cbranch_execz .LBB6_697
; %bb.692:
	s_mov_b32 s26, exec_lo
                                        ; implicit-def: $vgpr3
	v_cmpx_lt_u32_e32 0x3c7fffff, v4
	s_xor_b32 s26, exec_lo, s26
; %bb.693:
	v_bfe_u32 v3, v4, 20, 1
	s_delay_alu instid0(VALU_DEP_1) | instskip(NEXT) | instid1(VALU_DEP_1)
	v_add3_u32 v3, v4, v3, 0x407ffff
	v_and_b32_e32 v4, 0xff00000, v3
	v_lshrrev_b32_e32 v3, 20, v3
	s_delay_alu instid0(VALU_DEP_2) | instskip(NEXT) | instid1(VALU_DEP_2)
	v_cmp_ne_u32_e32 vcc_lo, 0x7f00000, v4
                                        ; implicit-def: $vgpr4
	v_cndmask_b32_e32 v3, 0x7e, v3, vcc_lo
; %bb.694:
	s_and_not1_saveexec_b32 s26, s26
; %bb.695:
	v_add_f32_e32 v3, 0x46800000, v4
; %bb.696:
	s_or_b32 exec_lo, exec_lo, s26
                                        ; implicit-def: $vgpr4
.LBB6_697:
	s_and_not1_saveexec_b32 s25, s25
; %bb.698:
	v_mov_b32_e32 v3, 0x7f
	v_cmp_lt_u32_e32 vcc_lo, 0x7f800000, v4
	s_delay_alu instid0(VALU_DEP_2)
	v_cndmask_b32_e32 v3, 0x7e, v3, vcc_lo
; %bb.699:
	s_or_b32 exec_lo, exec_lo, s25
	global_store_b8 v[0:1], v3, off
.LBB6_700:
	s_mov_b32 s25, 0
.LBB6_701:
	s_delay_alu instid0(SALU_CYCLE_1)
	s_and_not1_b32 vcc_lo, exec_lo, s25
	s_cbranch_vccnz .LBB6_711
; %bb.702:
	s_wait_xcnt 0x0
	v_cvt_f32_ubyte0_e32 v4, v2
	s_mov_b32 s25, exec_lo
                                        ; implicit-def: $vgpr3
	s_delay_alu instid0(VALU_DEP_1)
	v_cmpx_gt_u32_e32 0x47800000, v4
	s_xor_b32 s25, exec_lo, s25
	s_cbranch_execz .LBB6_708
; %bb.703:
	s_mov_b32 s26, exec_lo
                                        ; implicit-def: $vgpr3
	v_cmpx_lt_u32_e32 0x387fffff, v4
	s_xor_b32 s26, exec_lo, s26
; %bb.704:
	v_bfe_u32 v3, v4, 21, 1
	s_delay_alu instid0(VALU_DEP_1) | instskip(NEXT) | instid1(VALU_DEP_1)
	v_add3_u32 v3, v4, v3, 0x80fffff
                                        ; implicit-def: $vgpr4
	v_lshrrev_b32_e32 v3, 21, v3
; %bb.705:
	s_and_not1_saveexec_b32 s26, s26
; %bb.706:
	v_add_f32_e32 v3, 0x43000000, v4
; %bb.707:
	s_or_b32 exec_lo, exec_lo, s26
                                        ; implicit-def: $vgpr4
.LBB6_708:
	s_and_not1_saveexec_b32 s25, s25
; %bb.709:
	v_mov_b32_e32 v3, 0x7f
	v_cmp_lt_u32_e32 vcc_lo, 0x7f800000, v4
	s_delay_alu instid0(VALU_DEP_2)
	v_cndmask_b32_e32 v3, 0x7c, v3, vcc_lo
; %bb.710:
	s_or_b32 exec_lo, exec_lo, s25
	global_store_b8 v[0:1], v3, off
.LBB6_711:
	s_mov_b32 s26, 0
	s_mov_b32 s25, -1
.LBB6_712:
	s_and_not1_b32 vcc_lo, exec_lo, s26
	s_cbranch_vccnz .LBB6_720
; %bb.713:
	s_cmp_gt_i32 s24, 14
	s_mov_b32 s26, -1
	s_cbranch_scc0 .LBB6_717
; %bb.714:
	s_cmp_eq_u32 s24, 15
	s_mov_b32 s0, -1
	s_cbranch_scc0 .LBB6_716
; %bb.715:
	s_wait_xcnt 0x0
	v_cvt_f32_ubyte0_e32 v3, v2
	s_mov_b32 s25, -1
	s_mov_b32 s0, 0
	s_delay_alu instid0(VALU_DEP_1) | instskip(NEXT) | instid1(VALU_DEP_1)
	v_bfe_u32 v4, v3, 16, 1
	v_add3_u32 v3, v3, v4, 0x7fff
	global_store_d16_hi_b16 v[0:1], v3, off
.LBB6_716:
	s_mov_b32 s26, 0
.LBB6_717:
	s_delay_alu instid0(SALU_CYCLE_1)
	s_and_b32 vcc_lo, exec_lo, s26
	s_cbranch_vccz .LBB6_720
; %bb.718:
	s_cmp_eq_u32 s24, 11
	s_mov_b32 s0, -1
	s_cbranch_scc0 .LBB6_720
; %bb.719:
	s_wait_xcnt 0x0
	v_and_b32_e32 v3, 0xff, v2
	s_mov_b32 s0, 0
	s_mov_b32 s25, -1
	s_delay_alu instid0(VALU_DEP_1)
	v_cmp_ne_u16_e32 vcc_lo, 0, v3
	v_cndmask_b32_e64 v3, 0, 1, vcc_lo
	global_store_b8 v[0:1], v3, off
.LBB6_720:
	s_mov_b32 s24, 0
.LBB6_721:
	s_delay_alu instid0(SALU_CYCLE_1)
	s_and_b32 vcc_lo, exec_lo, s24
	s_cbranch_vccz .LBB6_760
; %bb.722:
	s_and_b32 s21, 0xffff, s21
	s_mov_b32 s24, -1
	s_cmp_lt_i32 s21, 5
	s_cbranch_scc1 .LBB6_743
; %bb.723:
	s_cmp_lt_i32 s21, 8
	s_cbranch_scc1 .LBB6_733
; %bb.724:
	;; [unrolled: 3-line block ×3, first 2 shown]
	s_cmp_gt_i32 s21, 9
	s_cbranch_scc0 .LBB6_727
; %bb.726:
	s_wait_xcnt 0x0
	v_and_b32_e32 v3, 0xff, v2
	v_mov_b32_e32 v6, 0
	s_mov_b32 s24, 0
	s_delay_alu instid0(VALU_DEP_2) | instskip(NEXT) | instid1(VALU_DEP_2)
	v_and_b32_e32 v3, 0xffff, v3
	v_mov_b32_e32 v7, v6
	s_delay_alu instid0(VALU_DEP_2)
	v_cvt_f64_u32_e32 v[4:5], v3
	global_store_b128 v[0:1], v[4:7], off
.LBB6_727:
	s_and_not1_b32 vcc_lo, exec_lo, s24
	s_cbranch_vccnz .LBB6_729
; %bb.728:
	s_wait_xcnt 0x0
	v_cvt_f32_ubyte0_e32 v4, v2
	v_mov_b32_e32 v5, 0
	global_store_b64 v[0:1], v[4:5], off
.LBB6_729:
	s_mov_b32 s24, 0
.LBB6_730:
	s_delay_alu instid0(SALU_CYCLE_1)
	s_and_not1_b32 vcc_lo, exec_lo, s24
	s_cbranch_vccnz .LBB6_732
; %bb.731:
	s_wait_xcnt 0x0
	v_and_b32_e32 v3, 0xff, v2
	s_delay_alu instid0(VALU_DEP_1) | instskip(NEXT) | instid1(VALU_DEP_1)
	v_cvt_f16_u16_e32 v3, v3
	v_and_b32_e32 v3, 0xffff, v3
	global_store_b32 v[0:1], v3, off
.LBB6_732:
	s_mov_b32 s24, 0
.LBB6_733:
	s_delay_alu instid0(SALU_CYCLE_1)
	s_and_not1_b32 vcc_lo, exec_lo, s24
	s_cbranch_vccnz .LBB6_742
; %bb.734:
	s_cmp_lt_i32 s21, 6
	s_mov_b32 s24, -1
	s_cbranch_scc1 .LBB6_740
; %bb.735:
	s_cmp_gt_i32 s21, 6
	s_cbranch_scc0 .LBB6_737
; %bb.736:
	s_wait_xcnt 0x0
	v_and_b32_e32 v3, 0xff, v2
	s_mov_b32 s24, 0
	s_delay_alu instid0(VALU_DEP_1) | instskip(NEXT) | instid1(VALU_DEP_1)
	v_and_b32_e32 v3, 0xffff, v3
	v_cvt_f64_u32_e32 v[4:5], v3
	global_store_b64 v[0:1], v[4:5], off
.LBB6_737:
	s_and_not1_b32 vcc_lo, exec_lo, s24
	s_cbranch_vccnz .LBB6_739
; %bb.738:
	s_wait_xcnt 0x0
	v_cvt_f32_ubyte0_e32 v3, v2
	global_store_b32 v[0:1], v3, off
.LBB6_739:
	s_mov_b32 s24, 0
.LBB6_740:
	s_delay_alu instid0(SALU_CYCLE_1)
	s_and_not1_b32 vcc_lo, exec_lo, s24
	s_cbranch_vccnz .LBB6_742
; %bb.741:
	s_wait_xcnt 0x0
	v_and_b32_e32 v3, 0xff, v2
	s_delay_alu instid0(VALU_DEP_1)
	v_cvt_f16_u16_e32 v3, v3
	global_store_b16 v[0:1], v3, off
.LBB6_742:
	s_mov_b32 s24, 0
.LBB6_743:
	s_delay_alu instid0(SALU_CYCLE_1)
	s_and_not1_b32 vcc_lo, exec_lo, s24
	s_cbranch_vccnz .LBB6_759
; %bb.744:
	s_cmp_lt_i32 s21, 2
	s_mov_b32 s24, -1
	s_cbranch_scc1 .LBB6_754
; %bb.745:
	s_cmp_lt_i32 s21, 3
	s_cbranch_scc1 .LBB6_751
; %bb.746:
	s_cmp_gt_i32 s21, 3
	s_cbranch_scc0 .LBB6_748
; %bb.747:
	s_wait_xcnt 0x0
	v_and_b32_e32 v4, 0xff, v2
	v_mov_b32_e32 v5, 0
	s_mov_b32 s24, 0
	global_store_b64 v[0:1], v[4:5], off
.LBB6_748:
	s_and_not1_b32 vcc_lo, exec_lo, s24
	s_cbranch_vccnz .LBB6_750
; %bb.749:
	s_wait_xcnt 0x0
	v_and_b32_e32 v3, 0xff, v2
	global_store_b32 v[0:1], v3, off
.LBB6_750:
	s_mov_b32 s24, 0
.LBB6_751:
	s_delay_alu instid0(SALU_CYCLE_1)
	s_and_not1_b32 vcc_lo, exec_lo, s24
	s_cbranch_vccnz .LBB6_753
; %bb.752:
	s_wait_xcnt 0x0
	v_and_b32_e32 v3, 0xff, v2
	global_store_b16 v[0:1], v3, off
.LBB6_753:
	s_mov_b32 s24, 0
.LBB6_754:
	s_delay_alu instid0(SALU_CYCLE_1)
	s_and_not1_b32 vcc_lo, exec_lo, s24
	s_cbranch_vccnz .LBB6_759
; %bb.755:
	s_cmp_gt_i32 s21, 0
	s_mov_b32 s21, -1
	s_cbranch_scc0 .LBB6_757
; %bb.756:
	s_mov_b32 s21, 0
	global_store_b8 v[0:1], v2, off
.LBB6_757:
	s_and_not1_b32 vcc_lo, exec_lo, s21
	s_cbranch_vccnz .LBB6_759
; %bb.758:
	global_store_b8 v[0:1], v2, off
.LBB6_759:
	s_mov_b32 s25, -1
.LBB6_760:
	s_delay_alu instid0(SALU_CYCLE_1)
	s_and_not1_b32 vcc_lo, exec_lo, s25
	s_cbranch_vccnz .LBB6_762
; %bb.761:
	v_add_nc_u32_e32 v14, 0x80, v14
	s_mov_b32 s24, -1
	s_branch .LBB6_764
.LBB6_762:
	s_mov_b32 s24, 0
.LBB6_763:
                                        ; implicit-def: $vgpr14
.LBB6_764:
	s_and_not1_b32 s21, s15, exec_lo
	s_and_b32 s0, s0, exec_lo
	s_and_b32 s22, s22, exec_lo
	s_or_b32 s21, s21, s0
	s_and_not1_b32 s0, s17, exec_lo
	s_and_not1_b32 s25, s18, exec_lo
	s_and_b32 s20, s20, exec_lo
	s_or_b32 s22, s0, s22
	s_or_b32 s20, s25, s20
	s_or_not1_b32 s25, s24, exec_lo
.LBB6_765:
	s_wait_xcnt 0x0
	s_or_b32 exec_lo, exec_lo, s23
	s_mov_b32 s24, 0
	s_mov_b32 s26, 0
	;; [unrolled: 1-line block ×3, first 2 shown]
                                        ; implicit-def: $sgpr0
                                        ; implicit-def: $vgpr2_vgpr3
                                        ; implicit-def: $vgpr0
	s_and_saveexec_b32 s23, s25
	s_cbranch_execz .LBB6_1231
; %bb.766:
	s_mov_b32 s31, -1
	s_mov_b32 s25, s20
	s_mov_b32 s26, s22
	;; [unrolled: 1-line block ×3, first 2 shown]
	s_mov_b32 s24, exec_lo
	v_cmpx_gt_i32_e64 s16, v14
	s_cbranch_execz .LBB6_1151
; %bb.767:
	s_wait_loadcnt 0x0
	v_mul_lo_u32 v0, v14, s9
	s_and_b32 s0, s13, 0xff
	s_delay_alu instid0(SALU_CYCLE_1) | instskip(NEXT) | instid1(VALU_DEP_1)
	s_cmp_lt_i32 s0, 11
	v_ashrrev_i32_e32 v1, 31, v0
	s_delay_alu instid0(VALU_DEP_1)
	v_add_nc_u64_e32 v[2:3], s[6:7], v[0:1]
	s_cbranch_scc1 .LBB6_774
; %bb.768:
	s_and_b32 s26, 0xffff, s0
	s_delay_alu instid0(SALU_CYCLE_1)
	s_cmp_gt_i32 s26, 25
	s_cbranch_scc0 .LBB6_775
; %bb.769:
	s_cmp_gt_i32 s26, 28
	s_cbranch_scc0 .LBB6_776
; %bb.770:
	;; [unrolled: 3-line block ×4, first 2 shown]
	s_cmp_eq_u32 s26, 46
	s_mov_b32 s28, 0
	s_cbranch_scc0 .LBB6_781
; %bb.773:
	global_load_b32 v0, v[2:3], off
	s_mov_b32 s27, -1
	s_mov_b32 s25, 0
	s_wait_loadcnt 0x0
	v_lshlrev_b32_e32 v0, 16, v0
	s_delay_alu instid0(VALU_DEP_1) | instskip(NEXT) | instid1(VALU_DEP_1)
	v_trunc_f32_e32 v0, v0
	v_mul_f32_e64 v1, 0x2f800000, |v0|
	s_delay_alu instid0(VALU_DEP_1) | instskip(NEXT) | instid1(VALU_DEP_1)
	v_floor_f32_e32 v1, v1
	v_fma_f32 v1, 0xcf800000, v1, |v0|
	v_ashrrev_i32_e32 v0, 31, v0
	s_delay_alu instid0(VALU_DEP_2) | instskip(NEXT) | instid1(VALU_DEP_1)
	v_cvt_u32_f32_e32 v1, v1
	v_xor_b32_e32 v1, v1, v0
	s_delay_alu instid0(VALU_DEP_1)
	v_sub_nc_u32_e32 v0, v1, v0
	s_branch .LBB6_783
.LBB6_774:
	s_mov_b32 s26, -1
	s_mov_b32 s27, 0
	s_mov_b32 s25, s20
                                        ; implicit-def: $vgpr0
	s_branch .LBB6_844
.LBB6_775:
	s_mov_b32 s28, -1
	s_mov_b32 s27, 0
	s_mov_b32 s25, s20
                                        ; implicit-def: $vgpr0
	s_branch .LBB6_810
.LBB6_776:
	s_mov_b32 s28, -1
	s_mov_b32 s27, 0
	s_mov_b32 s25, s20
                                        ; implicit-def: $vgpr0
	s_branch .LBB6_793
.LBB6_777:
	s_mov_b32 s28, -1
	s_mov_b32 s27, 0
	s_mov_b32 s25, s20
                                        ; implicit-def: $vgpr0
	s_branch .LBB6_788
.LBB6_778:
	s_mov_b32 s28, -1
	s_mov_b32 s27, 0
	s_mov_b32 s25, s20
	s_branch .LBB6_782
.LBB6_779:
	s_and_not1_saveexec_b32 s27, s27
	s_cbranch_execz .LBB6_673
.LBB6_780:
	v_add_f32_e32 v3, 0x46000000, v4
	s_and_not1_b32 s26, s26, exec_lo
	s_delay_alu instid0(VALU_DEP_1) | instskip(NEXT) | instid1(VALU_DEP_1)
	v_and_b32_e32 v3, 0xff, v3
	v_cmp_ne_u32_e32 vcc_lo, 0, v3
	s_and_b32 s28, vcc_lo, exec_lo
	s_delay_alu instid0(SALU_CYCLE_1)
	s_or_b32 s26, s26, s28
	s_or_b32 exec_lo, exec_lo, s27
	v_mov_b32_e32 v5, 0
	s_and_saveexec_b32 s27, s26
	s_cbranch_execnz .LBB6_674
	s_branch .LBB6_675
.LBB6_781:
	s_mov_b32 s25, -1
	s_mov_b32 s27, 0
.LBB6_782:
                                        ; implicit-def: $vgpr0
.LBB6_783:
	s_and_b32 vcc_lo, exec_lo, s28
	s_cbranch_vccz .LBB6_787
; %bb.784:
	s_cmp_eq_u32 s26, 44
	s_cbranch_scc0 .LBB6_786
; %bb.785:
	global_load_u8 v0, v[2:3], off
	s_mov_b32 s25, 0
	s_mov_b32 s27, -1
	s_wait_loadcnt 0x0
	v_lshlrev_b32_e32 v1, 23, v0
	v_cmp_ne_u32_e32 vcc_lo, 0, v0
	s_delay_alu instid0(VALU_DEP_2) | instskip(NEXT) | instid1(VALU_DEP_1)
	v_trunc_f32_e32 v1, v1
	v_mul_f32_e64 v4, 0x2f800000, |v1|
	s_delay_alu instid0(VALU_DEP_1) | instskip(NEXT) | instid1(VALU_DEP_1)
	v_floor_f32_e32 v4, v4
	v_fma_f32 v4, 0xcf800000, v4, |v1|
	v_ashrrev_i32_e32 v1, 31, v1
	s_delay_alu instid0(VALU_DEP_2) | instskip(NEXT) | instid1(VALU_DEP_1)
	v_cvt_u32_f32_e32 v4, v4
	v_xor_b32_e32 v4, v4, v1
	s_delay_alu instid0(VALU_DEP_1) | instskip(NEXT) | instid1(VALU_DEP_1)
	v_sub_nc_u32_e32 v1, v4, v1
	v_cndmask_b32_e32 v0, 0, v1, vcc_lo
	s_branch .LBB6_787
.LBB6_786:
	s_mov_b32 s25, -1
                                        ; implicit-def: $vgpr0
.LBB6_787:
	s_mov_b32 s28, 0
.LBB6_788:
	s_delay_alu instid0(SALU_CYCLE_1)
	s_and_b32 vcc_lo, exec_lo, s28
	s_cbranch_vccz .LBB6_792
; %bb.789:
	s_cmp_eq_u32 s26, 29
	s_cbranch_scc0 .LBB6_791
; %bb.790:
	global_load_b64 v[0:1], v[2:3], off
	s_mov_b32 s27, -1
	s_mov_b32 s25, 0
	s_branch .LBB6_792
.LBB6_791:
	s_mov_b32 s25, -1
                                        ; implicit-def: $vgpr0
.LBB6_792:
	s_mov_b32 s28, 0
.LBB6_793:
	s_delay_alu instid0(SALU_CYCLE_1)
	s_and_b32 vcc_lo, exec_lo, s28
	s_cbranch_vccz .LBB6_809
; %bb.794:
	s_cmp_lt_i32 s26, 27
	s_cbranch_scc1 .LBB6_797
; %bb.795:
	s_cmp_gt_i32 s26, 27
	s_cbranch_scc0 .LBB6_798
; %bb.796:
	s_wait_loadcnt 0x0
	global_load_b32 v0, v[2:3], off
	s_mov_b32 s27, 0
	s_branch .LBB6_799
.LBB6_797:
	s_mov_b32 s27, -1
                                        ; implicit-def: $vgpr0
	s_branch .LBB6_802
.LBB6_798:
	s_mov_b32 s27, -1
                                        ; implicit-def: $vgpr0
.LBB6_799:
	s_delay_alu instid0(SALU_CYCLE_1)
	s_and_not1_b32 vcc_lo, exec_lo, s27
	s_cbranch_vccnz .LBB6_801
; %bb.800:
	s_wait_loadcnt 0x0
	global_load_u16 v0, v[2:3], off
.LBB6_801:
	s_mov_b32 s27, 0
.LBB6_802:
	s_delay_alu instid0(SALU_CYCLE_1)
	s_and_not1_b32 vcc_lo, exec_lo, s27
	s_cbranch_vccnz .LBB6_808
; %bb.803:
	s_wait_loadcnt 0x0
	global_load_u8 v1, v[2:3], off
	s_mov_b32 s28, 0
	s_mov_b32 s27, exec_lo
	s_wait_loadcnt 0x0
	v_cmpx_lt_i16_e32 0x7f, v1
	s_xor_b32 s27, exec_lo, s27
	s_cbranch_execz .LBB6_820
; %bb.804:
	v_cmp_ne_u16_e32 vcc_lo, 0x80, v1
	s_and_b32 s28, vcc_lo, exec_lo
	s_and_not1_saveexec_b32 s27, s27
	s_cbranch_execnz .LBB6_821
.LBB6_805:
	s_or_b32 exec_lo, exec_lo, s27
	v_mov_b32_e32 v0, 0
	s_and_saveexec_b32 s27, s28
	s_cbranch_execz .LBB6_807
.LBB6_806:
	v_and_b32_e32 v0, 0xffff, v1
	s_delay_alu instid0(VALU_DEP_1) | instskip(SKIP_1) | instid1(VALU_DEP_2)
	v_and_b32_e32 v4, 7, v0
	v_bfe_u32 v7, v0, 3, 4
	v_clz_i32_u32_e32 v5, v4
	s_delay_alu instid0(VALU_DEP_2) | instskip(NEXT) | instid1(VALU_DEP_2)
	v_cmp_eq_u32_e32 vcc_lo, 0, v7
	v_min_u32_e32 v5, 32, v5
	s_delay_alu instid0(VALU_DEP_1) | instskip(NEXT) | instid1(VALU_DEP_1)
	v_subrev_nc_u32_e32 v6, 28, v5
	v_dual_lshlrev_b32 v0, v6, v0 :: v_dual_sub_nc_u32 v5, 29, v5
	s_delay_alu instid0(VALU_DEP_1) | instskip(NEXT) | instid1(VALU_DEP_1)
	v_dual_lshlrev_b32 v1, 24, v1 :: v_dual_bitop2_b32 v0, 7, v0 bitop3:0x40
	v_dual_cndmask_b32 v0, v4, v0 :: v_dual_cndmask_b32 v5, v7, v5
	s_delay_alu instid0(VALU_DEP_2) | instskip(NEXT) | instid1(VALU_DEP_2)
	v_and_b32_e32 v1, 0x80000000, v1
	v_lshlrev_b32_e32 v0, 20, v0
	s_delay_alu instid0(VALU_DEP_3) | instskip(NEXT) | instid1(VALU_DEP_1)
	v_lshl_add_u32 v4, v5, 23, 0x3b800000
	v_or3_b32 v0, v1, v4, v0
	s_delay_alu instid0(VALU_DEP_1) | instskip(NEXT) | instid1(VALU_DEP_1)
	v_trunc_f32_e32 v0, v0
	v_mul_f32_e64 v1, 0x2f800000, |v0|
	s_delay_alu instid0(VALU_DEP_1) | instskip(NEXT) | instid1(VALU_DEP_1)
	v_floor_f32_e32 v1, v1
	v_fma_f32 v1, 0xcf800000, v1, |v0|
	v_ashrrev_i32_e32 v0, 31, v0
	s_delay_alu instid0(VALU_DEP_2) | instskip(NEXT) | instid1(VALU_DEP_1)
	v_cvt_u32_f32_e32 v1, v1
	v_xor_b32_e32 v1, v1, v0
	s_delay_alu instid0(VALU_DEP_1)
	v_sub_nc_u32_e32 v0, v1, v0
.LBB6_807:
	s_or_b32 exec_lo, exec_lo, s27
.LBB6_808:
	s_mov_b32 s27, -1
.LBB6_809:
	s_mov_b32 s28, 0
.LBB6_810:
	s_delay_alu instid0(SALU_CYCLE_1)
	s_and_b32 vcc_lo, exec_lo, s28
	s_cbranch_vccz .LBB6_843
; %bb.811:
	s_cmp_gt_i32 s26, 22
	s_cbranch_scc0 .LBB6_819
; %bb.812:
	s_cmp_lt_i32 s26, 24
	s_cbranch_scc1 .LBB6_822
; %bb.813:
	s_cmp_gt_i32 s26, 24
	s_cbranch_scc0 .LBB6_823
; %bb.814:
	s_wait_loadcnt 0x0
	global_load_u8 v1, v[2:3], off
	s_mov_b32 s28, 0
	s_mov_b32 s27, exec_lo
	s_wait_loadcnt 0x0
	v_cmpx_lt_i16_e32 0x7f, v1
	s_xor_b32 s27, exec_lo, s27
	s_cbranch_execz .LBB6_835
; %bb.815:
	v_cmp_ne_u16_e32 vcc_lo, 0x80, v1
	s_and_b32 s28, vcc_lo, exec_lo
	s_and_not1_saveexec_b32 s27, s27
	s_cbranch_execnz .LBB6_836
.LBB6_816:
	s_or_b32 exec_lo, exec_lo, s27
	v_mov_b32_e32 v0, 0
	s_and_saveexec_b32 s27, s28
	s_cbranch_execz .LBB6_818
.LBB6_817:
	v_and_b32_e32 v0, 0xffff, v1
	s_delay_alu instid0(VALU_DEP_1) | instskip(SKIP_1) | instid1(VALU_DEP_2)
	v_and_b32_e32 v4, 3, v0
	v_bfe_u32 v7, v0, 2, 5
	v_clz_i32_u32_e32 v5, v4
	s_delay_alu instid0(VALU_DEP_2) | instskip(NEXT) | instid1(VALU_DEP_2)
	v_cmp_eq_u32_e32 vcc_lo, 0, v7
	v_min_u32_e32 v5, 32, v5
	s_delay_alu instid0(VALU_DEP_1) | instskip(NEXT) | instid1(VALU_DEP_1)
	v_subrev_nc_u32_e32 v6, 29, v5
	v_dual_lshlrev_b32 v0, v6, v0 :: v_dual_sub_nc_u32 v5, 30, v5
	s_delay_alu instid0(VALU_DEP_1) | instskip(NEXT) | instid1(VALU_DEP_1)
	v_dual_lshlrev_b32 v1, 24, v1 :: v_dual_bitop2_b32 v0, 3, v0 bitop3:0x40
	v_dual_cndmask_b32 v0, v4, v0 :: v_dual_cndmask_b32 v5, v7, v5
	s_delay_alu instid0(VALU_DEP_2) | instskip(NEXT) | instid1(VALU_DEP_2)
	v_and_b32_e32 v1, 0x80000000, v1
	v_lshlrev_b32_e32 v0, 21, v0
	s_delay_alu instid0(VALU_DEP_3) | instskip(NEXT) | instid1(VALU_DEP_1)
	v_lshl_add_u32 v4, v5, 23, 0x37800000
	v_or3_b32 v0, v1, v4, v0
	s_delay_alu instid0(VALU_DEP_1) | instskip(NEXT) | instid1(VALU_DEP_1)
	v_trunc_f32_e32 v0, v0
	v_mul_f32_e64 v1, 0x2f800000, |v0|
	s_delay_alu instid0(VALU_DEP_1) | instskip(NEXT) | instid1(VALU_DEP_1)
	v_floor_f32_e32 v1, v1
	v_fma_f32 v1, 0xcf800000, v1, |v0|
	v_ashrrev_i32_e32 v0, 31, v0
	s_delay_alu instid0(VALU_DEP_2) | instskip(NEXT) | instid1(VALU_DEP_1)
	v_cvt_u32_f32_e32 v1, v1
	v_xor_b32_e32 v1, v1, v0
	s_delay_alu instid0(VALU_DEP_1)
	v_sub_nc_u32_e32 v0, v1, v0
.LBB6_818:
	s_or_b32 exec_lo, exec_lo, s27
	s_mov_b32 s27, 0
	s_branch .LBB6_824
.LBB6_819:
	s_mov_b32 s28, -1
                                        ; implicit-def: $vgpr0
	s_branch .LBB6_830
.LBB6_820:
	s_and_not1_saveexec_b32 s27, s27
	s_cbranch_execz .LBB6_805
.LBB6_821:
	v_cmp_ne_u16_e32 vcc_lo, 0, v1
	s_and_not1_b32 s28, s28, exec_lo
	s_and_b32 s29, vcc_lo, exec_lo
	s_delay_alu instid0(SALU_CYCLE_1)
	s_or_b32 s28, s28, s29
	s_or_b32 exec_lo, exec_lo, s27
	v_mov_b32_e32 v0, 0
	s_and_saveexec_b32 s27, s28
	s_cbranch_execnz .LBB6_806
	s_branch .LBB6_807
.LBB6_822:
	s_mov_b32 s27, -1
                                        ; implicit-def: $vgpr0
	s_branch .LBB6_827
.LBB6_823:
	s_mov_b32 s27, -1
                                        ; implicit-def: $vgpr0
.LBB6_824:
	s_delay_alu instid0(SALU_CYCLE_1)
	s_and_b32 vcc_lo, exec_lo, s27
	s_cbranch_vccz .LBB6_826
; %bb.825:
	s_wait_loadcnt 0x0
	global_load_u8 v0, v[2:3], off
	s_wait_loadcnt 0x0
	v_lshlrev_b32_e32 v0, 24, v0
	s_delay_alu instid0(VALU_DEP_1) | instskip(NEXT) | instid1(VALU_DEP_1)
	v_and_b32_e32 v1, 0x7f000000, v0
	v_clz_i32_u32_e32 v4, v1
	v_cmp_ne_u32_e32 vcc_lo, 0, v1
	v_add_nc_u32_e32 v6, 0x1000000, v1
	s_delay_alu instid0(VALU_DEP_3) | instskip(NEXT) | instid1(VALU_DEP_1)
	v_min_u32_e32 v4, 32, v4
	v_sub_nc_u32_e64 v4, v4, 4 clamp
	s_delay_alu instid0(VALU_DEP_1) | instskip(NEXT) | instid1(VALU_DEP_1)
	v_dual_lshlrev_b32 v5, v4, v1 :: v_dual_lshlrev_b32 v4, 23, v4
	v_lshrrev_b32_e32 v5, 4, v5
	s_delay_alu instid0(VALU_DEP_1) | instskip(NEXT) | instid1(VALU_DEP_1)
	v_dual_sub_nc_u32 v4, v5, v4 :: v_dual_ashrrev_i32 v5, 8, v6
	v_add_nc_u32_e32 v4, 0x3c000000, v4
	s_delay_alu instid0(VALU_DEP_1) | instskip(NEXT) | instid1(VALU_DEP_1)
	v_and_or_b32 v4, 0x7f800000, v5, v4
	v_cndmask_b32_e32 v1, 0, v4, vcc_lo
	s_delay_alu instid0(VALU_DEP_1) | instskip(NEXT) | instid1(VALU_DEP_1)
	v_and_or_b32 v0, 0x80000000, v0, v1
	v_trunc_f32_e32 v0, v0
	s_delay_alu instid0(VALU_DEP_1) | instskip(NEXT) | instid1(VALU_DEP_1)
	v_mul_f32_e64 v1, 0x2f800000, |v0|
	v_floor_f32_e32 v1, v1
	s_delay_alu instid0(VALU_DEP_1) | instskip(SKIP_1) | instid1(VALU_DEP_2)
	v_fma_f32 v1, 0xcf800000, v1, |v0|
	v_ashrrev_i32_e32 v0, 31, v0
	v_cvt_u32_f32_e32 v1, v1
	s_delay_alu instid0(VALU_DEP_1) | instskip(NEXT) | instid1(VALU_DEP_1)
	v_xor_b32_e32 v1, v1, v0
	v_sub_nc_u32_e32 v0, v1, v0
.LBB6_826:
	s_mov_b32 s27, 0
.LBB6_827:
	s_delay_alu instid0(SALU_CYCLE_1)
	s_and_not1_b32 vcc_lo, exec_lo, s27
	s_cbranch_vccnz .LBB6_829
; %bb.828:
	s_wait_loadcnt 0x0
	global_load_u8 v0, v[2:3], off
	s_wait_loadcnt 0x0
	v_lshlrev_b32_e32 v1, 25, v0
	v_lshlrev_b16 v0, 8, v0
	s_delay_alu instid0(VALU_DEP_1) | instskip(SKIP_1) | instid1(VALU_DEP_2)
	v_and_or_b32 v5, 0x7f00, v0, 0.5
	v_bfe_i32 v0, v0, 0, 16
	v_add_f32_e32 v5, -0.5, v5
	v_lshrrev_b32_e32 v4, 4, v1
	v_cmp_gt_u32_e32 vcc_lo, 0x8000000, v1
	s_delay_alu instid0(VALU_DEP_2) | instskip(NEXT) | instid1(VALU_DEP_1)
	v_or_b32_e32 v4, 0x70000000, v4
	v_mul_f32_e32 v4, 0x7800000, v4
	s_delay_alu instid0(VALU_DEP_1) | instskip(NEXT) | instid1(VALU_DEP_1)
	v_cndmask_b32_e32 v1, v4, v5, vcc_lo
	v_and_or_b32 v0, 0x80000000, v0, v1
	s_delay_alu instid0(VALU_DEP_1) | instskip(NEXT) | instid1(VALU_DEP_1)
	v_trunc_f32_e32 v0, v0
	v_mul_f32_e64 v1, 0x2f800000, |v0|
	s_delay_alu instid0(VALU_DEP_1) | instskip(NEXT) | instid1(VALU_DEP_1)
	v_floor_f32_e32 v1, v1
	v_fma_f32 v1, 0xcf800000, v1, |v0|
	v_ashrrev_i32_e32 v0, 31, v0
	s_delay_alu instid0(VALU_DEP_2) | instskip(NEXT) | instid1(VALU_DEP_1)
	v_cvt_u32_f32_e32 v1, v1
	v_xor_b32_e32 v1, v1, v0
	s_delay_alu instid0(VALU_DEP_1)
	v_sub_nc_u32_e32 v0, v1, v0
.LBB6_829:
	s_mov_b32 s28, 0
	s_mov_b32 s27, -1
.LBB6_830:
	s_and_not1_b32 vcc_lo, exec_lo, s28
	s_cbranch_vccnz .LBB6_843
; %bb.831:
	s_cmp_gt_i32 s26, 14
	s_cbranch_scc0 .LBB6_834
; %bb.832:
	s_cmp_eq_u32 s26, 15
	s_cbranch_scc0 .LBB6_837
; %bb.833:
	s_wait_loadcnt 0x0
	global_load_u16 v0, v[2:3], off
	s_mov_b32 s27, -1
	s_mov_b32 s25, 0
	s_wait_loadcnt 0x0
	v_lshlrev_b32_e32 v0, 16, v0
	s_delay_alu instid0(VALU_DEP_1) | instskip(NEXT) | instid1(VALU_DEP_1)
	v_trunc_f32_e32 v0, v0
	v_mul_f32_e64 v1, 0x2f800000, |v0|
	s_delay_alu instid0(VALU_DEP_1) | instskip(NEXT) | instid1(VALU_DEP_1)
	v_floor_f32_e32 v1, v1
	v_fma_f32 v1, 0xcf800000, v1, |v0|
	v_ashrrev_i32_e32 v0, 31, v0
	s_delay_alu instid0(VALU_DEP_2) | instskip(NEXT) | instid1(VALU_DEP_1)
	v_cvt_u32_f32_e32 v1, v1
	v_xor_b32_e32 v1, v1, v0
	s_delay_alu instid0(VALU_DEP_1)
	v_sub_nc_u32_e32 v0, v1, v0
	s_branch .LBB6_838
.LBB6_834:
	s_mov_b32 s28, -1
                                        ; implicit-def: $vgpr0
	s_branch .LBB6_839
.LBB6_835:
	s_and_not1_saveexec_b32 s27, s27
	s_cbranch_execz .LBB6_816
.LBB6_836:
	v_cmp_ne_u16_e32 vcc_lo, 0, v1
	s_and_not1_b32 s28, s28, exec_lo
	s_and_b32 s29, vcc_lo, exec_lo
	s_delay_alu instid0(SALU_CYCLE_1)
	s_or_b32 s28, s28, s29
	s_or_b32 exec_lo, exec_lo, s27
	v_mov_b32_e32 v0, 0
	s_and_saveexec_b32 s27, s28
	s_cbranch_execnz .LBB6_817
	s_branch .LBB6_818
.LBB6_837:
	s_mov_b32 s25, -1
                                        ; implicit-def: $vgpr0
.LBB6_838:
	s_mov_b32 s28, 0
.LBB6_839:
	s_delay_alu instid0(SALU_CYCLE_1)
	s_and_b32 vcc_lo, exec_lo, s28
	s_cbranch_vccz .LBB6_843
; %bb.840:
	s_cmp_eq_u32 s26, 11
	s_cbranch_scc0 .LBB6_842
; %bb.841:
	s_wait_loadcnt 0x0
	global_load_u8 v0, v[2:3], off
	s_mov_b32 s25, 0
	s_mov_b32 s27, -1
	s_wait_loadcnt 0x0
	v_cmp_ne_u16_e32 vcc_lo, 0, v0
	v_cndmask_b32_e64 v0, 0, 1, vcc_lo
	s_branch .LBB6_843
.LBB6_842:
	s_mov_b32 s25, -1
                                        ; implicit-def: $vgpr0
.LBB6_843:
	s_mov_b32 s26, 0
.LBB6_844:
	s_delay_alu instid0(SALU_CYCLE_1)
	s_and_b32 vcc_lo, exec_lo, s26
	s_cbranch_vccz .LBB6_893
; %bb.845:
	s_and_b32 s0, 0xffff, s0
	s_delay_alu instid0(SALU_CYCLE_1)
	s_cmp_lt_i32 s0, 5
	s_cbranch_scc1 .LBB6_850
; %bb.846:
	s_cmp_lt_i32 s0, 8
	s_cbranch_scc1 .LBB6_851
; %bb.847:
	;; [unrolled: 3-line block ×3, first 2 shown]
	s_cmp_gt_i32 s0, 9
	s_cbranch_scc0 .LBB6_853
; %bb.849:
	s_wait_loadcnt 0x0
	global_load_b64 v[0:1], v[2:3], off
	s_mov_b32 s26, 0
	s_wait_loadcnt 0x0
	v_trunc_f64_e32 v[0:1], v[0:1]
	s_delay_alu instid0(VALU_DEP_1) | instskip(NEXT) | instid1(VALU_DEP_1)
	v_ldexp_f64 v[4:5], v[0:1], 0xffffffe0
	v_floor_f64_e32 v[4:5], v[4:5]
	s_delay_alu instid0(VALU_DEP_1) | instskip(NEXT) | instid1(VALU_DEP_1)
	v_fmamk_f64 v[0:1], v[4:5], 0xc1f00000, v[0:1]
	v_cvt_u32_f64_e32 v0, v[0:1]
	s_branch .LBB6_854
.LBB6_850:
	s_mov_b32 s26, -1
                                        ; implicit-def: $vgpr0
	s_branch .LBB6_872
.LBB6_851:
	s_mov_b32 s26, -1
                                        ; implicit-def: $vgpr0
	s_branch .LBB6_860
.LBB6_852:
	s_mov_b32 s26, -1
                                        ; implicit-def: $vgpr0
	s_branch .LBB6_857
.LBB6_853:
	s_mov_b32 s26, -1
                                        ; implicit-def: $vgpr0
.LBB6_854:
	s_delay_alu instid0(SALU_CYCLE_1)
	s_and_not1_b32 vcc_lo, exec_lo, s26
	s_cbranch_vccnz .LBB6_856
; %bb.855:
	s_wait_loadcnt 0x0
	global_load_b32 v0, v[2:3], off
	s_wait_loadcnt 0x0
	v_trunc_f32_e32 v0, v0
	s_delay_alu instid0(VALU_DEP_1) | instskip(NEXT) | instid1(VALU_DEP_1)
	v_mul_f32_e64 v1, 0x2f800000, |v0|
	v_floor_f32_e32 v1, v1
	s_delay_alu instid0(VALU_DEP_1) | instskip(SKIP_1) | instid1(VALU_DEP_2)
	v_fma_f32 v1, 0xcf800000, v1, |v0|
	v_ashrrev_i32_e32 v0, 31, v0
	v_cvt_u32_f32_e32 v1, v1
	s_delay_alu instid0(VALU_DEP_1) | instskip(NEXT) | instid1(VALU_DEP_1)
	v_xor_b32_e32 v1, v1, v0
	v_sub_nc_u32_e32 v0, v1, v0
.LBB6_856:
	s_mov_b32 s26, 0
.LBB6_857:
	s_delay_alu instid0(SALU_CYCLE_1)
	s_and_not1_b32 vcc_lo, exec_lo, s26
	s_cbranch_vccnz .LBB6_859
; %bb.858:
	s_wait_loadcnt 0x0
	global_load_b32 v0, v[2:3], off
	s_wait_loadcnt 0x0
	v_cvt_f32_f16_e32 v0, v0
	s_delay_alu instid0(VALU_DEP_1)
	v_cvt_i32_f32_e32 v0, v0
.LBB6_859:
	s_mov_b32 s26, 0
.LBB6_860:
	s_delay_alu instid0(SALU_CYCLE_1)
	s_and_not1_b32 vcc_lo, exec_lo, s26
	s_cbranch_vccnz .LBB6_871
; %bb.861:
	s_cmp_lt_i32 s0, 6
	s_cbranch_scc1 .LBB6_864
; %bb.862:
	s_cmp_gt_i32 s0, 6
	s_cbranch_scc0 .LBB6_865
; %bb.863:
	s_wait_loadcnt 0x0
	global_load_b64 v[0:1], v[2:3], off
	s_mov_b32 s26, 0
	s_wait_loadcnt 0x0
	v_trunc_f64_e32 v[0:1], v[0:1]
	s_delay_alu instid0(VALU_DEP_1) | instskip(NEXT) | instid1(VALU_DEP_1)
	v_ldexp_f64 v[4:5], v[0:1], 0xffffffe0
	v_floor_f64_e32 v[4:5], v[4:5]
	s_delay_alu instid0(VALU_DEP_1) | instskip(NEXT) | instid1(VALU_DEP_1)
	v_fmamk_f64 v[0:1], v[4:5], 0xc1f00000, v[0:1]
	v_cvt_u32_f64_e32 v0, v[0:1]
	s_branch .LBB6_866
.LBB6_864:
	s_mov_b32 s26, -1
                                        ; implicit-def: $vgpr0
	s_branch .LBB6_869
.LBB6_865:
	s_mov_b32 s26, -1
                                        ; implicit-def: $vgpr0
.LBB6_866:
	s_delay_alu instid0(SALU_CYCLE_1)
	s_and_not1_b32 vcc_lo, exec_lo, s26
	s_cbranch_vccnz .LBB6_868
; %bb.867:
	s_wait_loadcnt 0x0
	global_load_b32 v0, v[2:3], off
	s_wait_loadcnt 0x0
	v_trunc_f32_e32 v0, v0
	s_delay_alu instid0(VALU_DEP_1) | instskip(NEXT) | instid1(VALU_DEP_1)
	v_mul_f32_e64 v1, 0x2f800000, |v0|
	v_floor_f32_e32 v1, v1
	s_delay_alu instid0(VALU_DEP_1) | instskip(SKIP_1) | instid1(VALU_DEP_2)
	v_fma_f32 v1, 0xcf800000, v1, |v0|
	v_ashrrev_i32_e32 v0, 31, v0
	v_cvt_u32_f32_e32 v1, v1
	s_delay_alu instid0(VALU_DEP_1) | instskip(NEXT) | instid1(VALU_DEP_1)
	v_xor_b32_e32 v1, v1, v0
	v_sub_nc_u32_e32 v0, v1, v0
.LBB6_868:
	s_mov_b32 s26, 0
.LBB6_869:
	s_delay_alu instid0(SALU_CYCLE_1)
	s_and_not1_b32 vcc_lo, exec_lo, s26
	s_cbranch_vccnz .LBB6_871
; %bb.870:
	s_wait_loadcnt 0x0
	global_load_u16 v0, v[2:3], off
	s_wait_loadcnt 0x0
	v_cvt_f32_f16_e32 v0, v0
	s_delay_alu instid0(VALU_DEP_1)
	v_cvt_i32_f32_e32 v0, v0
.LBB6_871:
	s_mov_b32 s26, 0
.LBB6_872:
	s_delay_alu instid0(SALU_CYCLE_1)
	s_and_not1_b32 vcc_lo, exec_lo, s26
	s_cbranch_vccnz .LBB6_892
; %bb.873:
	s_cmp_lt_i32 s0, 2
	s_cbranch_scc1 .LBB6_877
; %bb.874:
	s_cmp_lt_i32 s0, 3
	s_cbranch_scc1 .LBB6_878
; %bb.875:
	s_cmp_gt_i32 s0, 3
	s_cbranch_scc0 .LBB6_879
; %bb.876:
	s_wait_loadcnt 0x0
	global_load_b64 v[0:1], v[2:3], off
	s_mov_b32 s26, 0
	s_branch .LBB6_880
.LBB6_877:
	s_mov_b32 s26, -1
                                        ; implicit-def: $vgpr0
	s_branch .LBB6_886
.LBB6_878:
	s_mov_b32 s26, -1
                                        ; implicit-def: $vgpr0
	s_branch .LBB6_883
.LBB6_879:
	s_mov_b32 s26, -1
                                        ; implicit-def: $vgpr0
.LBB6_880:
	s_delay_alu instid0(SALU_CYCLE_1)
	s_and_not1_b32 vcc_lo, exec_lo, s26
	s_cbranch_vccnz .LBB6_882
; %bb.881:
	s_wait_loadcnt 0x0
	global_load_b32 v0, v[2:3], off
.LBB6_882:
	s_mov_b32 s26, 0
.LBB6_883:
	s_delay_alu instid0(SALU_CYCLE_1)
	s_and_not1_b32 vcc_lo, exec_lo, s26
	s_cbranch_vccnz .LBB6_885
; %bb.884:
	s_wait_loadcnt 0x0
	global_load_u16 v0, v[2:3], off
.LBB6_885:
	s_mov_b32 s26, 0
.LBB6_886:
	s_delay_alu instid0(SALU_CYCLE_1)
	s_and_not1_b32 vcc_lo, exec_lo, s26
	s_cbranch_vccnz .LBB6_892
; %bb.887:
	s_cmp_gt_i32 s0, 0
	s_mov_b32 s0, 0
	s_cbranch_scc0 .LBB6_889
; %bb.888:
	s_wait_loadcnt 0x0
	global_load_u8 v0, v[2:3], off
	s_branch .LBB6_890
.LBB6_889:
	s_mov_b32 s0, -1
                                        ; implicit-def: $vgpr0
.LBB6_890:
	s_delay_alu instid0(SALU_CYCLE_1)
	s_and_not1_b32 vcc_lo, exec_lo, s0
	s_cbranch_vccnz .LBB6_892
; %bb.891:
	s_wait_loadcnt 0x0
	global_load_u8 v0, v[2:3], off
.LBB6_892:
	s_mov_b32 s27, -1
.LBB6_893:
	s_delay_alu instid0(SALU_CYCLE_1)
	s_and_not1_b32 vcc_lo, exec_lo, s27
	s_cbranch_vccnz .LBB6_901
; %bb.894:
	s_wait_xcnt 0x0
	v_mul_lo_u32 v2, v14, s10
	s_and_b32 s0, s1, 0xff
	s_delay_alu instid0(SALU_CYCLE_1) | instskip(NEXT) | instid1(VALU_DEP_1)
	s_cmp_lt_i32 s0, 11
	v_ashrrev_i32_e32 v3, 31, v2
	s_delay_alu instid0(VALU_DEP_1)
	v_add_nc_u64_e32 v[4:5], s[2:3], v[2:3]
	s_cbranch_scc1 .LBB6_902
; %bb.895:
	s_and_b32 s27, 0xffff, s0
	s_delay_alu instid0(SALU_CYCLE_1)
	s_cmp_gt_i32 s27, 25
	s_cbranch_scc0 .LBB6_903
; %bb.896:
	s_cmp_gt_i32 s27, 28
	s_cbranch_scc0 .LBB6_904
; %bb.897:
	;; [unrolled: 3-line block ×4, first 2 shown]
	s_cmp_eq_u32 s27, 46
	s_mov_b32 s29, 0
	s_cbranch_scc0 .LBB6_909
; %bb.900:
	s_wait_loadcnt 0x0
	global_load_b32 v1, v[4:5], off
	s_mov_b32 s28, -1
	s_mov_b32 s26, 0
	s_wait_loadcnt 0x0
	v_lshlrev_b32_e32 v1, 16, v1
	s_delay_alu instid0(VALU_DEP_1) | instskip(NEXT) | instid1(VALU_DEP_1)
	v_trunc_f32_e32 v1, v1
	v_mul_f32_e64 v2, 0x2f800000, |v1|
	s_delay_alu instid0(VALU_DEP_1) | instskip(NEXT) | instid1(VALU_DEP_1)
	v_floor_f32_e32 v2, v2
	v_fma_f32 v2, 0xcf800000, v2, |v1|
	v_ashrrev_i32_e32 v1, 31, v1
	s_delay_alu instid0(VALU_DEP_2) | instskip(NEXT) | instid1(VALU_DEP_1)
	v_cvt_u32_f32_e32 v2, v2
	v_xor_b32_e32 v2, v2, v1
	s_delay_alu instid0(VALU_DEP_1)
	v_sub_nc_u32_e32 v2, v2, v1
	s_branch .LBB6_911
.LBB6_901:
	s_mov_b32 s28, 0
	s_mov_b32 s0, s21
	;; [unrolled: 1-line block ×3, first 2 shown]
	s_branch .LBB6_1149
.LBB6_902:
	s_mov_b32 s27, -1
	s_mov_b32 s28, 0
	s_mov_b32 s26, s22
                                        ; implicit-def: $vgpr2
	s_branch .LBB6_972
.LBB6_903:
	s_mov_b32 s29, -1
	s_mov_b32 s28, 0
	s_mov_b32 s26, s22
                                        ; implicit-def: $vgpr2
	s_branch .LBB6_938
.LBB6_904:
	s_mov_b32 s29, -1
	s_mov_b32 s28, 0
	s_mov_b32 s26, s22
                                        ; implicit-def: $vgpr2
	s_branch .LBB6_921
.LBB6_905:
	s_mov_b32 s29, -1
	s_mov_b32 s28, 0
	s_mov_b32 s26, s22
                                        ; implicit-def: $vgpr2
	s_branch .LBB6_916
.LBB6_906:
	s_mov_b32 s29, -1
	s_mov_b32 s28, 0
	s_mov_b32 s26, s22
	s_branch .LBB6_910
.LBB6_907:
	s_and_not1_saveexec_b32 s27, s27
	s_cbranch_execz .LBB6_686
.LBB6_908:
	v_add_f32_e32 v3, 0x42800000, v4
	s_and_not1_b32 s26, s26, exec_lo
	s_delay_alu instid0(VALU_DEP_1) | instskip(NEXT) | instid1(VALU_DEP_1)
	v_and_b32_e32 v3, 0xff, v3
	v_cmp_ne_u32_e32 vcc_lo, 0, v3
	s_and_b32 s28, vcc_lo, exec_lo
	s_delay_alu instid0(SALU_CYCLE_1)
	s_or_b32 s26, s26, s28
	s_or_b32 exec_lo, exec_lo, s27
	v_mov_b32_e32 v5, 0
	s_and_saveexec_b32 s27, s26
	s_cbranch_execnz .LBB6_687
	s_branch .LBB6_688
.LBB6_909:
	s_mov_b32 s26, -1
	s_mov_b32 s28, 0
.LBB6_910:
                                        ; implicit-def: $vgpr2
.LBB6_911:
	s_and_b32 vcc_lo, exec_lo, s29
	s_cbranch_vccz .LBB6_915
; %bb.912:
	s_cmp_eq_u32 s27, 44
	s_cbranch_scc0 .LBB6_914
; %bb.913:
	s_wait_loadcnt 0x0
	global_load_u8 v1, v[4:5], off
	s_mov_b32 s26, 0
	s_mov_b32 s28, -1
	s_wait_loadcnt 0x0
	v_lshlrev_b32_e32 v2, 23, v1
	v_cmp_ne_u32_e32 vcc_lo, 0, v1
	s_delay_alu instid0(VALU_DEP_2) | instskip(NEXT) | instid1(VALU_DEP_1)
	v_trunc_f32_e32 v2, v2
	v_mul_f32_e64 v3, 0x2f800000, |v2|
	s_delay_alu instid0(VALU_DEP_1) | instskip(NEXT) | instid1(VALU_DEP_1)
	v_floor_f32_e32 v3, v3
	v_fma_f32 v3, 0xcf800000, v3, |v2|
	v_ashrrev_i32_e32 v2, 31, v2
	s_delay_alu instid0(VALU_DEP_2) | instskip(NEXT) | instid1(VALU_DEP_1)
	v_cvt_u32_f32_e32 v3, v3
	v_xor_b32_e32 v3, v3, v2
	s_delay_alu instid0(VALU_DEP_1) | instskip(NEXT) | instid1(VALU_DEP_1)
	v_sub_nc_u32_e32 v2, v3, v2
	v_cndmask_b32_e32 v2, 0, v2, vcc_lo
	s_branch .LBB6_915
.LBB6_914:
	s_mov_b32 s26, -1
                                        ; implicit-def: $vgpr2
.LBB6_915:
	s_mov_b32 s29, 0
.LBB6_916:
	s_delay_alu instid0(SALU_CYCLE_1)
	s_and_b32 vcc_lo, exec_lo, s29
	s_cbranch_vccz .LBB6_920
; %bb.917:
	s_cmp_eq_u32 s27, 29
	s_cbranch_scc0 .LBB6_919
; %bb.918:
	global_load_b64 v[2:3], v[4:5], off
	s_mov_b32 s28, -1
	s_mov_b32 s26, 0
	s_branch .LBB6_920
.LBB6_919:
	s_mov_b32 s26, -1
                                        ; implicit-def: $vgpr2
.LBB6_920:
	s_mov_b32 s29, 0
.LBB6_921:
	s_delay_alu instid0(SALU_CYCLE_1)
	s_and_b32 vcc_lo, exec_lo, s29
	s_cbranch_vccz .LBB6_937
; %bb.922:
	s_cmp_lt_i32 s27, 27
	s_cbranch_scc1 .LBB6_925
; %bb.923:
	s_cmp_gt_i32 s27, 27
	s_cbranch_scc0 .LBB6_926
; %bb.924:
	s_wait_loadcnt 0x0
	global_load_b32 v2, v[4:5], off
	s_mov_b32 s28, 0
	s_branch .LBB6_927
.LBB6_925:
	s_mov_b32 s28, -1
                                        ; implicit-def: $vgpr2
	s_branch .LBB6_930
.LBB6_926:
	s_mov_b32 s28, -1
                                        ; implicit-def: $vgpr2
.LBB6_927:
	s_delay_alu instid0(SALU_CYCLE_1)
	s_and_not1_b32 vcc_lo, exec_lo, s28
	s_cbranch_vccnz .LBB6_929
; %bb.928:
	s_wait_loadcnt 0x0
	global_load_u16 v2, v[4:5], off
.LBB6_929:
	s_mov_b32 s28, 0
.LBB6_930:
	s_delay_alu instid0(SALU_CYCLE_1)
	s_and_not1_b32 vcc_lo, exec_lo, s28
	s_cbranch_vccnz .LBB6_936
; %bb.931:
	s_wait_loadcnt 0x0
	global_load_u8 v1, v[4:5], off
	s_mov_b32 s29, 0
	s_mov_b32 s28, exec_lo
	s_wait_loadcnt 0x0
	v_cmpx_lt_i16_e32 0x7f, v1
	s_xor_b32 s28, exec_lo, s28
	s_cbranch_execz .LBB6_948
; %bb.932:
	v_cmp_ne_u16_e32 vcc_lo, 0x80, v1
	s_and_b32 s29, vcc_lo, exec_lo
	s_and_not1_saveexec_b32 s28, s28
	s_cbranch_execnz .LBB6_949
.LBB6_933:
	s_or_b32 exec_lo, exec_lo, s28
	v_mov_b32_e32 v2, 0
	s_and_saveexec_b32 s28, s29
	s_cbranch_execz .LBB6_935
.LBB6_934:
	v_and_b32_e32 v2, 0xffff, v1
	s_delay_alu instid0(VALU_DEP_1) | instskip(SKIP_1) | instid1(VALU_DEP_2)
	v_dual_lshlrev_b32 v1, 24, v1 :: v_dual_bitop2_b32 v3, 7, v2 bitop3:0x40
	v_bfe_u32 v8, v2, 3, 4
	v_and_b32_e32 v1, 0x80000000, v1
	s_delay_alu instid0(VALU_DEP_3) | instskip(NEXT) | instid1(VALU_DEP_3)
	v_clz_i32_u32_e32 v6, v3
	v_cmp_eq_u32_e32 vcc_lo, 0, v8
	s_delay_alu instid0(VALU_DEP_2) | instskip(NEXT) | instid1(VALU_DEP_1)
	v_min_u32_e32 v6, 32, v6
	v_subrev_nc_u32_e32 v7, 28, v6
	v_sub_nc_u32_e32 v6, 29, v6
	s_delay_alu instid0(VALU_DEP_2) | instskip(NEXT) | instid1(VALU_DEP_2)
	v_lshlrev_b32_e32 v2, v7, v2
	v_cndmask_b32_e32 v6, v8, v6, vcc_lo
	s_delay_alu instid0(VALU_DEP_2) | instskip(NEXT) | instid1(VALU_DEP_1)
	v_and_b32_e32 v2, 7, v2
	v_cndmask_b32_e32 v2, v3, v2, vcc_lo
	s_delay_alu instid0(VALU_DEP_3) | instskip(NEXT) | instid1(VALU_DEP_2)
	v_lshl_add_u32 v3, v6, 23, 0x3b800000
	v_lshlrev_b32_e32 v2, 20, v2
	s_delay_alu instid0(VALU_DEP_1) | instskip(NEXT) | instid1(VALU_DEP_1)
	v_or3_b32 v1, v1, v3, v2
	v_trunc_f32_e32 v1, v1
	s_delay_alu instid0(VALU_DEP_1) | instskip(NEXT) | instid1(VALU_DEP_1)
	v_mul_f32_e64 v2, 0x2f800000, |v1|
	v_floor_f32_e32 v2, v2
	s_delay_alu instid0(VALU_DEP_1) | instskip(SKIP_1) | instid1(VALU_DEP_2)
	v_fma_f32 v2, 0xcf800000, v2, |v1|
	v_ashrrev_i32_e32 v1, 31, v1
	v_cvt_u32_f32_e32 v2, v2
	s_delay_alu instid0(VALU_DEP_1) | instskip(NEXT) | instid1(VALU_DEP_1)
	v_xor_b32_e32 v2, v2, v1
	v_sub_nc_u32_e32 v2, v2, v1
.LBB6_935:
	s_or_b32 exec_lo, exec_lo, s28
.LBB6_936:
	s_mov_b32 s28, -1
.LBB6_937:
	s_mov_b32 s29, 0
.LBB6_938:
	s_delay_alu instid0(SALU_CYCLE_1)
	s_and_b32 vcc_lo, exec_lo, s29
	s_cbranch_vccz .LBB6_971
; %bb.939:
	s_cmp_gt_i32 s27, 22
	s_cbranch_scc0 .LBB6_947
; %bb.940:
	s_cmp_lt_i32 s27, 24
	s_cbranch_scc1 .LBB6_950
; %bb.941:
	s_cmp_gt_i32 s27, 24
	s_cbranch_scc0 .LBB6_951
; %bb.942:
	s_wait_loadcnt 0x0
	global_load_u8 v1, v[4:5], off
	s_mov_b32 s29, 0
	s_mov_b32 s28, exec_lo
	s_wait_loadcnt 0x0
	v_cmpx_lt_i16_e32 0x7f, v1
	s_xor_b32 s28, exec_lo, s28
	s_cbranch_execz .LBB6_963
; %bb.943:
	v_cmp_ne_u16_e32 vcc_lo, 0x80, v1
	s_and_b32 s29, vcc_lo, exec_lo
	s_and_not1_saveexec_b32 s28, s28
	s_cbranch_execnz .LBB6_964
.LBB6_944:
	s_or_b32 exec_lo, exec_lo, s28
	v_mov_b32_e32 v2, 0
	s_and_saveexec_b32 s28, s29
	s_cbranch_execz .LBB6_946
.LBB6_945:
	v_and_b32_e32 v2, 0xffff, v1
	s_delay_alu instid0(VALU_DEP_1) | instskip(SKIP_1) | instid1(VALU_DEP_2)
	v_dual_lshlrev_b32 v1, 24, v1 :: v_dual_bitop2_b32 v3, 3, v2 bitop3:0x40
	v_bfe_u32 v8, v2, 2, 5
	v_and_b32_e32 v1, 0x80000000, v1
	s_delay_alu instid0(VALU_DEP_3) | instskip(NEXT) | instid1(VALU_DEP_3)
	v_clz_i32_u32_e32 v6, v3
	v_cmp_eq_u32_e32 vcc_lo, 0, v8
	s_delay_alu instid0(VALU_DEP_2) | instskip(NEXT) | instid1(VALU_DEP_1)
	v_min_u32_e32 v6, 32, v6
	v_subrev_nc_u32_e32 v7, 29, v6
	v_sub_nc_u32_e32 v6, 30, v6
	s_delay_alu instid0(VALU_DEP_2) | instskip(NEXT) | instid1(VALU_DEP_2)
	v_lshlrev_b32_e32 v2, v7, v2
	v_cndmask_b32_e32 v6, v8, v6, vcc_lo
	s_delay_alu instid0(VALU_DEP_2) | instskip(NEXT) | instid1(VALU_DEP_1)
	v_and_b32_e32 v2, 3, v2
	v_cndmask_b32_e32 v2, v3, v2, vcc_lo
	s_delay_alu instid0(VALU_DEP_3) | instskip(NEXT) | instid1(VALU_DEP_2)
	v_lshl_add_u32 v3, v6, 23, 0x37800000
	v_lshlrev_b32_e32 v2, 21, v2
	s_delay_alu instid0(VALU_DEP_1) | instskip(NEXT) | instid1(VALU_DEP_1)
	v_or3_b32 v1, v1, v3, v2
	v_trunc_f32_e32 v1, v1
	s_delay_alu instid0(VALU_DEP_1) | instskip(NEXT) | instid1(VALU_DEP_1)
	v_mul_f32_e64 v2, 0x2f800000, |v1|
	v_floor_f32_e32 v2, v2
	s_delay_alu instid0(VALU_DEP_1) | instskip(SKIP_1) | instid1(VALU_DEP_2)
	v_fma_f32 v2, 0xcf800000, v2, |v1|
	v_ashrrev_i32_e32 v1, 31, v1
	v_cvt_u32_f32_e32 v2, v2
	s_delay_alu instid0(VALU_DEP_1) | instskip(NEXT) | instid1(VALU_DEP_1)
	v_xor_b32_e32 v2, v2, v1
	v_sub_nc_u32_e32 v2, v2, v1
.LBB6_946:
	s_or_b32 exec_lo, exec_lo, s28
	s_mov_b32 s28, 0
	s_branch .LBB6_952
.LBB6_947:
	s_mov_b32 s29, -1
                                        ; implicit-def: $vgpr2
	s_branch .LBB6_958
.LBB6_948:
	s_and_not1_saveexec_b32 s28, s28
	s_cbranch_execz .LBB6_933
.LBB6_949:
	v_cmp_ne_u16_e32 vcc_lo, 0, v1
	s_and_not1_b32 s29, s29, exec_lo
	s_and_b32 s30, vcc_lo, exec_lo
	s_delay_alu instid0(SALU_CYCLE_1)
	s_or_b32 s29, s29, s30
	s_or_b32 exec_lo, exec_lo, s28
	v_mov_b32_e32 v2, 0
	s_and_saveexec_b32 s28, s29
	s_cbranch_execnz .LBB6_934
	s_branch .LBB6_935
.LBB6_950:
	s_mov_b32 s28, -1
                                        ; implicit-def: $vgpr2
	s_branch .LBB6_955
.LBB6_951:
	s_mov_b32 s28, -1
                                        ; implicit-def: $vgpr2
.LBB6_952:
	s_delay_alu instid0(SALU_CYCLE_1)
	s_and_b32 vcc_lo, exec_lo, s28
	s_cbranch_vccz .LBB6_954
; %bb.953:
	s_wait_loadcnt 0x0
	global_load_u8 v1, v[4:5], off
	s_wait_loadcnt 0x0
	v_lshlrev_b32_e32 v1, 24, v1
	s_delay_alu instid0(VALU_DEP_1) | instskip(NEXT) | instid1(VALU_DEP_1)
	v_and_b32_e32 v2, 0x7f000000, v1
	v_clz_i32_u32_e32 v3, v2
	v_cmp_ne_u32_e32 vcc_lo, 0, v2
	v_add_nc_u32_e32 v7, 0x1000000, v2
	s_delay_alu instid0(VALU_DEP_3) | instskip(NEXT) | instid1(VALU_DEP_1)
	v_min_u32_e32 v3, 32, v3
	v_sub_nc_u32_e64 v3, v3, 4 clamp
	s_delay_alu instid0(VALU_DEP_1) | instskip(NEXT) | instid1(VALU_DEP_1)
	v_dual_lshlrev_b32 v6, v3, v2 :: v_dual_lshlrev_b32 v3, 23, v3
	v_lshrrev_b32_e32 v6, 4, v6
	s_delay_alu instid0(VALU_DEP_1) | instskip(SKIP_1) | instid1(VALU_DEP_2)
	v_sub_nc_u32_e32 v3, v6, v3
	v_ashrrev_i32_e32 v6, 8, v7
	v_add_nc_u32_e32 v3, 0x3c000000, v3
	s_delay_alu instid0(VALU_DEP_1) | instskip(NEXT) | instid1(VALU_DEP_1)
	v_and_or_b32 v3, 0x7f800000, v6, v3
	v_cndmask_b32_e32 v2, 0, v3, vcc_lo
	s_delay_alu instid0(VALU_DEP_1) | instskip(NEXT) | instid1(VALU_DEP_1)
	v_and_or_b32 v1, 0x80000000, v1, v2
	v_trunc_f32_e32 v1, v1
	s_delay_alu instid0(VALU_DEP_1) | instskip(NEXT) | instid1(VALU_DEP_1)
	v_mul_f32_e64 v2, 0x2f800000, |v1|
	v_floor_f32_e32 v2, v2
	s_delay_alu instid0(VALU_DEP_1) | instskip(SKIP_1) | instid1(VALU_DEP_2)
	v_fma_f32 v2, 0xcf800000, v2, |v1|
	v_ashrrev_i32_e32 v1, 31, v1
	v_cvt_u32_f32_e32 v2, v2
	s_delay_alu instid0(VALU_DEP_1) | instskip(NEXT) | instid1(VALU_DEP_1)
	v_xor_b32_e32 v2, v2, v1
	v_sub_nc_u32_e32 v2, v2, v1
.LBB6_954:
	s_mov_b32 s28, 0
.LBB6_955:
	s_delay_alu instid0(SALU_CYCLE_1)
	s_and_not1_b32 vcc_lo, exec_lo, s28
	s_cbranch_vccnz .LBB6_957
; %bb.956:
	s_wait_loadcnt 0x0
	global_load_u8 v1, v[4:5], off
	s_wait_loadcnt 0x0
	v_lshlrev_b32_e32 v2, 25, v1
	v_lshlrev_b16 v1, 8, v1
	s_delay_alu instid0(VALU_DEP_1) | instskip(SKIP_1) | instid1(VALU_DEP_2)
	v_and_or_b32 v6, 0x7f00, v1, 0.5
	v_bfe_i32 v1, v1, 0, 16
	v_add_f32_e32 v6, -0.5, v6
	v_lshrrev_b32_e32 v3, 4, v2
	v_cmp_gt_u32_e32 vcc_lo, 0x8000000, v2
	s_delay_alu instid0(VALU_DEP_2) | instskip(NEXT) | instid1(VALU_DEP_1)
	v_or_b32_e32 v3, 0x70000000, v3
	v_mul_f32_e32 v3, 0x7800000, v3
	s_delay_alu instid0(VALU_DEP_1) | instskip(NEXT) | instid1(VALU_DEP_1)
	v_cndmask_b32_e32 v2, v3, v6, vcc_lo
	v_and_or_b32 v1, 0x80000000, v1, v2
	s_delay_alu instid0(VALU_DEP_1) | instskip(NEXT) | instid1(VALU_DEP_1)
	v_trunc_f32_e32 v1, v1
	v_mul_f32_e64 v2, 0x2f800000, |v1|
	s_delay_alu instid0(VALU_DEP_1) | instskip(NEXT) | instid1(VALU_DEP_1)
	v_floor_f32_e32 v2, v2
	v_fma_f32 v2, 0xcf800000, v2, |v1|
	v_ashrrev_i32_e32 v1, 31, v1
	s_delay_alu instid0(VALU_DEP_2) | instskip(NEXT) | instid1(VALU_DEP_1)
	v_cvt_u32_f32_e32 v2, v2
	v_xor_b32_e32 v2, v2, v1
	s_delay_alu instid0(VALU_DEP_1)
	v_sub_nc_u32_e32 v2, v2, v1
.LBB6_957:
	s_mov_b32 s29, 0
	s_mov_b32 s28, -1
.LBB6_958:
	s_and_not1_b32 vcc_lo, exec_lo, s29
	s_cbranch_vccnz .LBB6_971
; %bb.959:
	s_cmp_gt_i32 s27, 14
	s_cbranch_scc0 .LBB6_962
; %bb.960:
	s_cmp_eq_u32 s27, 15
	s_cbranch_scc0 .LBB6_965
; %bb.961:
	s_wait_loadcnt 0x0
	global_load_u16 v1, v[4:5], off
	s_mov_b32 s28, -1
	s_mov_b32 s26, 0
	s_wait_loadcnt 0x0
	v_lshlrev_b32_e32 v1, 16, v1
	s_delay_alu instid0(VALU_DEP_1) | instskip(NEXT) | instid1(VALU_DEP_1)
	v_trunc_f32_e32 v1, v1
	v_mul_f32_e64 v2, 0x2f800000, |v1|
	s_delay_alu instid0(VALU_DEP_1) | instskip(NEXT) | instid1(VALU_DEP_1)
	v_floor_f32_e32 v2, v2
	v_fma_f32 v2, 0xcf800000, v2, |v1|
	v_ashrrev_i32_e32 v1, 31, v1
	s_delay_alu instid0(VALU_DEP_2) | instskip(NEXT) | instid1(VALU_DEP_1)
	v_cvt_u32_f32_e32 v2, v2
	v_xor_b32_e32 v2, v2, v1
	s_delay_alu instid0(VALU_DEP_1)
	v_sub_nc_u32_e32 v2, v2, v1
	s_branch .LBB6_966
.LBB6_962:
	s_mov_b32 s29, -1
                                        ; implicit-def: $vgpr2
	s_branch .LBB6_967
.LBB6_963:
	s_and_not1_saveexec_b32 s28, s28
	s_cbranch_execz .LBB6_944
.LBB6_964:
	v_cmp_ne_u16_e32 vcc_lo, 0, v1
	s_and_not1_b32 s29, s29, exec_lo
	s_and_b32 s30, vcc_lo, exec_lo
	s_delay_alu instid0(SALU_CYCLE_1)
	s_or_b32 s29, s29, s30
	s_or_b32 exec_lo, exec_lo, s28
	v_mov_b32_e32 v2, 0
	s_and_saveexec_b32 s28, s29
	s_cbranch_execnz .LBB6_945
	s_branch .LBB6_946
.LBB6_965:
	s_mov_b32 s26, -1
                                        ; implicit-def: $vgpr2
.LBB6_966:
	s_mov_b32 s29, 0
.LBB6_967:
	s_delay_alu instid0(SALU_CYCLE_1)
	s_and_b32 vcc_lo, exec_lo, s29
	s_cbranch_vccz .LBB6_971
; %bb.968:
	s_cmp_eq_u32 s27, 11
	s_cbranch_scc0 .LBB6_970
; %bb.969:
	s_wait_loadcnt 0x0
	global_load_u8 v1, v[4:5], off
	s_mov_b32 s26, 0
	s_mov_b32 s28, -1
	s_wait_loadcnt 0x0
	v_cmp_ne_u16_e32 vcc_lo, 0, v1
	v_cndmask_b32_e64 v2, 0, 1, vcc_lo
	s_branch .LBB6_971
.LBB6_970:
	s_mov_b32 s26, -1
                                        ; implicit-def: $vgpr2
.LBB6_971:
	s_mov_b32 s27, 0
.LBB6_972:
	s_delay_alu instid0(SALU_CYCLE_1)
	s_and_b32 vcc_lo, exec_lo, s27
	s_cbranch_vccz .LBB6_1021
; %bb.973:
	s_and_b32 s0, 0xffff, s0
	s_delay_alu instid0(SALU_CYCLE_1)
	s_cmp_lt_i32 s0, 5
	s_cbranch_scc1 .LBB6_978
; %bb.974:
	s_cmp_lt_i32 s0, 8
	s_cbranch_scc1 .LBB6_979
; %bb.975:
	;; [unrolled: 3-line block ×3, first 2 shown]
	s_cmp_gt_i32 s0, 9
	s_cbranch_scc0 .LBB6_981
; %bb.977:
	s_wait_loadcnt 0x0
	global_load_b64 v[2:3], v[4:5], off
	s_mov_b32 s27, 0
	s_wait_loadcnt 0x0
	v_trunc_f64_e32 v[2:3], v[2:3]
	s_delay_alu instid0(VALU_DEP_1) | instskip(NEXT) | instid1(VALU_DEP_1)
	v_ldexp_f64 v[6:7], v[2:3], 0xffffffe0
	v_floor_f64_e32 v[6:7], v[6:7]
	s_delay_alu instid0(VALU_DEP_1) | instskip(NEXT) | instid1(VALU_DEP_1)
	v_fmamk_f64 v[2:3], v[6:7], 0xc1f00000, v[2:3]
	v_cvt_u32_f64_e32 v2, v[2:3]
	s_branch .LBB6_982
.LBB6_978:
	s_mov_b32 s27, -1
                                        ; implicit-def: $vgpr2
	s_branch .LBB6_1000
.LBB6_979:
	s_mov_b32 s27, -1
                                        ; implicit-def: $vgpr2
	s_branch .LBB6_988
.LBB6_980:
	s_mov_b32 s27, -1
                                        ; implicit-def: $vgpr2
	s_branch .LBB6_985
.LBB6_981:
	s_mov_b32 s27, -1
                                        ; implicit-def: $vgpr2
.LBB6_982:
	s_delay_alu instid0(SALU_CYCLE_1)
	s_and_not1_b32 vcc_lo, exec_lo, s27
	s_cbranch_vccnz .LBB6_984
; %bb.983:
	s_wait_loadcnt 0x0
	global_load_b32 v1, v[4:5], off
	s_wait_loadcnt 0x0
	v_trunc_f32_e32 v1, v1
	s_delay_alu instid0(VALU_DEP_1) | instskip(NEXT) | instid1(VALU_DEP_1)
	v_mul_f32_e64 v2, 0x2f800000, |v1|
	v_floor_f32_e32 v2, v2
	s_delay_alu instid0(VALU_DEP_1) | instskip(SKIP_1) | instid1(VALU_DEP_2)
	v_fma_f32 v2, 0xcf800000, v2, |v1|
	v_ashrrev_i32_e32 v1, 31, v1
	v_cvt_u32_f32_e32 v2, v2
	s_delay_alu instid0(VALU_DEP_1) | instskip(NEXT) | instid1(VALU_DEP_1)
	v_xor_b32_e32 v2, v2, v1
	v_sub_nc_u32_e32 v2, v2, v1
.LBB6_984:
	s_mov_b32 s27, 0
.LBB6_985:
	s_delay_alu instid0(SALU_CYCLE_1)
	s_and_not1_b32 vcc_lo, exec_lo, s27
	s_cbranch_vccnz .LBB6_987
; %bb.986:
	s_wait_loadcnt 0x0
	global_load_b32 v1, v[4:5], off
	s_wait_loadcnt 0x0
	v_cvt_f32_f16_e32 v1, v1
	s_delay_alu instid0(VALU_DEP_1)
	v_cvt_i32_f32_e32 v2, v1
.LBB6_987:
	s_mov_b32 s27, 0
.LBB6_988:
	s_delay_alu instid0(SALU_CYCLE_1)
	s_and_not1_b32 vcc_lo, exec_lo, s27
	s_cbranch_vccnz .LBB6_999
; %bb.989:
	s_cmp_lt_i32 s0, 6
	s_cbranch_scc1 .LBB6_992
; %bb.990:
	s_cmp_gt_i32 s0, 6
	s_cbranch_scc0 .LBB6_993
; %bb.991:
	s_wait_loadcnt 0x0
	global_load_b64 v[2:3], v[4:5], off
	s_mov_b32 s27, 0
	s_wait_loadcnt 0x0
	v_trunc_f64_e32 v[2:3], v[2:3]
	s_delay_alu instid0(VALU_DEP_1) | instskip(NEXT) | instid1(VALU_DEP_1)
	v_ldexp_f64 v[6:7], v[2:3], 0xffffffe0
	v_floor_f64_e32 v[6:7], v[6:7]
	s_delay_alu instid0(VALU_DEP_1) | instskip(NEXT) | instid1(VALU_DEP_1)
	v_fmamk_f64 v[2:3], v[6:7], 0xc1f00000, v[2:3]
	v_cvt_u32_f64_e32 v2, v[2:3]
	s_branch .LBB6_994
.LBB6_992:
	s_mov_b32 s27, -1
                                        ; implicit-def: $vgpr2
	s_branch .LBB6_997
.LBB6_993:
	s_mov_b32 s27, -1
                                        ; implicit-def: $vgpr2
.LBB6_994:
	s_delay_alu instid0(SALU_CYCLE_1)
	s_and_not1_b32 vcc_lo, exec_lo, s27
	s_cbranch_vccnz .LBB6_996
; %bb.995:
	s_wait_loadcnt 0x0
	global_load_b32 v1, v[4:5], off
	s_wait_loadcnt 0x0
	v_trunc_f32_e32 v1, v1
	s_delay_alu instid0(VALU_DEP_1) | instskip(NEXT) | instid1(VALU_DEP_1)
	v_mul_f32_e64 v2, 0x2f800000, |v1|
	v_floor_f32_e32 v2, v2
	s_delay_alu instid0(VALU_DEP_1) | instskip(SKIP_1) | instid1(VALU_DEP_2)
	v_fma_f32 v2, 0xcf800000, v2, |v1|
	v_ashrrev_i32_e32 v1, 31, v1
	v_cvt_u32_f32_e32 v2, v2
	s_delay_alu instid0(VALU_DEP_1) | instskip(NEXT) | instid1(VALU_DEP_1)
	v_xor_b32_e32 v2, v2, v1
	v_sub_nc_u32_e32 v2, v2, v1
.LBB6_996:
	s_mov_b32 s27, 0
.LBB6_997:
	s_delay_alu instid0(SALU_CYCLE_1)
	s_and_not1_b32 vcc_lo, exec_lo, s27
	s_cbranch_vccnz .LBB6_999
; %bb.998:
	s_wait_loadcnt 0x0
	global_load_u16 v1, v[4:5], off
	s_wait_loadcnt 0x0
	v_cvt_f32_f16_e32 v1, v1
	s_delay_alu instid0(VALU_DEP_1)
	v_cvt_i32_f32_e32 v2, v1
.LBB6_999:
	s_mov_b32 s27, 0
.LBB6_1000:
	s_delay_alu instid0(SALU_CYCLE_1)
	s_and_not1_b32 vcc_lo, exec_lo, s27
	s_cbranch_vccnz .LBB6_1020
; %bb.1001:
	s_cmp_lt_i32 s0, 2
	s_cbranch_scc1 .LBB6_1005
; %bb.1002:
	s_cmp_lt_i32 s0, 3
	s_cbranch_scc1 .LBB6_1006
; %bb.1003:
	s_cmp_gt_i32 s0, 3
	s_cbranch_scc0 .LBB6_1007
; %bb.1004:
	s_wait_loadcnt 0x0
	global_load_b64 v[2:3], v[4:5], off
	s_mov_b32 s27, 0
	s_branch .LBB6_1008
.LBB6_1005:
	s_mov_b32 s27, -1
                                        ; implicit-def: $vgpr2
	s_branch .LBB6_1014
.LBB6_1006:
	s_mov_b32 s27, -1
                                        ; implicit-def: $vgpr2
	s_branch .LBB6_1011
.LBB6_1007:
	s_mov_b32 s27, -1
                                        ; implicit-def: $vgpr2
.LBB6_1008:
	s_delay_alu instid0(SALU_CYCLE_1)
	s_and_not1_b32 vcc_lo, exec_lo, s27
	s_cbranch_vccnz .LBB6_1010
; %bb.1009:
	s_wait_loadcnt 0x0
	global_load_b32 v2, v[4:5], off
.LBB6_1010:
	s_mov_b32 s27, 0
.LBB6_1011:
	s_delay_alu instid0(SALU_CYCLE_1)
	s_and_not1_b32 vcc_lo, exec_lo, s27
	s_cbranch_vccnz .LBB6_1013
; %bb.1012:
	s_wait_loadcnt 0x0
	global_load_u16 v2, v[4:5], off
.LBB6_1013:
	s_mov_b32 s27, 0
.LBB6_1014:
	s_delay_alu instid0(SALU_CYCLE_1)
	s_and_not1_b32 vcc_lo, exec_lo, s27
	s_cbranch_vccnz .LBB6_1020
; %bb.1015:
	s_cmp_gt_i32 s0, 0
	s_mov_b32 s0, 0
	s_cbranch_scc0 .LBB6_1017
; %bb.1016:
	s_wait_loadcnt 0x0
	global_load_u8 v2, v[4:5], off
	s_branch .LBB6_1018
.LBB6_1017:
	s_mov_b32 s0, -1
                                        ; implicit-def: $vgpr2
.LBB6_1018:
	s_delay_alu instid0(SALU_CYCLE_1)
	s_and_not1_b32 vcc_lo, exec_lo, s0
	s_cbranch_vccnz .LBB6_1020
; %bb.1019:
	s_wait_loadcnt 0x0
	global_load_u8 v2, v[4:5], off
.LBB6_1020:
	s_mov_b32 s28, -1
.LBB6_1021:
	s_delay_alu instid0(SALU_CYCLE_1)
	s_and_not1_b32 vcc_lo, exec_lo, s28
	s_cbranch_vccnz .LBB6_1032
; %bb.1022:
	s_wait_loadcnt 0x0
	s_delay_alu instid0(VALU_DEP_4) | instskip(SKIP_3) | instid1(VALU_DEP_1)
	v_and_b32_e32 v1, 0xff, v0
	s_mov_b32 s27, 0
	s_mov_b32 s0, exec_lo
	s_wait_xcnt 0x0
	v_cmpx_ne_u16_e32 0, v1
	s_cbranch_execz .LBB6_1025
.LBB6_1023:                             ; =>This Inner Loop Header: Depth=1
	s_delay_alu instid0(VALU_DEP_3) | instskip(SKIP_1) | instid1(VALU_DEP_1)
	v_cvt_f32_ubyte0_e32 v4, v2
	v_mov_b32_e32 v1, v0
	v_cvt_f32_ubyte0_e32 v0, v1
	s_delay_alu instid0(VALU_DEP_1) | instskip(SKIP_1) | instid1(TRANS32_DEP_1)
	v_rcp_iflag_f32_e32 v3, v0
	v_nop
	v_mul_f32_e32 v3, v4, v3
	s_delay_alu instid0(VALU_DEP_1) | instskip(NEXT) | instid1(VALU_DEP_1)
	v_trunc_f32_e32 v3, v3
	v_fma_f32 v4, -v3, v0, v4
	v_cvt_u32_f32_e32 v3, v3
	s_delay_alu instid0(VALU_DEP_2) | instskip(NEXT) | instid1(VALU_DEP_1)
	v_cmp_ge_f32_e64 vcc_lo, |v4|, v0
	v_add_co_ci_u32_e64 v0, null, 0, v3, vcc_lo
	s_delay_alu instid0(VALU_DEP_1) | instskip(NEXT) | instid1(VALU_DEP_1)
	v_mul_lo_u32 v0, v0, v1
	v_dual_sub_nc_u32 v0, v2, v0 :: v_dual_mov_b32 v2, v1
	s_delay_alu instid0(VALU_DEP_1) | instskip(NEXT) | instid1(VALU_DEP_1)
	v_and_b32_e32 v0, 0xff, v0
	v_cmp_eq_u16_e32 vcc_lo, 0, v0
	s_or_b32 s27, vcc_lo, s27
	s_delay_alu instid0(SALU_CYCLE_1)
	s_and_not1_b32 exec_lo, exec_lo, s27
	s_cbranch_execnz .LBB6_1023
; %bb.1024:
	s_or_b32 exec_lo, exec_lo, s27
	v_mov_b32_e32 v2, v1
.LBB6_1025:
	s_or_b32 exec_lo, exec_lo, s0
	v_mul_lo_u32 v0, v14, s8
	s_and_b32 s27, s11, 0xff
	s_delay_alu instid0(SALU_CYCLE_1) | instskip(NEXT) | instid1(VALU_DEP_1)
	s_cmp_lt_i32 s27, 11
	v_ashrrev_i32_e32 v1, 31, v0
	s_delay_alu instid0(VALU_DEP_1)
	v_add_nc_u64_e32 v[0:1], s[4:5], v[0:1]
	s_cbranch_scc1 .LBB6_1033
; %bb.1026:
	s_and_b32 s28, 0xffff, s27
	s_delay_alu instid0(SALU_CYCLE_1)
	s_cmp_gt_i32 s28, 25
	s_cbranch_scc0 .LBB6_1034
; %bb.1027:
	s_cmp_gt_i32 s28, 28
	s_cbranch_scc0 .LBB6_1035
; %bb.1028:
	;; [unrolled: 3-line block ×4, first 2 shown]
	s_mov_b32 s30, 0
	s_mov_b32 s0, -1
	s_cmp_eq_u32 s28, 46
	s_mov_b32 s29, 0
	s_cbranch_scc0 .LBB6_1038
; %bb.1031:
	v_cvt_f32_ubyte0_e32 v3, v2
	s_mov_b32 s29, -1
	s_mov_b32 s0, 0
	s_delay_alu instid0(VALU_DEP_1) | instskip(NEXT) | instid1(VALU_DEP_1)
	v_bfe_u32 v4, v3, 16, 1
	v_add3_u32 v3, v3, v4, 0x7fff
	s_delay_alu instid0(VALU_DEP_1)
	v_lshrrev_b32_e32 v3, 16, v3
	global_store_b32 v[0:1], v3, off
	s_branch .LBB6_1038
.LBB6_1032:
	s_mov_b32 s28, 0
	s_mov_b32 s0, s21
	s_branch .LBB6_1149
.LBB6_1033:
	s_mov_b32 s28, -1
	s_mov_b32 s29, 0
	s_mov_b32 s0, s21
	s_branch .LBB6_1107
.LBB6_1034:
	s_mov_b32 s30, -1
	s_mov_b32 s29, 0
	s_mov_b32 s0, s21
	s_branch .LBB6_1065
.LBB6_1035:
	s_mov_b32 s30, -1
	s_mov_b32 s29, 0
	s_mov_b32 s0, s21
	s_branch .LBB6_1048
.LBB6_1036:
	s_mov_b32 s30, -1
	s_mov_b32 s29, 0
	s_mov_b32 s0, s21
	s_branch .LBB6_1044
.LBB6_1037:
	s_mov_b32 s30, -1
	s_mov_b32 s29, 0
	s_mov_b32 s0, s21
.LBB6_1038:
	s_and_b32 vcc_lo, exec_lo, s30
	s_cbranch_vccz .LBB6_1043
; %bb.1039:
	s_cmp_eq_u32 s28, 44
	s_mov_b32 s0, -1
	s_cbranch_scc0 .LBB6_1043
; %bb.1040:
	v_cvt_f32_ubyte0_e32 v5, v2
	s_mov_b32 s29, exec_lo
	s_wait_xcnt 0x0
	s_delay_alu instid0(VALU_DEP_1) | instskip(NEXT) | instid1(VALU_DEP_1)
	v_dual_mov_b32 v4, 0xff :: v_dual_lshrrev_b32 v3, 23, v5
	v_cmpx_ne_u32_e32 0xff, v3
; %bb.1041:
	v_and_b32_e32 v4, 0x400000, v5
	v_and_or_b32 v5, 0x3fffff, v5, v3
	s_delay_alu instid0(VALU_DEP_2) | instskip(NEXT) | instid1(VALU_DEP_2)
	v_cmp_ne_u32_e32 vcc_lo, 0, v4
	v_cmp_ne_u32_e64 s0, 0, v5
	s_and_b32 s0, vcc_lo, s0
	s_delay_alu instid0(SALU_CYCLE_1) | instskip(NEXT) | instid1(VALU_DEP_1)
	v_cndmask_b32_e64 v4, 0, 1, s0
	v_add_nc_u32_e32 v4, v3, v4
; %bb.1042:
	s_or_b32 exec_lo, exec_lo, s29
	s_mov_b32 s29, -1
	s_mov_b32 s0, 0
	global_store_b8 v[0:1], v4, off
.LBB6_1043:
	s_mov_b32 s30, 0
.LBB6_1044:
	s_delay_alu instid0(SALU_CYCLE_1)
	s_and_b32 vcc_lo, exec_lo, s30
	s_cbranch_vccz .LBB6_1047
; %bb.1045:
	s_cmp_eq_u32 s28, 29
	s_mov_b32 s0, -1
	s_cbranch_scc0 .LBB6_1047
; %bb.1046:
	s_wait_xcnt 0x0
	v_and_b32_e32 v4, 0xff, v2
	v_mov_b32_e32 v5, 0
	s_mov_b32 s29, -1
	s_mov_b32 s0, 0
	s_mov_b32 s30, 0
	global_store_b64 v[0:1], v[4:5], off
	s_branch .LBB6_1048
.LBB6_1047:
	s_mov_b32 s30, 0
.LBB6_1048:
	s_delay_alu instid0(SALU_CYCLE_1)
	s_and_b32 vcc_lo, exec_lo, s30
	s_cbranch_vccz .LBB6_1064
; %bb.1049:
	s_cmp_lt_i32 s28, 27
	s_mov_b32 s29, -1
	s_cbranch_scc1 .LBB6_1055
; %bb.1050:
	s_cmp_gt_i32 s28, 27
	s_cbranch_scc0 .LBB6_1052
; %bb.1051:
	s_wait_xcnt 0x0
	v_and_b32_e32 v3, 0xff, v2
	s_mov_b32 s29, 0
	global_store_b32 v[0:1], v3, off
.LBB6_1052:
	s_and_not1_b32 vcc_lo, exec_lo, s29
	s_cbranch_vccnz .LBB6_1054
; %bb.1053:
	s_wait_xcnt 0x0
	v_and_b32_e32 v3, 0xff, v2
	global_store_b16 v[0:1], v3, off
.LBB6_1054:
	s_mov_b32 s29, 0
.LBB6_1055:
	s_delay_alu instid0(SALU_CYCLE_1)
	s_and_not1_b32 vcc_lo, exec_lo, s29
	s_cbranch_vccnz .LBB6_1063
; %bb.1056:
	s_wait_xcnt 0x0
	v_cvt_f32_ubyte0_e32 v4, v2
	v_mov_b32_e32 v5, 0x80
	s_mov_b32 s29, exec_lo
	s_delay_alu instid0(VALU_DEP_2)
	v_cmpx_gt_u32_e32 0x43800000, v4
	s_cbranch_execz .LBB6_1062
; %bb.1057:
	s_mov_b32 s30, 0
	s_mov_b32 s31, exec_lo
                                        ; implicit-def: $vgpr3
	v_cmpx_lt_u32_e32 0x3bffffff, v4
	s_xor_b32 s31, exec_lo, s31
	s_cbranch_execz .LBB6_1165
; %bb.1058:
	v_bfe_u32 v3, v4, 20, 1
	s_mov_b32 s30, exec_lo
	s_delay_alu instid0(VALU_DEP_1) | instskip(NEXT) | instid1(VALU_DEP_1)
	v_add3_u32 v3, v4, v3, 0x487ffff
                                        ; implicit-def: $vgpr4
	v_lshrrev_b32_e32 v3, 20, v3
	s_and_not1_saveexec_b32 s31, s31
	s_cbranch_execnz .LBB6_1166
.LBB6_1059:
	s_or_b32 exec_lo, exec_lo, s31
	v_mov_b32_e32 v5, 0
	s_and_saveexec_b32 s31, s30
.LBB6_1060:
	v_mov_b32_e32 v5, v3
.LBB6_1061:
	s_or_b32 exec_lo, exec_lo, s31
.LBB6_1062:
	s_delay_alu instid0(SALU_CYCLE_1)
	s_or_b32 exec_lo, exec_lo, s29
	global_store_b8 v[0:1], v5, off
.LBB6_1063:
	s_mov_b32 s29, -1
.LBB6_1064:
	s_mov_b32 s30, 0
.LBB6_1065:
	s_delay_alu instid0(SALU_CYCLE_1)
	s_and_b32 vcc_lo, exec_lo, s30
	s_cbranch_vccz .LBB6_1106
; %bb.1066:
	s_cmp_gt_i32 s28, 22
	s_mov_b32 s30, -1
	s_cbranch_scc0 .LBB6_1098
; %bb.1067:
	s_cmp_lt_i32 s28, 24
	s_mov_b32 s29, -1
	s_cbranch_scc1 .LBB6_1087
; %bb.1068:
	s_cmp_gt_i32 s28, 24
	s_cbranch_scc0 .LBB6_1076
; %bb.1069:
	s_wait_xcnt 0x0
	v_cvt_f32_ubyte0_e32 v4, v2
	v_mov_b32_e32 v5, 0x80
	s_mov_b32 s29, exec_lo
	s_delay_alu instid0(VALU_DEP_2)
	v_cmpx_gt_u32_e32 0x47800000, v4
	s_cbranch_execz .LBB6_1075
; %bb.1070:
	s_mov_b32 s30, 0
	s_mov_b32 s31, exec_lo
                                        ; implicit-def: $vgpr3
	v_cmpx_lt_u32_e32 0x37ffffff, v4
	s_xor_b32 s31, exec_lo, s31
	s_cbranch_execz .LBB6_2173
; %bb.1071:
	v_bfe_u32 v3, v4, 21, 1
	s_mov_b32 s30, exec_lo
	s_delay_alu instid0(VALU_DEP_1) | instskip(NEXT) | instid1(VALU_DEP_1)
	v_add3_u32 v3, v4, v3, 0x88fffff
                                        ; implicit-def: $vgpr4
	v_lshrrev_b32_e32 v3, 21, v3
	s_and_not1_saveexec_b32 s31, s31
	s_cbranch_execnz .LBB6_2174
.LBB6_1072:
	s_or_b32 exec_lo, exec_lo, s31
	v_mov_b32_e32 v5, 0
	s_and_saveexec_b32 s31, s30
.LBB6_1073:
	v_mov_b32_e32 v5, v3
.LBB6_1074:
	s_or_b32 exec_lo, exec_lo, s31
.LBB6_1075:
	s_delay_alu instid0(SALU_CYCLE_1)
	s_or_b32 exec_lo, exec_lo, s29
	s_mov_b32 s29, 0
	global_store_b8 v[0:1], v5, off
.LBB6_1076:
	s_and_b32 vcc_lo, exec_lo, s29
	s_cbranch_vccz .LBB6_1086
; %bb.1077:
	s_wait_xcnt 0x0
	v_cvt_f32_ubyte0_e32 v4, v2
	s_mov_b32 s29, exec_lo
                                        ; implicit-def: $vgpr3
	s_delay_alu instid0(VALU_DEP_1)
	v_cmpx_gt_u32_e32 0x43f00000, v4
	s_xor_b32 s29, exec_lo, s29
	s_cbranch_execz .LBB6_1083
; %bb.1078:
	s_mov_b32 s30, exec_lo
                                        ; implicit-def: $vgpr3
	v_cmpx_lt_u32_e32 0x3c7fffff, v4
	s_xor_b32 s30, exec_lo, s30
; %bb.1079:
	v_bfe_u32 v3, v4, 20, 1
	s_delay_alu instid0(VALU_DEP_1) | instskip(NEXT) | instid1(VALU_DEP_1)
	v_add3_u32 v3, v4, v3, 0x407ffff
	v_and_b32_e32 v4, 0xff00000, v3
	v_lshrrev_b32_e32 v3, 20, v3
	s_delay_alu instid0(VALU_DEP_2) | instskip(NEXT) | instid1(VALU_DEP_2)
	v_cmp_ne_u32_e32 vcc_lo, 0x7f00000, v4
                                        ; implicit-def: $vgpr4
	v_cndmask_b32_e32 v3, 0x7e, v3, vcc_lo
; %bb.1080:
	s_and_not1_saveexec_b32 s30, s30
; %bb.1081:
	v_add_f32_e32 v3, 0x46800000, v4
; %bb.1082:
	s_or_b32 exec_lo, exec_lo, s30
                                        ; implicit-def: $vgpr4
.LBB6_1083:
	s_and_not1_saveexec_b32 s29, s29
; %bb.1084:
	v_mov_b32_e32 v3, 0x7f
	v_cmp_lt_u32_e32 vcc_lo, 0x7f800000, v4
	s_delay_alu instid0(VALU_DEP_2)
	v_cndmask_b32_e32 v3, 0x7e, v3, vcc_lo
; %bb.1085:
	s_or_b32 exec_lo, exec_lo, s29
	global_store_b8 v[0:1], v3, off
.LBB6_1086:
	s_mov_b32 s29, 0
.LBB6_1087:
	s_delay_alu instid0(SALU_CYCLE_1)
	s_and_not1_b32 vcc_lo, exec_lo, s29
	s_cbranch_vccnz .LBB6_1097
; %bb.1088:
	s_wait_xcnt 0x0
	v_cvt_f32_ubyte0_e32 v4, v2
	s_mov_b32 s29, exec_lo
                                        ; implicit-def: $vgpr3
	s_delay_alu instid0(VALU_DEP_1)
	v_cmpx_gt_u32_e32 0x47800000, v4
	s_xor_b32 s29, exec_lo, s29
	s_cbranch_execz .LBB6_1094
; %bb.1089:
	s_mov_b32 s30, exec_lo
                                        ; implicit-def: $vgpr3
	v_cmpx_lt_u32_e32 0x387fffff, v4
	s_xor_b32 s30, exec_lo, s30
; %bb.1090:
	v_bfe_u32 v3, v4, 21, 1
	s_delay_alu instid0(VALU_DEP_1) | instskip(NEXT) | instid1(VALU_DEP_1)
	v_add3_u32 v3, v4, v3, 0x80fffff
                                        ; implicit-def: $vgpr4
	v_lshrrev_b32_e32 v3, 21, v3
; %bb.1091:
	s_and_not1_saveexec_b32 s30, s30
; %bb.1092:
	v_add_f32_e32 v3, 0x43000000, v4
; %bb.1093:
	s_or_b32 exec_lo, exec_lo, s30
                                        ; implicit-def: $vgpr4
.LBB6_1094:
	s_and_not1_saveexec_b32 s29, s29
; %bb.1095:
	v_mov_b32_e32 v3, 0x7f
	v_cmp_lt_u32_e32 vcc_lo, 0x7f800000, v4
	s_delay_alu instid0(VALU_DEP_2)
	v_cndmask_b32_e32 v3, 0x7c, v3, vcc_lo
; %bb.1096:
	s_or_b32 exec_lo, exec_lo, s29
	global_store_b8 v[0:1], v3, off
.LBB6_1097:
	s_mov_b32 s30, 0
	s_mov_b32 s29, -1
.LBB6_1098:
	s_and_not1_b32 vcc_lo, exec_lo, s30
	s_cbranch_vccnz .LBB6_1106
; %bb.1099:
	s_cmp_gt_i32 s28, 14
	s_mov_b32 s30, -1
	s_cbranch_scc0 .LBB6_1103
; %bb.1100:
	s_cmp_eq_u32 s28, 15
	s_mov_b32 s0, -1
	s_cbranch_scc0 .LBB6_1102
; %bb.1101:
	s_wait_xcnt 0x0
	v_cvt_f32_ubyte0_e32 v3, v2
	s_mov_b32 s29, -1
	s_mov_b32 s0, 0
	s_delay_alu instid0(VALU_DEP_1) | instskip(NEXT) | instid1(VALU_DEP_1)
	v_bfe_u32 v4, v3, 16, 1
	v_add3_u32 v3, v3, v4, 0x7fff
	global_store_d16_hi_b16 v[0:1], v3, off
.LBB6_1102:
	s_mov_b32 s30, 0
.LBB6_1103:
	s_delay_alu instid0(SALU_CYCLE_1)
	s_and_b32 vcc_lo, exec_lo, s30
	s_cbranch_vccz .LBB6_1106
; %bb.1104:
	s_cmp_eq_u32 s28, 11
	s_mov_b32 s0, -1
	s_cbranch_scc0 .LBB6_1106
; %bb.1105:
	s_wait_xcnt 0x0
	v_and_b32_e32 v3, 0xff, v2
	s_mov_b32 s0, 0
	s_mov_b32 s29, -1
	s_delay_alu instid0(VALU_DEP_1)
	v_cmp_ne_u16_e32 vcc_lo, 0, v3
	v_cndmask_b32_e64 v3, 0, 1, vcc_lo
	global_store_b8 v[0:1], v3, off
.LBB6_1106:
	s_mov_b32 s28, 0
.LBB6_1107:
	s_delay_alu instid0(SALU_CYCLE_1)
	s_and_b32 vcc_lo, exec_lo, s28
	s_cbranch_vccz .LBB6_1146
; %bb.1108:
	s_and_b32 s27, 0xffff, s27
	s_mov_b32 s28, -1
	s_cmp_lt_i32 s27, 5
	s_cbranch_scc1 .LBB6_1129
; %bb.1109:
	s_cmp_lt_i32 s27, 8
	s_cbranch_scc1 .LBB6_1119
; %bb.1110:
	;; [unrolled: 3-line block ×3, first 2 shown]
	s_cmp_gt_i32 s27, 9
	s_cbranch_scc0 .LBB6_1113
; %bb.1112:
	s_wait_xcnt 0x0
	v_and_b32_e32 v3, 0xff, v2
	v_mov_b32_e32 v6, 0
	s_mov_b32 s28, 0
	s_delay_alu instid0(VALU_DEP_2) | instskip(NEXT) | instid1(VALU_DEP_2)
	v_and_b32_e32 v3, 0xffff, v3
	v_mov_b32_e32 v7, v6
	s_delay_alu instid0(VALU_DEP_2)
	v_cvt_f64_u32_e32 v[4:5], v3
	global_store_b128 v[0:1], v[4:7], off
.LBB6_1113:
	s_and_not1_b32 vcc_lo, exec_lo, s28
	s_cbranch_vccnz .LBB6_1115
; %bb.1114:
	s_wait_xcnt 0x0
	v_cvt_f32_ubyte0_e32 v4, v2
	v_mov_b32_e32 v5, 0
	global_store_b64 v[0:1], v[4:5], off
.LBB6_1115:
	s_mov_b32 s28, 0
.LBB6_1116:
	s_delay_alu instid0(SALU_CYCLE_1)
	s_and_not1_b32 vcc_lo, exec_lo, s28
	s_cbranch_vccnz .LBB6_1118
; %bb.1117:
	s_wait_xcnt 0x0
	v_and_b32_e32 v3, 0xff, v2
	s_delay_alu instid0(VALU_DEP_1) | instskip(NEXT) | instid1(VALU_DEP_1)
	v_cvt_f16_u16_e32 v3, v3
	v_and_b32_e32 v3, 0xffff, v3
	global_store_b32 v[0:1], v3, off
.LBB6_1118:
	s_mov_b32 s28, 0
.LBB6_1119:
	s_delay_alu instid0(SALU_CYCLE_1)
	s_and_not1_b32 vcc_lo, exec_lo, s28
	s_cbranch_vccnz .LBB6_1128
; %bb.1120:
	s_cmp_lt_i32 s27, 6
	s_mov_b32 s28, -1
	s_cbranch_scc1 .LBB6_1126
; %bb.1121:
	s_cmp_gt_i32 s27, 6
	s_cbranch_scc0 .LBB6_1123
; %bb.1122:
	s_wait_xcnt 0x0
	v_and_b32_e32 v3, 0xff, v2
	s_mov_b32 s28, 0
	s_delay_alu instid0(VALU_DEP_1) | instskip(NEXT) | instid1(VALU_DEP_1)
	v_and_b32_e32 v3, 0xffff, v3
	v_cvt_f64_u32_e32 v[4:5], v3
	global_store_b64 v[0:1], v[4:5], off
.LBB6_1123:
	s_and_not1_b32 vcc_lo, exec_lo, s28
	s_cbranch_vccnz .LBB6_1125
; %bb.1124:
	s_wait_xcnt 0x0
	v_cvt_f32_ubyte0_e32 v3, v2
	global_store_b32 v[0:1], v3, off
.LBB6_1125:
	s_mov_b32 s28, 0
.LBB6_1126:
	s_delay_alu instid0(SALU_CYCLE_1)
	s_and_not1_b32 vcc_lo, exec_lo, s28
	s_cbranch_vccnz .LBB6_1128
; %bb.1127:
	s_wait_xcnt 0x0
	v_and_b32_e32 v3, 0xff, v2
	s_delay_alu instid0(VALU_DEP_1)
	v_cvt_f16_u16_e32 v3, v3
	global_store_b16 v[0:1], v3, off
.LBB6_1128:
	s_mov_b32 s28, 0
.LBB6_1129:
	s_delay_alu instid0(SALU_CYCLE_1)
	s_and_not1_b32 vcc_lo, exec_lo, s28
	s_cbranch_vccnz .LBB6_1145
; %bb.1130:
	s_cmp_lt_i32 s27, 2
	s_mov_b32 s28, -1
	s_cbranch_scc1 .LBB6_1140
; %bb.1131:
	s_cmp_lt_i32 s27, 3
	s_cbranch_scc1 .LBB6_1137
; %bb.1132:
	s_cmp_gt_i32 s27, 3
	s_cbranch_scc0 .LBB6_1134
; %bb.1133:
	s_wait_xcnt 0x0
	v_and_b32_e32 v4, 0xff, v2
	v_mov_b32_e32 v5, 0
	s_mov_b32 s28, 0
	global_store_b64 v[0:1], v[4:5], off
.LBB6_1134:
	s_and_not1_b32 vcc_lo, exec_lo, s28
	s_cbranch_vccnz .LBB6_1136
; %bb.1135:
	s_wait_xcnt 0x0
	v_and_b32_e32 v3, 0xff, v2
	global_store_b32 v[0:1], v3, off
.LBB6_1136:
	s_mov_b32 s28, 0
.LBB6_1137:
	s_delay_alu instid0(SALU_CYCLE_1)
	s_and_not1_b32 vcc_lo, exec_lo, s28
	s_cbranch_vccnz .LBB6_1139
; %bb.1138:
	s_wait_xcnt 0x0
	v_and_b32_e32 v3, 0xff, v2
	global_store_b16 v[0:1], v3, off
.LBB6_1139:
	s_mov_b32 s28, 0
.LBB6_1140:
	s_delay_alu instid0(SALU_CYCLE_1)
	s_and_not1_b32 vcc_lo, exec_lo, s28
	s_cbranch_vccnz .LBB6_1145
; %bb.1141:
	s_cmp_gt_i32 s27, 0
	s_mov_b32 s27, -1
	s_cbranch_scc0 .LBB6_1143
; %bb.1142:
	s_mov_b32 s27, 0
	global_store_b8 v[0:1], v2, off
.LBB6_1143:
	s_and_not1_b32 vcc_lo, exec_lo, s27
	s_cbranch_vccnz .LBB6_1145
; %bb.1144:
	global_store_b8 v[0:1], v2, off
.LBB6_1145:
	s_mov_b32 s29, -1
.LBB6_1146:
	s_delay_alu instid0(SALU_CYCLE_1)
	s_and_not1_b32 vcc_lo, exec_lo, s29
	s_cbranch_vccnz .LBB6_1148
; %bb.1147:
	v_add_nc_u32_e32 v14, 0x80, v14
	s_mov_b32 s28, -1
	s_branch .LBB6_1150
.LBB6_1148:
	s_mov_b32 s28, 0
.LBB6_1149:
                                        ; implicit-def: $vgpr14
.LBB6_1150:
	s_and_not1_b32 s27, s21, exec_lo
	s_and_b32 s0, s0, exec_lo
	s_and_b32 s26, s26, exec_lo
	s_or_b32 s27, s27, s0
	s_and_not1_b32 s0, s22, exec_lo
	s_and_not1_b32 s29, s20, exec_lo
	s_and_b32 s25, s25, exec_lo
	s_or_b32 s26, s0, s26
	s_or_b32 s25, s29, s25
	s_or_not1_b32 s31, s28, exec_lo
.LBB6_1151:
	s_wait_xcnt 0x0
	s_or_b32 exec_lo, exec_lo, s24
	s_mov_b32 s28, 0
	s_mov_b32 s29, 0
	;; [unrolled: 1-line block ×3, first 2 shown]
                                        ; implicit-def: $sgpr0
                                        ; implicit-def: $vgpr2_vgpr3
                                        ; implicit-def: $vgpr0
	s_and_saveexec_b32 s24, s31
	s_cbranch_execz .LBB6_1230
; %bb.1152:
	v_cmp_gt_i32_e32 vcc_lo, s16, v14
	s_mov_b32 s33, s25
	s_mov_b32 s31, 0
	;; [unrolled: 1-line block ×3, first 2 shown]
                                        ; implicit-def: $sgpr0
                                        ; implicit-def: $vgpr2_vgpr3
                                        ; implicit-def: $vgpr0
	s_and_saveexec_b32 s16, vcc_lo
	s_cbranch_execz .LBB6_1229
; %bb.1153:
	s_wait_loadcnt 0x0
	v_mul_lo_u32 v0, v14, s9
	s_and_b32 s0, s13, 0xff
	s_delay_alu instid0(SALU_CYCLE_1) | instskip(NEXT) | instid1(VALU_DEP_1)
	s_cmp_lt_i32 s0, 11
	v_ashrrev_i32_e32 v1, 31, v0
	s_delay_alu instid0(VALU_DEP_1)
	v_add_nc_u64_e32 v[2:3], s[6:7], v[0:1]
	s_cbranch_scc1 .LBB6_1160
; %bb.1154:
	s_and_b32 s28, 0xffff, s0
	s_delay_alu instid0(SALU_CYCLE_1)
	s_cmp_gt_i32 s28, 25
	s_cbranch_scc0 .LBB6_1161
; %bb.1155:
	s_cmp_gt_i32 s28, 28
	s_cbranch_scc0 .LBB6_1162
; %bb.1156:
	;; [unrolled: 3-line block ×4, first 2 shown]
	s_cmp_eq_u32 s28, 46
	s_mov_b32 s33, 0
	s_cbranch_scc0 .LBB6_1167
; %bb.1159:
	global_load_b32 v0, v[2:3], off
	s_mov_b32 s31, -1
	s_wait_loadcnt 0x0
	v_lshlrev_b32_e32 v0, 16, v0
	s_delay_alu instid0(VALU_DEP_1) | instskip(NEXT) | instid1(VALU_DEP_1)
	v_trunc_f32_e32 v0, v0
	v_mul_f32_e64 v1, 0x2f800000, |v0|
	s_delay_alu instid0(VALU_DEP_1) | instskip(NEXT) | instid1(VALU_DEP_1)
	v_floor_f32_e32 v1, v1
	v_fma_f32 v1, 0xcf800000, v1, |v0|
	v_ashrrev_i32_e32 v0, 31, v0
	s_delay_alu instid0(VALU_DEP_2) | instskip(NEXT) | instid1(VALU_DEP_1)
	v_cvt_u32_f32_e32 v1, v1
	v_xor_b32_e32 v1, v1, v0
	s_delay_alu instid0(VALU_DEP_1)
	v_sub_nc_u32_e32 v0, v1, v0
	s_branch .LBB6_1169
.LBB6_1160:
	s_mov_b32 s28, -1
	s_mov_b32 s29, s25
                                        ; implicit-def: $vgpr0
	s_branch .LBB6_1228
.LBB6_1161:
	s_mov_b32 s33, -1
	s_mov_b32 s29, s25
                                        ; implicit-def: $vgpr0
	s_branch .LBB6_1196
.LBB6_1162:
	s_mov_b32 s33, -1
	s_mov_b32 s29, s25
                                        ; implicit-def: $vgpr0
	s_branch .LBB6_1179
.LBB6_1163:
	s_mov_b32 s33, -1
	s_mov_b32 s29, s25
                                        ; implicit-def: $vgpr0
	s_branch .LBB6_1174
.LBB6_1164:
	s_mov_b32 s33, -1
	s_mov_b32 s29, s25
	s_branch .LBB6_1168
.LBB6_1165:
	s_and_not1_saveexec_b32 s31, s31
	s_cbranch_execz .LBB6_1059
.LBB6_1166:
	v_add_f32_e32 v3, 0x46000000, v4
	s_and_not1_b32 s30, s30, exec_lo
	s_delay_alu instid0(VALU_DEP_1) | instskip(NEXT) | instid1(VALU_DEP_1)
	v_and_b32_e32 v3, 0xff, v3
	v_cmp_ne_u32_e32 vcc_lo, 0, v3
	s_and_b32 s33, vcc_lo, exec_lo
	s_delay_alu instid0(SALU_CYCLE_1)
	s_or_b32 s30, s30, s33
	s_or_b32 exec_lo, exec_lo, s31
	v_mov_b32_e32 v5, 0
	s_and_saveexec_b32 s31, s30
	s_cbranch_execnz .LBB6_1060
	s_branch .LBB6_1061
.LBB6_1167:
	s_mov_b32 s29, -1
.LBB6_1168:
                                        ; implicit-def: $vgpr0
.LBB6_1169:
	s_and_b32 vcc_lo, exec_lo, s33
	s_cbranch_vccz .LBB6_1173
; %bb.1170:
	s_cmp_eq_u32 s28, 44
	s_cbranch_scc0 .LBB6_1172
; %bb.1171:
	global_load_u8 v0, v[2:3], off
	s_mov_b32 s29, 0
	s_mov_b32 s31, -1
	s_wait_loadcnt 0x0
	v_lshlrev_b32_e32 v1, 23, v0
	v_cmp_ne_u32_e32 vcc_lo, 0, v0
	s_delay_alu instid0(VALU_DEP_2) | instskip(NEXT) | instid1(VALU_DEP_1)
	v_trunc_f32_e32 v1, v1
	v_mul_f32_e64 v4, 0x2f800000, |v1|
	s_delay_alu instid0(VALU_DEP_1) | instskip(NEXT) | instid1(VALU_DEP_1)
	v_floor_f32_e32 v4, v4
	v_fma_f32 v4, 0xcf800000, v4, |v1|
	v_ashrrev_i32_e32 v1, 31, v1
	s_delay_alu instid0(VALU_DEP_2) | instskip(NEXT) | instid1(VALU_DEP_1)
	v_cvt_u32_f32_e32 v4, v4
	v_xor_b32_e32 v4, v4, v1
	s_delay_alu instid0(VALU_DEP_1) | instskip(NEXT) | instid1(VALU_DEP_1)
	v_sub_nc_u32_e32 v1, v4, v1
	v_cndmask_b32_e32 v0, 0, v1, vcc_lo
	s_branch .LBB6_1173
.LBB6_1172:
	s_mov_b32 s29, -1
                                        ; implicit-def: $vgpr0
.LBB6_1173:
	s_mov_b32 s33, 0
.LBB6_1174:
	s_delay_alu instid0(SALU_CYCLE_1)
	s_and_b32 vcc_lo, exec_lo, s33
	s_cbranch_vccz .LBB6_1178
; %bb.1175:
	s_cmp_eq_u32 s28, 29
	s_cbranch_scc0 .LBB6_1177
; %bb.1176:
	global_load_b64 v[0:1], v[2:3], off
	s_mov_b32 s29, 0
	s_mov_b32 s31, -1
	s_branch .LBB6_1178
.LBB6_1177:
	s_mov_b32 s29, -1
                                        ; implicit-def: $vgpr0
.LBB6_1178:
	s_mov_b32 s33, 0
.LBB6_1179:
	s_delay_alu instid0(SALU_CYCLE_1)
	s_and_b32 vcc_lo, exec_lo, s33
	s_cbranch_vccz .LBB6_1195
; %bb.1180:
	s_cmp_lt_i32 s28, 27
	s_cbranch_scc1 .LBB6_1183
; %bb.1181:
	s_cmp_gt_i32 s28, 27
	s_cbranch_scc0 .LBB6_1184
; %bb.1182:
	s_wait_loadcnt 0x0
	global_load_b32 v0, v[2:3], off
	s_mov_b32 s31, 0
	s_branch .LBB6_1185
.LBB6_1183:
	s_mov_b32 s31, -1
                                        ; implicit-def: $vgpr0
	s_branch .LBB6_1188
.LBB6_1184:
	s_mov_b32 s31, -1
                                        ; implicit-def: $vgpr0
.LBB6_1185:
	s_delay_alu instid0(SALU_CYCLE_1)
	s_and_not1_b32 vcc_lo, exec_lo, s31
	s_cbranch_vccnz .LBB6_1187
; %bb.1186:
	s_wait_loadcnt 0x0
	global_load_u16 v0, v[2:3], off
.LBB6_1187:
	s_mov_b32 s31, 0
.LBB6_1188:
	s_delay_alu instid0(SALU_CYCLE_1)
	s_and_not1_b32 vcc_lo, exec_lo, s31
	s_cbranch_vccnz .LBB6_1194
; %bb.1189:
	s_wait_loadcnt 0x0
	global_load_u8 v1, v[2:3], off
	s_mov_b32 s33, 0
	s_mov_b32 s31, exec_lo
	s_wait_loadcnt 0x0
	v_cmpx_lt_i16_e32 0x7f, v1
	s_xor_b32 s31, exec_lo, s31
	s_cbranch_execz .LBB6_1206
; %bb.1190:
	v_cmp_ne_u16_e32 vcc_lo, 0x80, v1
	s_and_b32 s33, vcc_lo, exec_lo
	s_and_not1_saveexec_b32 s31, s31
	s_cbranch_execnz .LBB6_1207
.LBB6_1191:
	s_or_b32 exec_lo, exec_lo, s31
	v_mov_b32_e32 v0, 0
	s_and_saveexec_b32 s31, s33
	s_cbranch_execz .LBB6_1193
.LBB6_1192:
	v_and_b32_e32 v0, 0xffff, v1
	s_delay_alu instid0(VALU_DEP_1) | instskip(SKIP_1) | instid1(VALU_DEP_2)
	v_and_b32_e32 v4, 7, v0
	v_bfe_u32 v7, v0, 3, 4
	v_clz_i32_u32_e32 v5, v4
	s_delay_alu instid0(VALU_DEP_2) | instskip(NEXT) | instid1(VALU_DEP_2)
	v_cmp_eq_u32_e32 vcc_lo, 0, v7
	v_min_u32_e32 v5, 32, v5
	s_delay_alu instid0(VALU_DEP_1) | instskip(NEXT) | instid1(VALU_DEP_1)
	v_subrev_nc_u32_e32 v6, 28, v5
	v_dual_lshlrev_b32 v0, v6, v0 :: v_dual_sub_nc_u32 v5, 29, v5
	s_delay_alu instid0(VALU_DEP_1) | instskip(NEXT) | instid1(VALU_DEP_1)
	v_dual_lshlrev_b32 v1, 24, v1 :: v_dual_bitop2_b32 v0, 7, v0 bitop3:0x40
	v_dual_cndmask_b32 v0, v4, v0 :: v_dual_cndmask_b32 v5, v7, v5
	s_delay_alu instid0(VALU_DEP_2) | instskip(NEXT) | instid1(VALU_DEP_2)
	v_and_b32_e32 v1, 0x80000000, v1
	v_lshlrev_b32_e32 v0, 20, v0
	s_delay_alu instid0(VALU_DEP_3) | instskip(NEXT) | instid1(VALU_DEP_1)
	v_lshl_add_u32 v4, v5, 23, 0x3b800000
	v_or3_b32 v0, v1, v4, v0
	s_delay_alu instid0(VALU_DEP_1) | instskip(NEXT) | instid1(VALU_DEP_1)
	v_trunc_f32_e32 v0, v0
	v_mul_f32_e64 v1, 0x2f800000, |v0|
	s_delay_alu instid0(VALU_DEP_1) | instskip(NEXT) | instid1(VALU_DEP_1)
	v_floor_f32_e32 v1, v1
	v_fma_f32 v1, 0xcf800000, v1, |v0|
	v_ashrrev_i32_e32 v0, 31, v0
	s_delay_alu instid0(VALU_DEP_2) | instskip(NEXT) | instid1(VALU_DEP_1)
	v_cvt_u32_f32_e32 v1, v1
	v_xor_b32_e32 v1, v1, v0
	s_delay_alu instid0(VALU_DEP_1)
	v_sub_nc_u32_e32 v0, v1, v0
.LBB6_1193:
	s_or_b32 exec_lo, exec_lo, s31
.LBB6_1194:
	s_mov_b32 s31, -1
.LBB6_1195:
	s_mov_b32 s33, 0
.LBB6_1196:
	s_delay_alu instid0(SALU_CYCLE_1)
	s_and_b32 vcc_lo, exec_lo, s33
	s_cbranch_vccz .LBB6_1227
; %bb.1197:
	s_cmp_gt_i32 s28, 22
	s_cbranch_scc0 .LBB6_1205
; %bb.1198:
	s_cmp_lt_i32 s28, 24
	s_cbranch_scc1 .LBB6_1208
; %bb.1199:
	s_cmp_gt_i32 s28, 24
	s_cbranch_scc0 .LBB6_1209
; %bb.1200:
	s_wait_loadcnt 0x0
	global_load_u8 v1, v[2:3], off
	s_mov_b32 s31, 0
	s_mov_b32 s30, exec_lo
	s_wait_loadcnt 0x0
	v_cmpx_lt_i16_e32 0x7f, v1
	s_xor_b32 s30, exec_lo, s30
	s_cbranch_execz .LBB6_1221
; %bb.1201:
	v_cmp_ne_u16_e32 vcc_lo, 0x80, v1
	s_and_b32 s31, vcc_lo, exec_lo
	s_and_not1_saveexec_b32 s30, s30
	s_cbranch_execnz .LBB6_1222
.LBB6_1202:
	s_or_b32 exec_lo, exec_lo, s30
	v_mov_b32_e32 v0, 0
	s_and_saveexec_b32 s30, s31
	s_cbranch_execz .LBB6_1204
.LBB6_1203:
	v_and_b32_e32 v0, 0xffff, v1
	s_delay_alu instid0(VALU_DEP_1) | instskip(SKIP_1) | instid1(VALU_DEP_2)
	v_and_b32_e32 v4, 3, v0
	v_bfe_u32 v7, v0, 2, 5
	v_clz_i32_u32_e32 v5, v4
	s_delay_alu instid0(VALU_DEP_2) | instskip(NEXT) | instid1(VALU_DEP_2)
	v_cmp_eq_u32_e32 vcc_lo, 0, v7
	v_min_u32_e32 v5, 32, v5
	s_delay_alu instid0(VALU_DEP_1) | instskip(NEXT) | instid1(VALU_DEP_1)
	v_subrev_nc_u32_e32 v6, 29, v5
	v_dual_lshlrev_b32 v0, v6, v0 :: v_dual_sub_nc_u32 v5, 30, v5
	s_delay_alu instid0(VALU_DEP_1) | instskip(NEXT) | instid1(VALU_DEP_1)
	v_dual_lshlrev_b32 v1, 24, v1 :: v_dual_bitop2_b32 v0, 3, v0 bitop3:0x40
	v_dual_cndmask_b32 v0, v4, v0 :: v_dual_cndmask_b32 v5, v7, v5
	s_delay_alu instid0(VALU_DEP_2) | instskip(NEXT) | instid1(VALU_DEP_2)
	v_and_b32_e32 v1, 0x80000000, v1
	v_lshlrev_b32_e32 v0, 21, v0
	s_delay_alu instid0(VALU_DEP_3) | instskip(NEXT) | instid1(VALU_DEP_1)
	v_lshl_add_u32 v4, v5, 23, 0x37800000
	v_or3_b32 v0, v1, v4, v0
	s_delay_alu instid0(VALU_DEP_1) | instskip(NEXT) | instid1(VALU_DEP_1)
	v_trunc_f32_e32 v0, v0
	v_mul_f32_e64 v1, 0x2f800000, |v0|
	s_delay_alu instid0(VALU_DEP_1) | instskip(NEXT) | instid1(VALU_DEP_1)
	v_floor_f32_e32 v1, v1
	v_fma_f32 v1, 0xcf800000, v1, |v0|
	v_ashrrev_i32_e32 v0, 31, v0
	s_delay_alu instid0(VALU_DEP_2) | instskip(NEXT) | instid1(VALU_DEP_1)
	v_cvt_u32_f32_e32 v1, v1
	v_xor_b32_e32 v1, v1, v0
	s_delay_alu instid0(VALU_DEP_1)
	v_sub_nc_u32_e32 v0, v1, v0
.LBB6_1204:
	s_or_b32 exec_lo, exec_lo, s30
	s_mov_b32 s30, 0
	s_branch .LBB6_1210
.LBB6_1205:
	s_mov_b32 s30, -1
                                        ; implicit-def: $vgpr0
	s_branch .LBB6_1216
.LBB6_1206:
	s_and_not1_saveexec_b32 s31, s31
	s_cbranch_execz .LBB6_1191
.LBB6_1207:
	v_cmp_ne_u16_e32 vcc_lo, 0, v1
	s_and_not1_b32 s33, s33, exec_lo
	s_and_b32 s34, vcc_lo, exec_lo
	s_delay_alu instid0(SALU_CYCLE_1)
	s_or_b32 s33, s33, s34
	s_or_b32 exec_lo, exec_lo, s31
	v_mov_b32_e32 v0, 0
	s_and_saveexec_b32 s31, s33
	s_cbranch_execnz .LBB6_1192
	s_branch .LBB6_1193
.LBB6_1208:
	s_mov_b32 s30, -1
                                        ; implicit-def: $vgpr0
	s_branch .LBB6_1213
.LBB6_1209:
	s_mov_b32 s30, -1
                                        ; implicit-def: $vgpr0
.LBB6_1210:
	s_delay_alu instid0(SALU_CYCLE_1)
	s_and_b32 vcc_lo, exec_lo, s30
	s_cbranch_vccz .LBB6_1212
; %bb.1211:
	s_wait_loadcnt 0x0
	global_load_u8 v0, v[2:3], off
	s_wait_loadcnt 0x0
	v_lshlrev_b32_e32 v0, 24, v0
	s_delay_alu instid0(VALU_DEP_1) | instskip(NEXT) | instid1(VALU_DEP_1)
	v_and_b32_e32 v1, 0x7f000000, v0
	v_clz_i32_u32_e32 v4, v1
	v_cmp_ne_u32_e32 vcc_lo, 0, v1
	v_add_nc_u32_e32 v6, 0x1000000, v1
	s_delay_alu instid0(VALU_DEP_3) | instskip(NEXT) | instid1(VALU_DEP_1)
	v_min_u32_e32 v4, 32, v4
	v_sub_nc_u32_e64 v4, v4, 4 clamp
	s_delay_alu instid0(VALU_DEP_1) | instskip(NEXT) | instid1(VALU_DEP_1)
	v_dual_lshlrev_b32 v5, v4, v1 :: v_dual_lshlrev_b32 v4, 23, v4
	v_lshrrev_b32_e32 v5, 4, v5
	s_delay_alu instid0(VALU_DEP_1) | instskip(NEXT) | instid1(VALU_DEP_1)
	v_dual_sub_nc_u32 v4, v5, v4 :: v_dual_ashrrev_i32 v5, 8, v6
	v_add_nc_u32_e32 v4, 0x3c000000, v4
	s_delay_alu instid0(VALU_DEP_1) | instskip(NEXT) | instid1(VALU_DEP_1)
	v_and_or_b32 v4, 0x7f800000, v5, v4
	v_cndmask_b32_e32 v1, 0, v4, vcc_lo
	s_delay_alu instid0(VALU_DEP_1) | instskip(NEXT) | instid1(VALU_DEP_1)
	v_and_or_b32 v0, 0x80000000, v0, v1
	v_trunc_f32_e32 v0, v0
	s_delay_alu instid0(VALU_DEP_1) | instskip(NEXT) | instid1(VALU_DEP_1)
	v_mul_f32_e64 v1, 0x2f800000, |v0|
	v_floor_f32_e32 v1, v1
	s_delay_alu instid0(VALU_DEP_1) | instskip(SKIP_1) | instid1(VALU_DEP_2)
	v_fma_f32 v1, 0xcf800000, v1, |v0|
	v_ashrrev_i32_e32 v0, 31, v0
	v_cvt_u32_f32_e32 v1, v1
	s_delay_alu instid0(VALU_DEP_1) | instskip(NEXT) | instid1(VALU_DEP_1)
	v_xor_b32_e32 v1, v1, v0
	v_sub_nc_u32_e32 v0, v1, v0
.LBB6_1212:
	s_mov_b32 s30, 0
.LBB6_1213:
	s_delay_alu instid0(SALU_CYCLE_1)
	s_and_not1_b32 vcc_lo, exec_lo, s30
	s_cbranch_vccnz .LBB6_1215
; %bb.1214:
	s_wait_loadcnt 0x0
	global_load_u8 v0, v[2:3], off
	s_wait_loadcnt 0x0
	v_lshlrev_b32_e32 v1, 25, v0
	v_lshlrev_b16 v0, 8, v0
	s_delay_alu instid0(VALU_DEP_1) | instskip(SKIP_1) | instid1(VALU_DEP_2)
	v_and_or_b32 v5, 0x7f00, v0, 0.5
	v_bfe_i32 v0, v0, 0, 16
	v_add_f32_e32 v5, -0.5, v5
	v_lshrrev_b32_e32 v4, 4, v1
	v_cmp_gt_u32_e32 vcc_lo, 0x8000000, v1
	s_delay_alu instid0(VALU_DEP_2) | instskip(NEXT) | instid1(VALU_DEP_1)
	v_or_b32_e32 v4, 0x70000000, v4
	v_mul_f32_e32 v4, 0x7800000, v4
	s_delay_alu instid0(VALU_DEP_1) | instskip(NEXT) | instid1(VALU_DEP_1)
	v_cndmask_b32_e32 v1, v4, v5, vcc_lo
	v_and_or_b32 v0, 0x80000000, v0, v1
	s_delay_alu instid0(VALU_DEP_1) | instskip(NEXT) | instid1(VALU_DEP_1)
	v_trunc_f32_e32 v0, v0
	v_mul_f32_e64 v1, 0x2f800000, |v0|
	s_delay_alu instid0(VALU_DEP_1) | instskip(NEXT) | instid1(VALU_DEP_1)
	v_floor_f32_e32 v1, v1
	v_fma_f32 v1, 0xcf800000, v1, |v0|
	v_ashrrev_i32_e32 v0, 31, v0
	s_delay_alu instid0(VALU_DEP_2) | instskip(NEXT) | instid1(VALU_DEP_1)
	v_cvt_u32_f32_e32 v1, v1
	v_xor_b32_e32 v1, v1, v0
	s_delay_alu instid0(VALU_DEP_1)
	v_sub_nc_u32_e32 v0, v1, v0
.LBB6_1215:
	s_mov_b32 s30, 0
	s_mov_b32 s31, -1
.LBB6_1216:
	s_and_not1_b32 vcc_lo, exec_lo, s30
	s_mov_b32 s30, 0
	s_cbranch_vccnz .LBB6_1227
; %bb.1217:
	s_cmp_gt_i32 s28, 14
	s_cbranch_scc0 .LBB6_1220
; %bb.1218:
	s_cmp_eq_u32 s28, 15
	s_cbranch_scc0 .LBB6_1223
; %bb.1219:
	s_wait_loadcnt 0x0
	global_load_u16 v0, v[2:3], off
	s_mov_b32 s29, 0
	s_mov_b32 s31, -1
	s_wait_loadcnt 0x0
	v_lshlrev_b32_e32 v0, 16, v0
	s_delay_alu instid0(VALU_DEP_1) | instskip(NEXT) | instid1(VALU_DEP_1)
	v_trunc_f32_e32 v0, v0
	v_mul_f32_e64 v1, 0x2f800000, |v0|
	s_delay_alu instid0(VALU_DEP_1) | instskip(NEXT) | instid1(VALU_DEP_1)
	v_floor_f32_e32 v1, v1
	v_fma_f32 v1, 0xcf800000, v1, |v0|
	v_ashrrev_i32_e32 v0, 31, v0
	s_delay_alu instid0(VALU_DEP_2) | instskip(NEXT) | instid1(VALU_DEP_1)
	v_cvt_u32_f32_e32 v1, v1
	v_xor_b32_e32 v1, v1, v0
	s_delay_alu instid0(VALU_DEP_1)
	v_sub_nc_u32_e32 v0, v1, v0
	s_branch .LBB6_1225
.LBB6_1220:
	s_mov_b32 s30, -1
	s_branch .LBB6_1224
.LBB6_1221:
	s_and_not1_saveexec_b32 s30, s30
	s_cbranch_execz .LBB6_1202
.LBB6_1222:
	v_cmp_ne_u16_e32 vcc_lo, 0, v1
	s_and_not1_b32 s31, s31, exec_lo
	s_and_b32 s33, vcc_lo, exec_lo
	s_delay_alu instid0(SALU_CYCLE_1)
	s_or_b32 s31, s31, s33
	s_or_b32 exec_lo, exec_lo, s30
	v_mov_b32_e32 v0, 0
	s_and_saveexec_b32 s30, s31
	s_cbranch_execnz .LBB6_1203
	s_branch .LBB6_1204
.LBB6_1223:
	s_mov_b32 s29, -1
.LBB6_1224:
                                        ; implicit-def: $vgpr0
.LBB6_1225:
	s_and_b32 vcc_lo, exec_lo, s30
	s_mov_b32 s30, 0
	s_cbranch_vccz .LBB6_1227
; %bb.1226:
	s_cmp_lg_u32 s28, 11
	s_mov_b32 s30, -1
	s_cselect_b32 s28, -1, 0
	s_and_not1_b32 s29, s29, exec_lo
	s_and_b32 s28, s28, exec_lo
	s_delay_alu instid0(SALU_CYCLE_1)
	s_or_b32 s29, s29, s28
.LBB6_1227:
	s_mov_b32 s28, 0
.LBB6_1228:
	s_and_not1_b32 s33, s25, exec_lo
	s_and_b32 s29, s29, exec_lo
	s_and_b32 s34, s31, exec_lo
	;; [unrolled: 1-line block ×4, first 2 shown]
	s_or_b32 s33, s33, s29
.LBB6_1229:
	s_wait_xcnt 0x0
	s_or_b32 exec_lo, exec_lo, s16
	s_delay_alu instid0(SALU_CYCLE_1)
	s_and_not1_b32 s16, s25, exec_lo
	s_and_b32 s25, s33, exec_lo
	s_and_b32 s30, s34, exec_lo
	s_and_b32 s29, s31, exec_lo
	s_and_b32 s28, s28, exec_lo
	s_or_b32 s25, s16, s25
.LBB6_1230:
	s_or_b32 exec_lo, exec_lo, s24
	s_delay_alu instid0(SALU_CYCLE_1)
	s_and_not1_b32 s16, s21, exec_lo
	s_and_b32 s21, s27, exec_lo
	s_and_not1_b32 s22, s22, exec_lo
	s_and_b32 s24, s26, exec_lo
	s_or_b32 s21, s16, s21
	s_and_not1_b32 s16, s20, exec_lo
	s_and_b32 s20, s25, exec_lo
	s_or_b32 s22, s22, s24
	s_and_b32 s27, s30, exec_lo
	s_and_b32 s26, s29, exec_lo
	;; [unrolled: 1-line block ×3, first 2 shown]
	s_or_b32 s20, s16, s20
.LBB6_1231:
	s_or_b32 exec_lo, exec_lo, s23
	s_delay_alu instid0(SALU_CYCLE_1)
	s_and_not1_b32 s15, s15, exec_lo
	s_and_b32 s16, s21, exec_lo
	s_and_not1_b32 s17, s17, exec_lo
	s_and_b32 s21, s22, exec_lo
	s_or_b32 s15, s15, s16
	s_and_not1_b32 s16, s18, exec_lo
	s_and_b32 s18, s20, exec_lo
	s_or_b32 s17, s17, s21
	s_and_b32 s21, s27, exec_lo
	s_and_b32 s22, s26, exec_lo
	;; [unrolled: 1-line block ×3, first 2 shown]
	s_or_b32 s18, s16, s18
	s_or_b32 exec_lo, exec_lo, s19
	s_mov_b32 s16, 0
	s_and_saveexec_b32 s19, s18
	s_cbranch_execz .LBB6_387
.LBB6_1232:
	s_mov_b32 s16, exec_lo
	s_and_not1_b32 s20, s20, exec_lo
	s_trap 2
	s_or_b32 exec_lo, exec_lo, s19
	s_and_saveexec_b32 s18, s20
	s_delay_alu instid0(SALU_CYCLE_1)
	s_xor_b32 s18, exec_lo, s18
	s_cbranch_execnz .LBB6_388
.LBB6_1233:
	s_or_b32 exec_lo, exec_lo, s18
	s_and_saveexec_b32 s18, s22
	s_cbranch_execz .LBB6_1279
.LBB6_1234:
	s_sext_i32_i16 s19, s0
	s_delay_alu instid0(SALU_CYCLE_1)
	s_cmp_lt_i32 s19, 5
	s_cbranch_scc1 .LBB6_1239
; %bb.1235:
	s_cmp_lt_i32 s19, 8
	s_cbranch_scc1 .LBB6_1240
; %bb.1236:
	s_cmp_lt_i32 s19, 9
	s_cbranch_scc1 .LBB6_1241
; %bb.1237:
	s_cmp_gt_i32 s19, 9
	s_cbranch_scc0 .LBB6_1242
; %bb.1238:
	s_wait_loadcnt 0x0
	global_load_b64 v[0:1], v[2:3], off
	s_mov_b32 s19, 0
	s_wait_loadcnt 0x0
	v_trunc_f64_e32 v[0:1], v[0:1]
	s_delay_alu instid0(VALU_DEP_1) | instskip(NEXT) | instid1(VALU_DEP_1)
	v_ldexp_f64 v[4:5], v[0:1], 0xffffffe0
	v_floor_f64_e32 v[4:5], v[4:5]
	s_delay_alu instid0(VALU_DEP_1) | instskip(NEXT) | instid1(VALU_DEP_1)
	v_fmamk_f64 v[0:1], v[4:5], 0xc1f00000, v[0:1]
	v_cvt_u32_f64_e32 v0, v[0:1]
	s_branch .LBB6_1243
.LBB6_1239:
                                        ; implicit-def: $vgpr0
	s_branch .LBB6_1260
.LBB6_1240:
                                        ; implicit-def: $vgpr0
	s_branch .LBB6_1249
.LBB6_1241:
	s_mov_b32 s19, -1
                                        ; implicit-def: $vgpr0
	s_branch .LBB6_1246
.LBB6_1242:
	s_mov_b32 s19, -1
                                        ; implicit-def: $vgpr0
.LBB6_1243:
	s_delay_alu instid0(SALU_CYCLE_1)
	s_and_not1_b32 vcc_lo, exec_lo, s19
	s_cbranch_vccnz .LBB6_1245
; %bb.1244:
	s_wait_loadcnt 0x0
	global_load_b32 v0, v[2:3], off
	s_wait_loadcnt 0x0
	v_trunc_f32_e32 v0, v0
	s_delay_alu instid0(VALU_DEP_1) | instskip(NEXT) | instid1(VALU_DEP_1)
	v_mul_f32_e64 v1, 0x2f800000, |v0|
	v_floor_f32_e32 v1, v1
	s_delay_alu instid0(VALU_DEP_1) | instskip(SKIP_1) | instid1(VALU_DEP_2)
	v_fma_f32 v1, 0xcf800000, v1, |v0|
	v_ashrrev_i32_e32 v0, 31, v0
	v_cvt_u32_f32_e32 v1, v1
	s_delay_alu instid0(VALU_DEP_1) | instskip(NEXT) | instid1(VALU_DEP_1)
	v_xor_b32_e32 v1, v1, v0
	v_sub_nc_u32_e32 v0, v1, v0
.LBB6_1245:
	s_mov_b32 s19, 0
.LBB6_1246:
	s_delay_alu instid0(SALU_CYCLE_1)
	s_and_not1_b32 vcc_lo, exec_lo, s19
	s_cbranch_vccnz .LBB6_1248
; %bb.1247:
	s_wait_loadcnt 0x0
	global_load_b32 v0, v[2:3], off
	s_wait_loadcnt 0x0
	v_cvt_f32_f16_e32 v0, v0
	s_delay_alu instid0(VALU_DEP_1)
	v_cvt_i32_f32_e32 v0, v0
.LBB6_1248:
	s_cbranch_execnz .LBB6_1259
.LBB6_1249:
	s_sext_i32_i16 s19, s0
	s_delay_alu instid0(SALU_CYCLE_1)
	s_cmp_lt_i32 s19, 6
	s_cbranch_scc1 .LBB6_1252
; %bb.1250:
	s_cmp_gt_i32 s19, 6
	s_cbranch_scc0 .LBB6_1253
; %bb.1251:
	s_wait_loadcnt 0x0
	global_load_b64 v[0:1], v[2:3], off
	s_mov_b32 s19, 0
	s_wait_loadcnt 0x0
	v_trunc_f64_e32 v[0:1], v[0:1]
	s_delay_alu instid0(VALU_DEP_1) | instskip(NEXT) | instid1(VALU_DEP_1)
	v_ldexp_f64 v[4:5], v[0:1], 0xffffffe0
	v_floor_f64_e32 v[4:5], v[4:5]
	s_delay_alu instid0(VALU_DEP_1) | instskip(NEXT) | instid1(VALU_DEP_1)
	v_fmamk_f64 v[0:1], v[4:5], 0xc1f00000, v[0:1]
	v_cvt_u32_f64_e32 v0, v[0:1]
	s_branch .LBB6_1254
.LBB6_1252:
	s_mov_b32 s19, -1
                                        ; implicit-def: $vgpr0
	s_branch .LBB6_1257
.LBB6_1253:
	s_mov_b32 s19, -1
                                        ; implicit-def: $vgpr0
.LBB6_1254:
	s_delay_alu instid0(SALU_CYCLE_1)
	s_and_not1_b32 vcc_lo, exec_lo, s19
	s_cbranch_vccnz .LBB6_1256
; %bb.1255:
	s_wait_loadcnt 0x0
	global_load_b32 v0, v[2:3], off
	s_wait_loadcnt 0x0
	v_trunc_f32_e32 v0, v0
	s_delay_alu instid0(VALU_DEP_1) | instskip(NEXT) | instid1(VALU_DEP_1)
	v_mul_f32_e64 v1, 0x2f800000, |v0|
	v_floor_f32_e32 v1, v1
	s_delay_alu instid0(VALU_DEP_1) | instskip(SKIP_1) | instid1(VALU_DEP_2)
	v_fma_f32 v1, 0xcf800000, v1, |v0|
	v_ashrrev_i32_e32 v0, 31, v0
	v_cvt_u32_f32_e32 v1, v1
	s_delay_alu instid0(VALU_DEP_1) | instskip(NEXT) | instid1(VALU_DEP_1)
	v_xor_b32_e32 v1, v1, v0
	v_sub_nc_u32_e32 v0, v1, v0
.LBB6_1256:
	s_mov_b32 s19, 0
.LBB6_1257:
	s_delay_alu instid0(SALU_CYCLE_1)
	s_and_not1_b32 vcc_lo, exec_lo, s19
	s_cbranch_vccnz .LBB6_1259
; %bb.1258:
	s_wait_loadcnt 0x0
	global_load_u16 v0, v[2:3], off
	s_wait_loadcnt 0x0
	v_cvt_f32_f16_e32 v0, v0
	s_delay_alu instid0(VALU_DEP_1)
	v_cvt_i32_f32_e32 v0, v0
.LBB6_1259:
	s_cbranch_execnz .LBB6_1278
.LBB6_1260:
	s_sext_i32_i16 s19, s0
	s_delay_alu instid0(SALU_CYCLE_1)
	s_cmp_lt_i32 s19, 2
	s_cbranch_scc1 .LBB6_1264
; %bb.1261:
	s_cmp_lt_i32 s19, 3
	s_cbranch_scc1 .LBB6_1265
; %bb.1262:
	s_cmp_gt_i32 s19, 3
	s_cbranch_scc0 .LBB6_1266
; %bb.1263:
	s_wait_loadcnt 0x0
	global_load_b64 v[0:1], v[2:3], off
	s_mov_b32 s19, 0
	s_branch .LBB6_1267
.LBB6_1264:
                                        ; implicit-def: $vgpr0
	s_branch .LBB6_1273
.LBB6_1265:
	s_mov_b32 s19, -1
                                        ; implicit-def: $vgpr0
	s_branch .LBB6_1270
.LBB6_1266:
	s_mov_b32 s19, -1
                                        ; implicit-def: $vgpr0
.LBB6_1267:
	s_delay_alu instid0(SALU_CYCLE_1)
	s_and_not1_b32 vcc_lo, exec_lo, s19
	s_cbranch_vccnz .LBB6_1269
; %bb.1268:
	s_wait_loadcnt 0x0
	global_load_b32 v0, v[2:3], off
.LBB6_1269:
	s_mov_b32 s19, 0
.LBB6_1270:
	s_delay_alu instid0(SALU_CYCLE_1)
	s_and_not1_b32 vcc_lo, exec_lo, s19
	s_cbranch_vccnz .LBB6_1272
; %bb.1271:
	s_wait_loadcnt 0x0
	global_load_u16 v0, v[2:3], off
.LBB6_1272:
	s_cbranch_execnz .LBB6_1278
.LBB6_1273:
	s_sext_i32_i16 s0, s0
	s_delay_alu instid0(SALU_CYCLE_1)
	s_cmp_gt_i32 s0, 0
	s_mov_b32 s0, 0
	s_cbranch_scc0 .LBB6_1275
; %bb.1274:
	s_wait_loadcnt 0x0
	global_load_u8 v0, v[2:3], off
	s_branch .LBB6_1276
.LBB6_1275:
	s_mov_b32 s0, -1
                                        ; implicit-def: $vgpr0
.LBB6_1276:
	s_delay_alu instid0(SALU_CYCLE_1)
	s_and_not1_b32 vcc_lo, exec_lo, s0
	s_cbranch_vccnz .LBB6_1278
; %bb.1277:
	s_wait_loadcnt 0x0
	global_load_u8 v0, v[2:3], off
.LBB6_1278:
	s_or_b32 s21, s21, exec_lo
.LBB6_1279:
	s_wait_xcnt 0x0
	s_or_b32 exec_lo, exec_lo, s18
	s_mov_b32 s20, 0
	s_mov_b32 s22, 0
	;; [unrolled: 1-line block ×3, first 2 shown]
                                        ; implicit-def: $sgpr0
                                        ; implicit-def: $vgpr4_vgpr5
                                        ; implicit-def: $vgpr2
	s_and_saveexec_b32 s18, s21
	s_cbranch_execz .LBB6_1287
; %bb.1280:
	s_wait_loadcnt 0x0
	v_mul_lo_u32 v2, v14, s10
	s_and_b32 s0, s1, 0xff
	s_delay_alu instid0(SALU_CYCLE_1) | instskip(NEXT) | instid1(VALU_DEP_1)
	s_cmp_lt_i32 s0, 11
	v_ashrrev_i32_e32 v3, 31, v2
	s_delay_alu instid0(VALU_DEP_1)
	v_add_nc_u64_e32 v[4:5], s[2:3], v[2:3]
	s_cbranch_scc1 .LBB6_1290
; %bb.1281:
	s_and_b32 s19, 0xffff, s0
	s_mov_b32 s21, 0
	s_cmp_gt_i32 s19, 25
	s_cbranch_scc0 .LBB6_1291
; %bb.1282:
	s_cmp_gt_i32 s19, 28
	s_cbranch_scc0 .LBB6_1292
; %bb.1283:
	;; [unrolled: 3-line block ×4, first 2 shown]
	s_cmp_eq_u32 s19, 46
	s_mov_b32 s23, 0
	s_cbranch_scc0 .LBB6_1295
; %bb.1286:
	global_load_b32 v1, v[4:5], off
	s_mov_b32 s22, -1
	s_wait_loadcnt 0x0
	v_lshlrev_b32_e32 v1, 16, v1
	s_delay_alu instid0(VALU_DEP_1) | instskip(NEXT) | instid1(VALU_DEP_1)
	v_trunc_f32_e32 v1, v1
	v_mul_f32_e64 v2, 0x2f800000, |v1|
	s_delay_alu instid0(VALU_DEP_1) | instskip(NEXT) | instid1(VALU_DEP_1)
	v_floor_f32_e32 v2, v2
	v_fma_f32 v2, 0xcf800000, v2, |v1|
	v_ashrrev_i32_e32 v1, 31, v1
	s_delay_alu instid0(VALU_DEP_2) | instskip(NEXT) | instid1(VALU_DEP_1)
	v_cvt_u32_f32_e32 v2, v2
	v_xor_b32_e32 v2, v2, v1
	s_delay_alu instid0(VALU_DEP_1)
	v_sub_nc_u32_e32 v2, v2, v1
	s_branch .LBB6_1297
.LBB6_1287:
	s_or_b32 exec_lo, exec_lo, s18
	s_and_saveexec_b32 s18, s17
	s_cbranch_execnz .LBB6_1356
.LBB6_1288:
	s_or_b32 exec_lo, exec_lo, s18
	s_and_saveexec_b32 s17, s20
	s_delay_alu instid0(SALU_CYCLE_1)
	s_xor_b32 s17, exec_lo, s17
	s_cbranch_execz .LBB6_1357
.LBB6_1289:
	s_wait_loadcnt 0x0
	global_load_u8 v1, v[4:5], off
	s_or_b32 s19, s19, exec_lo
	s_wait_loadcnt 0x0
	v_cmp_ne_u16_e32 vcc_lo, 0, v1
	v_cndmask_b32_e64 v2, 0, 1, vcc_lo
	s_wait_xcnt 0x0
	s_or_b32 exec_lo, exec_lo, s17
	s_and_saveexec_b32 s17, s22
	s_cbranch_execz .LBB6_1403
	s_branch .LBB6_1358
.LBB6_1290:
	s_mov_b32 s23, -1
	s_mov_b32 s21, 0
	s_mov_b32 s20, s17
                                        ; implicit-def: $vgpr2
	s_branch .LBB6_1355
.LBB6_1291:
	s_mov_b32 s20, s17
                                        ; implicit-def: $vgpr2
	s_cbranch_execnz .LBB6_1324
	s_branch .LBB6_1354
.LBB6_1292:
	s_mov_b32 s23, -1
	s_mov_b32 s20, s17
                                        ; implicit-def: $vgpr2
	s_branch .LBB6_1307
.LBB6_1293:
	s_mov_b32 s23, -1
	s_mov_b32 s20, s17
                                        ; implicit-def: $vgpr2
	s_branch .LBB6_1302
.LBB6_1294:
	s_mov_b32 s23, -1
	s_mov_b32 s20, s17
	s_branch .LBB6_1296
.LBB6_1295:
	s_mov_b32 s20, -1
.LBB6_1296:
                                        ; implicit-def: $vgpr2
.LBB6_1297:
	s_and_b32 vcc_lo, exec_lo, s23
	s_cbranch_vccz .LBB6_1301
; %bb.1298:
	s_cmp_eq_u32 s19, 44
	s_cbranch_scc0 .LBB6_1300
; %bb.1299:
	global_load_u8 v1, v[4:5], off
	s_mov_b32 s20, 0
	s_mov_b32 s22, -1
	s_wait_loadcnt 0x0
	v_lshlrev_b32_e32 v2, 23, v1
	v_cmp_ne_u32_e32 vcc_lo, 0, v1
	s_delay_alu instid0(VALU_DEP_2) | instskip(NEXT) | instid1(VALU_DEP_1)
	v_trunc_f32_e32 v2, v2
	v_mul_f32_e64 v3, 0x2f800000, |v2|
	s_delay_alu instid0(VALU_DEP_1) | instskip(NEXT) | instid1(VALU_DEP_1)
	v_floor_f32_e32 v3, v3
	v_fma_f32 v3, 0xcf800000, v3, |v2|
	v_ashrrev_i32_e32 v2, 31, v2
	s_delay_alu instid0(VALU_DEP_2) | instskip(NEXT) | instid1(VALU_DEP_1)
	v_cvt_u32_f32_e32 v3, v3
	v_xor_b32_e32 v3, v3, v2
	s_delay_alu instid0(VALU_DEP_1) | instskip(NEXT) | instid1(VALU_DEP_1)
	v_sub_nc_u32_e32 v2, v3, v2
	v_cndmask_b32_e32 v2, 0, v2, vcc_lo
	s_branch .LBB6_1301
.LBB6_1300:
	s_mov_b32 s20, -1
                                        ; implicit-def: $vgpr2
.LBB6_1301:
	s_mov_b32 s23, 0
.LBB6_1302:
	s_delay_alu instid0(SALU_CYCLE_1)
	s_and_b32 vcc_lo, exec_lo, s23
	s_cbranch_vccz .LBB6_1306
; %bb.1303:
	s_cmp_eq_u32 s19, 29
	s_cbranch_scc0 .LBB6_1305
; %bb.1304:
	global_load_b64 v[2:3], v[4:5], off
	s_mov_b32 s20, 0
	s_mov_b32 s22, -1
	s_branch .LBB6_1306
.LBB6_1305:
	s_mov_b32 s20, -1
                                        ; implicit-def: $vgpr2
.LBB6_1306:
	s_mov_b32 s23, 0
.LBB6_1307:
	s_delay_alu instid0(SALU_CYCLE_1)
	s_and_b32 vcc_lo, exec_lo, s23
	s_cbranch_vccz .LBB6_1323
; %bb.1308:
	s_cmp_lt_i32 s19, 27
	s_cbranch_scc1 .LBB6_1311
; %bb.1309:
	s_cmp_gt_i32 s19, 27
	s_cbranch_scc0 .LBB6_1312
; %bb.1310:
	s_wait_loadcnt 0x0
	global_load_b32 v2, v[4:5], off
	s_mov_b32 s22, 0
	s_branch .LBB6_1313
.LBB6_1311:
	s_mov_b32 s22, -1
                                        ; implicit-def: $vgpr2
	s_branch .LBB6_1316
.LBB6_1312:
	s_mov_b32 s22, -1
                                        ; implicit-def: $vgpr2
.LBB6_1313:
	s_delay_alu instid0(SALU_CYCLE_1)
	s_and_not1_b32 vcc_lo, exec_lo, s22
	s_cbranch_vccnz .LBB6_1315
; %bb.1314:
	s_wait_loadcnt 0x0
	global_load_u16 v2, v[4:5], off
.LBB6_1315:
	s_mov_b32 s22, 0
.LBB6_1316:
	s_delay_alu instid0(SALU_CYCLE_1)
	s_and_not1_b32 vcc_lo, exec_lo, s22
	s_cbranch_vccnz .LBB6_1322
; %bb.1317:
	global_load_u8 v1, v[4:5], off
	s_mov_b32 s23, 0
	s_mov_b32 s22, exec_lo
	s_wait_loadcnt 0x0
	v_cmpx_lt_i16_e32 0x7f, v1
	s_xor_b32 s22, exec_lo, s22
	s_cbranch_execz .LBB6_1333
; %bb.1318:
	v_cmp_ne_u16_e32 vcc_lo, 0x80, v1
	s_and_b32 s23, vcc_lo, exec_lo
	s_and_not1_saveexec_b32 s22, s22
	s_cbranch_execnz .LBB6_1334
.LBB6_1319:
	s_or_b32 exec_lo, exec_lo, s22
	v_mov_b32_e32 v2, 0
	s_and_saveexec_b32 s22, s23
	s_cbranch_execz .LBB6_1321
.LBB6_1320:
	v_and_b32_e32 v2, 0xffff, v1
	s_delay_alu instid0(VALU_DEP_1) | instskip(SKIP_1) | instid1(VALU_DEP_2)
	v_dual_lshlrev_b32 v1, 24, v1 :: v_dual_bitop2_b32 v3, 7, v2 bitop3:0x40
	v_bfe_u32 v8, v2, 3, 4
	v_and_b32_e32 v1, 0x80000000, v1
	s_delay_alu instid0(VALU_DEP_3) | instskip(NEXT) | instid1(VALU_DEP_3)
	v_clz_i32_u32_e32 v6, v3
	v_cmp_eq_u32_e32 vcc_lo, 0, v8
	s_delay_alu instid0(VALU_DEP_2) | instskip(NEXT) | instid1(VALU_DEP_1)
	v_min_u32_e32 v6, 32, v6
	v_subrev_nc_u32_e32 v7, 28, v6
	v_sub_nc_u32_e32 v6, 29, v6
	s_delay_alu instid0(VALU_DEP_2) | instskip(NEXT) | instid1(VALU_DEP_2)
	v_lshlrev_b32_e32 v2, v7, v2
	v_cndmask_b32_e32 v6, v8, v6, vcc_lo
	s_delay_alu instid0(VALU_DEP_2) | instskip(NEXT) | instid1(VALU_DEP_1)
	v_and_b32_e32 v2, 7, v2
	v_cndmask_b32_e32 v2, v3, v2, vcc_lo
	s_delay_alu instid0(VALU_DEP_3) | instskip(NEXT) | instid1(VALU_DEP_2)
	v_lshl_add_u32 v3, v6, 23, 0x3b800000
	v_lshlrev_b32_e32 v2, 20, v2
	s_delay_alu instid0(VALU_DEP_1) | instskip(NEXT) | instid1(VALU_DEP_1)
	v_or3_b32 v1, v1, v3, v2
	v_trunc_f32_e32 v1, v1
	s_delay_alu instid0(VALU_DEP_1) | instskip(NEXT) | instid1(VALU_DEP_1)
	v_mul_f32_e64 v2, 0x2f800000, |v1|
	v_floor_f32_e32 v2, v2
	s_delay_alu instid0(VALU_DEP_1) | instskip(SKIP_1) | instid1(VALU_DEP_2)
	v_fma_f32 v2, 0xcf800000, v2, |v1|
	v_ashrrev_i32_e32 v1, 31, v1
	v_cvt_u32_f32_e32 v2, v2
	s_delay_alu instid0(VALU_DEP_1) | instskip(NEXT) | instid1(VALU_DEP_1)
	v_xor_b32_e32 v2, v2, v1
	v_sub_nc_u32_e32 v2, v2, v1
.LBB6_1321:
	s_or_b32 exec_lo, exec_lo, s22
.LBB6_1322:
	s_mov_b32 s22, -1
.LBB6_1323:
	s_branch .LBB6_1354
.LBB6_1324:
	s_cmp_gt_i32 s19, 22
	s_cbranch_scc0 .LBB6_1332
; %bb.1325:
	s_cmp_lt_i32 s19, 24
	s_cbranch_scc1 .LBB6_1335
; %bb.1326:
	s_cmp_gt_i32 s19, 24
	s_cbranch_scc0 .LBB6_1336
; %bb.1327:
	global_load_u8 v1, v[4:5], off
	s_mov_b32 s22, 0
	s_mov_b32 s21, exec_lo
	s_wait_loadcnt 0x0
	v_cmpx_lt_i16_e32 0x7f, v1
	s_xor_b32 s21, exec_lo, s21
	s_cbranch_execz .LBB6_1348
; %bb.1328:
	v_cmp_ne_u16_e32 vcc_lo, 0x80, v1
	s_and_b32 s22, vcc_lo, exec_lo
	s_and_not1_saveexec_b32 s21, s21
	s_cbranch_execnz .LBB6_1349
.LBB6_1329:
	s_or_b32 exec_lo, exec_lo, s21
	v_mov_b32_e32 v2, 0
	s_and_saveexec_b32 s21, s22
	s_cbranch_execz .LBB6_1331
.LBB6_1330:
	v_and_b32_e32 v2, 0xffff, v1
	s_delay_alu instid0(VALU_DEP_1) | instskip(SKIP_1) | instid1(VALU_DEP_2)
	v_dual_lshlrev_b32 v1, 24, v1 :: v_dual_bitop2_b32 v3, 3, v2 bitop3:0x40
	v_bfe_u32 v8, v2, 2, 5
	v_and_b32_e32 v1, 0x80000000, v1
	s_delay_alu instid0(VALU_DEP_3) | instskip(NEXT) | instid1(VALU_DEP_3)
	v_clz_i32_u32_e32 v6, v3
	v_cmp_eq_u32_e32 vcc_lo, 0, v8
	s_delay_alu instid0(VALU_DEP_2) | instskip(NEXT) | instid1(VALU_DEP_1)
	v_min_u32_e32 v6, 32, v6
	v_subrev_nc_u32_e32 v7, 29, v6
	v_sub_nc_u32_e32 v6, 30, v6
	s_delay_alu instid0(VALU_DEP_2) | instskip(NEXT) | instid1(VALU_DEP_2)
	v_lshlrev_b32_e32 v2, v7, v2
	v_cndmask_b32_e32 v6, v8, v6, vcc_lo
	s_delay_alu instid0(VALU_DEP_2) | instskip(NEXT) | instid1(VALU_DEP_1)
	v_and_b32_e32 v2, 3, v2
	v_cndmask_b32_e32 v2, v3, v2, vcc_lo
	s_delay_alu instid0(VALU_DEP_3) | instskip(NEXT) | instid1(VALU_DEP_2)
	v_lshl_add_u32 v3, v6, 23, 0x37800000
	v_lshlrev_b32_e32 v2, 21, v2
	s_delay_alu instid0(VALU_DEP_1) | instskip(NEXT) | instid1(VALU_DEP_1)
	v_or3_b32 v1, v1, v3, v2
	v_trunc_f32_e32 v1, v1
	s_delay_alu instid0(VALU_DEP_1) | instskip(NEXT) | instid1(VALU_DEP_1)
	v_mul_f32_e64 v2, 0x2f800000, |v1|
	v_floor_f32_e32 v2, v2
	s_delay_alu instid0(VALU_DEP_1) | instskip(SKIP_1) | instid1(VALU_DEP_2)
	v_fma_f32 v2, 0xcf800000, v2, |v1|
	v_ashrrev_i32_e32 v1, 31, v1
	v_cvt_u32_f32_e32 v2, v2
	s_delay_alu instid0(VALU_DEP_1) | instskip(NEXT) | instid1(VALU_DEP_1)
	v_xor_b32_e32 v2, v2, v1
	v_sub_nc_u32_e32 v2, v2, v1
.LBB6_1331:
	s_or_b32 exec_lo, exec_lo, s21
	s_mov_b32 s21, 0
	s_branch .LBB6_1337
.LBB6_1332:
	s_mov_b32 s21, -1
                                        ; implicit-def: $vgpr2
	s_branch .LBB6_1343
.LBB6_1333:
	s_and_not1_saveexec_b32 s22, s22
	s_cbranch_execz .LBB6_1319
.LBB6_1334:
	v_cmp_ne_u16_e32 vcc_lo, 0, v1
	s_and_not1_b32 s23, s23, exec_lo
	s_and_b32 s24, vcc_lo, exec_lo
	s_delay_alu instid0(SALU_CYCLE_1)
	s_or_b32 s23, s23, s24
	s_or_b32 exec_lo, exec_lo, s22
	v_mov_b32_e32 v2, 0
	s_and_saveexec_b32 s22, s23
	s_cbranch_execnz .LBB6_1320
	s_branch .LBB6_1321
.LBB6_1335:
	s_mov_b32 s21, -1
                                        ; implicit-def: $vgpr2
	s_branch .LBB6_1340
.LBB6_1336:
	s_mov_b32 s21, -1
                                        ; implicit-def: $vgpr2
.LBB6_1337:
	s_delay_alu instid0(SALU_CYCLE_1)
	s_and_b32 vcc_lo, exec_lo, s21
	s_cbranch_vccz .LBB6_1339
; %bb.1338:
	global_load_u8 v1, v[4:5], off
	s_wait_loadcnt 0x0
	v_lshlrev_b32_e32 v1, 24, v1
	s_delay_alu instid0(VALU_DEP_1) | instskip(NEXT) | instid1(VALU_DEP_1)
	v_and_b32_e32 v2, 0x7f000000, v1
	v_clz_i32_u32_e32 v3, v2
	v_cmp_ne_u32_e32 vcc_lo, 0, v2
	v_add_nc_u32_e32 v7, 0x1000000, v2
	s_delay_alu instid0(VALU_DEP_3) | instskip(NEXT) | instid1(VALU_DEP_1)
	v_min_u32_e32 v3, 32, v3
	v_sub_nc_u32_e64 v3, v3, 4 clamp
	s_delay_alu instid0(VALU_DEP_1) | instskip(NEXT) | instid1(VALU_DEP_1)
	v_dual_lshlrev_b32 v6, v3, v2 :: v_dual_lshlrev_b32 v3, 23, v3
	v_lshrrev_b32_e32 v6, 4, v6
	s_delay_alu instid0(VALU_DEP_1) | instskip(SKIP_1) | instid1(VALU_DEP_2)
	v_sub_nc_u32_e32 v3, v6, v3
	v_ashrrev_i32_e32 v6, 8, v7
	v_add_nc_u32_e32 v3, 0x3c000000, v3
	s_delay_alu instid0(VALU_DEP_1) | instskip(NEXT) | instid1(VALU_DEP_1)
	v_and_or_b32 v3, 0x7f800000, v6, v3
	v_cndmask_b32_e32 v2, 0, v3, vcc_lo
	s_delay_alu instid0(VALU_DEP_1) | instskip(NEXT) | instid1(VALU_DEP_1)
	v_and_or_b32 v1, 0x80000000, v1, v2
	v_trunc_f32_e32 v1, v1
	s_delay_alu instid0(VALU_DEP_1) | instskip(NEXT) | instid1(VALU_DEP_1)
	v_mul_f32_e64 v2, 0x2f800000, |v1|
	v_floor_f32_e32 v2, v2
	s_delay_alu instid0(VALU_DEP_1) | instskip(SKIP_1) | instid1(VALU_DEP_2)
	v_fma_f32 v2, 0xcf800000, v2, |v1|
	v_ashrrev_i32_e32 v1, 31, v1
	v_cvt_u32_f32_e32 v2, v2
	s_delay_alu instid0(VALU_DEP_1) | instskip(NEXT) | instid1(VALU_DEP_1)
	v_xor_b32_e32 v2, v2, v1
	v_sub_nc_u32_e32 v2, v2, v1
.LBB6_1339:
	s_mov_b32 s21, 0
.LBB6_1340:
	s_delay_alu instid0(SALU_CYCLE_1)
	s_and_not1_b32 vcc_lo, exec_lo, s21
	s_cbranch_vccnz .LBB6_1342
; %bb.1341:
	global_load_u8 v1, v[4:5], off
	s_wait_loadcnt 0x0
	v_lshlrev_b32_e32 v2, 25, v1
	v_lshlrev_b16 v1, 8, v1
	s_delay_alu instid0(VALU_DEP_1) | instskip(SKIP_1) | instid1(VALU_DEP_2)
	v_and_or_b32 v6, 0x7f00, v1, 0.5
	v_bfe_i32 v1, v1, 0, 16
	v_add_f32_e32 v6, -0.5, v6
	v_lshrrev_b32_e32 v3, 4, v2
	v_cmp_gt_u32_e32 vcc_lo, 0x8000000, v2
	s_delay_alu instid0(VALU_DEP_2) | instskip(NEXT) | instid1(VALU_DEP_1)
	v_or_b32_e32 v3, 0x70000000, v3
	v_mul_f32_e32 v3, 0x7800000, v3
	s_delay_alu instid0(VALU_DEP_1) | instskip(NEXT) | instid1(VALU_DEP_1)
	v_cndmask_b32_e32 v2, v3, v6, vcc_lo
	v_and_or_b32 v1, 0x80000000, v1, v2
	s_delay_alu instid0(VALU_DEP_1) | instskip(NEXT) | instid1(VALU_DEP_1)
	v_trunc_f32_e32 v1, v1
	v_mul_f32_e64 v2, 0x2f800000, |v1|
	s_delay_alu instid0(VALU_DEP_1) | instskip(NEXT) | instid1(VALU_DEP_1)
	v_floor_f32_e32 v2, v2
	v_fma_f32 v2, 0xcf800000, v2, |v1|
	v_ashrrev_i32_e32 v1, 31, v1
	s_delay_alu instid0(VALU_DEP_2) | instskip(NEXT) | instid1(VALU_DEP_1)
	v_cvt_u32_f32_e32 v2, v2
	v_xor_b32_e32 v2, v2, v1
	s_delay_alu instid0(VALU_DEP_1)
	v_sub_nc_u32_e32 v2, v2, v1
.LBB6_1342:
	s_mov_b32 s21, 0
	s_mov_b32 s22, -1
.LBB6_1343:
	s_and_not1_b32 vcc_lo, exec_lo, s21
	s_mov_b32 s21, 0
	s_cbranch_vccnz .LBB6_1354
; %bb.1344:
	s_cmp_gt_i32 s19, 14
	s_cbranch_scc0 .LBB6_1347
; %bb.1345:
	s_cmp_eq_u32 s19, 15
	s_cbranch_scc0 .LBB6_1350
; %bb.1346:
	global_load_u16 v1, v[4:5], off
	s_mov_b32 s20, 0
	s_mov_b32 s22, -1
	s_wait_loadcnt 0x0
	v_lshlrev_b32_e32 v1, 16, v1
	s_delay_alu instid0(VALU_DEP_1) | instskip(NEXT) | instid1(VALU_DEP_1)
	v_trunc_f32_e32 v1, v1
	v_mul_f32_e64 v2, 0x2f800000, |v1|
	s_delay_alu instid0(VALU_DEP_1) | instskip(NEXT) | instid1(VALU_DEP_1)
	v_floor_f32_e32 v2, v2
	v_fma_f32 v2, 0xcf800000, v2, |v1|
	v_ashrrev_i32_e32 v1, 31, v1
	s_delay_alu instid0(VALU_DEP_2) | instskip(NEXT) | instid1(VALU_DEP_1)
	v_cvt_u32_f32_e32 v2, v2
	v_xor_b32_e32 v2, v2, v1
	s_delay_alu instid0(VALU_DEP_1)
	v_sub_nc_u32_e32 v2, v2, v1
	s_branch .LBB6_1352
.LBB6_1347:
	s_mov_b32 s21, -1
	s_branch .LBB6_1351
.LBB6_1348:
	s_and_not1_saveexec_b32 s21, s21
	s_cbranch_execz .LBB6_1329
.LBB6_1349:
	v_cmp_ne_u16_e32 vcc_lo, 0, v1
	s_and_not1_b32 s22, s22, exec_lo
	s_and_b32 s23, vcc_lo, exec_lo
	s_delay_alu instid0(SALU_CYCLE_1)
	s_or_b32 s22, s22, s23
	s_or_b32 exec_lo, exec_lo, s21
	v_mov_b32_e32 v2, 0
	s_and_saveexec_b32 s21, s22
	s_cbranch_execnz .LBB6_1330
	s_branch .LBB6_1331
.LBB6_1350:
	s_mov_b32 s20, -1
.LBB6_1351:
                                        ; implicit-def: $vgpr2
.LBB6_1352:
	s_and_b32 vcc_lo, exec_lo, s21
	s_mov_b32 s21, 0
	s_cbranch_vccz .LBB6_1354
; %bb.1353:
	s_cmp_lg_u32 s19, 11
	s_mov_b32 s21, -1
	s_cselect_b32 s19, -1, 0
	s_and_not1_b32 s20, s20, exec_lo
	s_and_b32 s19, s19, exec_lo
	s_delay_alu instid0(SALU_CYCLE_1)
	s_or_b32 s20, s20, s19
.LBB6_1354:
	s_mov_b32 s23, 0
.LBB6_1355:
	s_and_b32 s19, s22, exec_lo
	s_and_b32 s22, s23, exec_lo
	s_and_not1_b32 s17, s17, exec_lo
	s_and_b32 s23, s20, exec_lo
	s_and_b32 s20, s21, exec_lo
	s_or_b32 s17, s17, s23
	s_wait_xcnt 0x0
	s_or_b32 exec_lo, exec_lo, s18
	s_and_saveexec_b32 s18, s17
	s_cbranch_execz .LBB6_1288
.LBB6_1356:
	s_or_b32 s16, s16, exec_lo
	s_and_not1_b32 s20, s20, exec_lo
	s_trap 2
	s_or_b32 exec_lo, exec_lo, s18
	s_and_saveexec_b32 s17, s20
	s_delay_alu instid0(SALU_CYCLE_1)
	s_xor_b32 s17, exec_lo, s17
	s_cbranch_execnz .LBB6_1289
.LBB6_1357:
	s_or_b32 exec_lo, exec_lo, s17
	s_and_saveexec_b32 s17, s22
	s_cbranch_execz .LBB6_1403
.LBB6_1358:
	s_sext_i32_i16 s18, s0
	s_delay_alu instid0(SALU_CYCLE_1)
	s_cmp_lt_i32 s18, 5
	s_cbranch_scc1 .LBB6_1363
; %bb.1359:
	s_cmp_lt_i32 s18, 8
	s_cbranch_scc1 .LBB6_1364
; %bb.1360:
	s_cmp_lt_i32 s18, 9
	s_cbranch_scc1 .LBB6_1365
; %bb.1361:
	s_cmp_gt_i32 s18, 9
	s_cbranch_scc0 .LBB6_1366
; %bb.1362:
	s_wait_loadcnt 0x0
	global_load_b64 v[2:3], v[4:5], off
	s_mov_b32 s18, 0
	s_wait_loadcnt 0x0
	v_trunc_f64_e32 v[2:3], v[2:3]
	s_delay_alu instid0(VALU_DEP_1) | instskip(NEXT) | instid1(VALU_DEP_1)
	v_ldexp_f64 v[6:7], v[2:3], 0xffffffe0
	v_floor_f64_e32 v[6:7], v[6:7]
	s_delay_alu instid0(VALU_DEP_1) | instskip(NEXT) | instid1(VALU_DEP_1)
	v_fmamk_f64 v[2:3], v[6:7], 0xc1f00000, v[2:3]
	v_cvt_u32_f64_e32 v2, v[2:3]
	s_branch .LBB6_1367
.LBB6_1363:
                                        ; implicit-def: $vgpr2
	s_branch .LBB6_1384
.LBB6_1364:
                                        ; implicit-def: $vgpr2
	s_branch .LBB6_1373
.LBB6_1365:
	s_mov_b32 s18, -1
                                        ; implicit-def: $vgpr2
	s_branch .LBB6_1370
.LBB6_1366:
	s_mov_b32 s18, -1
                                        ; implicit-def: $vgpr2
.LBB6_1367:
	s_delay_alu instid0(SALU_CYCLE_1)
	s_and_not1_b32 vcc_lo, exec_lo, s18
	s_cbranch_vccnz .LBB6_1369
; %bb.1368:
	s_wait_loadcnt 0x0
	global_load_b32 v1, v[4:5], off
	s_wait_loadcnt 0x0
	v_trunc_f32_e32 v1, v1
	s_delay_alu instid0(VALU_DEP_1) | instskip(NEXT) | instid1(VALU_DEP_1)
	v_mul_f32_e64 v2, 0x2f800000, |v1|
	v_floor_f32_e32 v2, v2
	s_delay_alu instid0(VALU_DEP_1) | instskip(SKIP_1) | instid1(VALU_DEP_2)
	v_fma_f32 v2, 0xcf800000, v2, |v1|
	v_ashrrev_i32_e32 v1, 31, v1
	v_cvt_u32_f32_e32 v2, v2
	s_delay_alu instid0(VALU_DEP_1) | instskip(NEXT) | instid1(VALU_DEP_1)
	v_xor_b32_e32 v2, v2, v1
	v_sub_nc_u32_e32 v2, v2, v1
.LBB6_1369:
	s_mov_b32 s18, 0
.LBB6_1370:
	s_delay_alu instid0(SALU_CYCLE_1)
	s_and_not1_b32 vcc_lo, exec_lo, s18
	s_cbranch_vccnz .LBB6_1372
; %bb.1371:
	s_wait_loadcnt 0x0
	global_load_b32 v1, v[4:5], off
	s_wait_loadcnt 0x0
	v_cvt_f32_f16_e32 v1, v1
	s_delay_alu instid0(VALU_DEP_1)
	v_cvt_i32_f32_e32 v2, v1
.LBB6_1372:
	s_cbranch_execnz .LBB6_1383
.LBB6_1373:
	s_sext_i32_i16 s18, s0
	s_delay_alu instid0(SALU_CYCLE_1)
	s_cmp_lt_i32 s18, 6
	s_cbranch_scc1 .LBB6_1376
; %bb.1374:
	s_cmp_gt_i32 s18, 6
	s_cbranch_scc0 .LBB6_1377
; %bb.1375:
	s_wait_loadcnt 0x0
	global_load_b64 v[2:3], v[4:5], off
	s_mov_b32 s18, 0
	s_wait_loadcnt 0x0
	v_trunc_f64_e32 v[2:3], v[2:3]
	s_delay_alu instid0(VALU_DEP_1) | instskip(NEXT) | instid1(VALU_DEP_1)
	v_ldexp_f64 v[6:7], v[2:3], 0xffffffe0
	v_floor_f64_e32 v[6:7], v[6:7]
	s_delay_alu instid0(VALU_DEP_1) | instskip(NEXT) | instid1(VALU_DEP_1)
	v_fmamk_f64 v[2:3], v[6:7], 0xc1f00000, v[2:3]
	v_cvt_u32_f64_e32 v2, v[2:3]
	s_branch .LBB6_1378
.LBB6_1376:
	s_mov_b32 s18, -1
                                        ; implicit-def: $vgpr2
	s_branch .LBB6_1381
.LBB6_1377:
	s_mov_b32 s18, -1
                                        ; implicit-def: $vgpr2
.LBB6_1378:
	s_delay_alu instid0(SALU_CYCLE_1)
	s_and_not1_b32 vcc_lo, exec_lo, s18
	s_cbranch_vccnz .LBB6_1380
; %bb.1379:
	s_wait_loadcnt 0x0
	global_load_b32 v1, v[4:5], off
	s_wait_loadcnt 0x0
	v_trunc_f32_e32 v1, v1
	s_delay_alu instid0(VALU_DEP_1) | instskip(NEXT) | instid1(VALU_DEP_1)
	v_mul_f32_e64 v2, 0x2f800000, |v1|
	v_floor_f32_e32 v2, v2
	s_delay_alu instid0(VALU_DEP_1) | instskip(SKIP_1) | instid1(VALU_DEP_2)
	v_fma_f32 v2, 0xcf800000, v2, |v1|
	v_ashrrev_i32_e32 v1, 31, v1
	v_cvt_u32_f32_e32 v2, v2
	s_delay_alu instid0(VALU_DEP_1) | instskip(NEXT) | instid1(VALU_DEP_1)
	v_xor_b32_e32 v2, v2, v1
	v_sub_nc_u32_e32 v2, v2, v1
.LBB6_1380:
	s_mov_b32 s18, 0
.LBB6_1381:
	s_delay_alu instid0(SALU_CYCLE_1)
	s_and_not1_b32 vcc_lo, exec_lo, s18
	s_cbranch_vccnz .LBB6_1383
; %bb.1382:
	s_wait_loadcnt 0x0
	global_load_u16 v1, v[4:5], off
	s_wait_loadcnt 0x0
	v_cvt_f32_f16_e32 v1, v1
	s_delay_alu instid0(VALU_DEP_1)
	v_cvt_i32_f32_e32 v2, v1
.LBB6_1383:
	s_cbranch_execnz .LBB6_1402
.LBB6_1384:
	s_sext_i32_i16 s18, s0
	s_delay_alu instid0(SALU_CYCLE_1)
	s_cmp_lt_i32 s18, 2
	s_cbranch_scc1 .LBB6_1388
; %bb.1385:
	s_cmp_lt_i32 s18, 3
	s_cbranch_scc1 .LBB6_1389
; %bb.1386:
	s_cmp_gt_i32 s18, 3
	s_cbranch_scc0 .LBB6_1390
; %bb.1387:
	s_wait_loadcnt 0x0
	global_load_b64 v[2:3], v[4:5], off
	s_mov_b32 s18, 0
	s_branch .LBB6_1391
.LBB6_1388:
                                        ; implicit-def: $vgpr2
	s_branch .LBB6_1397
.LBB6_1389:
	s_mov_b32 s18, -1
                                        ; implicit-def: $vgpr2
	s_branch .LBB6_1394
.LBB6_1390:
	s_mov_b32 s18, -1
                                        ; implicit-def: $vgpr2
.LBB6_1391:
	s_delay_alu instid0(SALU_CYCLE_1)
	s_and_not1_b32 vcc_lo, exec_lo, s18
	s_cbranch_vccnz .LBB6_1393
; %bb.1392:
	s_wait_loadcnt 0x0
	global_load_b32 v2, v[4:5], off
.LBB6_1393:
	s_mov_b32 s18, 0
.LBB6_1394:
	s_delay_alu instid0(SALU_CYCLE_1)
	s_and_not1_b32 vcc_lo, exec_lo, s18
	s_cbranch_vccnz .LBB6_1396
; %bb.1395:
	s_wait_loadcnt 0x0
	global_load_u16 v2, v[4:5], off
.LBB6_1396:
	s_cbranch_execnz .LBB6_1402
.LBB6_1397:
	s_sext_i32_i16 s0, s0
	s_delay_alu instid0(SALU_CYCLE_1)
	s_cmp_gt_i32 s0, 0
	s_mov_b32 s0, 0
	s_cbranch_scc0 .LBB6_1399
; %bb.1398:
	s_wait_loadcnt 0x0
	global_load_u8 v2, v[4:5], off
	s_branch .LBB6_1400
.LBB6_1399:
	s_mov_b32 s0, -1
                                        ; implicit-def: $vgpr2
.LBB6_1400:
	s_delay_alu instid0(SALU_CYCLE_1)
	s_and_not1_b32 vcc_lo, exec_lo, s0
	s_cbranch_vccnz .LBB6_1402
; %bb.1401:
	s_wait_loadcnt 0x0
	global_load_u8 v2, v[4:5], off
.LBB6_1402:
	s_or_b32 s19, s19, exec_lo
.LBB6_1403:
	s_wait_xcnt 0x0
	s_or_b32 exec_lo, exec_lo, s17
	s_mov_b32 s0, 0
	s_mov_b32 s20, 0
                                        ; implicit-def: $sgpr17
                                        ; implicit-def: $vgpr4_vgpr5
	s_and_saveexec_b32 s18, s19
	s_cbranch_execz .LBB6_1414
; %bb.1404:
	s_wait_loadcnt 0x0
	v_and_b32_e32 v1, 0xff, v0
	s_mov_b32 s17, 0
	s_mov_b32 s0, exec_lo
	s_delay_alu instid0(VALU_DEP_1)
	v_cmpx_ne_u16_e32 0, v1
	s_cbranch_execz .LBB6_1407
.LBB6_1405:                             ; =>This Inner Loop Header: Depth=1
	s_delay_alu instid0(VALU_DEP_3) | instskip(SKIP_1) | instid1(VALU_DEP_1)
	v_cvt_f32_ubyte0_e32 v4, v2
	v_mov_b32_e32 v1, v0
	v_cvt_f32_ubyte0_e32 v0, v1
	s_delay_alu instid0(VALU_DEP_1) | instskip(SKIP_1) | instid1(TRANS32_DEP_1)
	v_rcp_iflag_f32_e32 v3, v0
	v_nop
	v_mul_f32_e32 v3, v4, v3
	s_delay_alu instid0(VALU_DEP_1) | instskip(NEXT) | instid1(VALU_DEP_1)
	v_trunc_f32_e32 v3, v3
	v_fma_f32 v4, -v3, v0, v4
	v_cvt_u32_f32_e32 v3, v3
	s_delay_alu instid0(VALU_DEP_2) | instskip(NEXT) | instid1(VALU_DEP_1)
	v_cmp_ge_f32_e64 vcc_lo, |v4|, v0
	v_add_co_ci_u32_e64 v0, null, 0, v3, vcc_lo
	s_delay_alu instid0(VALU_DEP_1) | instskip(NEXT) | instid1(VALU_DEP_1)
	v_mul_lo_u32 v0, v0, v1
	v_dual_sub_nc_u32 v0, v2, v0 :: v_dual_mov_b32 v2, v1
	s_delay_alu instid0(VALU_DEP_1) | instskip(NEXT) | instid1(VALU_DEP_1)
	v_and_b32_e32 v0, 0xff, v0
	v_cmp_eq_u16_e32 vcc_lo, 0, v0
	s_or_b32 s17, vcc_lo, s17
	s_delay_alu instid0(SALU_CYCLE_1)
	s_and_not1_b32 exec_lo, exec_lo, s17
	s_cbranch_execnz .LBB6_1405
; %bb.1406:
	s_or_b32 exec_lo, exec_lo, s17
	v_mov_b32_e32 v2, v1
.LBB6_1407:
	s_or_b32 exec_lo, exec_lo, s0
	v_mul_lo_u32 v0, v14, s8
	s_and_b32 s17, s11, 0xff
	s_delay_alu instid0(SALU_CYCLE_1) | instskip(NEXT) | instid1(VALU_DEP_1)
	s_cmp_lt_i32 s17, 11
	v_ashrrev_i32_e32 v1, 31, v0
	s_delay_alu instid0(VALU_DEP_1)
	v_add_nc_u64_e32 v[4:5], s[4:5], v[0:1]
	s_cbranch_scc1 .LBB6_1417
; %bb.1408:
	s_and_b32 s19, 0xffff, s17
	s_mov_b32 s20, -1
	s_cmp_gt_i32 s19, 25
	s_mov_b32 s0, s15
	s_cbranch_scc0 .LBB6_1445
; %bb.1409:
	s_cmp_gt_i32 s19, 28
	s_mov_b32 s0, s15
	s_cbranch_scc0 .LBB6_1429
; %bb.1410:
	s_cmp_gt_i32 s19, 43
	s_mov_b32 s0, s15
	s_cbranch_scc0 .LBB6_1425
; %bb.1411:
	s_cmp_gt_i32 s19, 45
	s_mov_b32 s0, s15
	s_cbranch_scc0 .LBB6_1419
; %bb.1412:
	s_cmp_eq_u32 s19, 46
	s_mov_b32 s0, -1
	s_cbranch_scc0 .LBB6_1418
; %bb.1413:
	v_cvt_f32_ubyte0_e32 v0, v2
	s_mov_b32 s0, 0
	s_mov_b32 s20, 0
	s_delay_alu instid0(VALU_DEP_1) | instskip(NEXT) | instid1(VALU_DEP_1)
	v_bfe_u32 v1, v0, 16, 1
	v_add3_u32 v0, v0, v1, 0x7fff
	s_delay_alu instid0(VALU_DEP_1)
	v_lshrrev_b32_e32 v0, 16, v0
	global_store_b32 v[4:5], v0, off
	s_branch .LBB6_1419
.LBB6_1414:
	s_or_b32 exec_lo, exec_lo, s18
	s_and_saveexec_b32 s18, s15
	s_cbranch_execnz .LBB6_1487
.LBB6_1415:
	s_or_b32 exec_lo, exec_lo, s18
	s_and_saveexec_b32 s15, s0
	s_delay_alu instid0(SALU_CYCLE_1)
	s_xor_b32 s0, exec_lo, s15
	s_cbranch_execz .LBB6_1488
.LBB6_1416:
	s_wait_loadcnt 0x0
	s_delay_alu instid0(VALU_DEP_1) | instskip(NEXT) | instid1(VALU_DEP_1)
	v_and_b32_e32 v0, 0xff, v2
	v_cmp_ne_u16_e32 vcc_lo, 0, v0
	v_cndmask_b32_e64 v0, 0, 1, vcc_lo
	global_store_b8 v[4:5], v0, off
	s_wait_xcnt 0x0
	s_or_b32 exec_lo, exec_lo, s0
	s_and_saveexec_b32 s0, s20
	s_delay_alu instid0(SALU_CYCLE_1)
	s_xor_b32 s0, exec_lo, s0
	s_cbranch_execz .LBB6_1526
	s_branch .LBB6_1489
.LBB6_1417:
	s_mov_b32 s21, 0
	s_mov_b32 s20, -1
	s_mov_b32 s0, s15
	s_branch .LBB6_1486
.LBB6_1418:
	s_mov_b32 s20, 0
.LBB6_1419:
	s_delay_alu instid0(SALU_CYCLE_1)
	s_and_b32 vcc_lo, exec_lo, s20
	s_cbranch_vccz .LBB6_1424
; %bb.1420:
	s_cmp_eq_u32 s19, 44
	s_mov_b32 s0, -1
	s_cbranch_scc0 .LBB6_1424
; %bb.1421:
	v_cvt_f32_ubyte0_e32 v3, v2
	s_mov_b32 s20, exec_lo
	s_wait_xcnt 0x0
	s_delay_alu instid0(VALU_DEP_1) | instskip(NEXT) | instid1(VALU_DEP_1)
	v_dual_mov_b32 v1, 0xff :: v_dual_lshrrev_b32 v0, 23, v3
	v_cmpx_ne_u32_e32 0xff, v0
; %bb.1422:
	v_and_b32_e32 v1, 0x400000, v3
	v_and_or_b32 v3, 0x3fffff, v3, v0
	s_delay_alu instid0(VALU_DEP_2) | instskip(NEXT) | instid1(VALU_DEP_2)
	v_cmp_ne_u32_e32 vcc_lo, 0, v1
	v_cmp_ne_u32_e64 s0, 0, v3
	s_and_b32 s0, vcc_lo, s0
	s_delay_alu instid0(SALU_CYCLE_1) | instskip(NEXT) | instid1(VALU_DEP_1)
	v_cndmask_b32_e64 v1, 0, 1, s0
	v_add_nc_u32_e32 v1, v0, v1
; %bb.1423:
	s_or_b32 exec_lo, exec_lo, s20
	s_mov_b32 s0, 0
	global_store_b8 v[4:5], v1, off
.LBB6_1424:
	s_mov_b32 s20, 0
.LBB6_1425:
	s_delay_alu instid0(SALU_CYCLE_1)
	s_and_b32 vcc_lo, exec_lo, s20
	s_cbranch_vccz .LBB6_1428
; %bb.1426:
	s_cmp_eq_u32 s19, 29
	s_mov_b32 s0, -1
	s_cbranch_scc0 .LBB6_1428
; %bb.1427:
	s_wait_xcnt 0x0
	v_and_b32_e32 v0, 0xff, v2
	v_mov_b32_e32 v1, 0
	s_mov_b32 s0, 0
	s_mov_b32 s20, 0
	global_store_b64 v[4:5], v[0:1], off
	s_branch .LBB6_1429
.LBB6_1428:
	s_mov_b32 s20, 0
.LBB6_1429:
	s_delay_alu instid0(SALU_CYCLE_1)
	s_and_b32 vcc_lo, exec_lo, s20
	s_cbranch_vccz .LBB6_1444
; %bb.1430:
	s_cmp_lt_i32 s19, 27
	s_mov_b32 s20, -1
	s_cbranch_scc1 .LBB6_1436
; %bb.1431:
	s_wait_xcnt 0x0
	v_and_b32_e32 v0, 0xff, v2
	s_cmp_gt_i32 s19, 27
	s_cbranch_scc0 .LBB6_1433
; %bb.1432:
	s_mov_b32 s20, 0
	global_store_b32 v[4:5], v0, off
.LBB6_1433:
	s_and_not1_b32 vcc_lo, exec_lo, s20
	s_cbranch_vccnz .LBB6_1435
; %bb.1434:
	global_store_b16 v[4:5], v0, off
.LBB6_1435:
	s_mov_b32 s20, 0
.LBB6_1436:
	s_delay_alu instid0(SALU_CYCLE_1)
	s_and_not1_b32 vcc_lo, exec_lo, s20
	s_cbranch_vccnz .LBB6_1444
; %bb.1437:
	s_wait_xcnt 0x0
	v_cvt_f32_ubyte0_e32 v1, v2
	v_mov_b32_e32 v3, 0x80
	s_mov_b32 s20, exec_lo
	s_delay_alu instid0(VALU_DEP_2)
	v_cmpx_gt_u32_e32 0x43800000, v1
	s_cbranch_execz .LBB6_1443
; %bb.1438:
	s_mov_b32 s21, 0
	s_mov_b32 s22, exec_lo
                                        ; implicit-def: $vgpr0
	v_cmpx_lt_u32_e32 0x3bffffff, v1
	s_xor_b32 s22, exec_lo, s22
	s_cbranch_execz .LBB6_1541
; %bb.1439:
	v_bfe_u32 v0, v1, 20, 1
	s_mov_b32 s21, exec_lo
	s_delay_alu instid0(VALU_DEP_1) | instskip(NEXT) | instid1(VALU_DEP_1)
	v_add3_u32 v0, v1, v0, 0x487ffff
                                        ; implicit-def: $vgpr1
	v_lshrrev_b32_e32 v0, 20, v0
	s_and_not1_saveexec_b32 s22, s22
	s_cbranch_execnz .LBB6_1542
.LBB6_1440:
	s_or_b32 exec_lo, exec_lo, s22
	v_mov_b32_e32 v3, 0
	s_and_saveexec_b32 s22, s21
.LBB6_1441:
	v_mov_b32_e32 v3, v0
.LBB6_1442:
	s_or_b32 exec_lo, exec_lo, s22
.LBB6_1443:
	s_delay_alu instid0(SALU_CYCLE_1)
	s_or_b32 exec_lo, exec_lo, s20
	global_store_b8 v[4:5], v3, off
.LBB6_1444:
	s_mov_b32 s20, 0
.LBB6_1445:
	s_delay_alu instid0(SALU_CYCLE_1)
	s_and_b32 vcc_lo, exec_lo, s20
	s_mov_b32 s20, 0
	s_cbranch_vccz .LBB6_1485
; %bb.1446:
	s_cmp_gt_i32 s19, 22
	s_mov_b32 s21, -1
	s_cbranch_scc0 .LBB6_1478
; %bb.1447:
	s_cmp_lt_i32 s19, 24
	s_cbranch_scc1 .LBB6_1467
; %bb.1448:
	s_cmp_gt_i32 s19, 24
	s_cbranch_scc0 .LBB6_1456
; %bb.1449:
	s_wait_xcnt 0x0
	v_cvt_f32_ubyte0_e32 v1, v2
	v_mov_b32_e32 v3, 0x80
	s_mov_b32 s21, exec_lo
	s_delay_alu instid0(VALU_DEP_2)
	v_cmpx_gt_u32_e32 0x47800000, v1
	s_cbranch_execz .LBB6_1455
; %bb.1450:
	s_mov_b32 s22, 0
	s_mov_b32 s23, exec_lo
                                        ; implicit-def: $vgpr0
	v_cmpx_lt_u32_e32 0x37ffffff, v1
	s_xor_b32 s23, exec_lo, s23
	s_cbranch_execz .LBB6_1662
; %bb.1451:
	v_bfe_u32 v0, v1, 21, 1
	s_mov_b32 s22, exec_lo
	s_delay_alu instid0(VALU_DEP_1) | instskip(NEXT) | instid1(VALU_DEP_1)
	v_add3_u32 v0, v1, v0, 0x88fffff
                                        ; implicit-def: $vgpr1
	v_lshrrev_b32_e32 v0, 21, v0
	s_and_not1_saveexec_b32 s23, s23
	s_cbranch_execnz .LBB6_1663
.LBB6_1452:
	s_or_b32 exec_lo, exec_lo, s23
	v_mov_b32_e32 v3, 0
	s_and_saveexec_b32 s23, s22
.LBB6_1453:
	v_mov_b32_e32 v3, v0
.LBB6_1454:
	s_or_b32 exec_lo, exec_lo, s23
.LBB6_1455:
	s_delay_alu instid0(SALU_CYCLE_1)
	s_or_b32 exec_lo, exec_lo, s21
	s_mov_b32 s21, 0
	global_store_b8 v[4:5], v3, off
.LBB6_1456:
	s_and_b32 vcc_lo, exec_lo, s21
	s_cbranch_vccz .LBB6_1466
; %bb.1457:
	s_wait_xcnt 0x0
	v_cvt_f32_ubyte0_e32 v1, v2
	s_mov_b32 s21, exec_lo
                                        ; implicit-def: $vgpr0
	s_delay_alu instid0(VALU_DEP_1)
	v_cmpx_gt_u32_e32 0x43f00000, v1
	s_xor_b32 s21, exec_lo, s21
	s_cbranch_execz .LBB6_1463
; %bb.1458:
	s_mov_b32 s22, exec_lo
                                        ; implicit-def: $vgpr0
	v_cmpx_lt_u32_e32 0x3c7fffff, v1
	s_xor_b32 s22, exec_lo, s22
; %bb.1459:
	v_bfe_u32 v0, v1, 20, 1
	s_delay_alu instid0(VALU_DEP_1) | instskip(NEXT) | instid1(VALU_DEP_1)
	v_add3_u32 v0, v1, v0, 0x407ffff
	v_and_b32_e32 v1, 0xff00000, v0
	v_lshrrev_b32_e32 v0, 20, v0
	s_delay_alu instid0(VALU_DEP_2) | instskip(NEXT) | instid1(VALU_DEP_2)
	v_cmp_ne_u32_e32 vcc_lo, 0x7f00000, v1
                                        ; implicit-def: $vgpr1
	v_cndmask_b32_e32 v0, 0x7e, v0, vcc_lo
; %bb.1460:
	s_and_not1_saveexec_b32 s22, s22
; %bb.1461:
	v_add_f32_e32 v0, 0x46800000, v1
; %bb.1462:
	s_or_b32 exec_lo, exec_lo, s22
                                        ; implicit-def: $vgpr1
.LBB6_1463:
	s_and_not1_saveexec_b32 s21, s21
; %bb.1464:
	v_mov_b32_e32 v0, 0x7f
	v_cmp_lt_u32_e32 vcc_lo, 0x7f800000, v1
	s_delay_alu instid0(VALU_DEP_2)
	v_cndmask_b32_e32 v0, 0x7e, v0, vcc_lo
; %bb.1465:
	s_or_b32 exec_lo, exec_lo, s21
	global_store_b8 v[4:5], v0, off
.LBB6_1466:
	s_mov_b32 s21, 0
.LBB6_1467:
	s_delay_alu instid0(SALU_CYCLE_1)
	s_and_not1_b32 vcc_lo, exec_lo, s21
	s_cbranch_vccnz .LBB6_1477
; %bb.1468:
	s_wait_xcnt 0x0
	v_cvt_f32_ubyte0_e32 v1, v2
	s_mov_b32 s21, exec_lo
                                        ; implicit-def: $vgpr0
	s_delay_alu instid0(VALU_DEP_1)
	v_cmpx_gt_u32_e32 0x47800000, v1
	s_xor_b32 s21, exec_lo, s21
	s_cbranch_execz .LBB6_1474
; %bb.1469:
	s_mov_b32 s22, exec_lo
                                        ; implicit-def: $vgpr0
	v_cmpx_lt_u32_e32 0x387fffff, v1
	s_xor_b32 s22, exec_lo, s22
; %bb.1470:
	v_bfe_u32 v0, v1, 21, 1
	s_delay_alu instid0(VALU_DEP_1) | instskip(NEXT) | instid1(VALU_DEP_1)
	v_add3_u32 v0, v1, v0, 0x80fffff
                                        ; implicit-def: $vgpr1
	v_lshrrev_b32_e32 v0, 21, v0
; %bb.1471:
	s_and_not1_saveexec_b32 s22, s22
; %bb.1472:
	v_add_f32_e32 v0, 0x43000000, v1
; %bb.1473:
	s_or_b32 exec_lo, exec_lo, s22
                                        ; implicit-def: $vgpr1
.LBB6_1474:
	s_and_not1_saveexec_b32 s21, s21
; %bb.1475:
	v_mov_b32_e32 v0, 0x7f
	v_cmp_lt_u32_e32 vcc_lo, 0x7f800000, v1
	s_delay_alu instid0(VALU_DEP_2)
	v_cndmask_b32_e32 v0, 0x7c, v0, vcc_lo
; %bb.1476:
	s_or_b32 exec_lo, exec_lo, s21
	global_store_b8 v[4:5], v0, off
.LBB6_1477:
	s_mov_b32 s21, 0
.LBB6_1478:
	s_delay_alu instid0(SALU_CYCLE_1)
	s_and_not1_b32 vcc_lo, exec_lo, s21
	s_mov_b32 s21, 0
	s_cbranch_vccnz .LBB6_1486
; %bb.1479:
	s_cmp_gt_i32 s19, 14
	s_mov_b32 s21, -1
	s_cbranch_scc0 .LBB6_1483
; %bb.1480:
	s_cmp_eq_u32 s19, 15
	s_mov_b32 s0, -1
	s_cbranch_scc0 .LBB6_1482
; %bb.1481:
	s_wait_xcnt 0x0
	v_cvt_f32_ubyte0_e32 v0, v2
	s_mov_b32 s0, 0
	s_delay_alu instid0(VALU_DEP_1) | instskip(NEXT) | instid1(VALU_DEP_1)
	v_bfe_u32 v1, v0, 16, 1
	v_add3_u32 v0, v0, v1, 0x7fff
	global_store_d16_hi_b16 v[4:5], v0, off
.LBB6_1482:
	s_mov_b32 s21, 0
.LBB6_1483:
	s_delay_alu instid0(SALU_CYCLE_1)
	s_and_b32 vcc_lo, exec_lo, s21
	s_mov_b32 s21, 0
	s_cbranch_vccz .LBB6_1486
; %bb.1484:
	s_cmp_lg_u32 s19, 11
	s_mov_b32 s21, -1
	s_cselect_b32 s19, -1, 0
	s_and_not1_b32 s0, s0, exec_lo
	s_and_b32 s19, s19, exec_lo
	s_delay_alu instid0(SALU_CYCLE_1)
	s_or_b32 s0, s0, s19
	s_branch .LBB6_1486
.LBB6_1485:
	s_mov_b32 s21, 0
.LBB6_1486:
	s_and_not1_b32 s15, s15, exec_lo
	s_and_b32 s19, s0, exec_lo
	s_and_b32 s20, s20, exec_lo
	;; [unrolled: 1-line block ×3, first 2 shown]
	s_or_b32 s15, s15, s19
	s_wait_xcnt 0x0
	s_or_b32 exec_lo, exec_lo, s18
	s_and_saveexec_b32 s18, s15
	s_cbranch_execz .LBB6_1415
.LBB6_1487:
	s_or_b32 s16, s16, exec_lo
	s_and_not1_b32 s0, s0, exec_lo
	s_trap 2
	s_or_b32 exec_lo, exec_lo, s18
	s_and_saveexec_b32 s15, s0
	s_delay_alu instid0(SALU_CYCLE_1)
	s_xor_b32 s0, exec_lo, s15
	s_cbranch_execnz .LBB6_1416
.LBB6_1488:
	s_or_b32 exec_lo, exec_lo, s0
	s_and_saveexec_b32 s0, s20
	s_delay_alu instid0(SALU_CYCLE_1)
	s_xor_b32 s0, exec_lo, s0
	s_cbranch_execz .LBB6_1526
.LBB6_1489:
	s_sext_i32_i16 s18, s17
	s_mov_b32 s15, -1
	s_cmp_lt_i32 s18, 5
	s_cbranch_scc1 .LBB6_1510
; %bb.1490:
	s_cmp_lt_i32 s18, 8
	s_cbranch_scc1 .LBB6_1500
; %bb.1491:
	;; [unrolled: 3-line block ×3, first 2 shown]
	s_cmp_gt_i32 s18, 9
	s_cbranch_scc0 .LBB6_1494
; %bb.1493:
	s_wait_loadcnt 0x0
	v_and_b32_e32 v0, 0xff, v2
	v_mov_b32_e32 v8, 0
	s_mov_b32 s15, 0
	s_delay_alu instid0(VALU_DEP_2) | instskip(NEXT) | instid1(VALU_DEP_2)
	v_and_b32_e32 v0, 0xffff, v0
	v_mov_b32_e32 v9, v8
	s_delay_alu instid0(VALU_DEP_2)
	v_cvt_f64_u32_e32 v[6:7], v0
	global_store_b128 v[4:5], v[6:9], off
.LBB6_1494:
	s_and_not1_b32 vcc_lo, exec_lo, s15
	s_cbranch_vccnz .LBB6_1496
; %bb.1495:
	s_wait_loadcnt 0x0
	v_cvt_f32_ubyte0_e32 v0, v2
	v_mov_b32_e32 v1, 0
	global_store_b64 v[4:5], v[0:1], off
.LBB6_1496:
	s_mov_b32 s15, 0
.LBB6_1497:
	s_delay_alu instid0(SALU_CYCLE_1)
	s_and_not1_b32 vcc_lo, exec_lo, s15
	s_cbranch_vccnz .LBB6_1499
; %bb.1498:
	s_wait_loadcnt 0x0
	v_and_b32_e32 v0, 0xff, v2
	s_delay_alu instid0(VALU_DEP_1) | instskip(NEXT) | instid1(VALU_DEP_1)
	v_cvt_f16_u16_e32 v0, v0
	v_and_b32_e32 v0, 0xffff, v0
	global_store_b32 v[4:5], v0, off
.LBB6_1499:
	s_mov_b32 s15, 0
.LBB6_1500:
	s_delay_alu instid0(SALU_CYCLE_1)
	s_and_not1_b32 vcc_lo, exec_lo, s15
	s_cbranch_vccnz .LBB6_1509
; %bb.1501:
	s_sext_i32_i16 s18, s17
	s_mov_b32 s15, -1
	s_cmp_lt_i32 s18, 6
	s_cbranch_scc1 .LBB6_1507
; %bb.1502:
	s_cmp_gt_i32 s18, 6
	s_cbranch_scc0 .LBB6_1504
; %bb.1503:
	s_wait_loadcnt 0x0
	v_and_b32_e32 v0, 0xff, v2
	s_mov_b32 s15, 0
	s_delay_alu instid0(VALU_DEP_1) | instskip(NEXT) | instid1(VALU_DEP_1)
	v_and_b32_e32 v0, 0xffff, v0
	v_cvt_f64_u32_e32 v[0:1], v0
	global_store_b64 v[4:5], v[0:1], off
.LBB6_1504:
	s_and_not1_b32 vcc_lo, exec_lo, s15
	s_cbranch_vccnz .LBB6_1506
; %bb.1505:
	s_wait_loadcnt 0x0
	v_cvt_f32_ubyte0_e32 v0, v2
	global_store_b32 v[4:5], v0, off
.LBB6_1506:
	s_mov_b32 s15, 0
.LBB6_1507:
	s_delay_alu instid0(SALU_CYCLE_1)
	s_and_not1_b32 vcc_lo, exec_lo, s15
	s_cbranch_vccnz .LBB6_1509
; %bb.1508:
	s_wait_loadcnt 0x0
	v_and_b32_e32 v0, 0xff, v2
	s_delay_alu instid0(VALU_DEP_1)
	v_cvt_f16_u16_e32 v0, v0
	global_store_b16 v[4:5], v0, off
.LBB6_1509:
	s_mov_b32 s15, 0
.LBB6_1510:
	s_delay_alu instid0(SALU_CYCLE_1)
	s_and_not1_b32 vcc_lo, exec_lo, s15
	s_cbranch_vccnz .LBB6_1526
; %bb.1511:
	s_sext_i32_i16 s18, s17
	s_mov_b32 s15, -1
	s_cmp_lt_i32 s18, 2
	s_cbranch_scc1 .LBB6_1521
; %bb.1512:
	s_cmp_lt_i32 s18, 3
	s_cbranch_scc1 .LBB6_1518
; %bb.1513:
	s_wait_loadcnt 0x0
	v_and_b32_e32 v0, 0xff, v2
	s_cmp_gt_i32 s18, 3
	s_cbranch_scc0 .LBB6_1515
; %bb.1514:
	v_mov_b32_e32 v1, 0
	s_mov_b32 s15, 0
	global_store_b64 v[4:5], v[0:1], off
.LBB6_1515:
	s_and_not1_b32 vcc_lo, exec_lo, s15
	s_cbranch_vccnz .LBB6_1517
; %bb.1516:
	global_store_b32 v[4:5], v0, off
.LBB6_1517:
	s_mov_b32 s15, 0
.LBB6_1518:
	s_delay_alu instid0(SALU_CYCLE_1)
	s_and_not1_b32 vcc_lo, exec_lo, s15
	s_cbranch_vccnz .LBB6_1520
; %bb.1519:
	s_wait_loadcnt 0x0
	v_and_b32_e32 v0, 0xff, v2
	global_store_b16 v[4:5], v0, off
.LBB6_1520:
	s_mov_b32 s15, 0
.LBB6_1521:
	s_delay_alu instid0(SALU_CYCLE_1)
	s_and_not1_b32 vcc_lo, exec_lo, s15
	s_cbranch_vccnz .LBB6_1526
; %bb.1522:
	s_sext_i32_i16 s15, s17
	s_delay_alu instid0(SALU_CYCLE_1)
	s_cmp_gt_i32 s15, 0
	s_mov_b32 s15, -1
	s_cbranch_scc0 .LBB6_1524
; %bb.1523:
	s_mov_b32 s15, 0
	s_wait_loadcnt 0x0
	global_store_b8 v[4:5], v2, off
.LBB6_1524:
	s_and_not1_b32 vcc_lo, exec_lo, s15
	s_cbranch_vccnz .LBB6_1526
; %bb.1525:
	s_wait_loadcnt 0x0
	global_store_b8 v[4:5], v2, off
.LBB6_1526:
	s_wait_xcnt 0x0
	s_or_b32 exec_lo, exec_lo, s0
	s_delay_alu instid0(SALU_CYCLE_1)
	s_and_b32 s15, s16, exec_lo
                                        ; implicit-def: $vgpr14
.LBB6_1527:
	s_or_saveexec_b32 s14, s14
	s_mov_b32 s0, 0
                                        ; implicit-def: $sgpr16
                                        ; implicit-def: $vgpr0_vgpr1
                                        ; implicit-def: $vgpr6
	s_xor_b32 exec_lo, exec_lo, s14
	s_cbranch_execz .LBB6_2629
; %bb.1528:
	s_wait_loadcnt 0x0
	v_mul_lo_u32 v2, s9, v14
	s_and_b32 s0, s13, 0xff
	s_delay_alu instid0(SALU_CYCLE_1) | instskip(NEXT) | instid1(VALU_DEP_1)
	s_cmp_lt_i32 s0, 11
	v_ashrrev_i32_e32 v3, 31, v2
	s_delay_alu instid0(VALU_DEP_1)
	v_add_nc_u64_e32 v[0:1], s[6:7], v[2:3]
	s_cbranch_scc1 .LBB6_1535
; %bb.1529:
	s_and_b32 s12, 0xffff, s0
	s_mov_b32 s16, 0
	s_cmp_gt_i32 s12, 25
	s_cbranch_scc0 .LBB6_1537
; %bb.1530:
	s_cmp_gt_i32 s12, 28
	s_cbranch_scc0 .LBB6_1538
; %bb.1531:
	;; [unrolled: 3-line block ×4, first 2 shown]
	s_cmp_eq_u32 s12, 46
	s_mov_b32 s18, 0
	s_cbranch_scc0 .LBB6_1543
; %bb.1534:
	global_load_b32 v3, v[0:1], off
	s_mov_b32 s13, 0
	s_mov_b32 s17, -1
	s_wait_loadcnt 0x0
	v_lshlrev_b32_e32 v3, 16, v3
	s_delay_alu instid0(VALU_DEP_1) | instskip(NEXT) | instid1(VALU_DEP_1)
	v_trunc_f32_e32 v3, v3
	v_mul_f32_e64 v4, 0x2f800000, |v3|
	s_delay_alu instid0(VALU_DEP_1) | instskip(NEXT) | instid1(VALU_DEP_1)
	v_floor_f32_e32 v4, v4
	v_fma_f32 v4, 0xcf800000, v4, |v3|
	v_ashrrev_i32_e32 v3, 31, v3
	s_delay_alu instid0(VALU_DEP_2) | instskip(NEXT) | instid1(VALU_DEP_1)
	v_cvt_u32_f32_e32 v4, v4
	v_xor_b32_e32 v4, v4, v3
	s_delay_alu instid0(VALU_DEP_1)
	v_sub_nc_u32_e32 v6, v4, v3
	s_branch .LBB6_1545
.LBB6_1535:
	s_mov_b32 s17, 0
	s_mov_b32 s12, s15
                                        ; implicit-def: $vgpr6
	s_cbranch_execnz .LBB6_1603
.LBB6_1536:
	s_and_not1_b32 vcc_lo, exec_lo, s17
	s_cbranch_vccz .LBB6_1648
	s_branch .LBB6_2627
.LBB6_1537:
	s_mov_b32 s17, 0
	s_mov_b32 s13, 0
                                        ; implicit-def: $vgpr6
	s_cbranch_execnz .LBB6_1570
	s_branch .LBB6_1599
.LBB6_1538:
	s_mov_b32 s17, 0
	s_mov_b32 s13, 0
                                        ; implicit-def: $vgpr6
	s_cbranch_execz .LBB6_1569
	s_branch .LBB6_1554
.LBB6_1539:
	s_mov_b32 s17, 0
	s_mov_b32 s13, 0
                                        ; implicit-def: $vgpr6
	s_cbranch_execnz .LBB6_1550
	s_branch .LBB6_1553
.LBB6_1540:
	s_mov_b32 s18, -1
	s_mov_b32 s17, 0
	s_mov_b32 s13, 0
	s_branch .LBB6_1544
.LBB6_1541:
	s_and_not1_saveexec_b32 s22, s22
	s_cbranch_execz .LBB6_1440
.LBB6_1542:
	v_add_f32_e32 v0, 0x46000000, v1
	s_and_not1_b32 s21, s21, exec_lo
	s_delay_alu instid0(VALU_DEP_1) | instskip(NEXT) | instid1(VALU_DEP_1)
	v_and_b32_e32 v0, 0xff, v0
	v_cmp_ne_u32_e32 vcc_lo, 0, v0
	s_and_b32 s23, vcc_lo, exec_lo
	s_delay_alu instid0(SALU_CYCLE_1)
	s_or_b32 s21, s21, s23
	s_or_b32 exec_lo, exec_lo, s22
	v_mov_b32_e32 v3, 0
	s_and_saveexec_b32 s22, s21
	s_cbranch_execnz .LBB6_1441
	s_branch .LBB6_1442
.LBB6_1543:
	s_mov_b32 s13, -1
	s_mov_b32 s17, 0
.LBB6_1544:
                                        ; implicit-def: $vgpr6
.LBB6_1545:
	s_and_b32 vcc_lo, exec_lo, s18
	s_cbranch_vccz .LBB6_1548
; %bb.1546:
	s_cmp_eq_u32 s12, 44
	s_cbranch_scc0 .LBB6_1549
; %bb.1547:
	global_load_u8 v3, v[0:1], off
	s_mov_b32 s13, 0
	s_mov_b32 s17, -1
	s_wait_loadcnt 0x0
	v_lshlrev_b32_e32 v4, 23, v3
	v_cmp_ne_u32_e32 vcc_lo, 0, v3
	s_delay_alu instid0(VALU_DEP_2) | instskip(NEXT) | instid1(VALU_DEP_1)
	v_trunc_f32_e32 v4, v4
	v_mul_f32_e64 v5, 0x2f800000, |v4|
	s_delay_alu instid0(VALU_DEP_1) | instskip(NEXT) | instid1(VALU_DEP_1)
	v_floor_f32_e32 v5, v5
	v_fma_f32 v5, 0xcf800000, v5, |v4|
	v_ashrrev_i32_e32 v4, 31, v4
	s_delay_alu instid0(VALU_DEP_2) | instskip(NEXT) | instid1(VALU_DEP_1)
	v_cvt_u32_f32_e32 v5, v5
	v_xor_b32_e32 v5, v5, v4
	s_delay_alu instid0(VALU_DEP_1) | instskip(NEXT) | instid1(VALU_DEP_1)
	v_sub_nc_u32_e32 v4, v5, v4
	v_cndmask_b32_e32 v6, 0, v4, vcc_lo
.LBB6_1548:
	s_branch .LBB6_1553
.LBB6_1549:
	s_mov_b32 s13, -1
                                        ; implicit-def: $vgpr6
	s_branch .LBB6_1553
.LBB6_1550:
	s_cmp_eq_u32 s12, 29
	s_cbranch_scc0 .LBB6_1552
; %bb.1551:
	global_load_b64 v[6:7], v[0:1], off
	s_mov_b32 s13, 0
	s_mov_b32 s17, -1
	s_branch .LBB6_1553
.LBB6_1552:
	s_mov_b32 s13, -1
                                        ; implicit-def: $vgpr6
.LBB6_1553:
	s_branch .LBB6_1569
.LBB6_1554:
	s_cmp_lt_i32 s12, 27
	s_cbranch_scc1 .LBB6_1557
; %bb.1555:
	s_cmp_gt_i32 s12, 27
	s_cbranch_scc0 .LBB6_1558
; %bb.1556:
	s_wait_loadcnt 0x0
	global_load_b32 v6, v[0:1], off
	s_mov_b32 s17, 0
	s_branch .LBB6_1559
.LBB6_1557:
	s_mov_b32 s17, -1
                                        ; implicit-def: $vgpr6
	s_branch .LBB6_1562
.LBB6_1558:
	s_mov_b32 s17, -1
                                        ; implicit-def: $vgpr6
.LBB6_1559:
	s_delay_alu instid0(SALU_CYCLE_1)
	s_and_not1_b32 vcc_lo, exec_lo, s17
	s_cbranch_vccnz .LBB6_1561
; %bb.1560:
	s_wait_loadcnt 0x0
	global_load_u16 v6, v[0:1], off
.LBB6_1561:
	s_mov_b32 s17, 0
.LBB6_1562:
	s_delay_alu instid0(SALU_CYCLE_1)
	s_and_not1_b32 vcc_lo, exec_lo, s17
	s_cbranch_vccnz .LBB6_1568
; %bb.1563:
	global_load_u8 v3, v[0:1], off
	s_mov_b32 s18, 0
	s_mov_b32 s17, exec_lo
	s_wait_loadcnt 0x0
	v_cmpx_lt_i16_e32 0x7f, v3
	s_xor_b32 s17, exec_lo, s17
	s_cbranch_execz .LBB6_1579
; %bb.1564:
	v_cmp_ne_u16_e32 vcc_lo, 0x80, v3
	s_and_b32 s18, vcc_lo, exec_lo
	s_and_not1_saveexec_b32 s17, s17
	s_cbranch_execnz .LBB6_1580
.LBB6_1565:
	s_or_b32 exec_lo, exec_lo, s17
	v_mov_b32_e32 v6, 0
	s_and_saveexec_b32 s17, s18
	s_cbranch_execz .LBB6_1567
.LBB6_1566:
	v_and_b32_e32 v4, 0xffff, v3
	s_delay_alu instid0(VALU_DEP_1) | instskip(SKIP_1) | instid1(VALU_DEP_2)
	v_and_b32_e32 v5, 7, v4
	v_bfe_u32 v8, v4, 3, 4
	v_clz_i32_u32_e32 v6, v5
	s_delay_alu instid0(VALU_DEP_2) | instskip(NEXT) | instid1(VALU_DEP_2)
	v_cmp_eq_u32_e32 vcc_lo, 0, v8
	v_min_u32_e32 v6, 32, v6
	s_delay_alu instid0(VALU_DEP_1) | instskip(NEXT) | instid1(VALU_DEP_1)
	v_subrev_nc_u32_e32 v7, 28, v6
	v_dual_lshlrev_b32 v4, v7, v4 :: v_dual_sub_nc_u32 v6, 29, v6
	s_delay_alu instid0(VALU_DEP_1) | instskip(NEXT) | instid1(VALU_DEP_1)
	v_dual_lshlrev_b32 v3, 24, v3 :: v_dual_bitop2_b32 v4, 7, v4 bitop3:0x40
	v_dual_cndmask_b32 v6, v8, v6, vcc_lo :: v_dual_cndmask_b32 v4, v5, v4, vcc_lo
	s_delay_alu instid0(VALU_DEP_2) | instskip(NEXT) | instid1(VALU_DEP_2)
	v_and_b32_e32 v3, 0x80000000, v3
	v_lshl_add_u32 v5, v6, 23, 0x3b800000
	s_delay_alu instid0(VALU_DEP_3) | instskip(NEXT) | instid1(VALU_DEP_1)
	v_lshlrev_b32_e32 v4, 20, v4
	v_or3_b32 v3, v3, v5, v4
	s_delay_alu instid0(VALU_DEP_1) | instskip(NEXT) | instid1(VALU_DEP_1)
	v_trunc_f32_e32 v3, v3
	v_mul_f32_e64 v4, 0x2f800000, |v3|
	s_delay_alu instid0(VALU_DEP_1) | instskip(NEXT) | instid1(VALU_DEP_1)
	v_floor_f32_e32 v4, v4
	v_fma_f32 v4, 0xcf800000, v4, |v3|
	v_ashrrev_i32_e32 v3, 31, v3
	s_delay_alu instid0(VALU_DEP_2) | instskip(NEXT) | instid1(VALU_DEP_1)
	v_cvt_u32_f32_e32 v4, v4
	v_xor_b32_e32 v4, v4, v3
	s_delay_alu instid0(VALU_DEP_1)
	v_sub_nc_u32_e32 v6, v4, v3
.LBB6_1567:
	s_or_b32 exec_lo, exec_lo, s17
.LBB6_1568:
	s_mov_b32 s17, -1
.LBB6_1569:
	s_branch .LBB6_1599
.LBB6_1570:
	s_cmp_gt_i32 s12, 22
	s_cbranch_scc0 .LBB6_1578
; %bb.1571:
	s_cmp_lt_i32 s12, 24
	s_cbranch_scc1 .LBB6_1581
; %bb.1572:
	s_cmp_gt_i32 s12, 24
	s_cbranch_scc0 .LBB6_1582
; %bb.1573:
	global_load_u8 v3, v[0:1], off
	s_mov_b32 s17, 0
	s_mov_b32 s16, exec_lo
	s_wait_loadcnt 0x0
	v_cmpx_lt_i16_e32 0x7f, v3
	s_xor_b32 s16, exec_lo, s16
	s_cbranch_execz .LBB6_1593
; %bb.1574:
	v_cmp_ne_u16_e32 vcc_lo, 0x80, v3
	s_and_b32 s17, vcc_lo, exec_lo
	s_and_not1_saveexec_b32 s16, s16
	s_cbranch_execnz .LBB6_1594
.LBB6_1575:
	s_or_b32 exec_lo, exec_lo, s16
	v_mov_b32_e32 v6, 0
	s_and_saveexec_b32 s16, s17
	s_cbranch_execz .LBB6_1577
.LBB6_1576:
	v_and_b32_e32 v4, 0xffff, v3
	s_delay_alu instid0(VALU_DEP_1) | instskip(SKIP_1) | instid1(VALU_DEP_2)
	v_and_b32_e32 v5, 3, v4
	v_bfe_u32 v8, v4, 2, 5
	v_clz_i32_u32_e32 v6, v5
	s_delay_alu instid0(VALU_DEP_2) | instskip(NEXT) | instid1(VALU_DEP_2)
	v_cmp_eq_u32_e32 vcc_lo, 0, v8
	v_min_u32_e32 v6, 32, v6
	s_delay_alu instid0(VALU_DEP_1) | instskip(NEXT) | instid1(VALU_DEP_1)
	v_subrev_nc_u32_e32 v7, 29, v6
	v_dual_lshlrev_b32 v4, v7, v4 :: v_dual_sub_nc_u32 v6, 30, v6
	s_delay_alu instid0(VALU_DEP_1) | instskip(NEXT) | instid1(VALU_DEP_1)
	v_dual_lshlrev_b32 v3, 24, v3 :: v_dual_bitop2_b32 v4, 3, v4 bitop3:0x40
	v_dual_cndmask_b32 v6, v8, v6, vcc_lo :: v_dual_cndmask_b32 v4, v5, v4, vcc_lo
	s_delay_alu instid0(VALU_DEP_2) | instskip(NEXT) | instid1(VALU_DEP_2)
	v_and_b32_e32 v3, 0x80000000, v3
	v_lshl_add_u32 v5, v6, 23, 0x37800000
	s_delay_alu instid0(VALU_DEP_3) | instskip(NEXT) | instid1(VALU_DEP_1)
	v_lshlrev_b32_e32 v4, 21, v4
	v_or3_b32 v3, v3, v5, v4
	s_delay_alu instid0(VALU_DEP_1) | instskip(NEXT) | instid1(VALU_DEP_1)
	v_trunc_f32_e32 v3, v3
	v_mul_f32_e64 v4, 0x2f800000, |v3|
	s_delay_alu instid0(VALU_DEP_1) | instskip(NEXT) | instid1(VALU_DEP_1)
	v_floor_f32_e32 v4, v4
	v_fma_f32 v4, 0xcf800000, v4, |v3|
	v_ashrrev_i32_e32 v3, 31, v3
	s_delay_alu instid0(VALU_DEP_2) | instskip(NEXT) | instid1(VALU_DEP_1)
	v_cvt_u32_f32_e32 v4, v4
	v_xor_b32_e32 v4, v4, v3
	s_delay_alu instid0(VALU_DEP_1)
	v_sub_nc_u32_e32 v6, v4, v3
.LBB6_1577:
	s_or_b32 exec_lo, exec_lo, s16
	s_mov_b32 s16, 0
	s_branch .LBB6_1583
.LBB6_1578:
                                        ; implicit-def: $vgpr6
	s_mov_b32 s16, 0
	s_branch .LBB6_1589
.LBB6_1579:
	s_and_not1_saveexec_b32 s17, s17
	s_cbranch_execz .LBB6_1565
.LBB6_1580:
	v_cmp_ne_u16_e32 vcc_lo, 0, v3
	s_and_not1_b32 s18, s18, exec_lo
	s_and_b32 s19, vcc_lo, exec_lo
	s_delay_alu instid0(SALU_CYCLE_1)
	s_or_b32 s18, s18, s19
	s_or_b32 exec_lo, exec_lo, s17
	v_mov_b32_e32 v6, 0
	s_and_saveexec_b32 s17, s18
	s_cbranch_execnz .LBB6_1566
	s_branch .LBB6_1567
.LBB6_1581:
	s_mov_b32 s16, -1
                                        ; implicit-def: $vgpr6
	s_branch .LBB6_1586
.LBB6_1582:
	s_mov_b32 s16, -1
                                        ; implicit-def: $vgpr6
.LBB6_1583:
	s_delay_alu instid0(SALU_CYCLE_1)
	s_and_b32 vcc_lo, exec_lo, s16
	s_cbranch_vccz .LBB6_1585
; %bb.1584:
	global_load_u8 v3, v[0:1], off
	s_wait_loadcnt 0x0
	v_lshlrev_b32_e32 v3, 24, v3
	s_delay_alu instid0(VALU_DEP_1) | instskip(NEXT) | instid1(VALU_DEP_1)
	v_and_b32_e32 v4, 0x7f000000, v3
	v_clz_i32_u32_e32 v5, v4
	v_cmp_ne_u32_e32 vcc_lo, 0, v4
	v_add_nc_u32_e32 v7, 0x1000000, v4
	s_delay_alu instid0(VALU_DEP_3) | instskip(NEXT) | instid1(VALU_DEP_1)
	v_min_u32_e32 v5, 32, v5
	v_sub_nc_u32_e64 v5, v5, 4 clamp
	s_delay_alu instid0(VALU_DEP_1) | instskip(NEXT) | instid1(VALU_DEP_1)
	v_dual_lshlrev_b32 v6, v5, v4 :: v_dual_lshlrev_b32 v5, 23, v5
	v_lshrrev_b32_e32 v6, 4, v6
	s_delay_alu instid0(VALU_DEP_1) | instskip(NEXT) | instid1(VALU_DEP_1)
	v_dual_sub_nc_u32 v5, v6, v5 :: v_dual_ashrrev_i32 v6, 8, v7
	v_add_nc_u32_e32 v5, 0x3c000000, v5
	s_delay_alu instid0(VALU_DEP_1) | instskip(NEXT) | instid1(VALU_DEP_1)
	v_and_or_b32 v5, 0x7f800000, v6, v5
	v_cndmask_b32_e32 v4, 0, v5, vcc_lo
	s_delay_alu instid0(VALU_DEP_1) | instskip(NEXT) | instid1(VALU_DEP_1)
	v_and_or_b32 v3, 0x80000000, v3, v4
	v_trunc_f32_e32 v3, v3
	s_delay_alu instid0(VALU_DEP_1) | instskip(NEXT) | instid1(VALU_DEP_1)
	v_mul_f32_e64 v4, 0x2f800000, |v3|
	v_floor_f32_e32 v4, v4
	s_delay_alu instid0(VALU_DEP_1) | instskip(SKIP_1) | instid1(VALU_DEP_2)
	v_fma_f32 v4, 0xcf800000, v4, |v3|
	v_ashrrev_i32_e32 v3, 31, v3
	v_cvt_u32_f32_e32 v4, v4
	s_delay_alu instid0(VALU_DEP_1) | instskip(NEXT) | instid1(VALU_DEP_1)
	v_xor_b32_e32 v4, v4, v3
	v_sub_nc_u32_e32 v6, v4, v3
.LBB6_1585:
	s_mov_b32 s16, 0
.LBB6_1586:
	s_delay_alu instid0(SALU_CYCLE_1)
	s_and_not1_b32 vcc_lo, exec_lo, s16
	s_cbranch_vccnz .LBB6_1588
; %bb.1587:
	global_load_u8 v3, v[0:1], off
	s_wait_loadcnt 0x0
	v_lshlrev_b32_e32 v4, 25, v3
	v_lshlrev_b16 v3, 8, v3
	s_delay_alu instid0(VALU_DEP_1) | instskip(SKIP_1) | instid1(VALU_DEP_2)
	v_and_or_b32 v6, 0x7f00, v3, 0.5
	v_bfe_i32 v3, v3, 0, 16
	v_dual_add_f32 v6, -0.5, v6 :: v_dual_lshrrev_b32 v5, 4, v4
	v_cmp_gt_u32_e32 vcc_lo, 0x8000000, v4
	s_delay_alu instid0(VALU_DEP_2) | instskip(NEXT) | instid1(VALU_DEP_1)
	v_or_b32_e32 v5, 0x70000000, v5
	v_mul_f32_e32 v5, 0x7800000, v5
	s_delay_alu instid0(VALU_DEP_1) | instskip(NEXT) | instid1(VALU_DEP_1)
	v_cndmask_b32_e32 v4, v5, v6, vcc_lo
	v_and_or_b32 v3, 0x80000000, v3, v4
	s_delay_alu instid0(VALU_DEP_1) | instskip(NEXT) | instid1(VALU_DEP_1)
	v_trunc_f32_e32 v3, v3
	v_mul_f32_e64 v4, 0x2f800000, |v3|
	s_delay_alu instid0(VALU_DEP_1) | instskip(NEXT) | instid1(VALU_DEP_1)
	v_floor_f32_e32 v4, v4
	v_fma_f32 v4, 0xcf800000, v4, |v3|
	v_ashrrev_i32_e32 v3, 31, v3
	s_delay_alu instid0(VALU_DEP_2) | instskip(NEXT) | instid1(VALU_DEP_1)
	v_cvt_u32_f32_e32 v4, v4
	v_xor_b32_e32 v4, v4, v3
	s_delay_alu instid0(VALU_DEP_1)
	v_sub_nc_u32_e32 v6, v4, v3
.LBB6_1588:
	s_mov_b32 s17, -1
	s_mov_b32 s16, 0
	s_cbranch_execnz .LBB6_1599
.LBB6_1589:
	s_cmp_gt_i32 s12, 14
	s_cbranch_scc0 .LBB6_1592
; %bb.1590:
	s_cmp_eq_u32 s12, 15
	s_cbranch_scc0 .LBB6_1595
; %bb.1591:
	global_load_u16 v3, v[0:1], off
	s_mov_b32 s13, 0
	s_mov_b32 s17, -1
	s_wait_loadcnt 0x0
	v_lshlrev_b32_e32 v3, 16, v3
	s_delay_alu instid0(VALU_DEP_1) | instskip(NEXT) | instid1(VALU_DEP_1)
	v_trunc_f32_e32 v3, v3
	v_mul_f32_e64 v4, 0x2f800000, |v3|
	s_delay_alu instid0(VALU_DEP_1) | instskip(NEXT) | instid1(VALU_DEP_1)
	v_floor_f32_e32 v4, v4
	v_fma_f32 v4, 0xcf800000, v4, |v3|
	v_ashrrev_i32_e32 v3, 31, v3
	s_delay_alu instid0(VALU_DEP_2) | instskip(NEXT) | instid1(VALU_DEP_1)
	v_cvt_u32_f32_e32 v4, v4
	v_xor_b32_e32 v4, v4, v3
	s_delay_alu instid0(VALU_DEP_1)
	v_sub_nc_u32_e32 v6, v4, v3
	s_branch .LBB6_1597
.LBB6_1592:
	s_mov_b32 s16, -1
	s_branch .LBB6_1596
.LBB6_1593:
	s_and_not1_saveexec_b32 s16, s16
	s_cbranch_execz .LBB6_1575
.LBB6_1594:
	v_cmp_ne_u16_e32 vcc_lo, 0, v3
	s_and_not1_b32 s17, s17, exec_lo
	s_and_b32 s18, vcc_lo, exec_lo
	s_delay_alu instid0(SALU_CYCLE_1)
	s_or_b32 s17, s17, s18
	s_or_b32 exec_lo, exec_lo, s16
	v_mov_b32_e32 v6, 0
	s_and_saveexec_b32 s16, s17
	s_cbranch_execnz .LBB6_1576
	s_branch .LBB6_1577
.LBB6_1595:
	s_mov_b32 s13, -1
.LBB6_1596:
                                        ; implicit-def: $vgpr6
.LBB6_1597:
	s_and_b32 vcc_lo, exec_lo, s16
	s_mov_b32 s16, 0
	s_cbranch_vccz .LBB6_1599
; %bb.1598:
	s_cmp_lg_u32 s12, 11
	s_mov_b32 s16, -1
	s_cselect_b32 s13, -1, 0
.LBB6_1599:
	s_delay_alu instid0(SALU_CYCLE_1)
	s_and_b32 vcc_lo, exec_lo, s13
	s_mov_b32 s12, s15
	s_cbranch_vccnz .LBB6_1660
; %bb.1600:
	s_and_not1_b32 vcc_lo, exec_lo, s16
	s_cbranch_vccnz .LBB6_1602
.LBB6_1601:
	global_load_u8 v3, v[0:1], off
	s_mov_b32 s17, -1
	s_wait_loadcnt 0x0
	v_cmp_ne_u16_e32 vcc_lo, 0, v3
	v_cndmask_b32_e64 v6, 0, 1, vcc_lo
.LBB6_1602:
	s_branch .LBB6_1536
.LBB6_1603:
	s_and_b32 s13, 0xffff, s0
	s_delay_alu instid0(SALU_CYCLE_1)
	s_cmp_lt_i32 s13, 5
	s_cbranch_scc1 .LBB6_1608
; %bb.1604:
	s_cmp_lt_i32 s13, 8
	s_cbranch_scc1 .LBB6_1609
; %bb.1605:
	;; [unrolled: 3-line block ×3, first 2 shown]
	s_cmp_gt_i32 s13, 9
	s_cbranch_scc0 .LBB6_1611
; %bb.1607:
	global_load_b64 v[4:5], v[0:1], off
	s_mov_b32 s16, 0
	s_wait_loadcnt 0x0
	v_trunc_f64_e32 v[4:5], v[4:5]
	s_delay_alu instid0(VALU_DEP_1) | instskip(NEXT) | instid1(VALU_DEP_1)
	v_ldexp_f64 v[6:7], v[4:5], 0xffffffe0
	v_floor_f64_e32 v[6:7], v[6:7]
	s_delay_alu instid0(VALU_DEP_1) | instskip(NEXT) | instid1(VALU_DEP_1)
	v_fmamk_f64 v[4:5], v[6:7], 0xc1f00000, v[4:5]
	v_cvt_u32_f64_e32 v6, v[4:5]
	s_branch .LBB6_1612
.LBB6_1608:
                                        ; implicit-def: $vgpr6
	s_branch .LBB6_1629
.LBB6_1609:
                                        ; implicit-def: $vgpr6
	s_branch .LBB6_1618
.LBB6_1610:
	s_mov_b32 s16, -1
                                        ; implicit-def: $vgpr6
	s_branch .LBB6_1615
.LBB6_1611:
	s_mov_b32 s16, -1
                                        ; implicit-def: $vgpr6
.LBB6_1612:
	s_delay_alu instid0(SALU_CYCLE_1)
	s_and_not1_b32 vcc_lo, exec_lo, s16
	s_cbranch_vccnz .LBB6_1614
; %bb.1613:
	global_load_b32 v3, v[0:1], off
	s_wait_loadcnt 0x0
	v_trunc_f32_e32 v3, v3
	s_delay_alu instid0(VALU_DEP_1) | instskip(NEXT) | instid1(VALU_DEP_1)
	v_mul_f32_e64 v4, 0x2f800000, |v3|
	v_floor_f32_e32 v4, v4
	s_delay_alu instid0(VALU_DEP_1) | instskip(SKIP_1) | instid1(VALU_DEP_2)
	v_fma_f32 v4, 0xcf800000, v4, |v3|
	v_ashrrev_i32_e32 v3, 31, v3
	v_cvt_u32_f32_e32 v4, v4
	s_delay_alu instid0(VALU_DEP_1) | instskip(NEXT) | instid1(VALU_DEP_1)
	v_xor_b32_e32 v4, v4, v3
	v_sub_nc_u32_e32 v6, v4, v3
.LBB6_1614:
	s_mov_b32 s16, 0
.LBB6_1615:
	s_delay_alu instid0(SALU_CYCLE_1)
	s_and_not1_b32 vcc_lo, exec_lo, s16
	s_cbranch_vccnz .LBB6_1617
; %bb.1616:
	global_load_b32 v3, v[0:1], off
	s_wait_loadcnt 0x0
	v_cvt_f32_f16_e32 v3, v3
	s_delay_alu instid0(VALU_DEP_1)
	v_cvt_i32_f32_e32 v6, v3
.LBB6_1617:
	s_cbranch_execnz .LBB6_1628
.LBB6_1618:
	s_cmp_lt_i32 s13, 6
	s_cbranch_scc1 .LBB6_1621
; %bb.1619:
	s_cmp_gt_i32 s13, 6
	s_cbranch_scc0 .LBB6_1622
; %bb.1620:
	global_load_b64 v[4:5], v[0:1], off
	s_mov_b32 s16, 0
	s_wait_loadcnt 0x0
	v_trunc_f64_e32 v[4:5], v[4:5]
	s_delay_alu instid0(VALU_DEP_1) | instskip(NEXT) | instid1(VALU_DEP_1)
	v_ldexp_f64 v[6:7], v[4:5], 0xffffffe0
	v_floor_f64_e32 v[6:7], v[6:7]
	s_delay_alu instid0(VALU_DEP_1) | instskip(NEXT) | instid1(VALU_DEP_1)
	v_fmamk_f64 v[4:5], v[6:7], 0xc1f00000, v[4:5]
	v_cvt_u32_f64_e32 v6, v[4:5]
	s_branch .LBB6_1623
.LBB6_1621:
	s_mov_b32 s16, -1
                                        ; implicit-def: $vgpr6
	s_branch .LBB6_1626
.LBB6_1622:
	s_mov_b32 s16, -1
                                        ; implicit-def: $vgpr6
.LBB6_1623:
	s_delay_alu instid0(SALU_CYCLE_1)
	s_and_not1_b32 vcc_lo, exec_lo, s16
	s_cbranch_vccnz .LBB6_1625
; %bb.1624:
	global_load_b32 v3, v[0:1], off
	s_wait_loadcnt 0x0
	v_trunc_f32_e32 v3, v3
	s_delay_alu instid0(VALU_DEP_1) | instskip(NEXT) | instid1(VALU_DEP_1)
	v_mul_f32_e64 v4, 0x2f800000, |v3|
	v_floor_f32_e32 v4, v4
	s_delay_alu instid0(VALU_DEP_1) | instskip(SKIP_1) | instid1(VALU_DEP_2)
	v_fma_f32 v4, 0xcf800000, v4, |v3|
	v_ashrrev_i32_e32 v3, 31, v3
	v_cvt_u32_f32_e32 v4, v4
	s_delay_alu instid0(VALU_DEP_1) | instskip(NEXT) | instid1(VALU_DEP_1)
	v_xor_b32_e32 v4, v4, v3
	v_sub_nc_u32_e32 v6, v4, v3
.LBB6_1625:
	s_mov_b32 s16, 0
.LBB6_1626:
	s_delay_alu instid0(SALU_CYCLE_1)
	s_and_not1_b32 vcc_lo, exec_lo, s16
	s_cbranch_vccnz .LBB6_1628
; %bb.1627:
	global_load_u16 v3, v[0:1], off
	s_wait_loadcnt 0x0
	v_cvt_f32_f16_e32 v3, v3
	s_delay_alu instid0(VALU_DEP_1)
	v_cvt_i32_f32_e32 v6, v3
.LBB6_1628:
	s_cbranch_execnz .LBB6_1647
.LBB6_1629:
	s_cmp_lt_i32 s13, 2
	s_cbranch_scc1 .LBB6_1633
; %bb.1630:
	s_cmp_lt_i32 s13, 3
	s_cbranch_scc1 .LBB6_1634
; %bb.1631:
	s_cmp_gt_i32 s13, 3
	s_cbranch_scc0 .LBB6_1635
; %bb.1632:
	s_wait_loadcnt 0x0
	global_load_b64 v[6:7], v[0:1], off
	s_mov_b32 s16, 0
	s_branch .LBB6_1636
.LBB6_1633:
                                        ; implicit-def: $vgpr6
	s_branch .LBB6_1642
.LBB6_1634:
	s_mov_b32 s16, -1
                                        ; implicit-def: $vgpr6
	s_branch .LBB6_1639
.LBB6_1635:
	s_mov_b32 s16, -1
                                        ; implicit-def: $vgpr6
.LBB6_1636:
	s_delay_alu instid0(SALU_CYCLE_1)
	s_and_not1_b32 vcc_lo, exec_lo, s16
	s_cbranch_vccnz .LBB6_1638
; %bb.1637:
	s_wait_loadcnt 0x0
	global_load_b32 v6, v[0:1], off
.LBB6_1638:
	s_mov_b32 s16, 0
.LBB6_1639:
	s_delay_alu instid0(SALU_CYCLE_1)
	s_and_not1_b32 vcc_lo, exec_lo, s16
	s_cbranch_vccnz .LBB6_1641
; %bb.1640:
	s_wait_loadcnt 0x0
	global_load_u16 v6, v[0:1], off
.LBB6_1641:
	s_cbranch_execnz .LBB6_1647
.LBB6_1642:
	s_cmp_gt_i32 s13, 0
	s_mov_b32 s13, 0
	s_cbranch_scc0 .LBB6_1644
; %bb.1643:
	s_wait_loadcnt 0x0
	global_load_u8 v6, v[0:1], off
	s_branch .LBB6_1645
.LBB6_1644:
	s_mov_b32 s13, -1
                                        ; implicit-def: $vgpr6
.LBB6_1645:
	s_delay_alu instid0(SALU_CYCLE_1)
	s_and_not1_b32 vcc_lo, exec_lo, s13
	s_cbranch_vccnz .LBB6_1647
; %bb.1646:
	s_wait_loadcnt 0x0
	global_load_u8 v6, v[0:1], off
.LBB6_1647:
.LBB6_1648:
	v_mul_lo_u32 v4, s10, v14
	s_and_b32 s1, s1, 0xff
	s_delay_alu instid0(SALU_CYCLE_1) | instskip(NEXT) | instid1(VALU_DEP_1)
	s_cmp_lt_i32 s1, 11
	v_ashrrev_i32_e32 v5, 31, v4
	s_delay_alu instid0(VALU_DEP_1)
	v_add_nc_u64_e32 v[8:9], s[2:3], v[4:5]
	s_cbranch_scc1 .LBB6_1655
; %bb.1649:
	s_and_b32 s13, 0xffff, s1
	s_mov_b32 s17, 0
	s_cmp_gt_i32 s13, 25
	s_cbranch_scc0 .LBB6_1657
; %bb.1650:
	s_cmp_gt_i32 s13, 28
	s_cbranch_scc0 .LBB6_1658
; %bb.1651:
	;; [unrolled: 3-line block ×4, first 2 shown]
	s_cmp_eq_u32 s13, 46
	s_mov_b32 s19, 0
	s_cbranch_scc0 .LBB6_1664
; %bb.1654:
	global_load_b32 v0, v[8:9], off
	s_mov_b32 s16, 0
	s_mov_b32 s18, -1
	s_wait_loadcnt 0x0
	v_lshlrev_b32_e32 v0, 16, v0
	s_delay_alu instid0(VALU_DEP_1) | instskip(NEXT) | instid1(VALU_DEP_1)
	v_trunc_f32_e32 v0, v0
	v_mul_f32_e64 v1, 0x2f800000, |v0|
	s_delay_alu instid0(VALU_DEP_1) | instskip(NEXT) | instid1(VALU_DEP_1)
	v_floor_f32_e32 v1, v1
	v_fma_f32 v1, 0xcf800000, v1, |v0|
	v_ashrrev_i32_e32 v0, 31, v0
	s_delay_alu instid0(VALU_DEP_2) | instskip(NEXT) | instid1(VALU_DEP_1)
	v_cvt_u32_f32_e32 v1, v1
	v_xor_b32_e32 v1, v1, v0
	s_delay_alu instid0(VALU_DEP_1)
	v_sub_nc_u32_e32 v0, v1, v0
	s_branch .LBB6_1666
.LBB6_1655:
	s_mov_b32 s18, 0
                                        ; implicit-def: $vgpr0
	s_cbranch_execnz .LBB6_1727
.LBB6_1656:
	s_and_not1_b32 vcc_lo, exec_lo, s18
	s_cbranch_vccnz .LBB6_2627
	s_branch .LBB6_1774
.LBB6_1657:
	s_mov_b32 s18, 0
	s_mov_b32 s16, 0
                                        ; implicit-def: $vgpr0
	s_cbranch_execnz .LBB6_1693
	s_branch .LBB6_1723
.LBB6_1658:
	s_mov_b32 s19, -1
	s_mov_b32 s18, 0
	s_mov_b32 s16, 0
                                        ; implicit-def: $vgpr0
	s_branch .LBB6_1676
.LBB6_1659:
	s_mov_b32 s19, -1
	s_mov_b32 s18, 0
	s_mov_b32 s16, 0
                                        ; implicit-def: $vgpr0
	s_branch .LBB6_1671
.LBB6_1660:
	s_or_b32 s12, s15, exec_lo
	s_trap 2
	s_cbranch_execz .LBB6_1601
	s_branch .LBB6_1602
.LBB6_1661:
	s_mov_b32 s19, -1
	s_mov_b32 s18, 0
	s_mov_b32 s16, 0
	s_branch .LBB6_1665
.LBB6_1662:
	s_and_not1_saveexec_b32 s23, s23
	s_cbranch_execz .LBB6_1452
.LBB6_1663:
	v_add_f32_e32 v0, 0x42800000, v1
	s_and_not1_b32 s22, s22, exec_lo
	s_delay_alu instid0(VALU_DEP_1) | instskip(NEXT) | instid1(VALU_DEP_1)
	v_and_b32_e32 v0, 0xff, v0
	v_cmp_ne_u32_e32 vcc_lo, 0, v0
	s_and_b32 s24, vcc_lo, exec_lo
	s_delay_alu instid0(SALU_CYCLE_1)
	s_or_b32 s22, s22, s24
	s_or_b32 exec_lo, exec_lo, s23
	v_mov_b32_e32 v3, 0
	s_and_saveexec_b32 s23, s22
	s_cbranch_execnz .LBB6_1453
	s_branch .LBB6_1454
.LBB6_1664:
	s_mov_b32 s16, -1
	s_mov_b32 s18, 0
.LBB6_1665:
                                        ; implicit-def: $vgpr0
.LBB6_1666:
	s_and_b32 vcc_lo, exec_lo, s19
	s_cbranch_vccz .LBB6_1670
; %bb.1667:
	s_cmp_eq_u32 s13, 44
	s_cbranch_scc0 .LBB6_1669
; %bb.1668:
	global_load_u8 v0, v[8:9], off
	s_mov_b32 s16, 0
	s_mov_b32 s18, -1
	s_wait_loadcnt 0x0
	v_lshlrev_b32_e32 v1, 23, v0
	v_cmp_ne_u32_e32 vcc_lo, 0, v0
	s_delay_alu instid0(VALU_DEP_2) | instskip(NEXT) | instid1(VALU_DEP_1)
	v_trunc_f32_e32 v1, v1
	v_mul_f32_e64 v3, 0x2f800000, |v1|
	s_delay_alu instid0(VALU_DEP_1) | instskip(NEXT) | instid1(VALU_DEP_1)
	v_floor_f32_e32 v3, v3
	v_fma_f32 v3, 0xcf800000, v3, |v1|
	v_ashrrev_i32_e32 v1, 31, v1
	s_delay_alu instid0(VALU_DEP_2) | instskip(NEXT) | instid1(VALU_DEP_1)
	v_cvt_u32_f32_e32 v3, v3
	v_xor_b32_e32 v3, v3, v1
	s_delay_alu instid0(VALU_DEP_1) | instskip(NEXT) | instid1(VALU_DEP_1)
	v_sub_nc_u32_e32 v1, v3, v1
	v_cndmask_b32_e32 v0, 0, v1, vcc_lo
	s_branch .LBB6_1670
.LBB6_1669:
	s_mov_b32 s16, -1
                                        ; implicit-def: $vgpr0
.LBB6_1670:
	s_mov_b32 s19, 0
.LBB6_1671:
	s_delay_alu instid0(SALU_CYCLE_1)
	s_and_b32 vcc_lo, exec_lo, s19
	s_cbranch_vccz .LBB6_1675
; %bb.1672:
	s_cmp_eq_u32 s13, 29
	s_cbranch_scc0 .LBB6_1674
; %bb.1673:
	global_load_b64 v[0:1], v[8:9], off
	s_mov_b32 s16, 0
	s_mov_b32 s18, -1
	s_branch .LBB6_1675
.LBB6_1674:
	s_mov_b32 s16, -1
                                        ; implicit-def: $vgpr0
.LBB6_1675:
	s_mov_b32 s19, 0
.LBB6_1676:
	s_delay_alu instid0(SALU_CYCLE_1)
	s_and_b32 vcc_lo, exec_lo, s19
	s_cbranch_vccz .LBB6_1692
; %bb.1677:
	s_cmp_lt_i32 s13, 27
	s_cbranch_scc1 .LBB6_1680
; %bb.1678:
	s_cmp_gt_i32 s13, 27
	s_cbranch_scc0 .LBB6_1681
; %bb.1679:
	s_wait_loadcnt 0x0
	global_load_b32 v0, v[8:9], off
	s_mov_b32 s18, 0
	s_branch .LBB6_1682
.LBB6_1680:
	s_mov_b32 s18, -1
                                        ; implicit-def: $vgpr0
	s_branch .LBB6_1685
.LBB6_1681:
	s_mov_b32 s18, -1
                                        ; implicit-def: $vgpr0
.LBB6_1682:
	s_delay_alu instid0(SALU_CYCLE_1)
	s_and_not1_b32 vcc_lo, exec_lo, s18
	s_cbranch_vccnz .LBB6_1684
; %bb.1683:
	s_wait_loadcnt 0x0
	global_load_u16 v0, v[8:9], off
.LBB6_1684:
	s_mov_b32 s18, 0
.LBB6_1685:
	s_delay_alu instid0(SALU_CYCLE_1)
	s_and_not1_b32 vcc_lo, exec_lo, s18
	s_cbranch_vccnz .LBB6_1691
; %bb.1686:
	s_wait_loadcnt 0x0
	global_load_u8 v1, v[8:9], off
	s_mov_b32 s19, 0
	s_mov_b32 s18, exec_lo
	s_wait_loadcnt 0x0
	v_cmpx_lt_i16_e32 0x7f, v1
	s_xor_b32 s18, exec_lo, s18
	s_cbranch_execz .LBB6_1702
; %bb.1687:
	v_cmp_ne_u16_e32 vcc_lo, 0x80, v1
	s_and_b32 s19, vcc_lo, exec_lo
	s_and_not1_saveexec_b32 s18, s18
	s_cbranch_execnz .LBB6_1703
.LBB6_1688:
	s_or_b32 exec_lo, exec_lo, s18
	v_mov_b32_e32 v0, 0
	s_and_saveexec_b32 s18, s19
	s_cbranch_execz .LBB6_1690
.LBB6_1689:
	v_and_b32_e32 v0, 0xffff, v1
	s_delay_alu instid0(VALU_DEP_1) | instskip(SKIP_1) | instid1(VALU_DEP_2)
	v_and_b32_e32 v3, 7, v0
	v_bfe_u32 v10, v0, 3, 4
	v_clz_i32_u32_e32 v5, v3
	s_delay_alu instid0(VALU_DEP_2) | instskip(NEXT) | instid1(VALU_DEP_2)
	v_cmp_eq_u32_e32 vcc_lo, 0, v10
	v_min_u32_e32 v5, 32, v5
	s_delay_alu instid0(VALU_DEP_1) | instskip(NEXT) | instid1(VALU_DEP_1)
	v_subrev_nc_u32_e32 v7, 28, v5
	v_dual_lshlrev_b32 v0, v7, v0 :: v_dual_sub_nc_u32 v5, 29, v5
	s_delay_alu instid0(VALU_DEP_1) | instskip(NEXT) | instid1(VALU_DEP_1)
	v_dual_lshlrev_b32 v1, 24, v1 :: v_dual_bitop2_b32 v0, 7, v0 bitop3:0x40
	v_dual_cndmask_b32 v0, v3, v0 :: v_dual_cndmask_b32 v5, v10, v5
	s_delay_alu instid0(VALU_DEP_2) | instskip(NEXT) | instid1(VALU_DEP_2)
	v_and_b32_e32 v1, 0x80000000, v1
	v_lshlrev_b32_e32 v0, 20, v0
	s_delay_alu instid0(VALU_DEP_3) | instskip(NEXT) | instid1(VALU_DEP_1)
	v_lshl_add_u32 v3, v5, 23, 0x3b800000
	v_or3_b32 v0, v1, v3, v0
	s_delay_alu instid0(VALU_DEP_1) | instskip(NEXT) | instid1(VALU_DEP_1)
	v_trunc_f32_e32 v0, v0
	v_mul_f32_e64 v1, 0x2f800000, |v0|
	s_delay_alu instid0(VALU_DEP_1) | instskip(NEXT) | instid1(VALU_DEP_1)
	v_floor_f32_e32 v1, v1
	v_fma_f32 v1, 0xcf800000, v1, |v0|
	v_ashrrev_i32_e32 v0, 31, v0
	s_delay_alu instid0(VALU_DEP_2) | instskip(NEXT) | instid1(VALU_DEP_1)
	v_cvt_u32_f32_e32 v1, v1
	v_xor_b32_e32 v1, v1, v0
	s_delay_alu instid0(VALU_DEP_1)
	v_sub_nc_u32_e32 v0, v1, v0
.LBB6_1690:
	s_or_b32 exec_lo, exec_lo, s18
.LBB6_1691:
	s_mov_b32 s18, -1
.LBB6_1692:
	s_branch .LBB6_1723
.LBB6_1693:
	s_cmp_gt_i32 s13, 22
	s_cbranch_scc0 .LBB6_1701
; %bb.1694:
	s_cmp_lt_i32 s13, 24
	s_cbranch_scc1 .LBB6_1704
; %bb.1695:
	s_cmp_gt_i32 s13, 24
	s_cbranch_scc0 .LBB6_1705
; %bb.1696:
	s_wait_loadcnt 0x0
	global_load_u8 v1, v[8:9], off
	s_mov_b32 s18, 0
	s_mov_b32 s17, exec_lo
	s_wait_loadcnt 0x0
	v_cmpx_lt_i16_e32 0x7f, v1
	s_xor_b32 s17, exec_lo, s17
	s_cbranch_execz .LBB6_1717
; %bb.1697:
	v_cmp_ne_u16_e32 vcc_lo, 0x80, v1
	s_and_b32 s18, vcc_lo, exec_lo
	s_and_not1_saveexec_b32 s17, s17
	s_cbranch_execnz .LBB6_1718
.LBB6_1698:
	s_or_b32 exec_lo, exec_lo, s17
	v_mov_b32_e32 v0, 0
	s_and_saveexec_b32 s17, s18
	s_cbranch_execz .LBB6_1700
.LBB6_1699:
	v_and_b32_e32 v0, 0xffff, v1
	s_delay_alu instid0(VALU_DEP_1) | instskip(SKIP_1) | instid1(VALU_DEP_2)
	v_and_b32_e32 v3, 3, v0
	v_bfe_u32 v10, v0, 2, 5
	v_clz_i32_u32_e32 v5, v3
	s_delay_alu instid0(VALU_DEP_2) | instskip(NEXT) | instid1(VALU_DEP_2)
	v_cmp_eq_u32_e32 vcc_lo, 0, v10
	v_min_u32_e32 v5, 32, v5
	s_delay_alu instid0(VALU_DEP_1) | instskip(NEXT) | instid1(VALU_DEP_1)
	v_subrev_nc_u32_e32 v7, 29, v5
	v_dual_lshlrev_b32 v0, v7, v0 :: v_dual_sub_nc_u32 v5, 30, v5
	s_delay_alu instid0(VALU_DEP_1) | instskip(NEXT) | instid1(VALU_DEP_1)
	v_dual_lshlrev_b32 v1, 24, v1 :: v_dual_bitop2_b32 v0, 3, v0 bitop3:0x40
	v_dual_cndmask_b32 v0, v3, v0 :: v_dual_cndmask_b32 v5, v10, v5
	s_delay_alu instid0(VALU_DEP_2) | instskip(NEXT) | instid1(VALU_DEP_2)
	v_and_b32_e32 v1, 0x80000000, v1
	v_lshlrev_b32_e32 v0, 21, v0
	s_delay_alu instid0(VALU_DEP_3) | instskip(NEXT) | instid1(VALU_DEP_1)
	v_lshl_add_u32 v3, v5, 23, 0x37800000
	v_or3_b32 v0, v1, v3, v0
	s_delay_alu instid0(VALU_DEP_1) | instskip(NEXT) | instid1(VALU_DEP_1)
	v_trunc_f32_e32 v0, v0
	v_mul_f32_e64 v1, 0x2f800000, |v0|
	s_delay_alu instid0(VALU_DEP_1) | instskip(NEXT) | instid1(VALU_DEP_1)
	v_floor_f32_e32 v1, v1
	v_fma_f32 v1, 0xcf800000, v1, |v0|
	v_ashrrev_i32_e32 v0, 31, v0
	s_delay_alu instid0(VALU_DEP_2) | instskip(NEXT) | instid1(VALU_DEP_1)
	v_cvt_u32_f32_e32 v1, v1
	v_xor_b32_e32 v1, v1, v0
	s_delay_alu instid0(VALU_DEP_1)
	v_sub_nc_u32_e32 v0, v1, v0
.LBB6_1700:
	s_or_b32 exec_lo, exec_lo, s17
	s_mov_b32 s17, 0
	s_branch .LBB6_1706
.LBB6_1701:
	s_mov_b32 s17, -1
                                        ; implicit-def: $vgpr0
	s_branch .LBB6_1712
.LBB6_1702:
	s_and_not1_saveexec_b32 s18, s18
	s_cbranch_execz .LBB6_1688
.LBB6_1703:
	v_cmp_ne_u16_e32 vcc_lo, 0, v1
	s_and_not1_b32 s19, s19, exec_lo
	s_and_b32 s20, vcc_lo, exec_lo
	s_delay_alu instid0(SALU_CYCLE_1)
	s_or_b32 s19, s19, s20
	s_or_b32 exec_lo, exec_lo, s18
	v_mov_b32_e32 v0, 0
	s_and_saveexec_b32 s18, s19
	s_cbranch_execnz .LBB6_1689
	s_branch .LBB6_1690
.LBB6_1704:
	s_mov_b32 s17, -1
                                        ; implicit-def: $vgpr0
	s_branch .LBB6_1709
.LBB6_1705:
	s_mov_b32 s17, -1
                                        ; implicit-def: $vgpr0
.LBB6_1706:
	s_delay_alu instid0(SALU_CYCLE_1)
	s_and_b32 vcc_lo, exec_lo, s17
	s_cbranch_vccz .LBB6_1708
; %bb.1707:
	s_wait_loadcnt 0x0
	global_load_u8 v0, v[8:9], off
	s_wait_loadcnt 0x0
	v_lshlrev_b32_e32 v0, 24, v0
	s_delay_alu instid0(VALU_DEP_1) | instskip(NEXT) | instid1(VALU_DEP_1)
	v_and_b32_e32 v1, 0x7f000000, v0
	v_clz_i32_u32_e32 v3, v1
	v_add_nc_u32_e32 v7, 0x1000000, v1
	v_cmp_ne_u32_e32 vcc_lo, 0, v1
	s_delay_alu instid0(VALU_DEP_3) | instskip(NEXT) | instid1(VALU_DEP_1)
	v_min_u32_e32 v3, 32, v3
	v_sub_nc_u32_e64 v3, v3, 4 clamp
	s_delay_alu instid0(VALU_DEP_1) | instskip(NEXT) | instid1(VALU_DEP_1)
	v_dual_lshlrev_b32 v5, v3, v1 :: v_dual_lshlrev_b32 v3, 23, v3
	v_lshrrev_b32_e32 v5, 4, v5
	s_delay_alu instid0(VALU_DEP_1) | instskip(SKIP_1) | instid1(VALU_DEP_2)
	v_sub_nc_u32_e32 v3, v5, v3
	v_ashrrev_i32_e32 v5, 8, v7
	v_add_nc_u32_e32 v3, 0x3c000000, v3
	s_delay_alu instid0(VALU_DEP_1) | instskip(NEXT) | instid1(VALU_DEP_1)
	v_and_or_b32 v3, 0x7f800000, v5, v3
	v_cndmask_b32_e32 v1, 0, v3, vcc_lo
	s_delay_alu instid0(VALU_DEP_1) | instskip(NEXT) | instid1(VALU_DEP_1)
	v_and_or_b32 v0, 0x80000000, v0, v1
	v_trunc_f32_e32 v0, v0
	s_delay_alu instid0(VALU_DEP_1) | instskip(NEXT) | instid1(VALU_DEP_1)
	v_mul_f32_e64 v1, 0x2f800000, |v0|
	v_floor_f32_e32 v1, v1
	s_delay_alu instid0(VALU_DEP_1) | instskip(SKIP_1) | instid1(VALU_DEP_2)
	v_fma_f32 v1, 0xcf800000, v1, |v0|
	v_ashrrev_i32_e32 v0, 31, v0
	v_cvt_u32_f32_e32 v1, v1
	s_delay_alu instid0(VALU_DEP_1) | instskip(NEXT) | instid1(VALU_DEP_1)
	v_xor_b32_e32 v1, v1, v0
	v_sub_nc_u32_e32 v0, v1, v0
.LBB6_1708:
	s_mov_b32 s17, 0
.LBB6_1709:
	s_delay_alu instid0(SALU_CYCLE_1)
	s_and_not1_b32 vcc_lo, exec_lo, s17
	s_cbranch_vccnz .LBB6_1711
; %bb.1710:
	s_wait_loadcnt 0x0
	global_load_u8 v0, v[8:9], off
	s_wait_loadcnt 0x0
	v_lshlrev_b32_e32 v1, 25, v0
	v_lshlrev_b16 v0, 8, v0
	s_delay_alu instid0(VALU_DEP_1) | instskip(SKIP_1) | instid1(VALU_DEP_2)
	v_and_or_b32 v5, 0x7f00, v0, 0.5
	v_bfe_i32 v0, v0, 0, 16
	v_add_f32_e32 v5, -0.5, v5
	v_lshrrev_b32_e32 v3, 4, v1
	v_cmp_gt_u32_e32 vcc_lo, 0x8000000, v1
	s_delay_alu instid0(VALU_DEP_2) | instskip(NEXT) | instid1(VALU_DEP_1)
	v_or_b32_e32 v3, 0x70000000, v3
	v_mul_f32_e32 v3, 0x7800000, v3
	s_delay_alu instid0(VALU_DEP_1) | instskip(NEXT) | instid1(VALU_DEP_1)
	v_cndmask_b32_e32 v1, v3, v5, vcc_lo
	v_and_or_b32 v0, 0x80000000, v0, v1
	s_delay_alu instid0(VALU_DEP_1) | instskip(NEXT) | instid1(VALU_DEP_1)
	v_trunc_f32_e32 v0, v0
	v_mul_f32_e64 v1, 0x2f800000, |v0|
	s_delay_alu instid0(VALU_DEP_1) | instskip(NEXT) | instid1(VALU_DEP_1)
	v_floor_f32_e32 v1, v1
	v_fma_f32 v1, 0xcf800000, v1, |v0|
	v_ashrrev_i32_e32 v0, 31, v0
	s_delay_alu instid0(VALU_DEP_2) | instskip(NEXT) | instid1(VALU_DEP_1)
	v_cvt_u32_f32_e32 v1, v1
	v_xor_b32_e32 v1, v1, v0
	s_delay_alu instid0(VALU_DEP_1)
	v_sub_nc_u32_e32 v0, v1, v0
.LBB6_1711:
	s_mov_b32 s17, 0
	s_mov_b32 s18, -1
.LBB6_1712:
	s_and_not1_b32 vcc_lo, exec_lo, s17
	s_mov_b32 s17, 0
	s_cbranch_vccnz .LBB6_1723
; %bb.1713:
	s_cmp_gt_i32 s13, 14
	s_cbranch_scc0 .LBB6_1716
; %bb.1714:
	s_cmp_eq_u32 s13, 15
	s_cbranch_scc0 .LBB6_1719
; %bb.1715:
	s_wait_loadcnt 0x0
	global_load_u16 v0, v[8:9], off
	s_mov_b32 s16, 0
	s_mov_b32 s18, -1
	s_wait_loadcnt 0x0
	v_lshlrev_b32_e32 v0, 16, v0
	s_delay_alu instid0(VALU_DEP_1) | instskip(NEXT) | instid1(VALU_DEP_1)
	v_trunc_f32_e32 v0, v0
	v_mul_f32_e64 v1, 0x2f800000, |v0|
	s_delay_alu instid0(VALU_DEP_1) | instskip(NEXT) | instid1(VALU_DEP_1)
	v_floor_f32_e32 v1, v1
	v_fma_f32 v1, 0xcf800000, v1, |v0|
	v_ashrrev_i32_e32 v0, 31, v0
	s_delay_alu instid0(VALU_DEP_2) | instskip(NEXT) | instid1(VALU_DEP_1)
	v_cvt_u32_f32_e32 v1, v1
	v_xor_b32_e32 v1, v1, v0
	s_delay_alu instid0(VALU_DEP_1)
	v_sub_nc_u32_e32 v0, v1, v0
	s_branch .LBB6_1721
.LBB6_1716:
	s_mov_b32 s17, -1
	s_branch .LBB6_1720
.LBB6_1717:
	s_and_not1_saveexec_b32 s17, s17
	s_cbranch_execz .LBB6_1698
.LBB6_1718:
	v_cmp_ne_u16_e32 vcc_lo, 0, v1
	s_and_not1_b32 s18, s18, exec_lo
	s_and_b32 s19, vcc_lo, exec_lo
	s_delay_alu instid0(SALU_CYCLE_1)
	s_or_b32 s18, s18, s19
	s_or_b32 exec_lo, exec_lo, s17
	v_mov_b32_e32 v0, 0
	s_and_saveexec_b32 s17, s18
	s_cbranch_execnz .LBB6_1699
	s_branch .LBB6_1700
.LBB6_1719:
	s_mov_b32 s16, -1
.LBB6_1720:
                                        ; implicit-def: $vgpr0
.LBB6_1721:
	s_and_b32 vcc_lo, exec_lo, s17
	s_mov_b32 s17, 0
	s_cbranch_vccz .LBB6_1723
; %bb.1722:
	s_cmp_lg_u32 s13, 11
	s_mov_b32 s17, -1
	s_cselect_b32 s16, -1, 0
.LBB6_1723:
	s_delay_alu instid0(SALU_CYCLE_1)
	s_and_b32 vcc_lo, exec_lo, s16
	s_cbranch_vccnz .LBB6_1789
; %bb.1724:
	s_and_not1_b32 vcc_lo, exec_lo, s17
	s_cbranch_vccnz .LBB6_1726
.LBB6_1725:
	s_wait_loadcnt 0x0
	global_load_u8 v0, v[8:9], off
	s_mov_b32 s18, -1
	s_wait_loadcnt 0x0
	v_cmp_ne_u16_e32 vcc_lo, 0, v0
	v_cndmask_b32_e64 v0, 0, 1, vcc_lo
.LBB6_1726:
	s_branch .LBB6_1656
.LBB6_1727:
	s_and_b32 s13, 0xffff, s1
	s_delay_alu instid0(SALU_CYCLE_1)
	s_cmp_lt_i32 s13, 5
	s_cbranch_scc1 .LBB6_1732
; %bb.1728:
	s_cmp_lt_i32 s13, 8
	s_cbranch_scc1 .LBB6_1733
; %bb.1729:
	;; [unrolled: 3-line block ×3, first 2 shown]
	s_cmp_gt_i32 s13, 9
	s_cbranch_scc0 .LBB6_1735
; %bb.1731:
	s_wait_loadcnt 0x0
	global_load_b64 v[0:1], v[8:9], off
	s_mov_b32 s16, 0
	s_wait_loadcnt 0x0
	v_trunc_f64_e32 v[0:1], v[0:1]
	s_delay_alu instid0(VALU_DEP_1) | instskip(NEXT) | instid1(VALU_DEP_1)
	v_ldexp_f64 v[10:11], v[0:1], 0xffffffe0
	v_floor_f64_e32 v[10:11], v[10:11]
	s_delay_alu instid0(VALU_DEP_1) | instskip(NEXT) | instid1(VALU_DEP_1)
	v_fmamk_f64 v[0:1], v[10:11], 0xc1f00000, v[0:1]
	v_cvt_u32_f64_e32 v0, v[0:1]
	s_branch .LBB6_1736
.LBB6_1732:
                                        ; implicit-def: $vgpr0
	s_branch .LBB6_1754
.LBB6_1733:
	s_mov_b32 s16, -1
                                        ; implicit-def: $vgpr0
	s_branch .LBB6_1742
.LBB6_1734:
	s_mov_b32 s16, -1
                                        ; implicit-def: $vgpr0
	s_branch .LBB6_1739
.LBB6_1735:
	s_mov_b32 s16, -1
                                        ; implicit-def: $vgpr0
.LBB6_1736:
	s_delay_alu instid0(SALU_CYCLE_1)
	s_and_not1_b32 vcc_lo, exec_lo, s16
	s_cbranch_vccnz .LBB6_1738
; %bb.1737:
	s_wait_loadcnt 0x0
	global_load_b32 v0, v[8:9], off
	s_wait_loadcnt 0x0
	v_trunc_f32_e32 v0, v0
	s_delay_alu instid0(VALU_DEP_1) | instskip(NEXT) | instid1(VALU_DEP_1)
	v_mul_f32_e64 v1, 0x2f800000, |v0|
	v_floor_f32_e32 v1, v1
	s_delay_alu instid0(VALU_DEP_1) | instskip(SKIP_1) | instid1(VALU_DEP_2)
	v_fma_f32 v1, 0xcf800000, v1, |v0|
	v_ashrrev_i32_e32 v0, 31, v0
	v_cvt_u32_f32_e32 v1, v1
	s_delay_alu instid0(VALU_DEP_1) | instskip(NEXT) | instid1(VALU_DEP_1)
	v_xor_b32_e32 v1, v1, v0
	v_sub_nc_u32_e32 v0, v1, v0
.LBB6_1738:
	s_mov_b32 s16, 0
.LBB6_1739:
	s_delay_alu instid0(SALU_CYCLE_1)
	s_and_not1_b32 vcc_lo, exec_lo, s16
	s_cbranch_vccnz .LBB6_1741
; %bb.1740:
	s_wait_loadcnt 0x0
	global_load_b32 v0, v[8:9], off
	s_wait_loadcnt 0x0
	v_cvt_f32_f16_e32 v0, v0
	s_delay_alu instid0(VALU_DEP_1)
	v_cvt_i32_f32_e32 v0, v0
.LBB6_1741:
	s_mov_b32 s16, 0
.LBB6_1742:
	s_delay_alu instid0(SALU_CYCLE_1)
	s_and_not1_b32 vcc_lo, exec_lo, s16
	s_cbranch_vccnz .LBB6_1753
; %bb.1743:
	s_cmp_lt_i32 s13, 6
	s_cbranch_scc1 .LBB6_1746
; %bb.1744:
	s_cmp_gt_i32 s13, 6
	s_cbranch_scc0 .LBB6_1747
; %bb.1745:
	s_wait_loadcnt 0x0
	global_load_b64 v[0:1], v[8:9], off
	s_mov_b32 s16, 0
	s_wait_loadcnt 0x0
	v_trunc_f64_e32 v[0:1], v[0:1]
	s_delay_alu instid0(VALU_DEP_1) | instskip(NEXT) | instid1(VALU_DEP_1)
	v_ldexp_f64 v[10:11], v[0:1], 0xffffffe0
	v_floor_f64_e32 v[10:11], v[10:11]
	s_delay_alu instid0(VALU_DEP_1) | instskip(NEXT) | instid1(VALU_DEP_1)
	v_fmamk_f64 v[0:1], v[10:11], 0xc1f00000, v[0:1]
	v_cvt_u32_f64_e32 v0, v[0:1]
	s_branch .LBB6_1748
.LBB6_1746:
	s_mov_b32 s16, -1
                                        ; implicit-def: $vgpr0
	s_branch .LBB6_1751
.LBB6_1747:
	s_mov_b32 s16, -1
                                        ; implicit-def: $vgpr0
.LBB6_1748:
	s_delay_alu instid0(SALU_CYCLE_1)
	s_and_not1_b32 vcc_lo, exec_lo, s16
	s_cbranch_vccnz .LBB6_1750
; %bb.1749:
	s_wait_loadcnt 0x0
	global_load_b32 v0, v[8:9], off
	s_wait_loadcnt 0x0
	v_trunc_f32_e32 v0, v0
	s_delay_alu instid0(VALU_DEP_1) | instskip(NEXT) | instid1(VALU_DEP_1)
	v_mul_f32_e64 v1, 0x2f800000, |v0|
	v_floor_f32_e32 v1, v1
	s_delay_alu instid0(VALU_DEP_1) | instskip(SKIP_1) | instid1(VALU_DEP_2)
	v_fma_f32 v1, 0xcf800000, v1, |v0|
	v_ashrrev_i32_e32 v0, 31, v0
	v_cvt_u32_f32_e32 v1, v1
	s_delay_alu instid0(VALU_DEP_1) | instskip(NEXT) | instid1(VALU_DEP_1)
	v_xor_b32_e32 v1, v1, v0
	v_sub_nc_u32_e32 v0, v1, v0
.LBB6_1750:
	s_mov_b32 s16, 0
.LBB6_1751:
	s_delay_alu instid0(SALU_CYCLE_1)
	s_and_not1_b32 vcc_lo, exec_lo, s16
	s_cbranch_vccnz .LBB6_1753
; %bb.1752:
	s_wait_loadcnt 0x0
	global_load_u16 v0, v[8:9], off
	s_wait_loadcnt 0x0
	v_cvt_f32_f16_e32 v0, v0
	s_delay_alu instid0(VALU_DEP_1)
	v_cvt_i32_f32_e32 v0, v0
.LBB6_1753:
	s_cbranch_execnz .LBB6_1773
.LBB6_1754:
	s_cmp_lt_i32 s13, 2
	s_cbranch_scc1 .LBB6_1758
; %bb.1755:
	s_cmp_lt_i32 s13, 3
	s_cbranch_scc1 .LBB6_1759
; %bb.1756:
	s_cmp_gt_i32 s13, 3
	s_cbranch_scc0 .LBB6_1760
; %bb.1757:
	s_wait_loadcnt 0x0
	global_load_b64 v[0:1], v[8:9], off
	s_mov_b32 s16, 0
	s_branch .LBB6_1761
.LBB6_1758:
	s_mov_b32 s16, -1
                                        ; implicit-def: $vgpr0
	s_branch .LBB6_1767
.LBB6_1759:
	s_mov_b32 s16, -1
                                        ; implicit-def: $vgpr0
	s_branch .LBB6_1764
.LBB6_1760:
	s_mov_b32 s16, -1
                                        ; implicit-def: $vgpr0
.LBB6_1761:
	s_delay_alu instid0(SALU_CYCLE_1)
	s_and_not1_b32 vcc_lo, exec_lo, s16
	s_cbranch_vccnz .LBB6_1763
; %bb.1762:
	s_wait_loadcnt 0x0
	global_load_b32 v0, v[8:9], off
.LBB6_1763:
	s_mov_b32 s16, 0
.LBB6_1764:
	s_delay_alu instid0(SALU_CYCLE_1)
	s_and_not1_b32 vcc_lo, exec_lo, s16
	s_cbranch_vccnz .LBB6_1766
; %bb.1765:
	s_wait_loadcnt 0x0
	global_load_u16 v0, v[8:9], off
.LBB6_1766:
	s_mov_b32 s16, 0
.LBB6_1767:
	s_delay_alu instid0(SALU_CYCLE_1)
	s_and_not1_b32 vcc_lo, exec_lo, s16
	s_cbranch_vccnz .LBB6_1773
; %bb.1768:
	s_cmp_gt_i32 s13, 0
	s_mov_b32 s13, 0
	s_cbranch_scc0 .LBB6_1770
; %bb.1769:
	s_wait_loadcnt 0x0
	global_load_u8 v0, v[8:9], off
	s_branch .LBB6_1771
.LBB6_1770:
	s_mov_b32 s13, -1
                                        ; implicit-def: $vgpr0
.LBB6_1771:
	s_delay_alu instid0(SALU_CYCLE_1)
	s_and_not1_b32 vcc_lo, exec_lo, s13
	s_cbranch_vccnz .LBB6_1773
; %bb.1772:
	s_wait_loadcnt 0x0
	global_load_u8 v0, v[8:9], off
.LBB6_1773:
.LBB6_1774:
	s_wait_loadcnt 0x0
	s_delay_alu instid0(VALU_DEP_4) | instskip(SKIP_2) | instid1(VALU_DEP_1)
	v_and_b32_e32 v1, 0xff, v6
	s_mov_b32 s16, 0
	s_mov_b32 s13, exec_lo
	v_cmpx_ne_u16_e32 0, v1
	s_cbranch_execz .LBB6_1777
.LBB6_1775:                             ; =>This Inner Loop Header: Depth=1
	v_mov_b32_e32 v1, v6
	s_delay_alu instid0(VALU_DEP_4) | instskip(NEXT) | instid1(VALU_DEP_2)
	v_cvt_f32_ubyte0_e32 v6, v0
	v_cvt_f32_ubyte0_e32 v3, v1
	s_delay_alu instid0(VALU_DEP_1) | instskip(SKIP_1) | instid1(TRANS32_DEP_1)
	v_rcp_iflag_f32_e32 v5, v3
	v_nop
	v_mul_f32_e32 v5, v6, v5
	s_delay_alu instid0(VALU_DEP_1) | instskip(NEXT) | instid1(VALU_DEP_1)
	v_trunc_f32_e32 v5, v5
	v_fma_f32 v6, -v5, v3, v6
	v_cvt_u32_f32_e32 v5, v5
	s_delay_alu instid0(VALU_DEP_2) | instskip(NEXT) | instid1(VALU_DEP_1)
	v_cmp_ge_f32_e64 vcc_lo, |v6|, v3
	v_add_co_ci_u32_e64 v3, null, 0, v5, vcc_lo
	s_delay_alu instid0(VALU_DEP_1) | instskip(NEXT) | instid1(VALU_DEP_1)
	v_mul_lo_u32 v3, v3, v1
	v_sub_nc_u32_e32 v0, v0, v3
	s_delay_alu instid0(VALU_DEP_1) | instskip(SKIP_1) | instid1(VALU_DEP_2)
	v_and_b32_e32 v6, 0xff, v0
	v_mov_b32_e32 v0, v1
	v_cmp_eq_u16_e32 vcc_lo, 0, v6
	s_or_b32 s16, vcc_lo, s16
	s_delay_alu instid0(SALU_CYCLE_1)
	s_and_not1_b32 exec_lo, exec_lo, s16
	s_cbranch_execnz .LBB6_1775
; %bb.1776:
	s_or_b32 exec_lo, exec_lo, s16
	v_mov_b32_e32 v0, v1
.LBB6_1777:
	s_or_b32 exec_lo, exec_lo, s13
	s_lshl_b32 s9, s9, 7
	s_cmp_lt_i32 s0, 11
	v_add_nc_u32_e32 v6, s9, v2
	s_delay_alu instid0(VALU_DEP_1) | instskip(NEXT) | instid1(VALU_DEP_1)
	v_ashrrev_i32_e32 v7, 31, v6
	v_add_nc_u64_e32 v[2:3], s[6:7], v[6:7]
	s_cbranch_scc1 .LBB6_1784
; %bb.1778:
	s_and_b32 s13, 0xffff, s0
	s_mov_b32 s17, 0
	s_cmp_gt_i32 s13, 25
	s_cbranch_scc0 .LBB6_1786
; %bb.1779:
	s_cmp_gt_i32 s13, 28
	s_cbranch_scc0 .LBB6_1787
; %bb.1780:
	;; [unrolled: 3-line block ×4, first 2 shown]
	s_cmp_eq_u32 s13, 46
	s_mov_b32 s19, 0
	s_cbranch_scc0 .LBB6_1791
; %bb.1783:
	global_load_b32 v1, v[2:3], off
	s_mov_b32 s16, 0
	s_mov_b32 s18, -1
	s_wait_loadcnt 0x0
	v_lshlrev_b32_e32 v1, 16, v1
	s_delay_alu instid0(VALU_DEP_1) | instskip(NEXT) | instid1(VALU_DEP_1)
	v_trunc_f32_e32 v1, v1
	v_mul_f32_e64 v5, 0x2f800000, |v1|
	s_delay_alu instid0(VALU_DEP_1) | instskip(NEXT) | instid1(VALU_DEP_1)
	v_floor_f32_e32 v5, v5
	v_fma_f32 v5, 0xcf800000, v5, |v1|
	v_ashrrev_i32_e32 v1, 31, v1
	s_delay_alu instid0(VALU_DEP_2) | instskip(NEXT) | instid1(VALU_DEP_1)
	v_cvt_u32_f32_e32 v5, v5
	v_xor_b32_e32 v5, v5, v1
	s_delay_alu instid0(VALU_DEP_1)
	v_sub_nc_u32_e32 v8, v5, v1
	s_branch .LBB6_1793
.LBB6_1784:
	s_mov_b32 s18, 0
                                        ; implicit-def: $vgpr8
	s_cbranch_execnz .LBB6_1855
.LBB6_1785:
	s_and_not1_b32 vcc_lo, exec_lo, s18
	s_cbranch_vccnz .LBB6_2627
	s_branch .LBB6_1903
.LBB6_1786:
	s_mov_b32 s19, -1
	s_mov_b32 s18, 0
	s_mov_b32 s16, 0
                                        ; implicit-def: $vgpr8
	s_branch .LBB6_1820
.LBB6_1787:
	s_mov_b32 s19, -1
	s_mov_b32 s18, 0
	s_mov_b32 s16, 0
                                        ; implicit-def: $vgpr8
	s_branch .LBB6_1803
.LBB6_1788:
	s_mov_b32 s19, -1
	s_mov_b32 s18, 0
	s_mov_b32 s16, 0
                                        ; implicit-def: $vgpr8
	s_branch .LBB6_1798
.LBB6_1789:
	s_or_b32 s12, s12, exec_lo
	s_trap 2
	s_cbranch_execz .LBB6_1725
	s_branch .LBB6_1726
.LBB6_1790:
	s_mov_b32 s19, -1
	s_mov_b32 s18, 0
	s_mov_b32 s16, 0
	s_branch .LBB6_1792
.LBB6_1791:
	s_mov_b32 s16, -1
	s_mov_b32 s18, 0
.LBB6_1792:
                                        ; implicit-def: $vgpr8
.LBB6_1793:
	s_and_b32 vcc_lo, exec_lo, s19
	s_cbranch_vccz .LBB6_1797
; %bb.1794:
	s_cmp_eq_u32 s13, 44
	s_cbranch_scc0 .LBB6_1796
; %bb.1795:
	global_load_u8 v1, v[2:3], off
	s_mov_b32 s16, 0
	s_mov_b32 s18, -1
	s_wait_loadcnt 0x0
	v_lshlrev_b32_e32 v5, 23, v1
	v_cmp_ne_u32_e32 vcc_lo, 0, v1
	s_delay_alu instid0(VALU_DEP_2) | instskip(NEXT) | instid1(VALU_DEP_1)
	v_trunc_f32_e32 v5, v5
	v_mul_f32_e64 v7, 0x2f800000, |v5|
	s_delay_alu instid0(VALU_DEP_1) | instskip(NEXT) | instid1(VALU_DEP_1)
	v_floor_f32_e32 v7, v7
	v_fma_f32 v7, 0xcf800000, v7, |v5|
	v_ashrrev_i32_e32 v5, 31, v5
	s_delay_alu instid0(VALU_DEP_2) | instskip(NEXT) | instid1(VALU_DEP_1)
	v_cvt_u32_f32_e32 v7, v7
	v_xor_b32_e32 v7, v7, v5
	s_delay_alu instid0(VALU_DEP_1) | instskip(NEXT) | instid1(VALU_DEP_1)
	v_sub_nc_u32_e32 v5, v7, v5
	v_cndmask_b32_e32 v8, 0, v5, vcc_lo
	s_branch .LBB6_1797
.LBB6_1796:
	s_mov_b32 s16, -1
                                        ; implicit-def: $vgpr8
.LBB6_1797:
	s_mov_b32 s19, 0
.LBB6_1798:
	s_delay_alu instid0(SALU_CYCLE_1)
	s_and_b32 vcc_lo, exec_lo, s19
	s_cbranch_vccz .LBB6_1802
; %bb.1799:
	s_cmp_eq_u32 s13, 29
	s_cbranch_scc0 .LBB6_1801
; %bb.1800:
	global_load_b64 v[8:9], v[2:3], off
	s_mov_b32 s16, 0
	s_mov_b32 s18, -1
	s_branch .LBB6_1802
.LBB6_1801:
	s_mov_b32 s16, -1
                                        ; implicit-def: $vgpr8
.LBB6_1802:
	s_mov_b32 s19, 0
.LBB6_1803:
	s_delay_alu instid0(SALU_CYCLE_1)
	s_and_b32 vcc_lo, exec_lo, s19
	s_cbranch_vccz .LBB6_1819
; %bb.1804:
	s_cmp_lt_i32 s13, 27
	s_cbranch_scc1 .LBB6_1807
; %bb.1805:
	s_cmp_gt_i32 s13, 27
	s_cbranch_scc0 .LBB6_1808
; %bb.1806:
	s_wait_loadcnt 0x0
	global_load_b32 v8, v[2:3], off
	s_mov_b32 s18, 0
	s_branch .LBB6_1809
.LBB6_1807:
	s_mov_b32 s18, -1
                                        ; implicit-def: $vgpr8
	s_branch .LBB6_1812
.LBB6_1808:
	s_mov_b32 s18, -1
                                        ; implicit-def: $vgpr8
.LBB6_1809:
	s_delay_alu instid0(SALU_CYCLE_1)
	s_and_not1_b32 vcc_lo, exec_lo, s18
	s_cbranch_vccnz .LBB6_1811
; %bb.1810:
	s_wait_loadcnt 0x0
	global_load_u16 v8, v[2:3], off
.LBB6_1811:
	s_mov_b32 s18, 0
.LBB6_1812:
	s_delay_alu instid0(SALU_CYCLE_1)
	s_and_not1_b32 vcc_lo, exec_lo, s18
	s_cbranch_vccnz .LBB6_1818
; %bb.1813:
	global_load_u8 v1, v[2:3], off
	s_mov_b32 s19, 0
	s_mov_b32 s18, exec_lo
	s_wait_loadcnt 0x0
	v_cmpx_lt_i16_e32 0x7f, v1
	s_xor_b32 s18, exec_lo, s18
	s_cbranch_execz .LBB6_1830
; %bb.1814:
	v_cmp_ne_u16_e32 vcc_lo, 0x80, v1
	s_and_b32 s19, vcc_lo, exec_lo
	s_and_not1_saveexec_b32 s18, s18
	s_cbranch_execnz .LBB6_1831
.LBB6_1815:
	s_or_b32 exec_lo, exec_lo, s18
	v_mov_b32_e32 v8, 0
	s_and_saveexec_b32 s18, s19
	s_cbranch_execz .LBB6_1817
.LBB6_1816:
	v_and_b32_e32 v5, 0xffff, v1
	s_delay_alu instid0(VALU_DEP_1) | instskip(SKIP_1) | instid1(VALU_DEP_2)
	v_and_b32_e32 v7, 7, v5
	v_bfe_u32 v10, v5, 3, 4
	v_clz_i32_u32_e32 v8, v7
	s_delay_alu instid0(VALU_DEP_2) | instskip(NEXT) | instid1(VALU_DEP_2)
	v_cmp_eq_u32_e32 vcc_lo, 0, v10
	v_min_u32_e32 v8, 32, v8
	s_delay_alu instid0(VALU_DEP_1) | instskip(NEXT) | instid1(VALU_DEP_1)
	v_subrev_nc_u32_e32 v9, 28, v8
	v_dual_lshlrev_b32 v5, v9, v5 :: v_dual_sub_nc_u32 v8, 29, v8
	s_delay_alu instid0(VALU_DEP_1) | instskip(NEXT) | instid1(VALU_DEP_2)
	v_and_b32_e32 v5, 7, v5
	v_dual_cndmask_b32 v8, v10, v8 :: v_dual_lshlrev_b32 v1, 24, v1
	s_delay_alu instid0(VALU_DEP_2) | instskip(NEXT) | instid1(VALU_DEP_2)
	v_cndmask_b32_e32 v5, v7, v5, vcc_lo
	v_and_b32_e32 v1, 0x80000000, v1
	s_delay_alu instid0(VALU_DEP_3) | instskip(NEXT) | instid1(VALU_DEP_3)
	v_lshl_add_u32 v7, v8, 23, 0x3b800000
	v_lshlrev_b32_e32 v5, 20, v5
	s_delay_alu instid0(VALU_DEP_1) | instskip(NEXT) | instid1(VALU_DEP_1)
	v_or3_b32 v1, v1, v7, v5
	v_trunc_f32_e32 v1, v1
	s_delay_alu instid0(VALU_DEP_1) | instskip(NEXT) | instid1(VALU_DEP_1)
	v_mul_f32_e64 v5, 0x2f800000, |v1|
	v_floor_f32_e32 v5, v5
	s_delay_alu instid0(VALU_DEP_1) | instskip(SKIP_1) | instid1(VALU_DEP_2)
	v_fma_f32 v5, 0xcf800000, v5, |v1|
	v_ashrrev_i32_e32 v1, 31, v1
	v_cvt_u32_f32_e32 v5, v5
	s_delay_alu instid0(VALU_DEP_1) | instskip(NEXT) | instid1(VALU_DEP_1)
	v_xor_b32_e32 v5, v5, v1
	v_sub_nc_u32_e32 v8, v5, v1
.LBB6_1817:
	s_or_b32 exec_lo, exec_lo, s18
.LBB6_1818:
	s_mov_b32 s18, -1
.LBB6_1819:
	s_mov_b32 s19, 0
.LBB6_1820:
	s_delay_alu instid0(SALU_CYCLE_1)
	s_and_b32 vcc_lo, exec_lo, s19
	s_cbranch_vccz .LBB6_1851
; %bb.1821:
	s_cmp_gt_i32 s13, 22
	s_cbranch_scc0 .LBB6_1829
; %bb.1822:
	s_cmp_lt_i32 s13, 24
	s_cbranch_scc1 .LBB6_1832
; %bb.1823:
	s_cmp_gt_i32 s13, 24
	s_cbranch_scc0 .LBB6_1833
; %bb.1824:
	global_load_u8 v1, v[2:3], off
	s_mov_b32 s18, 0
	s_mov_b32 s17, exec_lo
	s_wait_loadcnt 0x0
	v_cmpx_lt_i16_e32 0x7f, v1
	s_xor_b32 s17, exec_lo, s17
	s_cbranch_execz .LBB6_1845
; %bb.1825:
	v_cmp_ne_u16_e32 vcc_lo, 0x80, v1
	s_and_b32 s18, vcc_lo, exec_lo
	s_and_not1_saveexec_b32 s17, s17
	s_cbranch_execnz .LBB6_1846
.LBB6_1826:
	s_or_b32 exec_lo, exec_lo, s17
	v_mov_b32_e32 v8, 0
	s_and_saveexec_b32 s17, s18
	s_cbranch_execz .LBB6_1828
.LBB6_1827:
	v_and_b32_e32 v5, 0xffff, v1
	s_delay_alu instid0(VALU_DEP_1) | instskip(SKIP_1) | instid1(VALU_DEP_2)
	v_and_b32_e32 v7, 3, v5
	v_bfe_u32 v10, v5, 2, 5
	v_clz_i32_u32_e32 v8, v7
	s_delay_alu instid0(VALU_DEP_2) | instskip(NEXT) | instid1(VALU_DEP_2)
	v_cmp_eq_u32_e32 vcc_lo, 0, v10
	v_min_u32_e32 v8, 32, v8
	s_delay_alu instid0(VALU_DEP_1) | instskip(NEXT) | instid1(VALU_DEP_1)
	v_subrev_nc_u32_e32 v9, 29, v8
	v_dual_lshlrev_b32 v5, v9, v5 :: v_dual_sub_nc_u32 v8, 30, v8
	s_delay_alu instid0(VALU_DEP_1) | instskip(NEXT) | instid1(VALU_DEP_2)
	v_and_b32_e32 v5, 3, v5
	v_dual_cndmask_b32 v8, v10, v8 :: v_dual_lshlrev_b32 v1, 24, v1
	s_delay_alu instid0(VALU_DEP_2) | instskip(NEXT) | instid1(VALU_DEP_2)
	v_cndmask_b32_e32 v5, v7, v5, vcc_lo
	v_and_b32_e32 v1, 0x80000000, v1
	s_delay_alu instid0(VALU_DEP_3) | instskip(NEXT) | instid1(VALU_DEP_3)
	v_lshl_add_u32 v7, v8, 23, 0x37800000
	v_lshlrev_b32_e32 v5, 21, v5
	s_delay_alu instid0(VALU_DEP_1) | instskip(NEXT) | instid1(VALU_DEP_1)
	v_or3_b32 v1, v1, v7, v5
	v_trunc_f32_e32 v1, v1
	s_delay_alu instid0(VALU_DEP_1) | instskip(NEXT) | instid1(VALU_DEP_1)
	v_mul_f32_e64 v5, 0x2f800000, |v1|
	v_floor_f32_e32 v5, v5
	s_delay_alu instid0(VALU_DEP_1) | instskip(SKIP_1) | instid1(VALU_DEP_2)
	v_fma_f32 v5, 0xcf800000, v5, |v1|
	v_ashrrev_i32_e32 v1, 31, v1
	v_cvt_u32_f32_e32 v5, v5
	s_delay_alu instid0(VALU_DEP_1) | instskip(NEXT) | instid1(VALU_DEP_1)
	v_xor_b32_e32 v5, v5, v1
	v_sub_nc_u32_e32 v8, v5, v1
.LBB6_1828:
	s_or_b32 exec_lo, exec_lo, s17
	s_mov_b32 s17, 0
	s_branch .LBB6_1834
.LBB6_1829:
	s_mov_b32 s17, -1
                                        ; implicit-def: $vgpr8
	s_branch .LBB6_1840
.LBB6_1830:
	s_and_not1_saveexec_b32 s18, s18
	s_cbranch_execz .LBB6_1815
.LBB6_1831:
	v_cmp_ne_u16_e32 vcc_lo, 0, v1
	s_and_not1_b32 s19, s19, exec_lo
	s_and_b32 s20, vcc_lo, exec_lo
	s_delay_alu instid0(SALU_CYCLE_1)
	s_or_b32 s19, s19, s20
	s_or_b32 exec_lo, exec_lo, s18
	v_mov_b32_e32 v8, 0
	s_and_saveexec_b32 s18, s19
	s_cbranch_execnz .LBB6_1816
	s_branch .LBB6_1817
.LBB6_1832:
	s_mov_b32 s17, -1
                                        ; implicit-def: $vgpr8
	s_branch .LBB6_1837
.LBB6_1833:
	s_mov_b32 s17, -1
                                        ; implicit-def: $vgpr8
.LBB6_1834:
	s_delay_alu instid0(SALU_CYCLE_1)
	s_and_b32 vcc_lo, exec_lo, s17
	s_cbranch_vccz .LBB6_1836
; %bb.1835:
	global_load_u8 v1, v[2:3], off
	s_wait_loadcnt 0x0
	v_lshlrev_b32_e32 v1, 24, v1
	s_delay_alu instid0(VALU_DEP_1) | instskip(NEXT) | instid1(VALU_DEP_1)
	v_and_b32_e32 v5, 0x7f000000, v1
	v_clz_i32_u32_e32 v7, v5
	v_cmp_ne_u32_e32 vcc_lo, 0, v5
	v_add_nc_u32_e32 v9, 0x1000000, v5
	s_delay_alu instid0(VALU_DEP_3) | instskip(NEXT) | instid1(VALU_DEP_1)
	v_min_u32_e32 v7, 32, v7
	v_sub_nc_u32_e64 v7, v7, 4 clamp
	s_delay_alu instid0(VALU_DEP_1) | instskip(NEXT) | instid1(VALU_DEP_1)
	v_dual_lshlrev_b32 v8, v7, v5 :: v_dual_lshlrev_b32 v7, 23, v7
	v_lshrrev_b32_e32 v8, 4, v8
	s_delay_alu instid0(VALU_DEP_1) | instskip(NEXT) | instid1(VALU_DEP_1)
	v_dual_sub_nc_u32 v7, v8, v7 :: v_dual_ashrrev_i32 v8, 8, v9
	v_add_nc_u32_e32 v7, 0x3c000000, v7
	s_delay_alu instid0(VALU_DEP_1) | instskip(NEXT) | instid1(VALU_DEP_1)
	v_and_or_b32 v7, 0x7f800000, v8, v7
	v_cndmask_b32_e32 v5, 0, v7, vcc_lo
	s_delay_alu instid0(VALU_DEP_1) | instskip(NEXT) | instid1(VALU_DEP_1)
	v_and_or_b32 v1, 0x80000000, v1, v5
	v_trunc_f32_e32 v1, v1
	s_delay_alu instid0(VALU_DEP_1) | instskip(NEXT) | instid1(VALU_DEP_1)
	v_mul_f32_e64 v5, 0x2f800000, |v1|
	v_floor_f32_e32 v5, v5
	s_delay_alu instid0(VALU_DEP_1) | instskip(SKIP_1) | instid1(VALU_DEP_2)
	v_fma_f32 v5, 0xcf800000, v5, |v1|
	v_ashrrev_i32_e32 v1, 31, v1
	v_cvt_u32_f32_e32 v5, v5
	s_delay_alu instid0(VALU_DEP_1) | instskip(NEXT) | instid1(VALU_DEP_1)
	v_xor_b32_e32 v5, v5, v1
	v_sub_nc_u32_e32 v8, v5, v1
.LBB6_1836:
	s_mov_b32 s17, 0
.LBB6_1837:
	s_delay_alu instid0(SALU_CYCLE_1)
	s_and_not1_b32 vcc_lo, exec_lo, s17
	s_cbranch_vccnz .LBB6_1839
; %bb.1838:
	global_load_u8 v1, v[2:3], off
	s_wait_loadcnt 0x0
	v_lshlrev_b32_e32 v5, 25, v1
	v_lshlrev_b16 v1, 8, v1
	s_delay_alu instid0(VALU_DEP_1) | instskip(SKIP_1) | instid1(VALU_DEP_2)
	v_and_or_b32 v8, 0x7f00, v1, 0.5
	v_bfe_i32 v1, v1, 0, 16
	v_dual_add_f32 v8, -0.5, v8 :: v_dual_lshrrev_b32 v7, 4, v5
	v_cmp_gt_u32_e32 vcc_lo, 0x8000000, v5
	s_delay_alu instid0(VALU_DEP_2) | instskip(NEXT) | instid1(VALU_DEP_1)
	v_or_b32_e32 v7, 0x70000000, v7
	v_mul_f32_e32 v7, 0x7800000, v7
	s_delay_alu instid0(VALU_DEP_1) | instskip(NEXT) | instid1(VALU_DEP_1)
	v_cndmask_b32_e32 v5, v7, v8, vcc_lo
	v_and_or_b32 v1, 0x80000000, v1, v5
	s_delay_alu instid0(VALU_DEP_1) | instskip(NEXT) | instid1(VALU_DEP_1)
	v_trunc_f32_e32 v1, v1
	v_mul_f32_e64 v5, 0x2f800000, |v1|
	s_delay_alu instid0(VALU_DEP_1) | instskip(NEXT) | instid1(VALU_DEP_1)
	v_floor_f32_e32 v5, v5
	v_fma_f32 v5, 0xcf800000, v5, |v1|
	v_ashrrev_i32_e32 v1, 31, v1
	s_delay_alu instid0(VALU_DEP_2) | instskip(NEXT) | instid1(VALU_DEP_1)
	v_cvt_u32_f32_e32 v5, v5
	v_xor_b32_e32 v5, v5, v1
	s_delay_alu instid0(VALU_DEP_1)
	v_sub_nc_u32_e32 v8, v5, v1
.LBB6_1839:
	s_mov_b32 s17, 0
	s_mov_b32 s18, -1
.LBB6_1840:
	s_and_not1_b32 vcc_lo, exec_lo, s17
	s_mov_b32 s17, 0
	s_cbranch_vccnz .LBB6_1851
; %bb.1841:
	s_cmp_gt_i32 s13, 14
	s_cbranch_scc0 .LBB6_1844
; %bb.1842:
	s_cmp_eq_u32 s13, 15
	s_cbranch_scc0 .LBB6_1847
; %bb.1843:
	global_load_u16 v1, v[2:3], off
	s_mov_b32 s16, 0
	s_mov_b32 s18, -1
	s_wait_loadcnt 0x0
	v_lshlrev_b32_e32 v1, 16, v1
	s_delay_alu instid0(VALU_DEP_1) | instskip(NEXT) | instid1(VALU_DEP_1)
	v_trunc_f32_e32 v1, v1
	v_mul_f32_e64 v5, 0x2f800000, |v1|
	s_delay_alu instid0(VALU_DEP_1) | instskip(NEXT) | instid1(VALU_DEP_1)
	v_floor_f32_e32 v5, v5
	v_fma_f32 v5, 0xcf800000, v5, |v1|
	v_ashrrev_i32_e32 v1, 31, v1
	s_delay_alu instid0(VALU_DEP_2) | instskip(NEXT) | instid1(VALU_DEP_1)
	v_cvt_u32_f32_e32 v5, v5
	v_xor_b32_e32 v5, v5, v1
	s_delay_alu instid0(VALU_DEP_1)
	v_sub_nc_u32_e32 v8, v5, v1
	s_branch .LBB6_1849
.LBB6_1844:
	s_mov_b32 s17, -1
	s_branch .LBB6_1848
.LBB6_1845:
	s_and_not1_saveexec_b32 s17, s17
	s_cbranch_execz .LBB6_1826
.LBB6_1846:
	v_cmp_ne_u16_e32 vcc_lo, 0, v1
	s_and_not1_b32 s18, s18, exec_lo
	s_and_b32 s19, vcc_lo, exec_lo
	s_delay_alu instid0(SALU_CYCLE_1)
	s_or_b32 s18, s18, s19
	s_or_b32 exec_lo, exec_lo, s17
	v_mov_b32_e32 v8, 0
	s_and_saveexec_b32 s17, s18
	s_cbranch_execnz .LBB6_1827
	s_branch .LBB6_1828
.LBB6_1847:
	s_mov_b32 s16, -1
.LBB6_1848:
                                        ; implicit-def: $vgpr8
.LBB6_1849:
	s_and_b32 vcc_lo, exec_lo, s17
	s_mov_b32 s17, 0
	s_cbranch_vccz .LBB6_1851
; %bb.1850:
	s_cmp_lg_u32 s13, 11
	s_mov_b32 s17, -1
	s_cselect_b32 s16, -1, 0
.LBB6_1851:
	s_delay_alu instid0(SALU_CYCLE_1)
	s_and_b32 vcc_lo, exec_lo, s16
	s_cbranch_vccnz .LBB6_1914
; %bb.1852:
	s_and_not1_b32 vcc_lo, exec_lo, s17
	s_cbranch_vccnz .LBB6_1854
.LBB6_1853:
	global_load_u8 v1, v[2:3], off
	s_mov_b32 s18, -1
	s_wait_loadcnt 0x0
	v_cmp_ne_u16_e32 vcc_lo, 0, v1
	v_cndmask_b32_e64 v8, 0, 1, vcc_lo
.LBB6_1854:
	s_branch .LBB6_1785
.LBB6_1855:
	s_and_b32 s13, 0xffff, s0
	s_delay_alu instid0(SALU_CYCLE_1)
	s_cmp_lt_i32 s13, 5
	s_cbranch_scc1 .LBB6_1860
; %bb.1856:
	s_cmp_lt_i32 s13, 8
	s_cbranch_scc1 .LBB6_1861
; %bb.1857:
	;; [unrolled: 3-line block ×3, first 2 shown]
	s_cmp_gt_i32 s13, 9
	s_cbranch_scc0 .LBB6_1863
; %bb.1859:
	s_wait_loadcnt 0x0
	global_load_b64 v[8:9], v[2:3], off
	s_mov_b32 s16, 0
	s_wait_loadcnt 0x0
	v_trunc_f64_e32 v[8:9], v[8:9]
	s_delay_alu instid0(VALU_DEP_1) | instskip(NEXT) | instid1(VALU_DEP_1)
	v_ldexp_f64 v[10:11], v[8:9], 0xffffffe0
	v_floor_f64_e32 v[10:11], v[10:11]
	s_delay_alu instid0(VALU_DEP_1) | instskip(NEXT) | instid1(VALU_DEP_1)
	v_fmamk_f64 v[8:9], v[10:11], 0xc1f00000, v[8:9]
	v_cvt_u32_f64_e32 v8, v[8:9]
	s_branch .LBB6_1864
.LBB6_1860:
	s_mov_b32 s16, -1
                                        ; implicit-def: $vgpr8
	s_branch .LBB6_1882
.LBB6_1861:
	s_mov_b32 s16, -1
                                        ; implicit-def: $vgpr8
	s_branch .LBB6_1870
.LBB6_1862:
	s_mov_b32 s16, -1
                                        ; implicit-def: $vgpr8
	s_branch .LBB6_1867
.LBB6_1863:
	s_mov_b32 s16, -1
                                        ; implicit-def: $vgpr8
.LBB6_1864:
	s_delay_alu instid0(SALU_CYCLE_1)
	s_and_not1_b32 vcc_lo, exec_lo, s16
	s_cbranch_vccnz .LBB6_1866
; %bb.1865:
	global_load_b32 v1, v[2:3], off
	s_wait_loadcnt 0x0
	v_trunc_f32_e32 v1, v1
	s_delay_alu instid0(VALU_DEP_1) | instskip(NEXT) | instid1(VALU_DEP_1)
	v_mul_f32_e64 v5, 0x2f800000, |v1|
	v_floor_f32_e32 v5, v5
	s_delay_alu instid0(VALU_DEP_1) | instskip(SKIP_1) | instid1(VALU_DEP_2)
	v_fma_f32 v5, 0xcf800000, v5, |v1|
	v_ashrrev_i32_e32 v1, 31, v1
	v_cvt_u32_f32_e32 v5, v5
	s_delay_alu instid0(VALU_DEP_1) | instskip(NEXT) | instid1(VALU_DEP_1)
	v_xor_b32_e32 v5, v5, v1
	v_sub_nc_u32_e32 v8, v5, v1
.LBB6_1866:
	s_mov_b32 s16, 0
.LBB6_1867:
	s_delay_alu instid0(SALU_CYCLE_1)
	s_and_not1_b32 vcc_lo, exec_lo, s16
	s_cbranch_vccnz .LBB6_1869
; %bb.1868:
	global_load_b32 v1, v[2:3], off
	s_wait_loadcnt 0x0
	v_cvt_f32_f16_e32 v1, v1
	s_delay_alu instid0(VALU_DEP_1)
	v_cvt_i32_f32_e32 v8, v1
.LBB6_1869:
	s_mov_b32 s16, 0
.LBB6_1870:
	s_delay_alu instid0(SALU_CYCLE_1)
	s_and_not1_b32 vcc_lo, exec_lo, s16
	s_cbranch_vccnz .LBB6_1881
; %bb.1871:
	s_cmp_lt_i32 s13, 6
	s_cbranch_scc1 .LBB6_1874
; %bb.1872:
	s_cmp_gt_i32 s13, 6
	s_cbranch_scc0 .LBB6_1875
; %bb.1873:
	s_wait_loadcnt 0x0
	global_load_b64 v[8:9], v[2:3], off
	s_mov_b32 s16, 0
	s_wait_loadcnt 0x0
	v_trunc_f64_e32 v[8:9], v[8:9]
	s_delay_alu instid0(VALU_DEP_1) | instskip(NEXT) | instid1(VALU_DEP_1)
	v_ldexp_f64 v[10:11], v[8:9], 0xffffffe0
	v_floor_f64_e32 v[10:11], v[10:11]
	s_delay_alu instid0(VALU_DEP_1) | instskip(NEXT) | instid1(VALU_DEP_1)
	v_fmamk_f64 v[8:9], v[10:11], 0xc1f00000, v[8:9]
	v_cvt_u32_f64_e32 v8, v[8:9]
	s_branch .LBB6_1876
.LBB6_1874:
	s_mov_b32 s16, -1
                                        ; implicit-def: $vgpr8
	s_branch .LBB6_1879
.LBB6_1875:
	s_mov_b32 s16, -1
                                        ; implicit-def: $vgpr8
.LBB6_1876:
	s_delay_alu instid0(SALU_CYCLE_1)
	s_and_not1_b32 vcc_lo, exec_lo, s16
	s_cbranch_vccnz .LBB6_1878
; %bb.1877:
	global_load_b32 v1, v[2:3], off
	s_wait_loadcnt 0x0
	v_trunc_f32_e32 v1, v1
	s_delay_alu instid0(VALU_DEP_1) | instskip(NEXT) | instid1(VALU_DEP_1)
	v_mul_f32_e64 v5, 0x2f800000, |v1|
	v_floor_f32_e32 v5, v5
	s_delay_alu instid0(VALU_DEP_1) | instskip(SKIP_1) | instid1(VALU_DEP_2)
	v_fma_f32 v5, 0xcf800000, v5, |v1|
	v_ashrrev_i32_e32 v1, 31, v1
	v_cvt_u32_f32_e32 v5, v5
	s_delay_alu instid0(VALU_DEP_1) | instskip(NEXT) | instid1(VALU_DEP_1)
	v_xor_b32_e32 v5, v5, v1
	v_sub_nc_u32_e32 v8, v5, v1
.LBB6_1878:
	s_mov_b32 s16, 0
.LBB6_1879:
	s_delay_alu instid0(SALU_CYCLE_1)
	s_and_not1_b32 vcc_lo, exec_lo, s16
	s_cbranch_vccnz .LBB6_1881
; %bb.1880:
	global_load_u16 v1, v[2:3], off
	s_wait_loadcnt 0x0
	v_cvt_f32_f16_e32 v1, v1
	s_delay_alu instid0(VALU_DEP_1)
	v_cvt_i32_f32_e32 v8, v1
.LBB6_1881:
	s_mov_b32 s16, 0
.LBB6_1882:
	s_delay_alu instid0(SALU_CYCLE_1)
	s_and_not1_b32 vcc_lo, exec_lo, s16
	s_cbranch_vccnz .LBB6_1902
; %bb.1883:
	s_cmp_lt_i32 s13, 2
	s_cbranch_scc1 .LBB6_1887
; %bb.1884:
	s_cmp_lt_i32 s13, 3
	s_cbranch_scc1 .LBB6_1888
; %bb.1885:
	s_cmp_gt_i32 s13, 3
	s_cbranch_scc0 .LBB6_1889
; %bb.1886:
	s_wait_loadcnt 0x0
	global_load_b64 v[8:9], v[2:3], off
	s_mov_b32 s16, 0
	s_branch .LBB6_1890
.LBB6_1887:
	s_mov_b32 s16, -1
                                        ; implicit-def: $vgpr8
	s_branch .LBB6_1896
.LBB6_1888:
	s_mov_b32 s16, -1
                                        ; implicit-def: $vgpr8
	s_branch .LBB6_1893
.LBB6_1889:
	s_mov_b32 s16, -1
                                        ; implicit-def: $vgpr8
.LBB6_1890:
	s_delay_alu instid0(SALU_CYCLE_1)
	s_and_not1_b32 vcc_lo, exec_lo, s16
	s_cbranch_vccnz .LBB6_1892
; %bb.1891:
	s_wait_loadcnt 0x0
	global_load_b32 v8, v[2:3], off
.LBB6_1892:
	s_mov_b32 s16, 0
.LBB6_1893:
	s_delay_alu instid0(SALU_CYCLE_1)
	s_and_not1_b32 vcc_lo, exec_lo, s16
	s_cbranch_vccnz .LBB6_1895
; %bb.1894:
	s_wait_loadcnt 0x0
	global_load_u16 v8, v[2:3], off
.LBB6_1895:
	s_mov_b32 s16, 0
.LBB6_1896:
	s_delay_alu instid0(SALU_CYCLE_1)
	s_and_not1_b32 vcc_lo, exec_lo, s16
	s_cbranch_vccnz .LBB6_1902
; %bb.1897:
	s_cmp_gt_i32 s13, 0
	s_mov_b32 s13, 0
	s_cbranch_scc0 .LBB6_1899
; %bb.1898:
	s_wait_loadcnt 0x0
	global_load_u8 v8, v[2:3], off
	s_branch .LBB6_1900
.LBB6_1899:
	s_mov_b32 s13, -1
                                        ; implicit-def: $vgpr8
.LBB6_1900:
	s_delay_alu instid0(SALU_CYCLE_1)
	s_and_not1_b32 vcc_lo, exec_lo, s13
	s_cbranch_vccnz .LBB6_1902
; %bb.1901:
	s_wait_loadcnt 0x0
	global_load_u8 v8, v[2:3], off
.LBB6_1902:
.LBB6_1903:
	s_lshl_b32 s10, s10, 7
	s_cmp_lt_i32 s1, 11
	v_add_nc_u32_e32 v4, s10, v4
	s_delay_alu instid0(VALU_DEP_1) | instskip(NEXT) | instid1(VALU_DEP_1)
	v_ashrrev_i32_e32 v5, 31, v4
	v_add_nc_u64_e32 v[10:11], s[2:3], v[4:5]
	s_cbranch_scc1 .LBB6_1910
; %bb.1904:
	s_and_b32 s13, 0xffff, s1
	s_mov_b32 s17, 0
	s_cmp_gt_i32 s13, 25
	s_cbranch_scc0 .LBB6_1911
; %bb.1905:
	s_cmp_gt_i32 s13, 28
	s_cbranch_scc0 .LBB6_1912
; %bb.1906:
	;; [unrolled: 3-line block ×4, first 2 shown]
	s_cmp_eq_u32 s13, 46
	s_mov_b32 s19, 0
	s_cbranch_scc0 .LBB6_1916
; %bb.1909:
	global_load_b32 v1, v[10:11], off
	s_mov_b32 s16, 0
	s_mov_b32 s18, -1
	s_wait_loadcnt 0x0
	v_lshlrev_b32_e32 v1, 16, v1
	s_delay_alu instid0(VALU_DEP_1) | instskip(SKIP_1) | instid1(VALU_DEP_1)
	v_trunc_f32_e32 v1, v1
	s_wait_xcnt 0x1
	v_mul_f32_e64 v2, 0x2f800000, |v1|
	s_delay_alu instid0(VALU_DEP_1) | instskip(NEXT) | instid1(VALU_DEP_1)
	v_floor_f32_e32 v2, v2
	v_fma_f32 v2, 0xcf800000, v2, |v1|
	v_ashrrev_i32_e32 v1, 31, v1
	s_delay_alu instid0(VALU_DEP_2) | instskip(NEXT) | instid1(VALU_DEP_1)
	v_cvt_u32_f32_e32 v2, v2
	v_xor_b32_e32 v2, v2, v1
	s_delay_alu instid0(VALU_DEP_1)
	v_sub_nc_u32_e32 v2, v2, v1
	s_branch .LBB6_1918
.LBB6_1910:
	s_mov_b32 s13, -1
	s_mov_b32 s18, 0
                                        ; implicit-def: $vgpr2
	s_branch .LBB6_1980
.LBB6_1911:
	s_mov_b32 s19, -1
	s_mov_b32 s18, 0
	s_mov_b32 s16, 0
                                        ; implicit-def: $vgpr2
	s_branch .LBB6_1945
.LBB6_1912:
	s_mov_b32 s19, -1
	s_mov_b32 s18, 0
	s_mov_b32 s16, 0
                                        ; implicit-def: $vgpr2
	s_branch .LBB6_1928
.LBB6_1913:
	s_mov_b32 s19, -1
	s_mov_b32 s18, 0
	s_mov_b32 s16, 0
                                        ; implicit-def: $vgpr2
	s_branch .LBB6_1923
.LBB6_1914:
	s_or_b32 s12, s12, exec_lo
	s_trap 2
	s_cbranch_execz .LBB6_1853
	s_branch .LBB6_1854
.LBB6_1915:
	s_mov_b32 s19, -1
	s_mov_b32 s18, 0
	s_mov_b32 s16, 0
	s_branch .LBB6_1917
.LBB6_1916:
	s_mov_b32 s16, -1
	s_mov_b32 s18, 0
.LBB6_1917:
                                        ; implicit-def: $vgpr2
.LBB6_1918:
	s_and_b32 vcc_lo, exec_lo, s19
	s_cbranch_vccz .LBB6_1922
; %bb.1919:
	s_cmp_eq_u32 s13, 44
	s_cbranch_scc0 .LBB6_1921
; %bb.1920:
	global_load_u8 v1, v[10:11], off
	s_mov_b32 s16, 0
	s_mov_b32 s18, -1
	s_wait_loadcnt 0x0
	s_wait_xcnt 0x1
	v_lshlrev_b32_e32 v2, 23, v1
	v_cmp_ne_u32_e32 vcc_lo, 0, v1
	s_delay_alu instid0(VALU_DEP_2) | instskip(NEXT) | instid1(VALU_DEP_1)
	v_trunc_f32_e32 v2, v2
	v_mul_f32_e64 v3, 0x2f800000, |v2|
	s_delay_alu instid0(VALU_DEP_1) | instskip(NEXT) | instid1(VALU_DEP_1)
	v_floor_f32_e32 v3, v3
	v_fma_f32 v3, 0xcf800000, v3, |v2|
	v_ashrrev_i32_e32 v2, 31, v2
	s_delay_alu instid0(VALU_DEP_2) | instskip(NEXT) | instid1(VALU_DEP_1)
	v_cvt_u32_f32_e32 v3, v3
	v_xor_b32_e32 v3, v3, v2
	s_delay_alu instid0(VALU_DEP_1) | instskip(NEXT) | instid1(VALU_DEP_1)
	v_sub_nc_u32_e32 v2, v3, v2
	v_cndmask_b32_e32 v2, 0, v2, vcc_lo
	s_branch .LBB6_1922
.LBB6_1921:
	s_mov_b32 s16, -1
                                        ; implicit-def: $vgpr2
.LBB6_1922:
	s_mov_b32 s19, 0
.LBB6_1923:
	s_delay_alu instid0(SALU_CYCLE_1)
	s_and_b32 vcc_lo, exec_lo, s19
	s_cbranch_vccz .LBB6_1927
; %bb.1924:
	s_cmp_eq_u32 s13, 29
	s_cbranch_scc0 .LBB6_1926
; %bb.1925:
	global_load_b64 v[2:3], v[10:11], off
	s_mov_b32 s16, 0
	s_mov_b32 s18, -1
	s_branch .LBB6_1927
.LBB6_1926:
	s_mov_b32 s16, -1
                                        ; implicit-def: $vgpr2
.LBB6_1927:
	s_mov_b32 s19, 0
.LBB6_1928:
	s_delay_alu instid0(SALU_CYCLE_1)
	s_and_b32 vcc_lo, exec_lo, s19
	s_cbranch_vccz .LBB6_1944
; %bb.1929:
	s_cmp_lt_i32 s13, 27
	s_cbranch_scc1 .LBB6_1932
; %bb.1930:
	s_cmp_gt_i32 s13, 27
	s_cbranch_scc0 .LBB6_1933
; %bb.1931:
	s_wait_loadcnt 0x0
	global_load_b32 v2, v[10:11], off
	s_mov_b32 s18, 0
	s_branch .LBB6_1934
.LBB6_1932:
	s_mov_b32 s18, -1
                                        ; implicit-def: $vgpr2
	s_branch .LBB6_1937
.LBB6_1933:
	s_mov_b32 s18, -1
                                        ; implicit-def: $vgpr2
.LBB6_1934:
	s_delay_alu instid0(SALU_CYCLE_1)
	s_and_not1_b32 vcc_lo, exec_lo, s18
	s_cbranch_vccnz .LBB6_1936
; %bb.1935:
	s_wait_loadcnt 0x0
	global_load_u16 v2, v[10:11], off
.LBB6_1936:
	s_mov_b32 s18, 0
.LBB6_1937:
	s_delay_alu instid0(SALU_CYCLE_1)
	s_and_not1_b32 vcc_lo, exec_lo, s18
	s_cbranch_vccnz .LBB6_1943
; %bb.1938:
	global_load_u8 v1, v[10:11], off
	s_mov_b32 s19, 0
	s_mov_b32 s18, exec_lo
	s_wait_loadcnt 0x0
	v_cmpx_lt_i16_e32 0x7f, v1
	s_xor_b32 s18, exec_lo, s18
	s_cbranch_execz .LBB6_1955
; %bb.1939:
	v_cmp_ne_u16_e32 vcc_lo, 0x80, v1
	s_and_b32 s19, vcc_lo, exec_lo
	s_and_not1_saveexec_b32 s18, s18
	s_cbranch_execnz .LBB6_1956
.LBB6_1940:
	s_or_b32 exec_lo, exec_lo, s18
	v_mov_b32_e32 v2, 0
	s_and_saveexec_b32 s18, s19
	s_cbranch_execz .LBB6_1942
.LBB6_1941:
	v_and_b32_e32 v2, 0xffff, v1
	s_delay_alu instid0(VALU_DEP_1) | instskip(SKIP_1) | instid1(VALU_DEP_2)
	v_and_b32_e32 v3, 7, v2
	v_bfe_u32 v9, v2, 3, 4
	v_clz_i32_u32_e32 v5, v3
	s_delay_alu instid0(VALU_DEP_2) | instskip(NEXT) | instid1(VALU_DEP_2)
	v_cmp_eq_u32_e32 vcc_lo, 0, v9
	v_min_u32_e32 v5, 32, v5
	s_delay_alu instid0(VALU_DEP_1) | instskip(NEXT) | instid1(VALU_DEP_1)
	v_subrev_nc_u32_e32 v7, 28, v5
	v_dual_lshlrev_b32 v2, v7, v2 :: v_dual_sub_nc_u32 v5, 29, v5
	s_delay_alu instid0(VALU_DEP_1) | instskip(NEXT) | instid1(VALU_DEP_1)
	v_dual_lshlrev_b32 v1, 24, v1 :: v_dual_bitop2_b32 v2, 7, v2 bitop3:0x40
	v_dual_cndmask_b32 v2, v3, v2 :: v_dual_cndmask_b32 v5, v9, v5
	s_delay_alu instid0(VALU_DEP_2) | instskip(NEXT) | instid1(VALU_DEP_2)
	v_and_b32_e32 v1, 0x80000000, v1
	v_lshlrev_b32_e32 v2, 20, v2
	s_delay_alu instid0(VALU_DEP_3) | instskip(NEXT) | instid1(VALU_DEP_1)
	v_lshl_add_u32 v3, v5, 23, 0x3b800000
	v_or3_b32 v1, v1, v3, v2
	s_delay_alu instid0(VALU_DEP_1) | instskip(NEXT) | instid1(VALU_DEP_1)
	v_trunc_f32_e32 v1, v1
	v_mul_f32_e64 v2, 0x2f800000, |v1|
	s_delay_alu instid0(VALU_DEP_1) | instskip(NEXT) | instid1(VALU_DEP_1)
	v_floor_f32_e32 v2, v2
	v_fma_f32 v2, 0xcf800000, v2, |v1|
	v_ashrrev_i32_e32 v1, 31, v1
	s_delay_alu instid0(VALU_DEP_2) | instskip(NEXT) | instid1(VALU_DEP_1)
	v_cvt_u32_f32_e32 v2, v2
	v_xor_b32_e32 v2, v2, v1
	s_delay_alu instid0(VALU_DEP_1)
	v_sub_nc_u32_e32 v2, v2, v1
.LBB6_1942:
	s_or_b32 exec_lo, exec_lo, s18
.LBB6_1943:
	s_mov_b32 s18, -1
.LBB6_1944:
	s_mov_b32 s19, 0
.LBB6_1945:
	s_delay_alu instid0(SALU_CYCLE_1)
	s_and_b32 vcc_lo, exec_lo, s19
	s_cbranch_vccz .LBB6_1976
; %bb.1946:
	s_cmp_gt_i32 s13, 22
	s_cbranch_scc0 .LBB6_1954
; %bb.1947:
	s_cmp_lt_i32 s13, 24
	s_cbranch_scc1 .LBB6_1957
; %bb.1948:
	s_cmp_gt_i32 s13, 24
	s_cbranch_scc0 .LBB6_1958
; %bb.1949:
	global_load_u8 v1, v[10:11], off
	s_mov_b32 s18, 0
	s_mov_b32 s17, exec_lo
	s_wait_loadcnt 0x0
	v_cmpx_lt_i16_e32 0x7f, v1
	s_xor_b32 s17, exec_lo, s17
	s_cbranch_execz .LBB6_1970
; %bb.1950:
	v_cmp_ne_u16_e32 vcc_lo, 0x80, v1
	s_and_b32 s18, vcc_lo, exec_lo
	s_and_not1_saveexec_b32 s17, s17
	s_cbranch_execnz .LBB6_1971
.LBB6_1951:
	s_or_b32 exec_lo, exec_lo, s17
	v_mov_b32_e32 v2, 0
	s_and_saveexec_b32 s17, s18
	s_cbranch_execz .LBB6_1953
.LBB6_1952:
	v_and_b32_e32 v2, 0xffff, v1
	s_delay_alu instid0(VALU_DEP_1) | instskip(SKIP_1) | instid1(VALU_DEP_2)
	v_and_b32_e32 v3, 3, v2
	v_bfe_u32 v9, v2, 2, 5
	v_clz_i32_u32_e32 v5, v3
	s_delay_alu instid0(VALU_DEP_2) | instskip(NEXT) | instid1(VALU_DEP_2)
	v_cmp_eq_u32_e32 vcc_lo, 0, v9
	v_min_u32_e32 v5, 32, v5
	s_delay_alu instid0(VALU_DEP_1) | instskip(NEXT) | instid1(VALU_DEP_1)
	v_subrev_nc_u32_e32 v7, 29, v5
	v_dual_lshlrev_b32 v2, v7, v2 :: v_dual_sub_nc_u32 v5, 30, v5
	s_delay_alu instid0(VALU_DEP_1) | instskip(NEXT) | instid1(VALU_DEP_1)
	v_dual_lshlrev_b32 v1, 24, v1 :: v_dual_bitop2_b32 v2, 3, v2 bitop3:0x40
	v_dual_cndmask_b32 v2, v3, v2 :: v_dual_cndmask_b32 v5, v9, v5
	s_delay_alu instid0(VALU_DEP_2) | instskip(NEXT) | instid1(VALU_DEP_2)
	v_and_b32_e32 v1, 0x80000000, v1
	v_lshlrev_b32_e32 v2, 21, v2
	s_delay_alu instid0(VALU_DEP_3) | instskip(NEXT) | instid1(VALU_DEP_1)
	v_lshl_add_u32 v3, v5, 23, 0x37800000
	v_or3_b32 v1, v1, v3, v2
	s_delay_alu instid0(VALU_DEP_1) | instskip(NEXT) | instid1(VALU_DEP_1)
	v_trunc_f32_e32 v1, v1
	v_mul_f32_e64 v2, 0x2f800000, |v1|
	s_delay_alu instid0(VALU_DEP_1) | instskip(NEXT) | instid1(VALU_DEP_1)
	v_floor_f32_e32 v2, v2
	v_fma_f32 v2, 0xcf800000, v2, |v1|
	v_ashrrev_i32_e32 v1, 31, v1
	s_delay_alu instid0(VALU_DEP_2) | instskip(NEXT) | instid1(VALU_DEP_1)
	v_cvt_u32_f32_e32 v2, v2
	v_xor_b32_e32 v2, v2, v1
	s_delay_alu instid0(VALU_DEP_1)
	v_sub_nc_u32_e32 v2, v2, v1
.LBB6_1953:
	s_or_b32 exec_lo, exec_lo, s17
	s_mov_b32 s17, 0
	s_branch .LBB6_1959
.LBB6_1954:
	s_mov_b32 s17, -1
                                        ; implicit-def: $vgpr2
	s_branch .LBB6_1965
.LBB6_1955:
	s_and_not1_saveexec_b32 s18, s18
	s_cbranch_execz .LBB6_1940
.LBB6_1956:
	v_cmp_ne_u16_e32 vcc_lo, 0, v1
	s_and_not1_b32 s19, s19, exec_lo
	s_and_b32 s20, vcc_lo, exec_lo
	s_delay_alu instid0(SALU_CYCLE_1)
	s_or_b32 s19, s19, s20
	s_or_b32 exec_lo, exec_lo, s18
	v_mov_b32_e32 v2, 0
	s_and_saveexec_b32 s18, s19
	s_cbranch_execnz .LBB6_1941
	s_branch .LBB6_1942
.LBB6_1957:
	s_mov_b32 s17, -1
                                        ; implicit-def: $vgpr2
	s_branch .LBB6_1962
.LBB6_1958:
	s_mov_b32 s17, -1
                                        ; implicit-def: $vgpr2
.LBB6_1959:
	s_delay_alu instid0(SALU_CYCLE_1)
	s_and_b32 vcc_lo, exec_lo, s17
	s_cbranch_vccz .LBB6_1961
; %bb.1960:
	global_load_u8 v1, v[10:11], off
	s_wait_loadcnt 0x0
	v_lshlrev_b32_e32 v1, 24, v1
	s_wait_xcnt 0x1
	s_delay_alu instid0(VALU_DEP_1) | instskip(NEXT) | instid1(VALU_DEP_1)
	v_and_b32_e32 v2, 0x7f000000, v1
	v_clz_i32_u32_e32 v3, v2
	v_cmp_ne_u32_e32 vcc_lo, 0, v2
	v_add_nc_u32_e32 v7, 0x1000000, v2
	s_delay_alu instid0(VALU_DEP_3) | instskip(NEXT) | instid1(VALU_DEP_1)
	v_min_u32_e32 v3, 32, v3
	v_sub_nc_u32_e64 v3, v3, 4 clamp
	s_delay_alu instid0(VALU_DEP_1) | instskip(NEXT) | instid1(VALU_DEP_1)
	v_dual_lshlrev_b32 v5, v3, v2 :: v_dual_lshlrev_b32 v3, 23, v3
	v_lshrrev_b32_e32 v5, 4, v5
	s_delay_alu instid0(VALU_DEP_1) | instskip(SKIP_1) | instid1(VALU_DEP_2)
	v_sub_nc_u32_e32 v3, v5, v3
	v_ashrrev_i32_e32 v5, 8, v7
	v_add_nc_u32_e32 v3, 0x3c000000, v3
	s_delay_alu instid0(VALU_DEP_1) | instskip(NEXT) | instid1(VALU_DEP_1)
	v_and_or_b32 v3, 0x7f800000, v5, v3
	v_cndmask_b32_e32 v2, 0, v3, vcc_lo
	s_delay_alu instid0(VALU_DEP_1) | instskip(NEXT) | instid1(VALU_DEP_1)
	v_and_or_b32 v1, 0x80000000, v1, v2
	v_trunc_f32_e32 v1, v1
	s_delay_alu instid0(VALU_DEP_1) | instskip(NEXT) | instid1(VALU_DEP_1)
	v_mul_f32_e64 v2, 0x2f800000, |v1|
	v_floor_f32_e32 v2, v2
	s_delay_alu instid0(VALU_DEP_1) | instskip(SKIP_1) | instid1(VALU_DEP_2)
	v_fma_f32 v2, 0xcf800000, v2, |v1|
	v_ashrrev_i32_e32 v1, 31, v1
	v_cvt_u32_f32_e32 v2, v2
	s_delay_alu instid0(VALU_DEP_1) | instskip(NEXT) | instid1(VALU_DEP_1)
	v_xor_b32_e32 v2, v2, v1
	v_sub_nc_u32_e32 v2, v2, v1
.LBB6_1961:
	s_mov_b32 s17, 0
.LBB6_1962:
	s_delay_alu instid0(SALU_CYCLE_1)
	s_and_not1_b32 vcc_lo, exec_lo, s17
	s_cbranch_vccnz .LBB6_1964
; %bb.1963:
	global_load_u8 v1, v[10:11], off
	s_wait_loadcnt 0x0
	s_wait_xcnt 0x1
	v_lshlrev_b32_e32 v2, 25, v1
	v_lshlrev_b16 v1, 8, v1
	s_delay_alu instid0(VALU_DEP_1) | instskip(NEXT) | instid1(VALU_DEP_3)
	v_and_or_b32 v5, 0x7f00, v1, 0.5
	v_lshrrev_b32_e32 v3, 4, v2
	v_bfe_i32 v1, v1, 0, 16
	s_delay_alu instid0(VALU_DEP_3) | instskip(NEXT) | instid1(VALU_DEP_3)
	v_add_f32_e32 v5, -0.5, v5
	v_or_b32_e32 v3, 0x70000000, v3
	s_delay_alu instid0(VALU_DEP_1) | instskip(SKIP_1) | instid1(VALU_DEP_2)
	v_mul_f32_e32 v3, 0x7800000, v3
	v_cmp_gt_u32_e32 vcc_lo, 0x8000000, v2
	v_cndmask_b32_e32 v2, v3, v5, vcc_lo
	s_delay_alu instid0(VALU_DEP_1) | instskip(NEXT) | instid1(VALU_DEP_1)
	v_and_or_b32 v1, 0x80000000, v1, v2
	v_trunc_f32_e32 v1, v1
	s_delay_alu instid0(VALU_DEP_1) | instskip(NEXT) | instid1(VALU_DEP_1)
	v_mul_f32_e64 v2, 0x2f800000, |v1|
	v_floor_f32_e32 v2, v2
	s_delay_alu instid0(VALU_DEP_1) | instskip(SKIP_1) | instid1(VALU_DEP_2)
	v_fma_f32 v2, 0xcf800000, v2, |v1|
	v_ashrrev_i32_e32 v1, 31, v1
	v_cvt_u32_f32_e32 v2, v2
	s_delay_alu instid0(VALU_DEP_1) | instskip(NEXT) | instid1(VALU_DEP_1)
	v_xor_b32_e32 v2, v2, v1
	v_sub_nc_u32_e32 v2, v2, v1
.LBB6_1964:
	s_mov_b32 s17, 0
	s_mov_b32 s18, -1
.LBB6_1965:
	s_and_not1_b32 vcc_lo, exec_lo, s17
	s_mov_b32 s17, 0
	s_cbranch_vccnz .LBB6_1976
; %bb.1966:
	s_cmp_gt_i32 s13, 14
	s_cbranch_scc0 .LBB6_1969
; %bb.1967:
	s_cmp_eq_u32 s13, 15
	s_cbranch_scc0 .LBB6_1972
; %bb.1968:
	global_load_u16 v1, v[10:11], off
	s_mov_b32 s16, 0
	s_mov_b32 s18, -1
	s_wait_loadcnt 0x0
	v_lshlrev_b32_e32 v1, 16, v1
	s_delay_alu instid0(VALU_DEP_1) | instskip(SKIP_1) | instid1(VALU_DEP_1)
	v_trunc_f32_e32 v1, v1
	s_wait_xcnt 0x1
	v_mul_f32_e64 v2, 0x2f800000, |v1|
	s_delay_alu instid0(VALU_DEP_1) | instskip(NEXT) | instid1(VALU_DEP_1)
	v_floor_f32_e32 v2, v2
	v_fma_f32 v2, 0xcf800000, v2, |v1|
	v_ashrrev_i32_e32 v1, 31, v1
	s_delay_alu instid0(VALU_DEP_2) | instskip(NEXT) | instid1(VALU_DEP_1)
	v_cvt_u32_f32_e32 v2, v2
	v_xor_b32_e32 v2, v2, v1
	s_delay_alu instid0(VALU_DEP_1)
	v_sub_nc_u32_e32 v2, v2, v1
	s_branch .LBB6_1974
.LBB6_1969:
	s_mov_b32 s17, -1
	s_branch .LBB6_1973
.LBB6_1970:
	s_and_not1_saveexec_b32 s17, s17
	s_cbranch_execz .LBB6_1951
.LBB6_1971:
	v_cmp_ne_u16_e32 vcc_lo, 0, v1
	s_and_not1_b32 s18, s18, exec_lo
	s_and_b32 s19, vcc_lo, exec_lo
	s_delay_alu instid0(SALU_CYCLE_1)
	s_or_b32 s18, s18, s19
	s_or_b32 exec_lo, exec_lo, s17
	v_mov_b32_e32 v2, 0
	s_and_saveexec_b32 s17, s18
	s_cbranch_execnz .LBB6_1952
	s_branch .LBB6_1953
.LBB6_1972:
	s_mov_b32 s16, -1
.LBB6_1973:
                                        ; implicit-def: $vgpr2
.LBB6_1974:
	s_and_b32 vcc_lo, exec_lo, s17
	s_mov_b32 s17, 0
	s_cbranch_vccz .LBB6_1976
; %bb.1975:
	s_cmp_lg_u32 s13, 11
	s_mov_b32 s17, -1
	s_cselect_b32 s16, -1, 0
.LBB6_1976:
	s_delay_alu instid0(SALU_CYCLE_1)
	s_and_b32 vcc_lo, exec_lo, s16
	s_cbranch_vccnz .LBB6_2044
; %bb.1977:
	s_and_not1_b32 vcc_lo, exec_lo, s17
	s_cbranch_vccnz .LBB6_1979
.LBB6_1978:
	global_load_u8 v1, v[10:11], off
	s_mov_b32 s18, -1
	s_wait_loadcnt 0x0
	v_cmp_ne_u16_e32 vcc_lo, 0, v1
	s_wait_xcnt 0x1
	v_cndmask_b32_e64 v2, 0, 1, vcc_lo
.LBB6_1979:
	s_mov_b32 s13, 0
.LBB6_1980:
	s_delay_alu instid0(SALU_CYCLE_1)
	s_and_b32 vcc_lo, exec_lo, s13
	s_cbranch_vccz .LBB6_2029
; %bb.1981:
	s_and_b32 s13, 0xffff, s1
	s_delay_alu instid0(SALU_CYCLE_1)
	s_cmp_lt_i32 s13, 5
	s_cbranch_scc1 .LBB6_1986
; %bb.1982:
	s_cmp_lt_i32 s13, 8
	s_cbranch_scc1 .LBB6_1987
; %bb.1983:
	;; [unrolled: 3-line block ×3, first 2 shown]
	s_cmp_gt_i32 s13, 9
	s_cbranch_scc0 .LBB6_1989
; %bb.1985:
	s_wait_loadcnt 0x0
	global_load_b64 v[2:3], v[10:11], off
	s_mov_b32 s16, 0
	s_wait_loadcnt 0x0
	v_trunc_f64_e32 v[2:3], v[2:3]
	s_delay_alu instid0(VALU_DEP_1) | instskip(NEXT) | instid1(VALU_DEP_1)
	v_ldexp_f64 v[12:13], v[2:3], 0xffffffe0
	v_floor_f64_e32 v[12:13], v[12:13]
	s_delay_alu instid0(VALU_DEP_1) | instskip(NEXT) | instid1(VALU_DEP_1)
	v_fmamk_f64 v[2:3], v[12:13], 0xc1f00000, v[2:3]
	v_cvt_u32_f64_e32 v2, v[2:3]
	s_branch .LBB6_1990
.LBB6_1986:
	s_mov_b32 s16, -1
                                        ; implicit-def: $vgpr2
	s_branch .LBB6_2008
.LBB6_1987:
	s_mov_b32 s16, -1
                                        ; implicit-def: $vgpr2
	s_branch .LBB6_1996
.LBB6_1988:
	s_mov_b32 s16, -1
                                        ; implicit-def: $vgpr2
	s_branch .LBB6_1993
.LBB6_1989:
	s_mov_b32 s16, -1
                                        ; implicit-def: $vgpr2
.LBB6_1990:
	s_delay_alu instid0(SALU_CYCLE_1)
	s_and_not1_b32 vcc_lo, exec_lo, s16
	s_cbranch_vccnz .LBB6_1992
; %bb.1991:
	global_load_b32 v1, v[10:11], off
	s_wait_loadcnt 0x0
	v_trunc_f32_e32 v1, v1
	s_wait_xcnt 0x1
	s_delay_alu instid0(VALU_DEP_1) | instskip(NEXT) | instid1(VALU_DEP_1)
	v_mul_f32_e64 v2, 0x2f800000, |v1|
	v_floor_f32_e32 v2, v2
	s_delay_alu instid0(VALU_DEP_1) | instskip(SKIP_1) | instid1(VALU_DEP_2)
	v_fma_f32 v2, 0xcf800000, v2, |v1|
	v_ashrrev_i32_e32 v1, 31, v1
	v_cvt_u32_f32_e32 v2, v2
	s_delay_alu instid0(VALU_DEP_1) | instskip(NEXT) | instid1(VALU_DEP_1)
	v_xor_b32_e32 v2, v2, v1
	v_sub_nc_u32_e32 v2, v2, v1
.LBB6_1992:
	s_mov_b32 s16, 0
.LBB6_1993:
	s_delay_alu instid0(SALU_CYCLE_1)
	s_and_not1_b32 vcc_lo, exec_lo, s16
	s_cbranch_vccnz .LBB6_1995
; %bb.1994:
	global_load_b32 v1, v[10:11], off
	s_wait_loadcnt 0x0
	v_cvt_f32_f16_e32 v1, v1
	s_wait_xcnt 0x1
	s_delay_alu instid0(VALU_DEP_1)
	v_cvt_i32_f32_e32 v2, v1
.LBB6_1995:
	s_mov_b32 s16, 0
.LBB6_1996:
	s_delay_alu instid0(SALU_CYCLE_1)
	s_and_not1_b32 vcc_lo, exec_lo, s16
	s_cbranch_vccnz .LBB6_2007
; %bb.1997:
	s_cmp_lt_i32 s13, 6
	s_cbranch_scc1 .LBB6_2000
; %bb.1998:
	s_cmp_gt_i32 s13, 6
	s_cbranch_scc0 .LBB6_2001
; %bb.1999:
	s_wait_loadcnt 0x0
	global_load_b64 v[2:3], v[10:11], off
	s_mov_b32 s16, 0
	s_wait_loadcnt 0x0
	v_trunc_f64_e32 v[2:3], v[2:3]
	s_delay_alu instid0(VALU_DEP_1) | instskip(NEXT) | instid1(VALU_DEP_1)
	v_ldexp_f64 v[12:13], v[2:3], 0xffffffe0
	v_floor_f64_e32 v[12:13], v[12:13]
	s_delay_alu instid0(VALU_DEP_1) | instskip(NEXT) | instid1(VALU_DEP_1)
	v_fmamk_f64 v[2:3], v[12:13], 0xc1f00000, v[2:3]
	v_cvt_u32_f64_e32 v2, v[2:3]
	s_branch .LBB6_2002
.LBB6_2000:
	s_mov_b32 s16, -1
                                        ; implicit-def: $vgpr2
	s_branch .LBB6_2005
.LBB6_2001:
	s_mov_b32 s16, -1
                                        ; implicit-def: $vgpr2
.LBB6_2002:
	s_delay_alu instid0(SALU_CYCLE_1)
	s_and_not1_b32 vcc_lo, exec_lo, s16
	s_cbranch_vccnz .LBB6_2004
; %bb.2003:
	global_load_b32 v1, v[10:11], off
	s_wait_loadcnt 0x0
	v_trunc_f32_e32 v1, v1
	s_wait_xcnt 0x1
	s_delay_alu instid0(VALU_DEP_1) | instskip(NEXT) | instid1(VALU_DEP_1)
	v_mul_f32_e64 v2, 0x2f800000, |v1|
	v_floor_f32_e32 v2, v2
	s_delay_alu instid0(VALU_DEP_1) | instskip(SKIP_1) | instid1(VALU_DEP_2)
	v_fma_f32 v2, 0xcf800000, v2, |v1|
	v_ashrrev_i32_e32 v1, 31, v1
	v_cvt_u32_f32_e32 v2, v2
	s_delay_alu instid0(VALU_DEP_1) | instskip(NEXT) | instid1(VALU_DEP_1)
	v_xor_b32_e32 v2, v2, v1
	v_sub_nc_u32_e32 v2, v2, v1
.LBB6_2004:
	s_mov_b32 s16, 0
.LBB6_2005:
	s_delay_alu instid0(SALU_CYCLE_1)
	s_and_not1_b32 vcc_lo, exec_lo, s16
	s_cbranch_vccnz .LBB6_2007
; %bb.2006:
	global_load_u16 v1, v[10:11], off
	s_wait_loadcnt 0x0
	v_cvt_f32_f16_e32 v1, v1
	s_wait_xcnt 0x1
	s_delay_alu instid0(VALU_DEP_1)
	v_cvt_i32_f32_e32 v2, v1
.LBB6_2007:
	s_mov_b32 s16, 0
.LBB6_2008:
	s_delay_alu instid0(SALU_CYCLE_1)
	s_and_not1_b32 vcc_lo, exec_lo, s16
	s_cbranch_vccnz .LBB6_2028
; %bb.2009:
	s_cmp_lt_i32 s13, 2
	s_cbranch_scc1 .LBB6_2013
; %bb.2010:
	s_cmp_lt_i32 s13, 3
	s_cbranch_scc1 .LBB6_2014
; %bb.2011:
	s_cmp_gt_i32 s13, 3
	s_cbranch_scc0 .LBB6_2015
; %bb.2012:
	s_wait_loadcnt 0x0
	global_load_b64 v[2:3], v[10:11], off
	s_mov_b32 s16, 0
	s_branch .LBB6_2016
.LBB6_2013:
	s_mov_b32 s16, -1
                                        ; implicit-def: $vgpr2
	s_branch .LBB6_2022
.LBB6_2014:
	s_mov_b32 s16, -1
                                        ; implicit-def: $vgpr2
	s_branch .LBB6_2019
.LBB6_2015:
	s_mov_b32 s16, -1
                                        ; implicit-def: $vgpr2
.LBB6_2016:
	s_delay_alu instid0(SALU_CYCLE_1)
	s_and_not1_b32 vcc_lo, exec_lo, s16
	s_cbranch_vccnz .LBB6_2018
; %bb.2017:
	s_wait_loadcnt 0x0
	global_load_b32 v2, v[10:11], off
.LBB6_2018:
	s_mov_b32 s16, 0
.LBB6_2019:
	s_delay_alu instid0(SALU_CYCLE_1)
	s_and_not1_b32 vcc_lo, exec_lo, s16
	s_cbranch_vccnz .LBB6_2021
; %bb.2020:
	s_wait_loadcnt 0x0
	global_load_u16 v2, v[10:11], off
.LBB6_2021:
	s_mov_b32 s16, 0
.LBB6_2022:
	s_delay_alu instid0(SALU_CYCLE_1)
	s_and_not1_b32 vcc_lo, exec_lo, s16
	s_cbranch_vccnz .LBB6_2028
; %bb.2023:
	s_cmp_gt_i32 s13, 0
	s_mov_b32 s13, 0
	s_cbranch_scc0 .LBB6_2025
; %bb.2024:
	s_wait_loadcnt 0x0
	global_load_u8 v2, v[10:11], off
	s_branch .LBB6_2026
.LBB6_2025:
	s_mov_b32 s13, -1
                                        ; implicit-def: $vgpr2
.LBB6_2026:
	s_delay_alu instid0(SALU_CYCLE_1)
	s_and_not1_b32 vcc_lo, exec_lo, s13
	s_cbranch_vccnz .LBB6_2028
; %bb.2027:
	s_wait_loadcnt 0x0
	global_load_u8 v2, v[10:11], off
.LBB6_2028:
	s_mov_b32 s18, -1
.LBB6_2029:
	s_delay_alu instid0(SALU_CYCLE_1)
	s_and_not1_b32 vcc_lo, exec_lo, s18
	s_cbranch_vccnz .LBB6_2627
; %bb.2030:
	s_wait_loadcnt 0x0
	s_delay_alu instid0(VALU_DEP_4) | instskip(SKIP_3) | instid1(VALU_DEP_1)
	v_and_b32_e32 v1, 0xff, v8
	s_mov_b32 s16, 0
	s_mov_b32 s13, exec_lo
	s_wait_xcnt 0x0
	v_cmpx_ne_u16_e32 0, v1
	s_cbranch_execz .LBB6_2033
.LBB6_2031:                             ; =>This Inner Loop Header: Depth=1
	s_delay_alu instid0(VALU_DEP_3) | instskip(SKIP_1) | instid1(VALU_DEP_1)
	v_cvt_f32_ubyte0_e32 v7, v2
	v_mov_b32_e32 v1, v8
	v_cvt_f32_ubyte0_e32 v3, v1
	s_delay_alu instid0(VALU_DEP_1) | instskip(SKIP_1) | instid1(TRANS32_DEP_1)
	v_rcp_iflag_f32_e32 v5, v3
	v_nop
	v_mul_f32_e32 v5, v7, v5
	s_delay_alu instid0(VALU_DEP_1) | instskip(NEXT) | instid1(VALU_DEP_1)
	v_trunc_f32_e32 v5, v5
	v_fma_f32 v7, -v5, v3, v7
	v_cvt_u32_f32_e32 v5, v5
	s_delay_alu instid0(VALU_DEP_2) | instskip(NEXT) | instid1(VALU_DEP_1)
	v_cmp_ge_f32_e64 vcc_lo, |v7|, v3
	v_add_co_ci_u32_e64 v3, null, 0, v5, vcc_lo
	s_delay_alu instid0(VALU_DEP_1) | instskip(NEXT) | instid1(VALU_DEP_1)
	v_mul_lo_u32 v3, v3, v1
	v_sub_nc_u32_e32 v2, v2, v3
	s_delay_alu instid0(VALU_DEP_1) | instskip(SKIP_1) | instid1(VALU_DEP_2)
	v_and_b32_e32 v8, 0xff, v2
	v_mov_b32_e32 v2, v1
	v_cmp_eq_u16_e32 vcc_lo, 0, v8
	s_or_b32 s16, vcc_lo, s16
	s_delay_alu instid0(SALU_CYCLE_1)
	s_and_not1_b32 exec_lo, exec_lo, s16
	s_cbranch_execnz .LBB6_2031
; %bb.2032:
	s_or_b32 exec_lo, exec_lo, s16
	v_mov_b32_e32 v2, v1
.LBB6_2033:
	s_or_b32 exec_lo, exec_lo, s13
	v_add_nc_u32_e32 v6, s9, v6
	s_cmp_lt_i32 s0, 11
	s_delay_alu instid0(VALU_DEP_1) | instskip(NEXT) | instid1(VALU_DEP_1)
	v_ashrrev_i32_e32 v7, 31, v6
	v_add_nc_u64_e32 v[8:9], s[6:7], v[6:7]
	s_cbranch_scc1 .LBB6_2040
; %bb.2034:
	s_and_b32 s13, 0xffff, s0
	s_mov_b32 s17, 0
	s_cmp_gt_i32 s13, 25
	s_cbranch_scc0 .LBB6_2041
; %bb.2035:
	s_cmp_gt_i32 s13, 28
	s_cbranch_scc0 .LBB6_2042
; %bb.2036:
	;; [unrolled: 3-line block ×4, first 2 shown]
	s_cmp_eq_u32 s13, 46
	s_mov_b32 s19, 0
	s_cbranch_scc0 .LBB6_2046
; %bb.2039:
	global_load_b32 v1, v[8:9], off
	s_mov_b32 s16, 0
	s_mov_b32 s18, -1
	s_wait_loadcnt 0x0
	v_lshlrev_b32_e32 v1, 16, v1
	s_delay_alu instid0(VALU_DEP_1) | instskip(NEXT) | instid1(VALU_DEP_1)
	v_trunc_f32_e32 v1, v1
	v_mul_f32_e64 v3, 0x2f800000, |v1|
	s_delay_alu instid0(VALU_DEP_1) | instskip(NEXT) | instid1(VALU_DEP_1)
	v_floor_f32_e32 v3, v3
	v_fma_f32 v3, 0xcf800000, v3, |v1|
	v_ashrrev_i32_e32 v1, 31, v1
	s_delay_alu instid0(VALU_DEP_2) | instskip(NEXT) | instid1(VALU_DEP_1)
	v_cvt_u32_f32_e32 v3, v3
	v_xor_b32_e32 v3, v3, v1
	s_delay_alu instid0(VALU_DEP_1)
	v_sub_nc_u32_e32 v10, v3, v1
	s_branch .LBB6_2048
.LBB6_2040:
	s_mov_b32 s13, -1
	s_mov_b32 s18, 0
                                        ; implicit-def: $vgpr10
	s_branch .LBB6_2110
.LBB6_2041:
	s_mov_b32 s19, -1
	s_mov_b32 s18, 0
	s_mov_b32 s16, 0
                                        ; implicit-def: $vgpr10
	s_branch .LBB6_2075
.LBB6_2042:
	s_mov_b32 s19, -1
	s_mov_b32 s18, 0
	s_mov_b32 s16, 0
                                        ; implicit-def: $vgpr10
	s_branch .LBB6_2058
.LBB6_2043:
	s_mov_b32 s19, -1
	s_mov_b32 s18, 0
	s_mov_b32 s16, 0
                                        ; implicit-def: $vgpr10
	s_branch .LBB6_2053
.LBB6_2044:
	s_or_b32 s12, s12, exec_lo
	s_trap 2
	s_cbranch_execz .LBB6_1978
	s_branch .LBB6_1979
.LBB6_2045:
	s_mov_b32 s19, -1
	s_mov_b32 s18, 0
	s_mov_b32 s16, 0
	s_branch .LBB6_2047
.LBB6_2046:
	s_mov_b32 s16, -1
	s_mov_b32 s18, 0
.LBB6_2047:
                                        ; implicit-def: $vgpr10
.LBB6_2048:
	s_and_b32 vcc_lo, exec_lo, s19
	s_cbranch_vccz .LBB6_2052
; %bb.2049:
	s_cmp_eq_u32 s13, 44
	s_cbranch_scc0 .LBB6_2051
; %bb.2050:
	global_load_u8 v1, v[8:9], off
	s_mov_b32 s16, 0
	s_mov_b32 s18, -1
	s_wait_loadcnt 0x0
	v_lshlrev_b32_e32 v3, 23, v1
	v_cmp_ne_u32_e32 vcc_lo, 0, v1
	s_delay_alu instid0(VALU_DEP_2) | instskip(NEXT) | instid1(VALU_DEP_1)
	v_trunc_f32_e32 v3, v3
	v_mul_f32_e64 v5, 0x2f800000, |v3|
	s_delay_alu instid0(VALU_DEP_1) | instskip(NEXT) | instid1(VALU_DEP_1)
	v_floor_f32_e32 v5, v5
	v_fma_f32 v5, 0xcf800000, v5, |v3|
	v_ashrrev_i32_e32 v3, 31, v3
	s_delay_alu instid0(VALU_DEP_2) | instskip(NEXT) | instid1(VALU_DEP_1)
	v_cvt_u32_f32_e32 v5, v5
	v_xor_b32_e32 v5, v5, v3
	s_delay_alu instid0(VALU_DEP_1) | instskip(NEXT) | instid1(VALU_DEP_1)
	v_sub_nc_u32_e32 v3, v5, v3
	v_cndmask_b32_e32 v10, 0, v3, vcc_lo
	s_branch .LBB6_2052
.LBB6_2051:
	s_mov_b32 s16, -1
                                        ; implicit-def: $vgpr10
.LBB6_2052:
	s_mov_b32 s19, 0
.LBB6_2053:
	s_delay_alu instid0(SALU_CYCLE_1)
	s_and_b32 vcc_lo, exec_lo, s19
	s_cbranch_vccz .LBB6_2057
; %bb.2054:
	s_cmp_eq_u32 s13, 29
	s_cbranch_scc0 .LBB6_2056
; %bb.2055:
	global_load_b64 v[10:11], v[8:9], off
	s_mov_b32 s16, 0
	s_mov_b32 s18, -1
	s_branch .LBB6_2057
.LBB6_2056:
	s_mov_b32 s16, -1
                                        ; implicit-def: $vgpr10
.LBB6_2057:
	s_mov_b32 s19, 0
.LBB6_2058:
	s_delay_alu instid0(SALU_CYCLE_1)
	s_and_b32 vcc_lo, exec_lo, s19
	s_cbranch_vccz .LBB6_2074
; %bb.2059:
	s_cmp_lt_i32 s13, 27
	s_cbranch_scc1 .LBB6_2062
; %bb.2060:
	s_cmp_gt_i32 s13, 27
	s_cbranch_scc0 .LBB6_2063
; %bb.2061:
	s_wait_loadcnt 0x0
	global_load_b32 v10, v[8:9], off
	s_mov_b32 s18, 0
	s_branch .LBB6_2064
.LBB6_2062:
	s_mov_b32 s18, -1
                                        ; implicit-def: $vgpr10
	s_branch .LBB6_2067
.LBB6_2063:
	s_mov_b32 s18, -1
                                        ; implicit-def: $vgpr10
.LBB6_2064:
	s_delay_alu instid0(SALU_CYCLE_1)
	s_and_not1_b32 vcc_lo, exec_lo, s18
	s_cbranch_vccnz .LBB6_2066
; %bb.2065:
	s_wait_loadcnt 0x0
	global_load_u16 v10, v[8:9], off
.LBB6_2066:
	s_mov_b32 s18, 0
.LBB6_2067:
	s_delay_alu instid0(SALU_CYCLE_1)
	s_and_not1_b32 vcc_lo, exec_lo, s18
	s_cbranch_vccnz .LBB6_2073
; %bb.2068:
	global_load_u8 v1, v[8:9], off
	s_mov_b32 s19, 0
	s_mov_b32 s18, exec_lo
	s_wait_loadcnt 0x0
	v_cmpx_lt_i16_e32 0x7f, v1
	s_xor_b32 s18, exec_lo, s18
	s_cbranch_execz .LBB6_2085
; %bb.2069:
	v_cmp_ne_u16_e32 vcc_lo, 0x80, v1
	s_and_b32 s19, vcc_lo, exec_lo
	s_and_not1_saveexec_b32 s18, s18
	s_cbranch_execnz .LBB6_2086
.LBB6_2070:
	s_or_b32 exec_lo, exec_lo, s18
	v_mov_b32_e32 v10, 0
	s_and_saveexec_b32 s18, s19
	s_cbranch_execz .LBB6_2072
.LBB6_2071:
	v_and_b32_e32 v3, 0xffff, v1
	s_delay_alu instid0(VALU_DEP_1) | instskip(SKIP_1) | instid1(VALU_DEP_2)
	v_dual_lshlrev_b32 v1, 24, v1 :: v_dual_bitop2_b32 v5, 7, v3 bitop3:0x40
	v_bfe_u32 v11, v3, 3, 4
	v_and_b32_e32 v1, 0x80000000, v1
	s_delay_alu instid0(VALU_DEP_3) | instskip(NEXT) | instid1(VALU_DEP_3)
	v_clz_i32_u32_e32 v7, v5
	v_cmp_eq_u32_e32 vcc_lo, 0, v11
	s_delay_alu instid0(VALU_DEP_2) | instskip(NEXT) | instid1(VALU_DEP_1)
	v_min_u32_e32 v7, 32, v7
	v_subrev_nc_u32_e32 v10, 28, v7
	v_sub_nc_u32_e32 v7, 29, v7
	s_delay_alu instid0(VALU_DEP_2) | instskip(NEXT) | instid1(VALU_DEP_2)
	v_lshlrev_b32_e32 v3, v10, v3
	v_cndmask_b32_e32 v7, v11, v7, vcc_lo
	s_delay_alu instid0(VALU_DEP_2) | instskip(NEXT) | instid1(VALU_DEP_1)
	v_and_b32_e32 v3, 7, v3
	v_cndmask_b32_e32 v3, v5, v3, vcc_lo
	s_delay_alu instid0(VALU_DEP_3) | instskip(NEXT) | instid1(VALU_DEP_2)
	v_lshl_add_u32 v5, v7, 23, 0x3b800000
	v_lshlrev_b32_e32 v3, 20, v3
	s_delay_alu instid0(VALU_DEP_1) | instskip(NEXT) | instid1(VALU_DEP_1)
	v_or3_b32 v1, v1, v5, v3
	v_trunc_f32_e32 v1, v1
	s_delay_alu instid0(VALU_DEP_1) | instskip(NEXT) | instid1(VALU_DEP_1)
	v_mul_f32_e64 v3, 0x2f800000, |v1|
	v_floor_f32_e32 v3, v3
	s_delay_alu instid0(VALU_DEP_1) | instskip(SKIP_1) | instid1(VALU_DEP_2)
	v_fma_f32 v3, 0xcf800000, v3, |v1|
	v_ashrrev_i32_e32 v1, 31, v1
	v_cvt_u32_f32_e32 v3, v3
	s_delay_alu instid0(VALU_DEP_1) | instskip(NEXT) | instid1(VALU_DEP_1)
	v_xor_b32_e32 v3, v3, v1
	v_sub_nc_u32_e32 v10, v3, v1
.LBB6_2072:
	s_or_b32 exec_lo, exec_lo, s18
.LBB6_2073:
	s_mov_b32 s18, -1
.LBB6_2074:
	s_mov_b32 s19, 0
.LBB6_2075:
	s_delay_alu instid0(SALU_CYCLE_1)
	s_and_b32 vcc_lo, exec_lo, s19
	s_cbranch_vccz .LBB6_2106
; %bb.2076:
	s_cmp_gt_i32 s13, 22
	s_cbranch_scc0 .LBB6_2084
; %bb.2077:
	s_cmp_lt_i32 s13, 24
	s_cbranch_scc1 .LBB6_2087
; %bb.2078:
	s_cmp_gt_i32 s13, 24
	s_cbranch_scc0 .LBB6_2088
; %bb.2079:
	global_load_u8 v1, v[8:9], off
	s_mov_b32 s18, 0
	s_mov_b32 s17, exec_lo
	s_wait_loadcnt 0x0
	v_cmpx_lt_i16_e32 0x7f, v1
	s_xor_b32 s17, exec_lo, s17
	s_cbranch_execz .LBB6_2100
; %bb.2080:
	v_cmp_ne_u16_e32 vcc_lo, 0x80, v1
	s_and_b32 s18, vcc_lo, exec_lo
	s_and_not1_saveexec_b32 s17, s17
	s_cbranch_execnz .LBB6_2101
.LBB6_2081:
	s_or_b32 exec_lo, exec_lo, s17
	v_mov_b32_e32 v10, 0
	s_and_saveexec_b32 s17, s18
	s_cbranch_execz .LBB6_2083
.LBB6_2082:
	v_and_b32_e32 v3, 0xffff, v1
	s_delay_alu instid0(VALU_DEP_1) | instskip(SKIP_1) | instid1(VALU_DEP_2)
	v_dual_lshlrev_b32 v1, 24, v1 :: v_dual_bitop2_b32 v5, 3, v3 bitop3:0x40
	v_bfe_u32 v11, v3, 2, 5
	v_and_b32_e32 v1, 0x80000000, v1
	s_delay_alu instid0(VALU_DEP_3) | instskip(NEXT) | instid1(VALU_DEP_3)
	v_clz_i32_u32_e32 v7, v5
	v_cmp_eq_u32_e32 vcc_lo, 0, v11
	s_delay_alu instid0(VALU_DEP_2) | instskip(NEXT) | instid1(VALU_DEP_1)
	v_min_u32_e32 v7, 32, v7
	v_subrev_nc_u32_e32 v10, 29, v7
	v_sub_nc_u32_e32 v7, 30, v7
	s_delay_alu instid0(VALU_DEP_2) | instskip(NEXT) | instid1(VALU_DEP_2)
	v_lshlrev_b32_e32 v3, v10, v3
	v_cndmask_b32_e32 v7, v11, v7, vcc_lo
	s_delay_alu instid0(VALU_DEP_2) | instskip(NEXT) | instid1(VALU_DEP_1)
	v_and_b32_e32 v3, 3, v3
	v_cndmask_b32_e32 v3, v5, v3, vcc_lo
	s_delay_alu instid0(VALU_DEP_3) | instskip(NEXT) | instid1(VALU_DEP_2)
	v_lshl_add_u32 v5, v7, 23, 0x37800000
	v_lshlrev_b32_e32 v3, 21, v3
	s_delay_alu instid0(VALU_DEP_1) | instskip(NEXT) | instid1(VALU_DEP_1)
	v_or3_b32 v1, v1, v5, v3
	v_trunc_f32_e32 v1, v1
	s_delay_alu instid0(VALU_DEP_1) | instskip(NEXT) | instid1(VALU_DEP_1)
	v_mul_f32_e64 v3, 0x2f800000, |v1|
	v_floor_f32_e32 v3, v3
	s_delay_alu instid0(VALU_DEP_1) | instskip(SKIP_1) | instid1(VALU_DEP_2)
	v_fma_f32 v3, 0xcf800000, v3, |v1|
	v_ashrrev_i32_e32 v1, 31, v1
	v_cvt_u32_f32_e32 v3, v3
	s_delay_alu instid0(VALU_DEP_1) | instskip(NEXT) | instid1(VALU_DEP_1)
	v_xor_b32_e32 v3, v3, v1
	v_sub_nc_u32_e32 v10, v3, v1
.LBB6_2083:
	s_or_b32 exec_lo, exec_lo, s17
	s_mov_b32 s17, 0
	s_branch .LBB6_2089
.LBB6_2084:
	s_mov_b32 s17, -1
                                        ; implicit-def: $vgpr10
	s_branch .LBB6_2095
.LBB6_2085:
	s_and_not1_saveexec_b32 s18, s18
	s_cbranch_execz .LBB6_2070
.LBB6_2086:
	v_cmp_ne_u16_e32 vcc_lo, 0, v1
	s_and_not1_b32 s19, s19, exec_lo
	s_and_b32 s20, vcc_lo, exec_lo
	s_delay_alu instid0(SALU_CYCLE_1)
	s_or_b32 s19, s19, s20
	s_or_b32 exec_lo, exec_lo, s18
	v_mov_b32_e32 v10, 0
	s_and_saveexec_b32 s18, s19
	s_cbranch_execnz .LBB6_2071
	s_branch .LBB6_2072
.LBB6_2087:
	s_mov_b32 s17, -1
                                        ; implicit-def: $vgpr10
	s_branch .LBB6_2092
.LBB6_2088:
	s_mov_b32 s17, -1
                                        ; implicit-def: $vgpr10
.LBB6_2089:
	s_delay_alu instid0(SALU_CYCLE_1)
	s_and_b32 vcc_lo, exec_lo, s17
	s_cbranch_vccz .LBB6_2091
; %bb.2090:
	global_load_u8 v1, v[8:9], off
	s_wait_loadcnt 0x0
	v_lshlrev_b32_e32 v1, 24, v1
	s_delay_alu instid0(VALU_DEP_1) | instskip(NEXT) | instid1(VALU_DEP_1)
	v_and_b32_e32 v3, 0x7f000000, v1
	v_clz_i32_u32_e32 v5, v3
	v_cmp_ne_u32_e32 vcc_lo, 0, v3
	v_add_nc_u32_e32 v10, 0x1000000, v3
	s_delay_alu instid0(VALU_DEP_3) | instskip(NEXT) | instid1(VALU_DEP_1)
	v_min_u32_e32 v5, 32, v5
	v_sub_nc_u32_e64 v5, v5, 4 clamp
	s_delay_alu instid0(VALU_DEP_1) | instskip(NEXT) | instid1(VALU_DEP_1)
	v_dual_lshlrev_b32 v7, v5, v3 :: v_dual_lshlrev_b32 v5, 23, v5
	v_lshrrev_b32_e32 v7, 4, v7
	s_delay_alu instid0(VALU_DEP_1) | instskip(NEXT) | instid1(VALU_DEP_1)
	v_dual_sub_nc_u32 v5, v7, v5 :: v_dual_ashrrev_i32 v7, 8, v10
	v_add_nc_u32_e32 v5, 0x3c000000, v5
	s_delay_alu instid0(VALU_DEP_1) | instskip(NEXT) | instid1(VALU_DEP_1)
	v_and_or_b32 v5, 0x7f800000, v7, v5
	v_cndmask_b32_e32 v3, 0, v5, vcc_lo
	s_delay_alu instid0(VALU_DEP_1) | instskip(NEXT) | instid1(VALU_DEP_1)
	v_and_or_b32 v1, 0x80000000, v1, v3
	v_trunc_f32_e32 v1, v1
	s_delay_alu instid0(VALU_DEP_1) | instskip(NEXT) | instid1(VALU_DEP_1)
	v_mul_f32_e64 v3, 0x2f800000, |v1|
	v_floor_f32_e32 v3, v3
	s_delay_alu instid0(VALU_DEP_1) | instskip(SKIP_1) | instid1(VALU_DEP_2)
	v_fma_f32 v3, 0xcf800000, v3, |v1|
	v_ashrrev_i32_e32 v1, 31, v1
	v_cvt_u32_f32_e32 v3, v3
	s_delay_alu instid0(VALU_DEP_1) | instskip(NEXT) | instid1(VALU_DEP_1)
	v_xor_b32_e32 v3, v3, v1
	v_sub_nc_u32_e32 v10, v3, v1
.LBB6_2091:
	s_mov_b32 s17, 0
.LBB6_2092:
	s_delay_alu instid0(SALU_CYCLE_1)
	s_and_not1_b32 vcc_lo, exec_lo, s17
	s_cbranch_vccnz .LBB6_2094
; %bb.2093:
	global_load_u8 v1, v[8:9], off
	s_wait_loadcnt 0x0
	v_lshlrev_b32_e32 v3, 25, v1
	v_lshlrev_b16 v1, 8, v1
	s_delay_alu instid0(VALU_DEP_1) | instskip(SKIP_1) | instid1(VALU_DEP_2)
	v_and_or_b32 v7, 0x7f00, v1, 0.5
	v_bfe_i32 v1, v1, 0, 16
	v_add_f32_e32 v7, -0.5, v7
	v_lshrrev_b32_e32 v5, 4, v3
	v_cmp_gt_u32_e32 vcc_lo, 0x8000000, v3
	s_delay_alu instid0(VALU_DEP_2) | instskip(NEXT) | instid1(VALU_DEP_1)
	v_or_b32_e32 v5, 0x70000000, v5
	v_mul_f32_e32 v5, 0x7800000, v5
	s_delay_alu instid0(VALU_DEP_1) | instskip(NEXT) | instid1(VALU_DEP_1)
	v_cndmask_b32_e32 v3, v5, v7, vcc_lo
	v_and_or_b32 v1, 0x80000000, v1, v3
	s_delay_alu instid0(VALU_DEP_1) | instskip(NEXT) | instid1(VALU_DEP_1)
	v_trunc_f32_e32 v1, v1
	v_mul_f32_e64 v3, 0x2f800000, |v1|
	s_delay_alu instid0(VALU_DEP_1) | instskip(NEXT) | instid1(VALU_DEP_1)
	v_floor_f32_e32 v3, v3
	v_fma_f32 v3, 0xcf800000, v3, |v1|
	v_ashrrev_i32_e32 v1, 31, v1
	s_delay_alu instid0(VALU_DEP_2) | instskip(NEXT) | instid1(VALU_DEP_1)
	v_cvt_u32_f32_e32 v3, v3
	v_xor_b32_e32 v3, v3, v1
	s_delay_alu instid0(VALU_DEP_1)
	v_sub_nc_u32_e32 v10, v3, v1
.LBB6_2094:
	s_mov_b32 s17, 0
	s_mov_b32 s18, -1
.LBB6_2095:
	s_and_not1_b32 vcc_lo, exec_lo, s17
	s_mov_b32 s17, 0
	s_cbranch_vccnz .LBB6_2106
; %bb.2096:
	s_cmp_gt_i32 s13, 14
	s_cbranch_scc0 .LBB6_2099
; %bb.2097:
	s_cmp_eq_u32 s13, 15
	s_cbranch_scc0 .LBB6_2102
; %bb.2098:
	global_load_u16 v1, v[8:9], off
	s_mov_b32 s16, 0
	s_mov_b32 s18, -1
	s_wait_loadcnt 0x0
	v_lshlrev_b32_e32 v1, 16, v1
	s_delay_alu instid0(VALU_DEP_1) | instskip(NEXT) | instid1(VALU_DEP_1)
	v_trunc_f32_e32 v1, v1
	v_mul_f32_e64 v3, 0x2f800000, |v1|
	s_delay_alu instid0(VALU_DEP_1) | instskip(NEXT) | instid1(VALU_DEP_1)
	v_floor_f32_e32 v3, v3
	v_fma_f32 v3, 0xcf800000, v3, |v1|
	v_ashrrev_i32_e32 v1, 31, v1
	s_delay_alu instid0(VALU_DEP_2) | instskip(NEXT) | instid1(VALU_DEP_1)
	v_cvt_u32_f32_e32 v3, v3
	v_xor_b32_e32 v3, v3, v1
	s_delay_alu instid0(VALU_DEP_1)
	v_sub_nc_u32_e32 v10, v3, v1
	s_branch .LBB6_2104
.LBB6_2099:
	s_mov_b32 s17, -1
	s_branch .LBB6_2103
.LBB6_2100:
	s_and_not1_saveexec_b32 s17, s17
	s_cbranch_execz .LBB6_2081
.LBB6_2101:
	v_cmp_ne_u16_e32 vcc_lo, 0, v1
	s_and_not1_b32 s18, s18, exec_lo
	s_and_b32 s19, vcc_lo, exec_lo
	s_delay_alu instid0(SALU_CYCLE_1)
	s_or_b32 s18, s18, s19
	s_or_b32 exec_lo, exec_lo, s17
	v_mov_b32_e32 v10, 0
	s_and_saveexec_b32 s17, s18
	s_cbranch_execnz .LBB6_2082
	s_branch .LBB6_2083
.LBB6_2102:
	s_mov_b32 s16, -1
.LBB6_2103:
                                        ; implicit-def: $vgpr10
.LBB6_2104:
	s_and_b32 vcc_lo, exec_lo, s17
	s_mov_b32 s17, 0
	s_cbranch_vccz .LBB6_2106
; %bb.2105:
	s_cmp_lg_u32 s13, 11
	s_mov_b32 s17, -1
	s_cselect_b32 s16, -1, 0
.LBB6_2106:
	s_delay_alu instid0(SALU_CYCLE_1)
	s_and_b32 vcc_lo, exec_lo, s16
	s_cbranch_vccnz .LBB6_2171
; %bb.2107:
	s_and_not1_b32 vcc_lo, exec_lo, s17
	s_cbranch_vccnz .LBB6_2109
.LBB6_2108:
	global_load_u8 v1, v[8:9], off
	s_mov_b32 s18, -1
	s_wait_loadcnt 0x0
	v_cmp_ne_u16_e32 vcc_lo, 0, v1
	v_cndmask_b32_e64 v10, 0, 1, vcc_lo
.LBB6_2109:
	s_mov_b32 s13, 0
.LBB6_2110:
	s_delay_alu instid0(SALU_CYCLE_1)
	s_and_b32 vcc_lo, exec_lo, s13
	s_cbranch_vccz .LBB6_2159
; %bb.2111:
	s_and_b32 s13, 0xffff, s0
	s_delay_alu instid0(SALU_CYCLE_1)
	s_cmp_lt_i32 s13, 5
	s_cbranch_scc1 .LBB6_2116
; %bb.2112:
	s_cmp_lt_i32 s13, 8
	s_cbranch_scc1 .LBB6_2117
; %bb.2113:
	;; [unrolled: 3-line block ×3, first 2 shown]
	s_cmp_gt_i32 s13, 9
	s_cbranch_scc0 .LBB6_2119
; %bb.2115:
	s_wait_loadcnt 0x0
	global_load_b64 v[10:11], v[8:9], off
	s_mov_b32 s16, 0
	s_wait_loadcnt 0x0
	v_trunc_f64_e32 v[10:11], v[10:11]
	s_delay_alu instid0(VALU_DEP_1) | instskip(NEXT) | instid1(VALU_DEP_1)
	v_ldexp_f64 v[12:13], v[10:11], 0xffffffe0
	v_floor_f64_e32 v[12:13], v[12:13]
	s_delay_alu instid0(VALU_DEP_1) | instskip(NEXT) | instid1(VALU_DEP_1)
	v_fmamk_f64 v[10:11], v[12:13], 0xc1f00000, v[10:11]
	v_cvt_u32_f64_e32 v10, v[10:11]
	s_branch .LBB6_2120
.LBB6_2116:
	s_mov_b32 s16, -1
                                        ; implicit-def: $vgpr10
	s_branch .LBB6_2138
.LBB6_2117:
	s_mov_b32 s16, -1
                                        ; implicit-def: $vgpr10
	s_branch .LBB6_2126
.LBB6_2118:
	s_mov_b32 s16, -1
                                        ; implicit-def: $vgpr10
	s_branch .LBB6_2123
.LBB6_2119:
	s_mov_b32 s16, -1
                                        ; implicit-def: $vgpr10
.LBB6_2120:
	s_delay_alu instid0(SALU_CYCLE_1)
	s_and_not1_b32 vcc_lo, exec_lo, s16
	s_cbranch_vccnz .LBB6_2122
; %bb.2121:
	global_load_b32 v1, v[8:9], off
	s_wait_loadcnt 0x0
	v_trunc_f32_e32 v1, v1
	s_delay_alu instid0(VALU_DEP_1) | instskip(NEXT) | instid1(VALU_DEP_1)
	v_mul_f32_e64 v3, 0x2f800000, |v1|
	v_floor_f32_e32 v3, v3
	s_delay_alu instid0(VALU_DEP_1) | instskip(SKIP_1) | instid1(VALU_DEP_2)
	v_fma_f32 v3, 0xcf800000, v3, |v1|
	v_ashrrev_i32_e32 v1, 31, v1
	v_cvt_u32_f32_e32 v3, v3
	s_delay_alu instid0(VALU_DEP_1) | instskip(NEXT) | instid1(VALU_DEP_1)
	v_xor_b32_e32 v3, v3, v1
	v_sub_nc_u32_e32 v10, v3, v1
.LBB6_2122:
	s_mov_b32 s16, 0
.LBB6_2123:
	s_delay_alu instid0(SALU_CYCLE_1)
	s_and_not1_b32 vcc_lo, exec_lo, s16
	s_cbranch_vccnz .LBB6_2125
; %bb.2124:
	global_load_b32 v1, v[8:9], off
	s_wait_loadcnt 0x0
	v_cvt_f32_f16_e32 v1, v1
	s_delay_alu instid0(VALU_DEP_1)
	v_cvt_i32_f32_e32 v10, v1
.LBB6_2125:
	s_mov_b32 s16, 0
.LBB6_2126:
	s_delay_alu instid0(SALU_CYCLE_1)
	s_and_not1_b32 vcc_lo, exec_lo, s16
	s_cbranch_vccnz .LBB6_2137
; %bb.2127:
	s_cmp_lt_i32 s13, 6
	s_cbranch_scc1 .LBB6_2130
; %bb.2128:
	s_cmp_gt_i32 s13, 6
	s_cbranch_scc0 .LBB6_2131
; %bb.2129:
	s_wait_loadcnt 0x0
	global_load_b64 v[10:11], v[8:9], off
	s_mov_b32 s16, 0
	s_wait_loadcnt 0x0
	v_trunc_f64_e32 v[10:11], v[10:11]
	s_delay_alu instid0(VALU_DEP_1) | instskip(NEXT) | instid1(VALU_DEP_1)
	v_ldexp_f64 v[12:13], v[10:11], 0xffffffe0
	v_floor_f64_e32 v[12:13], v[12:13]
	s_delay_alu instid0(VALU_DEP_1) | instskip(NEXT) | instid1(VALU_DEP_1)
	v_fmamk_f64 v[10:11], v[12:13], 0xc1f00000, v[10:11]
	v_cvt_u32_f64_e32 v10, v[10:11]
	s_branch .LBB6_2132
.LBB6_2130:
	s_mov_b32 s16, -1
                                        ; implicit-def: $vgpr10
	s_branch .LBB6_2135
.LBB6_2131:
	s_mov_b32 s16, -1
                                        ; implicit-def: $vgpr10
.LBB6_2132:
	s_delay_alu instid0(SALU_CYCLE_1)
	s_and_not1_b32 vcc_lo, exec_lo, s16
	s_cbranch_vccnz .LBB6_2134
; %bb.2133:
	global_load_b32 v1, v[8:9], off
	s_wait_loadcnt 0x0
	v_trunc_f32_e32 v1, v1
	s_delay_alu instid0(VALU_DEP_1) | instskip(NEXT) | instid1(VALU_DEP_1)
	v_mul_f32_e64 v3, 0x2f800000, |v1|
	v_floor_f32_e32 v3, v3
	s_delay_alu instid0(VALU_DEP_1) | instskip(SKIP_1) | instid1(VALU_DEP_2)
	v_fma_f32 v3, 0xcf800000, v3, |v1|
	v_ashrrev_i32_e32 v1, 31, v1
	v_cvt_u32_f32_e32 v3, v3
	s_delay_alu instid0(VALU_DEP_1) | instskip(NEXT) | instid1(VALU_DEP_1)
	v_xor_b32_e32 v3, v3, v1
	v_sub_nc_u32_e32 v10, v3, v1
.LBB6_2134:
	s_mov_b32 s16, 0
.LBB6_2135:
	s_delay_alu instid0(SALU_CYCLE_1)
	s_and_not1_b32 vcc_lo, exec_lo, s16
	s_cbranch_vccnz .LBB6_2137
; %bb.2136:
	global_load_u16 v1, v[8:9], off
	s_wait_loadcnt 0x0
	v_cvt_f32_f16_e32 v1, v1
	s_delay_alu instid0(VALU_DEP_1)
	v_cvt_i32_f32_e32 v10, v1
.LBB6_2137:
	s_mov_b32 s16, 0
.LBB6_2138:
	s_delay_alu instid0(SALU_CYCLE_1)
	s_and_not1_b32 vcc_lo, exec_lo, s16
	s_cbranch_vccnz .LBB6_2158
; %bb.2139:
	s_cmp_lt_i32 s13, 2
	s_cbranch_scc1 .LBB6_2143
; %bb.2140:
	s_cmp_lt_i32 s13, 3
	s_cbranch_scc1 .LBB6_2144
; %bb.2141:
	s_cmp_gt_i32 s13, 3
	s_cbranch_scc0 .LBB6_2145
; %bb.2142:
	s_wait_loadcnt 0x0
	global_load_b64 v[10:11], v[8:9], off
	s_mov_b32 s16, 0
	s_branch .LBB6_2146
.LBB6_2143:
	s_mov_b32 s16, -1
                                        ; implicit-def: $vgpr10
	s_branch .LBB6_2152
.LBB6_2144:
	s_mov_b32 s16, -1
                                        ; implicit-def: $vgpr10
	s_branch .LBB6_2149
.LBB6_2145:
	s_mov_b32 s16, -1
                                        ; implicit-def: $vgpr10
.LBB6_2146:
	s_delay_alu instid0(SALU_CYCLE_1)
	s_and_not1_b32 vcc_lo, exec_lo, s16
	s_cbranch_vccnz .LBB6_2148
; %bb.2147:
	s_wait_loadcnt 0x0
	global_load_b32 v10, v[8:9], off
.LBB6_2148:
	s_mov_b32 s16, 0
.LBB6_2149:
	s_delay_alu instid0(SALU_CYCLE_1)
	s_and_not1_b32 vcc_lo, exec_lo, s16
	s_cbranch_vccnz .LBB6_2151
; %bb.2150:
	s_wait_loadcnt 0x0
	global_load_u16 v10, v[8:9], off
.LBB6_2151:
	s_mov_b32 s16, 0
.LBB6_2152:
	s_delay_alu instid0(SALU_CYCLE_1)
	s_and_not1_b32 vcc_lo, exec_lo, s16
	s_cbranch_vccnz .LBB6_2158
; %bb.2153:
	s_cmp_gt_i32 s13, 0
	s_mov_b32 s13, 0
	s_cbranch_scc0 .LBB6_2155
; %bb.2154:
	s_wait_loadcnt 0x0
	global_load_u8 v10, v[8:9], off
	s_branch .LBB6_2156
.LBB6_2155:
	s_mov_b32 s13, -1
                                        ; implicit-def: $vgpr10
.LBB6_2156:
	s_delay_alu instid0(SALU_CYCLE_1)
	s_and_not1_b32 vcc_lo, exec_lo, s13
	s_cbranch_vccnz .LBB6_2158
; %bb.2157:
	s_wait_loadcnt 0x0
	global_load_u8 v10, v[8:9], off
.LBB6_2158:
	s_mov_b32 s18, -1
.LBB6_2159:
	s_delay_alu instid0(SALU_CYCLE_1)
	s_and_not1_b32 vcc_lo, exec_lo, s18
	s_cbranch_vccnz .LBB6_2627
; %bb.2160:
	s_wait_xcnt 0x0
	v_add_nc_u32_e32 v8, s10, v4
	s_cmp_lt_i32 s1, 11
	s_delay_alu instid0(VALU_DEP_1) | instskip(NEXT) | instid1(VALU_DEP_1)
	v_ashrrev_i32_e32 v9, 31, v8
	v_add_nc_u64_e32 v[12:13], s[2:3], v[8:9]
	s_cbranch_scc1 .LBB6_2167
; %bb.2161:
	s_and_b32 s13, 0xffff, s1
	s_mov_b32 s17, 0
	s_cmp_gt_i32 s13, 25
	s_cbranch_scc0 .LBB6_2168
; %bb.2162:
	s_cmp_gt_i32 s13, 28
	s_cbranch_scc0 .LBB6_2169
; %bb.2163:
	s_cmp_gt_i32 s13, 43
	s_cbranch_scc0 .LBB6_2170
; %bb.2164:
	s_cmp_gt_i32 s13, 45
	s_cbranch_scc0 .LBB6_2172
; %bb.2165:
	s_cmp_eq_u32 s13, 46
	s_mov_b32 s19, 0
	s_cbranch_scc0 .LBB6_2175
; %bb.2166:
	global_load_b32 v1, v[12:13], off
	s_mov_b32 s16, 0
	s_mov_b32 s18, -1
	s_wait_loadcnt 0x0
	v_lshlrev_b32_e32 v1, 16, v1
	s_delay_alu instid0(VALU_DEP_1) | instskip(NEXT) | instid1(VALU_DEP_1)
	v_trunc_f32_e32 v1, v1
	v_mul_f32_e64 v3, 0x2f800000, |v1|
	s_delay_alu instid0(VALU_DEP_1) | instskip(NEXT) | instid1(VALU_DEP_1)
	v_floor_f32_e32 v3, v3
	v_fma_f32 v3, 0xcf800000, v3, |v1|
	v_ashrrev_i32_e32 v1, 31, v1
	s_delay_alu instid0(VALU_DEP_2) | instskip(NEXT) | instid1(VALU_DEP_1)
	v_cvt_u32_f32_e32 v3, v3
	v_xor_b32_e32 v3, v3, v1
	s_delay_alu instid0(VALU_DEP_1)
	v_sub_nc_u32_e32 v4, v3, v1
	s_branch .LBB6_2177
.LBB6_2167:
	s_mov_b32 s13, -1
	s_mov_b32 s18, 0
                                        ; implicit-def: $vgpr4
	s_branch .LBB6_2239
.LBB6_2168:
	s_mov_b32 s19, -1
	s_mov_b32 s18, 0
	s_mov_b32 s16, 0
                                        ; implicit-def: $vgpr4
	s_branch .LBB6_2204
.LBB6_2169:
	s_mov_b32 s19, -1
	s_mov_b32 s18, 0
	s_mov_b32 s16, 0
                                        ; implicit-def: $vgpr4
	s_branch .LBB6_2187
.LBB6_2170:
	s_mov_b32 s19, -1
	s_mov_b32 s18, 0
	s_mov_b32 s16, 0
                                        ; implicit-def: $vgpr4
	s_branch .LBB6_2182
.LBB6_2171:
	s_or_b32 s12, s12, exec_lo
	s_trap 2
	s_cbranch_execz .LBB6_2108
	s_branch .LBB6_2109
.LBB6_2172:
	s_mov_b32 s19, -1
	s_mov_b32 s18, 0
	s_mov_b32 s16, 0
	s_branch .LBB6_2176
.LBB6_2173:
	s_and_not1_saveexec_b32 s31, s31
	s_cbranch_execz .LBB6_1072
.LBB6_2174:
	v_add_f32_e32 v3, 0x42800000, v4
	s_and_not1_b32 s30, s30, exec_lo
	s_delay_alu instid0(VALU_DEP_1) | instskip(NEXT) | instid1(VALU_DEP_1)
	v_and_b32_e32 v3, 0xff, v3
	v_cmp_ne_u32_e32 vcc_lo, 0, v3
	s_and_b32 s33, vcc_lo, exec_lo
	s_delay_alu instid0(SALU_CYCLE_1)
	s_or_b32 s30, s30, s33
	s_or_b32 exec_lo, exec_lo, s31
	v_mov_b32_e32 v5, 0
	s_and_saveexec_b32 s31, s30
	s_cbranch_execnz .LBB6_1073
	s_branch .LBB6_1074
.LBB6_2175:
	s_mov_b32 s16, -1
	s_mov_b32 s18, 0
.LBB6_2176:
                                        ; implicit-def: $vgpr4
.LBB6_2177:
	s_and_b32 vcc_lo, exec_lo, s19
	s_cbranch_vccz .LBB6_2181
; %bb.2178:
	s_cmp_eq_u32 s13, 44
	s_cbranch_scc0 .LBB6_2180
; %bb.2179:
	global_load_u8 v1, v[12:13], off
	s_mov_b32 s16, 0
	s_mov_b32 s18, -1
	s_wait_loadcnt 0x0
	v_lshlrev_b32_e32 v3, 23, v1
	v_cmp_ne_u32_e32 vcc_lo, 0, v1
	s_delay_alu instid0(VALU_DEP_2) | instskip(NEXT) | instid1(VALU_DEP_1)
	v_trunc_f32_e32 v3, v3
	v_mul_f32_e64 v4, 0x2f800000, |v3|
	s_delay_alu instid0(VALU_DEP_1) | instskip(NEXT) | instid1(VALU_DEP_1)
	v_floor_f32_e32 v4, v4
	v_fma_f32 v4, 0xcf800000, v4, |v3|
	v_ashrrev_i32_e32 v3, 31, v3
	s_delay_alu instid0(VALU_DEP_2) | instskip(NEXT) | instid1(VALU_DEP_1)
	v_cvt_u32_f32_e32 v4, v4
	v_xor_b32_e32 v4, v4, v3
	s_delay_alu instid0(VALU_DEP_1) | instskip(NEXT) | instid1(VALU_DEP_1)
	v_sub_nc_u32_e32 v3, v4, v3
	v_cndmask_b32_e32 v4, 0, v3, vcc_lo
	s_branch .LBB6_2181
.LBB6_2180:
	s_mov_b32 s16, -1
                                        ; implicit-def: $vgpr4
.LBB6_2181:
	s_mov_b32 s19, 0
.LBB6_2182:
	s_delay_alu instid0(SALU_CYCLE_1)
	s_and_b32 vcc_lo, exec_lo, s19
	s_cbranch_vccz .LBB6_2186
; %bb.2183:
	s_cmp_eq_u32 s13, 29
	s_cbranch_scc0 .LBB6_2185
; %bb.2184:
	global_load_b64 v[4:5], v[12:13], off
	s_mov_b32 s16, 0
	s_mov_b32 s18, -1
	s_branch .LBB6_2186
.LBB6_2185:
	s_mov_b32 s16, -1
                                        ; implicit-def: $vgpr4
.LBB6_2186:
	s_mov_b32 s19, 0
.LBB6_2187:
	s_delay_alu instid0(SALU_CYCLE_1)
	s_and_b32 vcc_lo, exec_lo, s19
	s_cbranch_vccz .LBB6_2203
; %bb.2188:
	s_cmp_lt_i32 s13, 27
	s_cbranch_scc1 .LBB6_2191
; %bb.2189:
	s_cmp_gt_i32 s13, 27
	s_cbranch_scc0 .LBB6_2192
; %bb.2190:
	s_wait_loadcnt 0x0
	global_load_b32 v4, v[12:13], off
	s_mov_b32 s18, 0
	s_branch .LBB6_2193
.LBB6_2191:
	s_mov_b32 s18, -1
                                        ; implicit-def: $vgpr4
	s_branch .LBB6_2196
.LBB6_2192:
	s_mov_b32 s18, -1
                                        ; implicit-def: $vgpr4
.LBB6_2193:
	s_delay_alu instid0(SALU_CYCLE_1)
	s_and_not1_b32 vcc_lo, exec_lo, s18
	s_cbranch_vccnz .LBB6_2195
; %bb.2194:
	s_wait_loadcnt 0x0
	global_load_u16 v4, v[12:13], off
.LBB6_2195:
	s_mov_b32 s18, 0
.LBB6_2196:
	s_delay_alu instid0(SALU_CYCLE_1)
	s_and_not1_b32 vcc_lo, exec_lo, s18
	s_cbranch_vccnz .LBB6_2202
; %bb.2197:
	global_load_u8 v1, v[12:13], off
	s_mov_b32 s19, 0
	s_mov_b32 s18, exec_lo
	s_wait_loadcnt 0x0
	v_cmpx_lt_i16_e32 0x7f, v1
	s_xor_b32 s18, exec_lo, s18
	s_cbranch_execz .LBB6_2214
; %bb.2198:
	v_cmp_ne_u16_e32 vcc_lo, 0x80, v1
	s_and_b32 s19, vcc_lo, exec_lo
	s_and_not1_saveexec_b32 s18, s18
	s_cbranch_execnz .LBB6_2215
.LBB6_2199:
	s_or_b32 exec_lo, exec_lo, s18
	v_mov_b32_e32 v4, 0
	s_and_saveexec_b32 s18, s19
	s_cbranch_execz .LBB6_2201
.LBB6_2200:
	v_and_b32_e32 v3, 0xffff, v1
	s_delay_alu instid0(VALU_DEP_1) | instskip(SKIP_1) | instid1(VALU_DEP_2)
	v_and_b32_e32 v4, 7, v3
	v_bfe_u32 v9, v3, 3, 4
	v_clz_i32_u32_e32 v5, v4
	s_delay_alu instid0(VALU_DEP_2) | instskip(NEXT) | instid1(VALU_DEP_2)
	v_cmp_eq_u32_e32 vcc_lo, 0, v9
	v_min_u32_e32 v5, 32, v5
	s_delay_alu instid0(VALU_DEP_1) | instskip(NEXT) | instid1(VALU_DEP_1)
	v_subrev_nc_u32_e32 v7, 28, v5
	v_dual_lshlrev_b32 v3, v7, v3 :: v_dual_sub_nc_u32 v5, 29, v5
	s_delay_alu instid0(VALU_DEP_1) | instskip(NEXT) | instid1(VALU_DEP_1)
	v_dual_lshlrev_b32 v1, 24, v1 :: v_dual_bitop2_b32 v3, 7, v3 bitop3:0x40
	v_dual_cndmask_b32 v3, v4, v3, vcc_lo :: v_dual_cndmask_b32 v5, v9, v5, vcc_lo
	s_delay_alu instid0(VALU_DEP_2) | instskip(NEXT) | instid1(VALU_DEP_2)
	v_and_b32_e32 v1, 0x80000000, v1
	v_lshlrev_b32_e32 v3, 20, v3
	s_delay_alu instid0(VALU_DEP_3) | instskip(NEXT) | instid1(VALU_DEP_1)
	v_lshl_add_u32 v4, v5, 23, 0x3b800000
	v_or3_b32 v1, v1, v4, v3
	s_delay_alu instid0(VALU_DEP_1) | instskip(NEXT) | instid1(VALU_DEP_1)
	v_trunc_f32_e32 v1, v1
	v_mul_f32_e64 v3, 0x2f800000, |v1|
	s_delay_alu instid0(VALU_DEP_1) | instskip(NEXT) | instid1(VALU_DEP_1)
	v_floor_f32_e32 v3, v3
	v_fma_f32 v3, 0xcf800000, v3, |v1|
	v_ashrrev_i32_e32 v1, 31, v1
	s_delay_alu instid0(VALU_DEP_2) | instskip(NEXT) | instid1(VALU_DEP_1)
	v_cvt_u32_f32_e32 v3, v3
	v_xor_b32_e32 v3, v3, v1
	s_delay_alu instid0(VALU_DEP_1)
	v_sub_nc_u32_e32 v4, v3, v1
.LBB6_2201:
	s_or_b32 exec_lo, exec_lo, s18
.LBB6_2202:
	s_mov_b32 s18, -1
.LBB6_2203:
	s_mov_b32 s19, 0
.LBB6_2204:
	s_delay_alu instid0(SALU_CYCLE_1)
	s_and_b32 vcc_lo, exec_lo, s19
	s_cbranch_vccz .LBB6_2235
; %bb.2205:
	s_cmp_gt_i32 s13, 22
	s_cbranch_scc0 .LBB6_2213
; %bb.2206:
	s_cmp_lt_i32 s13, 24
	s_cbranch_scc1 .LBB6_2216
; %bb.2207:
	s_cmp_gt_i32 s13, 24
	s_cbranch_scc0 .LBB6_2217
; %bb.2208:
	global_load_u8 v1, v[12:13], off
	s_mov_b32 s18, 0
	s_mov_b32 s17, exec_lo
	s_wait_loadcnt 0x0
	v_cmpx_lt_i16_e32 0x7f, v1
	s_xor_b32 s17, exec_lo, s17
	s_cbranch_execz .LBB6_2229
; %bb.2209:
	v_cmp_ne_u16_e32 vcc_lo, 0x80, v1
	s_and_b32 s18, vcc_lo, exec_lo
	s_and_not1_saveexec_b32 s17, s17
	s_cbranch_execnz .LBB6_2230
.LBB6_2210:
	s_or_b32 exec_lo, exec_lo, s17
	v_mov_b32_e32 v4, 0
	s_and_saveexec_b32 s17, s18
	s_cbranch_execz .LBB6_2212
.LBB6_2211:
	v_and_b32_e32 v3, 0xffff, v1
	s_delay_alu instid0(VALU_DEP_1) | instskip(SKIP_1) | instid1(VALU_DEP_2)
	v_and_b32_e32 v4, 3, v3
	v_bfe_u32 v9, v3, 2, 5
	v_clz_i32_u32_e32 v5, v4
	s_delay_alu instid0(VALU_DEP_2) | instskip(NEXT) | instid1(VALU_DEP_2)
	v_cmp_eq_u32_e32 vcc_lo, 0, v9
	v_min_u32_e32 v5, 32, v5
	s_delay_alu instid0(VALU_DEP_1) | instskip(NEXT) | instid1(VALU_DEP_1)
	v_subrev_nc_u32_e32 v7, 29, v5
	v_dual_lshlrev_b32 v3, v7, v3 :: v_dual_sub_nc_u32 v5, 30, v5
	s_delay_alu instid0(VALU_DEP_1) | instskip(NEXT) | instid1(VALU_DEP_1)
	v_dual_lshlrev_b32 v1, 24, v1 :: v_dual_bitop2_b32 v3, 3, v3 bitop3:0x40
	v_dual_cndmask_b32 v3, v4, v3, vcc_lo :: v_dual_cndmask_b32 v5, v9, v5, vcc_lo
	s_delay_alu instid0(VALU_DEP_2) | instskip(NEXT) | instid1(VALU_DEP_2)
	v_and_b32_e32 v1, 0x80000000, v1
	v_lshlrev_b32_e32 v3, 21, v3
	s_delay_alu instid0(VALU_DEP_3) | instskip(NEXT) | instid1(VALU_DEP_1)
	v_lshl_add_u32 v4, v5, 23, 0x37800000
	v_or3_b32 v1, v1, v4, v3
	s_delay_alu instid0(VALU_DEP_1) | instskip(NEXT) | instid1(VALU_DEP_1)
	v_trunc_f32_e32 v1, v1
	v_mul_f32_e64 v3, 0x2f800000, |v1|
	s_delay_alu instid0(VALU_DEP_1) | instskip(NEXT) | instid1(VALU_DEP_1)
	v_floor_f32_e32 v3, v3
	v_fma_f32 v3, 0xcf800000, v3, |v1|
	v_ashrrev_i32_e32 v1, 31, v1
	s_delay_alu instid0(VALU_DEP_2) | instskip(NEXT) | instid1(VALU_DEP_1)
	v_cvt_u32_f32_e32 v3, v3
	v_xor_b32_e32 v3, v3, v1
	s_delay_alu instid0(VALU_DEP_1)
	v_sub_nc_u32_e32 v4, v3, v1
.LBB6_2212:
	s_or_b32 exec_lo, exec_lo, s17
	s_mov_b32 s17, 0
	s_branch .LBB6_2218
.LBB6_2213:
	s_mov_b32 s17, -1
                                        ; implicit-def: $vgpr4
	s_branch .LBB6_2224
.LBB6_2214:
	s_and_not1_saveexec_b32 s18, s18
	s_cbranch_execz .LBB6_2199
.LBB6_2215:
	v_cmp_ne_u16_e32 vcc_lo, 0, v1
	s_and_not1_b32 s19, s19, exec_lo
	s_and_b32 s20, vcc_lo, exec_lo
	s_delay_alu instid0(SALU_CYCLE_1)
	s_or_b32 s19, s19, s20
	s_or_b32 exec_lo, exec_lo, s18
	v_mov_b32_e32 v4, 0
	s_and_saveexec_b32 s18, s19
	s_cbranch_execnz .LBB6_2200
	s_branch .LBB6_2201
.LBB6_2216:
	s_mov_b32 s17, -1
                                        ; implicit-def: $vgpr4
	s_branch .LBB6_2221
.LBB6_2217:
	s_mov_b32 s17, -1
                                        ; implicit-def: $vgpr4
.LBB6_2218:
	s_delay_alu instid0(SALU_CYCLE_1)
	s_and_b32 vcc_lo, exec_lo, s17
	s_cbranch_vccz .LBB6_2220
; %bb.2219:
	global_load_u8 v1, v[12:13], off
	s_wait_loadcnt 0x0
	v_lshlrev_b32_e32 v1, 24, v1
	s_delay_alu instid0(VALU_DEP_1) | instskip(NEXT) | instid1(VALU_DEP_1)
	v_and_b32_e32 v3, 0x7f000000, v1
	v_clz_i32_u32_e32 v4, v3
	v_add_nc_u32_e32 v7, 0x1000000, v3
	v_cmp_ne_u32_e32 vcc_lo, 0, v3
	s_delay_alu instid0(VALU_DEP_3) | instskip(NEXT) | instid1(VALU_DEP_1)
	v_min_u32_e32 v4, 32, v4
	v_sub_nc_u32_e64 v4, v4, 4 clamp
	s_delay_alu instid0(VALU_DEP_1) | instskip(NEXT) | instid1(VALU_DEP_1)
	v_dual_lshlrev_b32 v5, v4, v3 :: v_dual_lshlrev_b32 v4, 23, v4
	v_lshrrev_b32_e32 v5, 4, v5
	s_delay_alu instid0(VALU_DEP_1) | instskip(NEXT) | instid1(VALU_DEP_1)
	v_dual_sub_nc_u32 v4, v5, v4 :: v_dual_ashrrev_i32 v5, 8, v7
	v_add_nc_u32_e32 v4, 0x3c000000, v4
	s_delay_alu instid0(VALU_DEP_1) | instskip(NEXT) | instid1(VALU_DEP_1)
	v_and_or_b32 v4, 0x7f800000, v5, v4
	v_cndmask_b32_e32 v3, 0, v4, vcc_lo
	s_delay_alu instid0(VALU_DEP_1) | instskip(NEXT) | instid1(VALU_DEP_1)
	v_and_or_b32 v1, 0x80000000, v1, v3
	v_trunc_f32_e32 v1, v1
	s_delay_alu instid0(VALU_DEP_1) | instskip(NEXT) | instid1(VALU_DEP_1)
	v_mul_f32_e64 v3, 0x2f800000, |v1|
	v_floor_f32_e32 v3, v3
	s_delay_alu instid0(VALU_DEP_1) | instskip(SKIP_1) | instid1(VALU_DEP_2)
	v_fma_f32 v3, 0xcf800000, v3, |v1|
	v_ashrrev_i32_e32 v1, 31, v1
	v_cvt_u32_f32_e32 v3, v3
	s_delay_alu instid0(VALU_DEP_1) | instskip(NEXT) | instid1(VALU_DEP_1)
	v_xor_b32_e32 v3, v3, v1
	v_sub_nc_u32_e32 v4, v3, v1
.LBB6_2220:
	s_mov_b32 s17, 0
.LBB6_2221:
	s_delay_alu instid0(SALU_CYCLE_1)
	s_and_not1_b32 vcc_lo, exec_lo, s17
	s_cbranch_vccnz .LBB6_2223
; %bb.2222:
	global_load_u8 v1, v[12:13], off
	s_wait_loadcnt 0x0
	v_lshlrev_b32_e32 v3, 25, v1
	v_lshlrev_b16 v1, 8, v1
	s_delay_alu instid0(VALU_DEP_1) | instskip(NEXT) | instid1(VALU_DEP_3)
	v_and_or_b32 v5, 0x7f00, v1, 0.5
	v_lshrrev_b32_e32 v4, 4, v3
	v_bfe_i32 v1, v1, 0, 16
	s_delay_alu instid0(VALU_DEP_3) | instskip(NEXT) | instid1(VALU_DEP_3)
	v_add_f32_e32 v5, -0.5, v5
	v_or_b32_e32 v4, 0x70000000, v4
	s_delay_alu instid0(VALU_DEP_1) | instskip(SKIP_1) | instid1(VALU_DEP_2)
	v_mul_f32_e32 v4, 0x7800000, v4
	v_cmp_gt_u32_e32 vcc_lo, 0x8000000, v3
	v_cndmask_b32_e32 v3, v4, v5, vcc_lo
	s_delay_alu instid0(VALU_DEP_1) | instskip(NEXT) | instid1(VALU_DEP_1)
	v_and_or_b32 v1, 0x80000000, v1, v3
	v_trunc_f32_e32 v1, v1
	s_delay_alu instid0(VALU_DEP_1) | instskip(NEXT) | instid1(VALU_DEP_1)
	v_mul_f32_e64 v3, 0x2f800000, |v1|
	v_floor_f32_e32 v3, v3
	s_delay_alu instid0(VALU_DEP_1) | instskip(SKIP_1) | instid1(VALU_DEP_2)
	v_fma_f32 v3, 0xcf800000, v3, |v1|
	v_ashrrev_i32_e32 v1, 31, v1
	v_cvt_u32_f32_e32 v3, v3
	s_delay_alu instid0(VALU_DEP_1) | instskip(NEXT) | instid1(VALU_DEP_1)
	v_xor_b32_e32 v3, v3, v1
	v_sub_nc_u32_e32 v4, v3, v1
.LBB6_2223:
	s_mov_b32 s17, 0
	s_mov_b32 s18, -1
.LBB6_2224:
	s_and_not1_b32 vcc_lo, exec_lo, s17
	s_mov_b32 s17, 0
	s_cbranch_vccnz .LBB6_2235
; %bb.2225:
	s_cmp_gt_i32 s13, 14
	s_cbranch_scc0 .LBB6_2228
; %bb.2226:
	s_cmp_eq_u32 s13, 15
	s_cbranch_scc0 .LBB6_2231
; %bb.2227:
	global_load_u16 v1, v[12:13], off
	s_mov_b32 s16, 0
	s_mov_b32 s18, -1
	s_wait_loadcnt 0x0
	v_lshlrev_b32_e32 v1, 16, v1
	s_delay_alu instid0(VALU_DEP_1) | instskip(NEXT) | instid1(VALU_DEP_1)
	v_trunc_f32_e32 v1, v1
	v_mul_f32_e64 v3, 0x2f800000, |v1|
	s_delay_alu instid0(VALU_DEP_1) | instskip(NEXT) | instid1(VALU_DEP_1)
	v_floor_f32_e32 v3, v3
	v_fma_f32 v3, 0xcf800000, v3, |v1|
	v_ashrrev_i32_e32 v1, 31, v1
	s_delay_alu instid0(VALU_DEP_2) | instskip(NEXT) | instid1(VALU_DEP_1)
	v_cvt_u32_f32_e32 v3, v3
	v_xor_b32_e32 v3, v3, v1
	s_delay_alu instid0(VALU_DEP_1)
	v_sub_nc_u32_e32 v4, v3, v1
	s_branch .LBB6_2233
.LBB6_2228:
	s_mov_b32 s17, -1
	s_branch .LBB6_2232
.LBB6_2229:
	s_and_not1_saveexec_b32 s17, s17
	s_cbranch_execz .LBB6_2210
.LBB6_2230:
	v_cmp_ne_u16_e32 vcc_lo, 0, v1
	s_and_not1_b32 s18, s18, exec_lo
	s_and_b32 s19, vcc_lo, exec_lo
	s_delay_alu instid0(SALU_CYCLE_1)
	s_or_b32 s18, s18, s19
	s_or_b32 exec_lo, exec_lo, s17
	v_mov_b32_e32 v4, 0
	s_and_saveexec_b32 s17, s18
	s_cbranch_execnz .LBB6_2211
	s_branch .LBB6_2212
.LBB6_2231:
	s_mov_b32 s16, -1
.LBB6_2232:
                                        ; implicit-def: $vgpr4
.LBB6_2233:
	s_and_b32 vcc_lo, exec_lo, s17
	s_mov_b32 s17, 0
	s_cbranch_vccz .LBB6_2235
; %bb.2234:
	s_cmp_lg_u32 s13, 11
	s_mov_b32 s17, -1
	s_cselect_b32 s16, -1, 0
.LBB6_2235:
	s_delay_alu instid0(SALU_CYCLE_1)
	s_and_b32 vcc_lo, exec_lo, s16
	s_cbranch_vccnz .LBB6_2303
; %bb.2236:
	s_and_not1_b32 vcc_lo, exec_lo, s17
	s_cbranch_vccnz .LBB6_2238
.LBB6_2237:
	global_load_u8 v1, v[12:13], off
	s_mov_b32 s18, -1
	s_wait_loadcnt 0x0
	v_cmp_ne_u16_e32 vcc_lo, 0, v1
	v_cndmask_b32_e64 v4, 0, 1, vcc_lo
.LBB6_2238:
	s_mov_b32 s13, 0
.LBB6_2239:
	s_delay_alu instid0(SALU_CYCLE_1)
	s_and_b32 vcc_lo, exec_lo, s13
	s_cbranch_vccz .LBB6_2288
; %bb.2240:
	s_and_b32 s13, 0xffff, s1
	s_delay_alu instid0(SALU_CYCLE_1)
	s_cmp_lt_i32 s13, 5
	s_cbranch_scc1 .LBB6_2245
; %bb.2241:
	s_cmp_lt_i32 s13, 8
	s_cbranch_scc1 .LBB6_2246
; %bb.2242:
	;; [unrolled: 3-line block ×3, first 2 shown]
	s_cmp_gt_i32 s13, 9
	s_cbranch_scc0 .LBB6_2248
; %bb.2244:
	s_wait_loadcnt 0x0
	global_load_b64 v[4:5], v[12:13], off
	s_mov_b32 s16, 0
	s_wait_loadcnt 0x0
	v_trunc_f64_e32 v[4:5], v[4:5]
	s_delay_alu instid0(VALU_DEP_1) | instskip(NEXT) | instid1(VALU_DEP_1)
	v_ldexp_f64 v[16:17], v[4:5], 0xffffffe0
	v_floor_f64_e32 v[16:17], v[16:17]
	s_delay_alu instid0(VALU_DEP_1) | instskip(NEXT) | instid1(VALU_DEP_1)
	v_fmamk_f64 v[4:5], v[16:17], 0xc1f00000, v[4:5]
	v_cvt_u32_f64_e32 v4, v[4:5]
	s_branch .LBB6_2249
.LBB6_2245:
	s_mov_b32 s16, -1
                                        ; implicit-def: $vgpr4
	s_branch .LBB6_2267
.LBB6_2246:
	s_mov_b32 s16, -1
                                        ; implicit-def: $vgpr4
	s_branch .LBB6_2255
.LBB6_2247:
	s_mov_b32 s16, -1
                                        ; implicit-def: $vgpr4
	s_branch .LBB6_2252
.LBB6_2248:
	s_mov_b32 s16, -1
                                        ; implicit-def: $vgpr4
.LBB6_2249:
	s_delay_alu instid0(SALU_CYCLE_1)
	s_and_not1_b32 vcc_lo, exec_lo, s16
	s_cbranch_vccnz .LBB6_2251
; %bb.2250:
	global_load_b32 v1, v[12:13], off
	s_wait_loadcnt 0x0
	v_trunc_f32_e32 v1, v1
	s_delay_alu instid0(VALU_DEP_1) | instskip(NEXT) | instid1(VALU_DEP_1)
	v_mul_f32_e64 v3, 0x2f800000, |v1|
	v_floor_f32_e32 v3, v3
	s_delay_alu instid0(VALU_DEP_1) | instskip(SKIP_1) | instid1(VALU_DEP_2)
	v_fma_f32 v3, 0xcf800000, v3, |v1|
	v_ashrrev_i32_e32 v1, 31, v1
	v_cvt_u32_f32_e32 v3, v3
	s_delay_alu instid0(VALU_DEP_1) | instskip(NEXT) | instid1(VALU_DEP_1)
	v_xor_b32_e32 v3, v3, v1
	v_sub_nc_u32_e32 v4, v3, v1
.LBB6_2251:
	s_mov_b32 s16, 0
.LBB6_2252:
	s_delay_alu instid0(SALU_CYCLE_1)
	s_and_not1_b32 vcc_lo, exec_lo, s16
	s_cbranch_vccnz .LBB6_2254
; %bb.2253:
	global_load_b32 v1, v[12:13], off
	s_wait_loadcnt 0x0
	v_cvt_f32_f16_e32 v1, v1
	s_delay_alu instid0(VALU_DEP_1)
	v_cvt_i32_f32_e32 v4, v1
.LBB6_2254:
	s_mov_b32 s16, 0
.LBB6_2255:
	s_delay_alu instid0(SALU_CYCLE_1)
	s_and_not1_b32 vcc_lo, exec_lo, s16
	s_cbranch_vccnz .LBB6_2266
; %bb.2256:
	s_cmp_lt_i32 s13, 6
	s_cbranch_scc1 .LBB6_2259
; %bb.2257:
	s_cmp_gt_i32 s13, 6
	s_cbranch_scc0 .LBB6_2260
; %bb.2258:
	s_wait_loadcnt 0x0
	global_load_b64 v[4:5], v[12:13], off
	s_mov_b32 s16, 0
	s_wait_loadcnt 0x0
	v_trunc_f64_e32 v[4:5], v[4:5]
	s_delay_alu instid0(VALU_DEP_1) | instskip(NEXT) | instid1(VALU_DEP_1)
	v_ldexp_f64 v[16:17], v[4:5], 0xffffffe0
	v_floor_f64_e32 v[16:17], v[16:17]
	s_delay_alu instid0(VALU_DEP_1) | instskip(NEXT) | instid1(VALU_DEP_1)
	v_fmamk_f64 v[4:5], v[16:17], 0xc1f00000, v[4:5]
	v_cvt_u32_f64_e32 v4, v[4:5]
	s_branch .LBB6_2261
.LBB6_2259:
	s_mov_b32 s16, -1
                                        ; implicit-def: $vgpr4
	s_branch .LBB6_2264
.LBB6_2260:
	s_mov_b32 s16, -1
                                        ; implicit-def: $vgpr4
.LBB6_2261:
	s_delay_alu instid0(SALU_CYCLE_1)
	s_and_not1_b32 vcc_lo, exec_lo, s16
	s_cbranch_vccnz .LBB6_2263
; %bb.2262:
	global_load_b32 v1, v[12:13], off
	s_wait_loadcnt 0x0
	v_trunc_f32_e32 v1, v1
	s_delay_alu instid0(VALU_DEP_1) | instskip(NEXT) | instid1(VALU_DEP_1)
	v_mul_f32_e64 v3, 0x2f800000, |v1|
	v_floor_f32_e32 v3, v3
	s_delay_alu instid0(VALU_DEP_1) | instskip(SKIP_1) | instid1(VALU_DEP_2)
	v_fma_f32 v3, 0xcf800000, v3, |v1|
	v_ashrrev_i32_e32 v1, 31, v1
	v_cvt_u32_f32_e32 v3, v3
	s_delay_alu instid0(VALU_DEP_1) | instskip(NEXT) | instid1(VALU_DEP_1)
	v_xor_b32_e32 v3, v3, v1
	v_sub_nc_u32_e32 v4, v3, v1
.LBB6_2263:
	s_mov_b32 s16, 0
.LBB6_2264:
	s_delay_alu instid0(SALU_CYCLE_1)
	s_and_not1_b32 vcc_lo, exec_lo, s16
	s_cbranch_vccnz .LBB6_2266
; %bb.2265:
	global_load_u16 v1, v[12:13], off
	s_wait_loadcnt 0x0
	v_cvt_f32_f16_e32 v1, v1
	s_delay_alu instid0(VALU_DEP_1)
	v_cvt_i32_f32_e32 v4, v1
.LBB6_2266:
	s_mov_b32 s16, 0
.LBB6_2267:
	s_delay_alu instid0(SALU_CYCLE_1)
	s_and_not1_b32 vcc_lo, exec_lo, s16
	s_cbranch_vccnz .LBB6_2287
; %bb.2268:
	s_cmp_lt_i32 s13, 2
	s_cbranch_scc1 .LBB6_2272
; %bb.2269:
	s_cmp_lt_i32 s13, 3
	s_cbranch_scc1 .LBB6_2273
; %bb.2270:
	s_cmp_gt_i32 s13, 3
	s_cbranch_scc0 .LBB6_2274
; %bb.2271:
	s_wait_loadcnt 0x0
	global_load_b64 v[4:5], v[12:13], off
	s_mov_b32 s16, 0
	s_branch .LBB6_2275
.LBB6_2272:
	s_mov_b32 s16, -1
                                        ; implicit-def: $vgpr4
	s_branch .LBB6_2281
.LBB6_2273:
	s_mov_b32 s16, -1
                                        ; implicit-def: $vgpr4
	s_branch .LBB6_2278
.LBB6_2274:
	s_mov_b32 s16, -1
                                        ; implicit-def: $vgpr4
.LBB6_2275:
	s_delay_alu instid0(SALU_CYCLE_1)
	s_and_not1_b32 vcc_lo, exec_lo, s16
	s_cbranch_vccnz .LBB6_2277
; %bb.2276:
	s_wait_loadcnt 0x0
	global_load_b32 v4, v[12:13], off
.LBB6_2277:
	s_mov_b32 s16, 0
.LBB6_2278:
	s_delay_alu instid0(SALU_CYCLE_1)
	s_and_not1_b32 vcc_lo, exec_lo, s16
	s_cbranch_vccnz .LBB6_2280
; %bb.2279:
	s_wait_loadcnt 0x0
	global_load_u16 v4, v[12:13], off
.LBB6_2280:
	s_mov_b32 s16, 0
.LBB6_2281:
	s_delay_alu instid0(SALU_CYCLE_1)
	s_and_not1_b32 vcc_lo, exec_lo, s16
	s_cbranch_vccnz .LBB6_2287
; %bb.2282:
	s_cmp_gt_i32 s13, 0
	s_mov_b32 s13, 0
	s_cbranch_scc0 .LBB6_2284
; %bb.2283:
	s_wait_loadcnt 0x0
	global_load_u8 v4, v[12:13], off
	s_branch .LBB6_2285
.LBB6_2284:
	s_mov_b32 s13, -1
                                        ; implicit-def: $vgpr4
.LBB6_2285:
	s_delay_alu instid0(SALU_CYCLE_1)
	s_and_not1_b32 vcc_lo, exec_lo, s13
	s_cbranch_vccnz .LBB6_2287
; %bb.2286:
	s_wait_loadcnt 0x0
	global_load_u8 v4, v[12:13], off
.LBB6_2287:
	s_mov_b32 s18, -1
.LBB6_2288:
	s_delay_alu instid0(SALU_CYCLE_1)
	s_and_not1_b32 vcc_lo, exec_lo, s18
	s_cbranch_vccnz .LBB6_2627
; %bb.2289:
	s_wait_loadcnt 0x0
	s_delay_alu instid0(VALU_DEP_4) | instskip(SKIP_3) | instid1(VALU_DEP_1)
	v_and_b32_e32 v1, 0xff, v10
	s_mov_b32 s16, 0
	s_mov_b32 s13, exec_lo
	s_wait_xcnt 0x0
	v_cmpx_ne_u16_e32 0, v1
	s_cbranch_execz .LBB6_2292
.LBB6_2290:                             ; =>This Inner Loop Header: Depth=1
	s_delay_alu instid0(VALU_DEP_3) | instskip(SKIP_1) | instid1(VALU_DEP_1)
	v_cvt_f32_ubyte0_e32 v7, v4
	v_mov_b32_e32 v1, v10
	v_cvt_f32_ubyte0_e32 v3, v1
	s_delay_alu instid0(VALU_DEP_1) | instskip(SKIP_1) | instid1(TRANS32_DEP_1)
	v_rcp_iflag_f32_e32 v5, v3
	v_nop
	v_mul_f32_e32 v5, v7, v5
	s_delay_alu instid0(VALU_DEP_1) | instskip(NEXT) | instid1(VALU_DEP_1)
	v_trunc_f32_e32 v5, v5
	v_fma_f32 v7, -v5, v3, v7
	v_cvt_u32_f32_e32 v5, v5
	s_delay_alu instid0(VALU_DEP_2) | instskip(NEXT) | instid1(VALU_DEP_1)
	v_cmp_ge_f32_e64 vcc_lo, |v7|, v3
	v_add_co_ci_u32_e64 v3, null, 0, v5, vcc_lo
	s_delay_alu instid0(VALU_DEP_1) | instskip(NEXT) | instid1(VALU_DEP_1)
	v_mul_lo_u32 v3, v3, v1
	v_dual_mov_b32 v4, v1 :: v_dual_sub_nc_u32 v3, v4, v3
	s_delay_alu instid0(VALU_DEP_1) | instskip(NEXT) | instid1(VALU_DEP_1)
	v_and_b32_e32 v10, 0xff, v3
	v_cmp_eq_u16_e32 vcc_lo, 0, v10
	s_or_b32 s16, vcc_lo, s16
	s_delay_alu instid0(SALU_CYCLE_1)
	s_and_not1_b32 exec_lo, exec_lo, s16
	s_cbranch_execnz .LBB6_2290
; %bb.2291:
	s_or_b32 exec_lo, exec_lo, s16
	v_mov_b32_e32 v4, v1
.LBB6_2292:
	s_or_b32 exec_lo, exec_lo, s13
	v_add_nc_u32_e32 v6, s9, v6
	s_cmp_lt_i32 s0, 11
	s_delay_alu instid0(VALU_DEP_1) | instskip(NEXT) | instid1(VALU_DEP_1)
	v_ashrrev_i32_e32 v7, 31, v6
	v_add_nc_u64_e32 v[6:7], s[6:7], v[6:7]
	s_cbranch_scc1 .LBB6_2299
; %bb.2293:
	s_and_b32 s6, 0xffff, s0
	s_mov_b32 s9, 0
	s_cmp_gt_i32 s6, 25
	s_cbranch_scc0 .LBB6_2300
; %bb.2294:
	s_cmp_gt_i32 s6, 28
	s_cbranch_scc0 .LBB6_2301
; %bb.2295:
	;; [unrolled: 3-line block ×4, first 2 shown]
	s_cmp_eq_u32 s6, 46
	s_mov_b32 s16, 0
	s_cbranch_scc0 .LBB6_2305
; %bb.2298:
	global_load_b32 v1, v[6:7], off
	s_mov_b32 s7, 0
	s_mov_b32 s13, -1
	s_wait_loadcnt 0x0
	v_lshlrev_b32_e32 v1, 16, v1
	s_delay_alu instid0(VALU_DEP_1) | instskip(NEXT) | instid1(VALU_DEP_1)
	v_trunc_f32_e32 v1, v1
	v_mul_f32_e64 v3, 0x2f800000, |v1|
	s_delay_alu instid0(VALU_DEP_1) | instskip(NEXT) | instid1(VALU_DEP_1)
	v_floor_f32_e32 v3, v3
	v_fma_f32 v3, 0xcf800000, v3, |v1|
	v_ashrrev_i32_e32 v1, 31, v1
	s_delay_alu instid0(VALU_DEP_2) | instskip(NEXT) | instid1(VALU_DEP_1)
	v_cvt_u32_f32_e32 v3, v3
	v_xor_b32_e32 v3, v3, v1
	s_delay_alu instid0(VALU_DEP_1)
	v_sub_nc_u32_e32 v10, v3, v1
	s_branch .LBB6_2307
.LBB6_2299:
	s_mov_b32 s6, -1
	s_mov_b32 s13, 0
                                        ; implicit-def: $vgpr10
	s_branch .LBB6_2369
.LBB6_2300:
	s_mov_b32 s16, -1
	s_mov_b32 s13, 0
	s_mov_b32 s7, 0
                                        ; implicit-def: $vgpr10
	s_branch .LBB6_2334
.LBB6_2301:
	s_mov_b32 s16, -1
	s_mov_b32 s13, 0
	s_mov_b32 s7, 0
                                        ; implicit-def: $vgpr10
	s_branch .LBB6_2317
.LBB6_2302:
	s_mov_b32 s16, -1
	s_mov_b32 s13, 0
	s_mov_b32 s7, 0
                                        ; implicit-def: $vgpr10
	s_branch .LBB6_2312
.LBB6_2303:
	s_or_b32 s12, s12, exec_lo
	s_trap 2
	s_cbranch_execz .LBB6_2237
	s_branch .LBB6_2238
.LBB6_2304:
	s_mov_b32 s16, -1
	s_mov_b32 s13, 0
	s_mov_b32 s7, 0
	s_branch .LBB6_2306
.LBB6_2305:
	s_mov_b32 s7, -1
	s_mov_b32 s13, 0
.LBB6_2306:
                                        ; implicit-def: $vgpr10
.LBB6_2307:
	s_and_b32 vcc_lo, exec_lo, s16
	s_cbranch_vccz .LBB6_2311
; %bb.2308:
	s_cmp_eq_u32 s6, 44
	s_cbranch_scc0 .LBB6_2310
; %bb.2309:
	global_load_u8 v1, v[6:7], off
	s_mov_b32 s7, 0
	s_mov_b32 s13, -1
	s_wait_loadcnt 0x0
	v_lshlrev_b32_e32 v3, 23, v1
	v_cmp_ne_u32_e32 vcc_lo, 0, v1
	s_delay_alu instid0(VALU_DEP_2) | instskip(NEXT) | instid1(VALU_DEP_1)
	v_trunc_f32_e32 v3, v3
	v_mul_f32_e64 v5, 0x2f800000, |v3|
	s_delay_alu instid0(VALU_DEP_1) | instskip(NEXT) | instid1(VALU_DEP_1)
	v_floor_f32_e32 v5, v5
	v_fma_f32 v5, 0xcf800000, v5, |v3|
	v_ashrrev_i32_e32 v3, 31, v3
	s_delay_alu instid0(VALU_DEP_2) | instskip(NEXT) | instid1(VALU_DEP_1)
	v_cvt_u32_f32_e32 v5, v5
	v_xor_b32_e32 v5, v5, v3
	s_delay_alu instid0(VALU_DEP_1) | instskip(NEXT) | instid1(VALU_DEP_1)
	v_sub_nc_u32_e32 v3, v5, v3
	v_cndmask_b32_e32 v10, 0, v3, vcc_lo
	s_branch .LBB6_2311
.LBB6_2310:
	s_mov_b32 s7, -1
                                        ; implicit-def: $vgpr10
.LBB6_2311:
	s_mov_b32 s16, 0
.LBB6_2312:
	s_delay_alu instid0(SALU_CYCLE_1)
	s_and_b32 vcc_lo, exec_lo, s16
	s_cbranch_vccz .LBB6_2316
; %bb.2313:
	s_cmp_eq_u32 s6, 29
	s_cbranch_scc0 .LBB6_2315
; %bb.2314:
	global_load_b64 v[10:11], v[6:7], off
	s_mov_b32 s7, 0
	s_mov_b32 s13, -1
	s_branch .LBB6_2316
.LBB6_2315:
	s_mov_b32 s7, -1
                                        ; implicit-def: $vgpr10
.LBB6_2316:
	s_mov_b32 s16, 0
.LBB6_2317:
	s_delay_alu instid0(SALU_CYCLE_1)
	s_and_b32 vcc_lo, exec_lo, s16
	s_cbranch_vccz .LBB6_2333
; %bb.2318:
	s_cmp_lt_i32 s6, 27
	s_cbranch_scc1 .LBB6_2321
; %bb.2319:
	s_cmp_gt_i32 s6, 27
	s_cbranch_scc0 .LBB6_2322
; %bb.2320:
	s_wait_loadcnt 0x0
	global_load_b32 v10, v[6:7], off
	s_mov_b32 s13, 0
	s_branch .LBB6_2323
.LBB6_2321:
	s_mov_b32 s13, -1
                                        ; implicit-def: $vgpr10
	s_branch .LBB6_2326
.LBB6_2322:
	s_mov_b32 s13, -1
                                        ; implicit-def: $vgpr10
.LBB6_2323:
	s_delay_alu instid0(SALU_CYCLE_1)
	s_and_not1_b32 vcc_lo, exec_lo, s13
	s_cbranch_vccnz .LBB6_2325
; %bb.2324:
	s_wait_loadcnt 0x0
	global_load_u16 v10, v[6:7], off
.LBB6_2325:
	s_mov_b32 s13, 0
.LBB6_2326:
	s_delay_alu instid0(SALU_CYCLE_1)
	s_and_not1_b32 vcc_lo, exec_lo, s13
	s_cbranch_vccnz .LBB6_2332
; %bb.2327:
	global_load_u8 v1, v[6:7], off
	s_mov_b32 s16, 0
	s_mov_b32 s13, exec_lo
	s_wait_loadcnt 0x0
	v_cmpx_lt_i16_e32 0x7f, v1
	s_xor_b32 s13, exec_lo, s13
	s_cbranch_execz .LBB6_2344
; %bb.2328:
	v_cmp_ne_u16_e32 vcc_lo, 0x80, v1
	s_and_b32 s16, vcc_lo, exec_lo
	s_and_not1_saveexec_b32 s13, s13
	s_cbranch_execnz .LBB6_2345
.LBB6_2329:
	s_or_b32 exec_lo, exec_lo, s13
	v_mov_b32_e32 v10, 0
	s_and_saveexec_b32 s13, s16
	s_cbranch_execz .LBB6_2331
.LBB6_2330:
	v_and_b32_e32 v3, 0xffff, v1
	s_delay_alu instid0(VALU_DEP_1) | instskip(SKIP_1) | instid1(VALU_DEP_2)
	v_and_b32_e32 v5, 7, v3
	v_bfe_u32 v11, v3, 3, 4
	v_clz_i32_u32_e32 v9, v5
	s_delay_alu instid0(VALU_DEP_2) | instskip(NEXT) | instid1(VALU_DEP_2)
	v_cmp_eq_u32_e32 vcc_lo, 0, v11
	v_min_u32_e32 v9, 32, v9
	s_delay_alu instid0(VALU_DEP_1) | instskip(NEXT) | instid1(VALU_DEP_1)
	v_subrev_nc_u32_e32 v10, 28, v9
	v_dual_lshlrev_b32 v3, v10, v3 :: v_dual_sub_nc_u32 v9, 29, v9
	s_delay_alu instid0(VALU_DEP_1) | instskip(NEXT) | instid1(VALU_DEP_1)
	v_dual_lshlrev_b32 v1, 24, v1 :: v_dual_bitop2_b32 v3, 7, v3 bitop3:0x40
	v_dual_cndmask_b32 v3, v5, v3, vcc_lo :: v_dual_cndmask_b32 v9, v11, v9, vcc_lo
	s_delay_alu instid0(VALU_DEP_2) | instskip(NEXT) | instid1(VALU_DEP_2)
	v_and_b32_e32 v1, 0x80000000, v1
	v_lshlrev_b32_e32 v3, 20, v3
	s_delay_alu instid0(VALU_DEP_3) | instskip(NEXT) | instid1(VALU_DEP_1)
	v_lshl_add_u32 v5, v9, 23, 0x3b800000
	v_or3_b32 v1, v1, v5, v3
	s_delay_alu instid0(VALU_DEP_1) | instskip(NEXT) | instid1(VALU_DEP_1)
	v_trunc_f32_e32 v1, v1
	v_mul_f32_e64 v3, 0x2f800000, |v1|
	s_delay_alu instid0(VALU_DEP_1) | instskip(NEXT) | instid1(VALU_DEP_1)
	v_floor_f32_e32 v3, v3
	v_fma_f32 v3, 0xcf800000, v3, |v1|
	v_ashrrev_i32_e32 v1, 31, v1
	s_delay_alu instid0(VALU_DEP_2) | instskip(NEXT) | instid1(VALU_DEP_1)
	v_cvt_u32_f32_e32 v3, v3
	v_xor_b32_e32 v3, v3, v1
	s_delay_alu instid0(VALU_DEP_1)
	v_sub_nc_u32_e32 v10, v3, v1
.LBB6_2331:
	s_or_b32 exec_lo, exec_lo, s13
.LBB6_2332:
	s_mov_b32 s13, -1
.LBB6_2333:
	s_mov_b32 s16, 0
.LBB6_2334:
	s_delay_alu instid0(SALU_CYCLE_1)
	s_and_b32 vcc_lo, exec_lo, s16
	s_cbranch_vccz .LBB6_2365
; %bb.2335:
	s_cmp_gt_i32 s6, 22
	s_cbranch_scc0 .LBB6_2343
; %bb.2336:
	s_cmp_lt_i32 s6, 24
	s_cbranch_scc1 .LBB6_2346
; %bb.2337:
	s_cmp_gt_i32 s6, 24
	s_cbranch_scc0 .LBB6_2347
; %bb.2338:
	global_load_u8 v1, v[6:7], off
	s_mov_b32 s13, 0
	s_mov_b32 s9, exec_lo
	s_wait_loadcnt 0x0
	v_cmpx_lt_i16_e32 0x7f, v1
	s_xor_b32 s9, exec_lo, s9
	s_cbranch_execz .LBB6_2359
; %bb.2339:
	v_cmp_ne_u16_e32 vcc_lo, 0x80, v1
	s_and_b32 s13, vcc_lo, exec_lo
	s_and_not1_saveexec_b32 s9, s9
	s_cbranch_execnz .LBB6_2360
.LBB6_2340:
	s_or_b32 exec_lo, exec_lo, s9
	v_mov_b32_e32 v10, 0
	s_and_saveexec_b32 s9, s13
	s_cbranch_execz .LBB6_2342
.LBB6_2341:
	v_and_b32_e32 v3, 0xffff, v1
	s_delay_alu instid0(VALU_DEP_1) | instskip(SKIP_1) | instid1(VALU_DEP_2)
	v_and_b32_e32 v5, 3, v3
	v_bfe_u32 v11, v3, 2, 5
	v_clz_i32_u32_e32 v9, v5
	s_delay_alu instid0(VALU_DEP_2) | instskip(NEXT) | instid1(VALU_DEP_2)
	v_cmp_eq_u32_e32 vcc_lo, 0, v11
	v_min_u32_e32 v9, 32, v9
	s_delay_alu instid0(VALU_DEP_1) | instskip(NEXT) | instid1(VALU_DEP_1)
	v_subrev_nc_u32_e32 v10, 29, v9
	v_dual_lshlrev_b32 v3, v10, v3 :: v_dual_sub_nc_u32 v9, 30, v9
	s_delay_alu instid0(VALU_DEP_1) | instskip(NEXT) | instid1(VALU_DEP_1)
	v_dual_lshlrev_b32 v1, 24, v1 :: v_dual_bitop2_b32 v3, 3, v3 bitop3:0x40
	v_dual_cndmask_b32 v3, v5, v3, vcc_lo :: v_dual_cndmask_b32 v9, v11, v9, vcc_lo
	s_delay_alu instid0(VALU_DEP_2) | instskip(NEXT) | instid1(VALU_DEP_2)
	v_and_b32_e32 v1, 0x80000000, v1
	v_lshlrev_b32_e32 v3, 21, v3
	s_delay_alu instid0(VALU_DEP_3) | instskip(NEXT) | instid1(VALU_DEP_1)
	v_lshl_add_u32 v5, v9, 23, 0x37800000
	v_or3_b32 v1, v1, v5, v3
	s_delay_alu instid0(VALU_DEP_1) | instskip(NEXT) | instid1(VALU_DEP_1)
	v_trunc_f32_e32 v1, v1
	v_mul_f32_e64 v3, 0x2f800000, |v1|
	s_delay_alu instid0(VALU_DEP_1) | instskip(NEXT) | instid1(VALU_DEP_1)
	v_floor_f32_e32 v3, v3
	v_fma_f32 v3, 0xcf800000, v3, |v1|
	v_ashrrev_i32_e32 v1, 31, v1
	s_delay_alu instid0(VALU_DEP_2) | instskip(NEXT) | instid1(VALU_DEP_1)
	v_cvt_u32_f32_e32 v3, v3
	v_xor_b32_e32 v3, v3, v1
	s_delay_alu instid0(VALU_DEP_1)
	v_sub_nc_u32_e32 v10, v3, v1
.LBB6_2342:
	s_or_b32 exec_lo, exec_lo, s9
	s_mov_b32 s9, 0
	s_branch .LBB6_2348
.LBB6_2343:
	s_mov_b32 s9, -1
                                        ; implicit-def: $vgpr10
	s_branch .LBB6_2354
.LBB6_2344:
	s_and_not1_saveexec_b32 s13, s13
	s_cbranch_execz .LBB6_2329
.LBB6_2345:
	v_cmp_ne_u16_e32 vcc_lo, 0, v1
	s_and_not1_b32 s16, s16, exec_lo
	s_and_b32 s17, vcc_lo, exec_lo
	s_delay_alu instid0(SALU_CYCLE_1)
	s_or_b32 s16, s16, s17
	s_or_b32 exec_lo, exec_lo, s13
	v_mov_b32_e32 v10, 0
	s_and_saveexec_b32 s13, s16
	s_cbranch_execnz .LBB6_2330
	s_branch .LBB6_2331
.LBB6_2346:
	s_mov_b32 s9, -1
                                        ; implicit-def: $vgpr10
	s_branch .LBB6_2351
.LBB6_2347:
	s_mov_b32 s9, -1
                                        ; implicit-def: $vgpr10
.LBB6_2348:
	s_delay_alu instid0(SALU_CYCLE_1)
	s_and_b32 vcc_lo, exec_lo, s9
	s_cbranch_vccz .LBB6_2350
; %bb.2349:
	global_load_u8 v1, v[6:7], off
	s_wait_loadcnt 0x0
	v_lshlrev_b32_e32 v1, 24, v1
	s_delay_alu instid0(VALU_DEP_1) | instskip(NEXT) | instid1(VALU_DEP_1)
	v_and_b32_e32 v3, 0x7f000000, v1
	v_clz_i32_u32_e32 v5, v3
	v_cmp_ne_u32_e32 vcc_lo, 0, v3
	v_add_nc_u32_e32 v10, 0x1000000, v3
	s_delay_alu instid0(VALU_DEP_3) | instskip(NEXT) | instid1(VALU_DEP_1)
	v_min_u32_e32 v5, 32, v5
	v_sub_nc_u32_e64 v5, v5, 4 clamp
	s_delay_alu instid0(VALU_DEP_1) | instskip(NEXT) | instid1(VALU_DEP_1)
	v_dual_lshlrev_b32 v9, v5, v3 :: v_dual_lshlrev_b32 v5, 23, v5
	v_lshrrev_b32_e32 v9, 4, v9
	s_delay_alu instid0(VALU_DEP_1) | instskip(NEXT) | instid1(VALU_DEP_1)
	v_dual_sub_nc_u32 v5, v9, v5 :: v_dual_ashrrev_i32 v9, 8, v10
	v_add_nc_u32_e32 v5, 0x3c000000, v5
	s_delay_alu instid0(VALU_DEP_1) | instskip(NEXT) | instid1(VALU_DEP_1)
	v_and_or_b32 v5, 0x7f800000, v9, v5
	v_cndmask_b32_e32 v3, 0, v5, vcc_lo
	s_delay_alu instid0(VALU_DEP_1) | instskip(NEXT) | instid1(VALU_DEP_1)
	v_and_or_b32 v1, 0x80000000, v1, v3
	v_trunc_f32_e32 v1, v1
	s_delay_alu instid0(VALU_DEP_1) | instskip(NEXT) | instid1(VALU_DEP_1)
	v_mul_f32_e64 v3, 0x2f800000, |v1|
	v_floor_f32_e32 v3, v3
	s_delay_alu instid0(VALU_DEP_1) | instskip(SKIP_1) | instid1(VALU_DEP_2)
	v_fma_f32 v3, 0xcf800000, v3, |v1|
	v_ashrrev_i32_e32 v1, 31, v1
	v_cvt_u32_f32_e32 v3, v3
	s_delay_alu instid0(VALU_DEP_1) | instskip(NEXT) | instid1(VALU_DEP_1)
	v_xor_b32_e32 v3, v3, v1
	v_sub_nc_u32_e32 v10, v3, v1
.LBB6_2350:
	s_mov_b32 s9, 0
.LBB6_2351:
	s_delay_alu instid0(SALU_CYCLE_1)
	s_and_not1_b32 vcc_lo, exec_lo, s9
	s_cbranch_vccnz .LBB6_2353
; %bb.2352:
	global_load_u8 v1, v[6:7], off
	s_wait_loadcnt 0x0
	v_lshlrev_b32_e32 v3, 25, v1
	v_lshlrev_b16 v1, 8, v1
	s_delay_alu instid0(VALU_DEP_2) | instskip(NEXT) | instid1(VALU_DEP_2)
	v_cmp_gt_u32_e32 vcc_lo, 0x8000000, v3
	v_and_or_b32 v9, 0x7f00, v1, 0.5
	v_lshrrev_b32_e32 v5, 4, v3
	v_bfe_i32 v1, v1, 0, 16
	s_delay_alu instid0(VALU_DEP_3) | instskip(NEXT) | instid1(VALU_DEP_3)
	v_add_f32_e32 v9, -0.5, v9
	v_or_b32_e32 v5, 0x70000000, v5
	s_delay_alu instid0(VALU_DEP_1) | instskip(NEXT) | instid1(VALU_DEP_1)
	v_mul_f32_e32 v5, 0x7800000, v5
	v_cndmask_b32_e32 v3, v5, v9, vcc_lo
	s_delay_alu instid0(VALU_DEP_1) | instskip(NEXT) | instid1(VALU_DEP_1)
	v_and_or_b32 v1, 0x80000000, v1, v3
	v_trunc_f32_e32 v1, v1
	s_delay_alu instid0(VALU_DEP_1) | instskip(NEXT) | instid1(VALU_DEP_1)
	v_mul_f32_e64 v3, 0x2f800000, |v1|
	v_floor_f32_e32 v3, v3
	s_delay_alu instid0(VALU_DEP_1) | instskip(SKIP_1) | instid1(VALU_DEP_2)
	v_fma_f32 v3, 0xcf800000, v3, |v1|
	v_ashrrev_i32_e32 v1, 31, v1
	v_cvt_u32_f32_e32 v3, v3
	s_delay_alu instid0(VALU_DEP_1) | instskip(NEXT) | instid1(VALU_DEP_1)
	v_xor_b32_e32 v3, v3, v1
	v_sub_nc_u32_e32 v10, v3, v1
.LBB6_2353:
	s_mov_b32 s9, 0
	s_mov_b32 s13, -1
.LBB6_2354:
	s_and_not1_b32 vcc_lo, exec_lo, s9
	s_mov_b32 s9, 0
	s_cbranch_vccnz .LBB6_2365
; %bb.2355:
	s_cmp_gt_i32 s6, 14
	s_cbranch_scc0 .LBB6_2358
; %bb.2356:
	s_cmp_eq_u32 s6, 15
	s_cbranch_scc0 .LBB6_2361
; %bb.2357:
	global_load_u16 v1, v[6:7], off
	s_mov_b32 s7, 0
	s_mov_b32 s13, -1
	s_wait_loadcnt 0x0
	v_lshlrev_b32_e32 v1, 16, v1
	s_delay_alu instid0(VALU_DEP_1) | instskip(NEXT) | instid1(VALU_DEP_1)
	v_trunc_f32_e32 v1, v1
	v_mul_f32_e64 v3, 0x2f800000, |v1|
	s_delay_alu instid0(VALU_DEP_1) | instskip(NEXT) | instid1(VALU_DEP_1)
	v_floor_f32_e32 v3, v3
	v_fma_f32 v3, 0xcf800000, v3, |v1|
	v_ashrrev_i32_e32 v1, 31, v1
	s_delay_alu instid0(VALU_DEP_2) | instskip(NEXT) | instid1(VALU_DEP_1)
	v_cvt_u32_f32_e32 v3, v3
	v_xor_b32_e32 v3, v3, v1
	s_delay_alu instid0(VALU_DEP_1)
	v_sub_nc_u32_e32 v10, v3, v1
	s_branch .LBB6_2363
.LBB6_2358:
	s_mov_b32 s9, -1
	s_branch .LBB6_2362
.LBB6_2359:
	s_and_not1_saveexec_b32 s9, s9
	s_cbranch_execz .LBB6_2340
.LBB6_2360:
	v_cmp_ne_u16_e32 vcc_lo, 0, v1
	s_and_not1_b32 s13, s13, exec_lo
	s_and_b32 s16, vcc_lo, exec_lo
	s_delay_alu instid0(SALU_CYCLE_1)
	s_or_b32 s13, s13, s16
	s_or_b32 exec_lo, exec_lo, s9
	v_mov_b32_e32 v10, 0
	s_and_saveexec_b32 s9, s13
	s_cbranch_execnz .LBB6_2341
	s_branch .LBB6_2342
.LBB6_2361:
	s_mov_b32 s7, -1
.LBB6_2362:
                                        ; implicit-def: $vgpr10
.LBB6_2363:
	s_and_b32 vcc_lo, exec_lo, s9
	s_mov_b32 s9, 0
	s_cbranch_vccz .LBB6_2365
; %bb.2364:
	s_cmp_lg_u32 s6, 11
	s_mov_b32 s9, -1
	s_cselect_b32 s7, -1, 0
.LBB6_2365:
	s_delay_alu instid0(SALU_CYCLE_1)
	s_and_b32 vcc_lo, exec_lo, s7
	s_cbranch_vccnz .LBB6_2430
; %bb.2366:
	s_and_not1_b32 vcc_lo, exec_lo, s9
	s_cbranch_vccnz .LBB6_2368
.LBB6_2367:
	global_load_u8 v1, v[6:7], off
	s_mov_b32 s13, -1
	s_wait_loadcnt 0x0
	v_cmp_ne_u16_e32 vcc_lo, 0, v1
	v_cndmask_b32_e64 v10, 0, 1, vcc_lo
.LBB6_2368:
	s_mov_b32 s6, 0
.LBB6_2369:
	s_delay_alu instid0(SALU_CYCLE_1)
	s_and_b32 vcc_lo, exec_lo, s6
	s_cbranch_vccz .LBB6_2418
; %bb.2370:
	s_and_b32 s0, 0xffff, s0
	s_delay_alu instid0(SALU_CYCLE_1)
	s_cmp_lt_i32 s0, 5
	s_cbranch_scc1 .LBB6_2375
; %bb.2371:
	s_cmp_lt_i32 s0, 8
	s_cbranch_scc1 .LBB6_2376
; %bb.2372:
	;; [unrolled: 3-line block ×3, first 2 shown]
	s_cmp_gt_i32 s0, 9
	s_cbranch_scc0 .LBB6_2378
; %bb.2374:
	s_wait_loadcnt 0x0
	global_load_b64 v[10:11], v[6:7], off
	s_mov_b32 s6, 0
	s_wait_loadcnt 0x0
	v_trunc_f64_e32 v[10:11], v[10:11]
	s_delay_alu instid0(VALU_DEP_1) | instskip(NEXT) | instid1(VALU_DEP_1)
	v_ldexp_f64 v[12:13], v[10:11], 0xffffffe0
	v_floor_f64_e32 v[12:13], v[12:13]
	s_delay_alu instid0(VALU_DEP_1) | instskip(NEXT) | instid1(VALU_DEP_1)
	v_fmamk_f64 v[10:11], v[12:13], 0xc1f00000, v[10:11]
	v_cvt_u32_f64_e32 v10, v[10:11]
	s_branch .LBB6_2379
.LBB6_2375:
	s_mov_b32 s6, -1
                                        ; implicit-def: $vgpr10
	s_branch .LBB6_2397
.LBB6_2376:
	s_mov_b32 s6, -1
                                        ; implicit-def: $vgpr10
	s_branch .LBB6_2385
.LBB6_2377:
	s_mov_b32 s6, -1
                                        ; implicit-def: $vgpr10
	s_branch .LBB6_2382
.LBB6_2378:
	s_mov_b32 s6, -1
                                        ; implicit-def: $vgpr10
.LBB6_2379:
	s_delay_alu instid0(SALU_CYCLE_1)
	s_and_not1_b32 vcc_lo, exec_lo, s6
	s_cbranch_vccnz .LBB6_2381
; %bb.2380:
	global_load_b32 v1, v[6:7], off
	s_wait_loadcnt 0x0
	v_trunc_f32_e32 v1, v1
	s_delay_alu instid0(VALU_DEP_1) | instskip(NEXT) | instid1(VALU_DEP_1)
	v_mul_f32_e64 v3, 0x2f800000, |v1|
	v_floor_f32_e32 v3, v3
	s_delay_alu instid0(VALU_DEP_1) | instskip(SKIP_1) | instid1(VALU_DEP_2)
	v_fma_f32 v3, 0xcf800000, v3, |v1|
	v_ashrrev_i32_e32 v1, 31, v1
	v_cvt_u32_f32_e32 v3, v3
	s_delay_alu instid0(VALU_DEP_1) | instskip(NEXT) | instid1(VALU_DEP_1)
	v_xor_b32_e32 v3, v3, v1
	v_sub_nc_u32_e32 v10, v3, v1
.LBB6_2381:
	s_mov_b32 s6, 0
.LBB6_2382:
	s_delay_alu instid0(SALU_CYCLE_1)
	s_and_not1_b32 vcc_lo, exec_lo, s6
	s_cbranch_vccnz .LBB6_2384
; %bb.2383:
	global_load_b32 v1, v[6:7], off
	s_wait_loadcnt 0x0
	v_cvt_f32_f16_e32 v1, v1
	s_delay_alu instid0(VALU_DEP_1)
	v_cvt_i32_f32_e32 v10, v1
.LBB6_2384:
	s_mov_b32 s6, 0
.LBB6_2385:
	s_delay_alu instid0(SALU_CYCLE_1)
	s_and_not1_b32 vcc_lo, exec_lo, s6
	s_cbranch_vccnz .LBB6_2396
; %bb.2386:
	s_cmp_lt_i32 s0, 6
	s_cbranch_scc1 .LBB6_2389
; %bb.2387:
	s_cmp_gt_i32 s0, 6
	s_cbranch_scc0 .LBB6_2390
; %bb.2388:
	s_wait_loadcnt 0x0
	global_load_b64 v[10:11], v[6:7], off
	s_mov_b32 s6, 0
	s_wait_loadcnt 0x0
	v_trunc_f64_e32 v[10:11], v[10:11]
	s_delay_alu instid0(VALU_DEP_1) | instskip(NEXT) | instid1(VALU_DEP_1)
	v_ldexp_f64 v[12:13], v[10:11], 0xffffffe0
	v_floor_f64_e32 v[12:13], v[12:13]
	s_delay_alu instid0(VALU_DEP_1) | instskip(NEXT) | instid1(VALU_DEP_1)
	v_fmamk_f64 v[10:11], v[12:13], 0xc1f00000, v[10:11]
	v_cvt_u32_f64_e32 v10, v[10:11]
	s_branch .LBB6_2391
.LBB6_2389:
	s_mov_b32 s6, -1
                                        ; implicit-def: $vgpr10
	s_branch .LBB6_2394
.LBB6_2390:
	s_mov_b32 s6, -1
                                        ; implicit-def: $vgpr10
.LBB6_2391:
	s_delay_alu instid0(SALU_CYCLE_1)
	s_and_not1_b32 vcc_lo, exec_lo, s6
	s_cbranch_vccnz .LBB6_2393
; %bb.2392:
	global_load_b32 v1, v[6:7], off
	s_wait_loadcnt 0x0
	v_trunc_f32_e32 v1, v1
	s_delay_alu instid0(VALU_DEP_1) | instskip(NEXT) | instid1(VALU_DEP_1)
	v_mul_f32_e64 v3, 0x2f800000, |v1|
	v_floor_f32_e32 v3, v3
	s_delay_alu instid0(VALU_DEP_1) | instskip(SKIP_1) | instid1(VALU_DEP_2)
	v_fma_f32 v3, 0xcf800000, v3, |v1|
	v_ashrrev_i32_e32 v1, 31, v1
	v_cvt_u32_f32_e32 v3, v3
	s_delay_alu instid0(VALU_DEP_1) | instskip(NEXT) | instid1(VALU_DEP_1)
	v_xor_b32_e32 v3, v3, v1
	v_sub_nc_u32_e32 v10, v3, v1
.LBB6_2393:
	s_mov_b32 s6, 0
.LBB6_2394:
	s_delay_alu instid0(SALU_CYCLE_1)
	s_and_not1_b32 vcc_lo, exec_lo, s6
	s_cbranch_vccnz .LBB6_2396
; %bb.2395:
	global_load_u16 v1, v[6:7], off
	s_wait_loadcnt 0x0
	v_cvt_f32_f16_e32 v1, v1
	s_delay_alu instid0(VALU_DEP_1)
	v_cvt_i32_f32_e32 v10, v1
.LBB6_2396:
	s_mov_b32 s6, 0
.LBB6_2397:
	s_delay_alu instid0(SALU_CYCLE_1)
	s_and_not1_b32 vcc_lo, exec_lo, s6
	s_cbranch_vccnz .LBB6_2417
; %bb.2398:
	s_cmp_lt_i32 s0, 2
	s_cbranch_scc1 .LBB6_2402
; %bb.2399:
	s_cmp_lt_i32 s0, 3
	s_cbranch_scc1 .LBB6_2403
; %bb.2400:
	s_cmp_gt_i32 s0, 3
	s_cbranch_scc0 .LBB6_2404
; %bb.2401:
	s_wait_loadcnt 0x0
	global_load_b64 v[10:11], v[6:7], off
	s_mov_b32 s6, 0
	s_branch .LBB6_2405
.LBB6_2402:
	s_mov_b32 s6, -1
                                        ; implicit-def: $vgpr10
	s_branch .LBB6_2411
.LBB6_2403:
	s_mov_b32 s6, -1
                                        ; implicit-def: $vgpr10
	s_branch .LBB6_2408
.LBB6_2404:
	s_mov_b32 s6, -1
                                        ; implicit-def: $vgpr10
.LBB6_2405:
	s_delay_alu instid0(SALU_CYCLE_1)
	s_and_not1_b32 vcc_lo, exec_lo, s6
	s_cbranch_vccnz .LBB6_2407
; %bb.2406:
	s_wait_loadcnt 0x0
	global_load_b32 v10, v[6:7], off
.LBB6_2407:
	s_mov_b32 s6, 0
.LBB6_2408:
	s_delay_alu instid0(SALU_CYCLE_1)
	s_and_not1_b32 vcc_lo, exec_lo, s6
	s_cbranch_vccnz .LBB6_2410
; %bb.2409:
	s_wait_loadcnt 0x0
	global_load_u16 v10, v[6:7], off
.LBB6_2410:
	s_mov_b32 s6, 0
.LBB6_2411:
	s_delay_alu instid0(SALU_CYCLE_1)
	s_and_not1_b32 vcc_lo, exec_lo, s6
	s_cbranch_vccnz .LBB6_2417
; %bb.2412:
	s_cmp_gt_i32 s0, 0
	s_mov_b32 s0, 0
	s_cbranch_scc0 .LBB6_2414
; %bb.2413:
	s_wait_loadcnt 0x0
	global_load_u8 v10, v[6:7], off
	s_branch .LBB6_2415
.LBB6_2414:
	s_mov_b32 s0, -1
                                        ; implicit-def: $vgpr10
.LBB6_2415:
	s_delay_alu instid0(SALU_CYCLE_1)
	s_and_not1_b32 vcc_lo, exec_lo, s0
	s_cbranch_vccnz .LBB6_2417
; %bb.2416:
	s_wait_loadcnt 0x0
	global_load_u8 v10, v[6:7], off
.LBB6_2417:
	s_mov_b32 s13, -1
.LBB6_2418:
	s_delay_alu instid0(SALU_CYCLE_1)
	s_and_not1_b32 vcc_lo, exec_lo, s13
	s_cbranch_vccnz .LBB6_2627
; %bb.2419:
	s_wait_xcnt 0x0
	v_add_nc_u32_e32 v6, s10, v8
	s_cmp_lt_i32 s1, 11
	s_delay_alu instid0(VALU_DEP_1) | instskip(NEXT) | instid1(VALU_DEP_1)
	v_ashrrev_i32_e32 v7, 31, v6
	v_add_nc_u64_e32 v[8:9], s[2:3], v[6:7]
	s_cbranch_scc1 .LBB6_2426
; %bb.2420:
	s_and_b32 s0, 0xffff, s1
	s_mov_b32 s3, 0
	s_cmp_gt_i32 s0, 25
	s_cbranch_scc0 .LBB6_2427
; %bb.2421:
	s_cmp_gt_i32 s0, 28
	s_cbranch_scc0 .LBB6_2428
; %bb.2422:
	;; [unrolled: 3-line block ×4, first 2 shown]
	s_cmp_eq_u32 s0, 46
	s_mov_b32 s7, 0
	s_cbranch_scc0 .LBB6_2432
; %bb.2425:
	global_load_b32 v1, v[8:9], off
	s_mov_b32 s2, 0
	s_mov_b32 s6, -1
	s_wait_loadcnt 0x0
	v_lshlrev_b32_e32 v1, 16, v1
	s_delay_alu instid0(VALU_DEP_1) | instskip(NEXT) | instid1(VALU_DEP_1)
	v_trunc_f32_e32 v1, v1
	v_mul_f32_e64 v3, 0x2f800000, |v1|
	s_delay_alu instid0(VALU_DEP_1) | instskip(NEXT) | instid1(VALU_DEP_1)
	v_floor_f32_e32 v3, v3
	v_fma_f32 v3, 0xcf800000, v3, |v1|
	v_ashrrev_i32_e32 v1, 31, v1
	s_delay_alu instid0(VALU_DEP_2) | instskip(NEXT) | instid1(VALU_DEP_1)
	v_cvt_u32_f32_e32 v3, v3
	v_xor_b32_e32 v3, v3, v1
	s_delay_alu instid0(VALU_DEP_1)
	v_sub_nc_u32_e32 v6, v3, v1
	s_branch .LBB6_2434
.LBB6_2426:
	s_mov_b32 s0, -1
	s_mov_b32 s6, 0
                                        ; implicit-def: $vgpr6
	s_branch .LBB6_2496
.LBB6_2427:
	s_mov_b32 s7, -1
	s_mov_b32 s6, 0
	s_mov_b32 s2, 0
                                        ; implicit-def: $vgpr6
	s_branch .LBB6_2461
.LBB6_2428:
	s_mov_b32 s7, -1
	s_mov_b32 s6, 0
	s_mov_b32 s2, 0
                                        ; implicit-def: $vgpr6
	s_branch .LBB6_2444
.LBB6_2429:
	s_mov_b32 s7, -1
	s_mov_b32 s6, 0
	s_mov_b32 s2, 0
                                        ; implicit-def: $vgpr6
	s_branch .LBB6_2439
.LBB6_2430:
	s_or_b32 s12, s12, exec_lo
	s_trap 2
	s_cbranch_execz .LBB6_2367
	s_branch .LBB6_2368
.LBB6_2431:
	s_mov_b32 s7, -1
	s_mov_b32 s6, 0
	s_mov_b32 s2, 0
	s_branch .LBB6_2433
.LBB6_2432:
	s_mov_b32 s2, -1
	s_mov_b32 s6, 0
.LBB6_2433:
                                        ; implicit-def: $vgpr6
.LBB6_2434:
	s_and_b32 vcc_lo, exec_lo, s7
	s_cbranch_vccz .LBB6_2438
; %bb.2435:
	s_cmp_eq_u32 s0, 44
	s_cbranch_scc0 .LBB6_2437
; %bb.2436:
	global_load_u8 v1, v[8:9], off
	s_mov_b32 s2, 0
	s_mov_b32 s6, -1
	s_wait_loadcnt 0x0
	v_lshlrev_b32_e32 v3, 23, v1
	v_cmp_ne_u32_e32 vcc_lo, 0, v1
	s_delay_alu instid0(VALU_DEP_2) | instskip(NEXT) | instid1(VALU_DEP_1)
	v_trunc_f32_e32 v3, v3
	v_mul_f32_e64 v5, 0x2f800000, |v3|
	s_delay_alu instid0(VALU_DEP_1) | instskip(NEXT) | instid1(VALU_DEP_1)
	v_floor_f32_e32 v5, v5
	v_fma_f32 v5, 0xcf800000, v5, |v3|
	v_ashrrev_i32_e32 v3, 31, v3
	s_delay_alu instid0(VALU_DEP_2) | instskip(NEXT) | instid1(VALU_DEP_1)
	v_cvt_u32_f32_e32 v5, v5
	v_xor_b32_e32 v5, v5, v3
	s_delay_alu instid0(VALU_DEP_1) | instskip(NEXT) | instid1(VALU_DEP_1)
	v_sub_nc_u32_e32 v3, v5, v3
	v_cndmask_b32_e32 v6, 0, v3, vcc_lo
	s_branch .LBB6_2438
.LBB6_2437:
	s_mov_b32 s2, -1
                                        ; implicit-def: $vgpr6
.LBB6_2438:
	s_mov_b32 s7, 0
.LBB6_2439:
	s_delay_alu instid0(SALU_CYCLE_1)
	s_and_b32 vcc_lo, exec_lo, s7
	s_cbranch_vccz .LBB6_2443
; %bb.2440:
	s_cmp_eq_u32 s0, 29
	s_cbranch_scc0 .LBB6_2442
; %bb.2441:
	global_load_b64 v[6:7], v[8:9], off
	s_mov_b32 s2, 0
	s_mov_b32 s6, -1
	s_branch .LBB6_2443
.LBB6_2442:
	s_mov_b32 s2, -1
                                        ; implicit-def: $vgpr6
.LBB6_2443:
	s_mov_b32 s7, 0
.LBB6_2444:
	s_delay_alu instid0(SALU_CYCLE_1)
	s_and_b32 vcc_lo, exec_lo, s7
	s_cbranch_vccz .LBB6_2460
; %bb.2445:
	s_cmp_lt_i32 s0, 27
	s_cbranch_scc1 .LBB6_2448
; %bb.2446:
	s_cmp_gt_i32 s0, 27
	s_cbranch_scc0 .LBB6_2449
; %bb.2447:
	s_wait_loadcnt 0x0
	global_load_b32 v6, v[8:9], off
	s_mov_b32 s6, 0
	s_branch .LBB6_2450
.LBB6_2448:
	s_mov_b32 s6, -1
                                        ; implicit-def: $vgpr6
	s_branch .LBB6_2453
.LBB6_2449:
	s_mov_b32 s6, -1
                                        ; implicit-def: $vgpr6
.LBB6_2450:
	s_delay_alu instid0(SALU_CYCLE_1)
	s_and_not1_b32 vcc_lo, exec_lo, s6
	s_cbranch_vccnz .LBB6_2452
; %bb.2451:
	s_wait_loadcnt 0x0
	global_load_u16 v6, v[8:9], off
.LBB6_2452:
	s_mov_b32 s6, 0
.LBB6_2453:
	s_delay_alu instid0(SALU_CYCLE_1)
	s_and_not1_b32 vcc_lo, exec_lo, s6
	s_cbranch_vccnz .LBB6_2459
; %bb.2454:
	global_load_u8 v1, v[8:9], off
	s_mov_b32 s7, 0
	s_mov_b32 s6, exec_lo
	s_wait_loadcnt 0x0
	v_cmpx_lt_i16_e32 0x7f, v1
	s_xor_b32 s6, exec_lo, s6
	s_cbranch_execz .LBB6_2471
; %bb.2455:
	v_cmp_ne_u16_e32 vcc_lo, 0x80, v1
	s_and_b32 s7, vcc_lo, exec_lo
	s_and_not1_saveexec_b32 s6, s6
	s_cbranch_execnz .LBB6_2472
.LBB6_2456:
	s_or_b32 exec_lo, exec_lo, s6
	v_mov_b32_e32 v6, 0
	s_and_saveexec_b32 s6, s7
	s_cbranch_execz .LBB6_2458
.LBB6_2457:
	v_and_b32_e32 v3, 0xffff, v1
	s_delay_alu instid0(VALU_DEP_1) | instskip(SKIP_1) | instid1(VALU_DEP_2)
	v_and_b32_e32 v5, 7, v3
	v_bfe_u32 v11, v3, 3, 4
	v_clz_i32_u32_e32 v6, v5
	s_delay_alu instid0(VALU_DEP_2) | instskip(NEXT) | instid1(VALU_DEP_2)
	v_cmp_eq_u32_e32 vcc_lo, 0, v11
	v_min_u32_e32 v6, 32, v6
	s_delay_alu instid0(VALU_DEP_1) | instskip(NEXT) | instid1(VALU_DEP_1)
	v_subrev_nc_u32_e32 v7, 28, v6
	v_dual_lshlrev_b32 v3, v7, v3 :: v_dual_sub_nc_u32 v6, 29, v6
	s_delay_alu instid0(VALU_DEP_1) | instskip(NEXT) | instid1(VALU_DEP_1)
	v_dual_lshlrev_b32 v1, 24, v1 :: v_dual_bitop2_b32 v3, 7, v3 bitop3:0x40
	v_dual_cndmask_b32 v6, v11, v6 :: v_dual_cndmask_b32 v3, v5, v3
	s_delay_alu instid0(VALU_DEP_2) | instskip(NEXT) | instid1(VALU_DEP_2)
	v_and_b32_e32 v1, 0x80000000, v1
	v_lshl_add_u32 v5, v6, 23, 0x3b800000
	s_delay_alu instid0(VALU_DEP_3) | instskip(NEXT) | instid1(VALU_DEP_1)
	v_lshlrev_b32_e32 v3, 20, v3
	v_or3_b32 v1, v1, v5, v3
	s_delay_alu instid0(VALU_DEP_1) | instskip(NEXT) | instid1(VALU_DEP_1)
	v_trunc_f32_e32 v1, v1
	v_mul_f32_e64 v3, 0x2f800000, |v1|
	s_delay_alu instid0(VALU_DEP_1) | instskip(NEXT) | instid1(VALU_DEP_1)
	v_floor_f32_e32 v3, v3
	v_fma_f32 v3, 0xcf800000, v3, |v1|
	v_ashrrev_i32_e32 v1, 31, v1
	s_delay_alu instid0(VALU_DEP_2) | instskip(NEXT) | instid1(VALU_DEP_1)
	v_cvt_u32_f32_e32 v3, v3
	v_xor_b32_e32 v3, v3, v1
	s_delay_alu instid0(VALU_DEP_1)
	v_sub_nc_u32_e32 v6, v3, v1
.LBB6_2458:
	s_or_b32 exec_lo, exec_lo, s6
.LBB6_2459:
	s_mov_b32 s6, -1
.LBB6_2460:
	s_mov_b32 s7, 0
.LBB6_2461:
	s_delay_alu instid0(SALU_CYCLE_1)
	s_and_b32 vcc_lo, exec_lo, s7
	s_cbranch_vccz .LBB6_2492
; %bb.2462:
	s_cmp_gt_i32 s0, 22
	s_cbranch_scc0 .LBB6_2470
; %bb.2463:
	s_cmp_lt_i32 s0, 24
	s_cbranch_scc1 .LBB6_2473
; %bb.2464:
	s_cmp_gt_i32 s0, 24
	s_cbranch_scc0 .LBB6_2474
; %bb.2465:
	global_load_u8 v1, v[8:9], off
	s_mov_b32 s6, 0
	s_mov_b32 s3, exec_lo
	s_wait_loadcnt 0x0
	v_cmpx_lt_i16_e32 0x7f, v1
	s_xor_b32 s3, exec_lo, s3
	s_cbranch_execz .LBB6_2486
; %bb.2466:
	v_cmp_ne_u16_e32 vcc_lo, 0x80, v1
	s_and_b32 s6, vcc_lo, exec_lo
	s_and_not1_saveexec_b32 s3, s3
	s_cbranch_execnz .LBB6_2487
.LBB6_2467:
	s_or_b32 exec_lo, exec_lo, s3
	v_mov_b32_e32 v6, 0
	s_and_saveexec_b32 s3, s6
	s_cbranch_execz .LBB6_2469
.LBB6_2468:
	v_and_b32_e32 v3, 0xffff, v1
	s_delay_alu instid0(VALU_DEP_1) | instskip(SKIP_1) | instid1(VALU_DEP_2)
	v_and_b32_e32 v5, 3, v3
	v_bfe_u32 v11, v3, 2, 5
	v_clz_i32_u32_e32 v6, v5
	s_delay_alu instid0(VALU_DEP_2) | instskip(NEXT) | instid1(VALU_DEP_2)
	v_cmp_eq_u32_e32 vcc_lo, 0, v11
	v_min_u32_e32 v6, 32, v6
	s_delay_alu instid0(VALU_DEP_1) | instskip(NEXT) | instid1(VALU_DEP_1)
	v_subrev_nc_u32_e32 v7, 29, v6
	v_dual_lshlrev_b32 v3, v7, v3 :: v_dual_sub_nc_u32 v6, 30, v6
	s_delay_alu instid0(VALU_DEP_1) | instskip(NEXT) | instid1(VALU_DEP_1)
	v_dual_lshlrev_b32 v1, 24, v1 :: v_dual_bitop2_b32 v3, 3, v3 bitop3:0x40
	v_dual_cndmask_b32 v6, v11, v6 :: v_dual_cndmask_b32 v3, v5, v3
	s_delay_alu instid0(VALU_DEP_2) | instskip(NEXT) | instid1(VALU_DEP_2)
	v_and_b32_e32 v1, 0x80000000, v1
	v_lshl_add_u32 v5, v6, 23, 0x37800000
	s_delay_alu instid0(VALU_DEP_3) | instskip(NEXT) | instid1(VALU_DEP_1)
	v_lshlrev_b32_e32 v3, 21, v3
	v_or3_b32 v1, v1, v5, v3
	s_delay_alu instid0(VALU_DEP_1) | instskip(NEXT) | instid1(VALU_DEP_1)
	v_trunc_f32_e32 v1, v1
	v_mul_f32_e64 v3, 0x2f800000, |v1|
	s_delay_alu instid0(VALU_DEP_1) | instskip(NEXT) | instid1(VALU_DEP_1)
	v_floor_f32_e32 v3, v3
	v_fma_f32 v3, 0xcf800000, v3, |v1|
	v_ashrrev_i32_e32 v1, 31, v1
	s_delay_alu instid0(VALU_DEP_2) | instskip(NEXT) | instid1(VALU_DEP_1)
	v_cvt_u32_f32_e32 v3, v3
	v_xor_b32_e32 v3, v3, v1
	s_delay_alu instid0(VALU_DEP_1)
	v_sub_nc_u32_e32 v6, v3, v1
.LBB6_2469:
	s_or_b32 exec_lo, exec_lo, s3
	s_mov_b32 s3, 0
	s_branch .LBB6_2475
.LBB6_2470:
	s_mov_b32 s3, -1
                                        ; implicit-def: $vgpr6
	s_branch .LBB6_2481
.LBB6_2471:
	s_and_not1_saveexec_b32 s6, s6
	s_cbranch_execz .LBB6_2456
.LBB6_2472:
	v_cmp_ne_u16_e32 vcc_lo, 0, v1
	s_and_not1_b32 s7, s7, exec_lo
	s_and_b32 s9, vcc_lo, exec_lo
	s_delay_alu instid0(SALU_CYCLE_1)
	s_or_b32 s7, s7, s9
	s_or_b32 exec_lo, exec_lo, s6
	v_mov_b32_e32 v6, 0
	s_and_saveexec_b32 s6, s7
	s_cbranch_execnz .LBB6_2457
	s_branch .LBB6_2458
.LBB6_2473:
	s_mov_b32 s3, -1
                                        ; implicit-def: $vgpr6
	s_branch .LBB6_2478
.LBB6_2474:
	s_mov_b32 s3, -1
                                        ; implicit-def: $vgpr6
.LBB6_2475:
	s_delay_alu instid0(SALU_CYCLE_1)
	s_and_b32 vcc_lo, exec_lo, s3
	s_cbranch_vccz .LBB6_2477
; %bb.2476:
	global_load_u8 v1, v[8:9], off
	s_wait_loadcnt 0x0
	v_lshlrev_b32_e32 v1, 24, v1
	s_delay_alu instid0(VALU_DEP_1) | instskip(NEXT) | instid1(VALU_DEP_1)
	v_and_b32_e32 v3, 0x7f000000, v1
	v_clz_i32_u32_e32 v5, v3
	v_add_nc_u32_e32 v7, 0x1000000, v3
	v_cmp_ne_u32_e32 vcc_lo, 0, v3
	s_delay_alu instid0(VALU_DEP_3) | instskip(NEXT) | instid1(VALU_DEP_1)
	v_min_u32_e32 v5, 32, v5
	v_sub_nc_u32_e64 v5, v5, 4 clamp
	s_delay_alu instid0(VALU_DEP_1) | instskip(NEXT) | instid1(VALU_DEP_1)
	v_dual_lshlrev_b32 v6, v5, v3 :: v_dual_lshlrev_b32 v5, 23, v5
	v_lshrrev_b32_e32 v6, 4, v6
	s_delay_alu instid0(VALU_DEP_1) | instskip(NEXT) | instid1(VALU_DEP_1)
	v_dual_sub_nc_u32 v5, v6, v5 :: v_dual_ashrrev_i32 v6, 8, v7
	v_add_nc_u32_e32 v5, 0x3c000000, v5
	s_delay_alu instid0(VALU_DEP_1) | instskip(NEXT) | instid1(VALU_DEP_1)
	v_and_or_b32 v5, 0x7f800000, v6, v5
	v_cndmask_b32_e32 v3, 0, v5, vcc_lo
	s_delay_alu instid0(VALU_DEP_1) | instskip(NEXT) | instid1(VALU_DEP_1)
	v_and_or_b32 v1, 0x80000000, v1, v3
	v_trunc_f32_e32 v1, v1
	s_delay_alu instid0(VALU_DEP_1) | instskip(NEXT) | instid1(VALU_DEP_1)
	v_mul_f32_e64 v3, 0x2f800000, |v1|
	v_floor_f32_e32 v3, v3
	s_delay_alu instid0(VALU_DEP_1) | instskip(SKIP_1) | instid1(VALU_DEP_2)
	v_fma_f32 v3, 0xcf800000, v3, |v1|
	v_ashrrev_i32_e32 v1, 31, v1
	v_cvt_u32_f32_e32 v3, v3
	s_delay_alu instid0(VALU_DEP_1) | instskip(NEXT) | instid1(VALU_DEP_1)
	v_xor_b32_e32 v3, v3, v1
	v_sub_nc_u32_e32 v6, v3, v1
.LBB6_2477:
	s_mov_b32 s3, 0
.LBB6_2478:
	s_delay_alu instid0(SALU_CYCLE_1)
	s_and_not1_b32 vcc_lo, exec_lo, s3
	s_cbranch_vccnz .LBB6_2480
; %bb.2479:
	global_load_u8 v1, v[8:9], off
	s_wait_loadcnt 0x0
	v_lshlrev_b32_e32 v3, 25, v1
	v_lshlrev_b16 v1, 8, v1
	s_delay_alu instid0(VALU_DEP_1) | instskip(SKIP_1) | instid1(VALU_DEP_2)
	v_and_or_b32 v6, 0x7f00, v1, 0.5
	v_bfe_i32 v1, v1, 0, 16
	v_dual_add_f32 v6, -0.5, v6 :: v_dual_lshrrev_b32 v5, 4, v3
	v_cmp_gt_u32_e32 vcc_lo, 0x8000000, v3
	s_delay_alu instid0(VALU_DEP_2) | instskip(NEXT) | instid1(VALU_DEP_1)
	v_or_b32_e32 v5, 0x70000000, v5
	v_mul_f32_e32 v5, 0x7800000, v5
	s_delay_alu instid0(VALU_DEP_1) | instskip(NEXT) | instid1(VALU_DEP_1)
	v_cndmask_b32_e32 v3, v5, v6, vcc_lo
	v_and_or_b32 v1, 0x80000000, v1, v3
	s_delay_alu instid0(VALU_DEP_1) | instskip(NEXT) | instid1(VALU_DEP_1)
	v_trunc_f32_e32 v1, v1
	v_mul_f32_e64 v3, 0x2f800000, |v1|
	s_delay_alu instid0(VALU_DEP_1) | instskip(NEXT) | instid1(VALU_DEP_1)
	v_floor_f32_e32 v3, v3
	v_fma_f32 v3, 0xcf800000, v3, |v1|
	v_ashrrev_i32_e32 v1, 31, v1
	s_delay_alu instid0(VALU_DEP_2) | instskip(NEXT) | instid1(VALU_DEP_1)
	v_cvt_u32_f32_e32 v3, v3
	v_xor_b32_e32 v3, v3, v1
	s_delay_alu instid0(VALU_DEP_1)
	v_sub_nc_u32_e32 v6, v3, v1
.LBB6_2480:
	s_mov_b32 s3, 0
	s_mov_b32 s6, -1
.LBB6_2481:
	s_and_not1_b32 vcc_lo, exec_lo, s3
	s_mov_b32 s3, 0
	s_cbranch_vccnz .LBB6_2492
; %bb.2482:
	s_cmp_gt_i32 s0, 14
	s_cbranch_scc0 .LBB6_2485
; %bb.2483:
	s_cmp_eq_u32 s0, 15
	s_cbranch_scc0 .LBB6_2488
; %bb.2484:
	global_load_u16 v1, v[8:9], off
	s_mov_b32 s2, 0
	s_mov_b32 s6, -1
	s_wait_loadcnt 0x0
	v_lshlrev_b32_e32 v1, 16, v1
	s_delay_alu instid0(VALU_DEP_1) | instskip(NEXT) | instid1(VALU_DEP_1)
	v_trunc_f32_e32 v1, v1
	v_mul_f32_e64 v3, 0x2f800000, |v1|
	s_delay_alu instid0(VALU_DEP_1) | instskip(NEXT) | instid1(VALU_DEP_1)
	v_floor_f32_e32 v3, v3
	v_fma_f32 v3, 0xcf800000, v3, |v1|
	v_ashrrev_i32_e32 v1, 31, v1
	s_delay_alu instid0(VALU_DEP_2) | instskip(NEXT) | instid1(VALU_DEP_1)
	v_cvt_u32_f32_e32 v3, v3
	v_xor_b32_e32 v3, v3, v1
	s_delay_alu instid0(VALU_DEP_1)
	v_sub_nc_u32_e32 v6, v3, v1
	s_branch .LBB6_2490
.LBB6_2485:
	s_mov_b32 s3, -1
	s_branch .LBB6_2489
.LBB6_2486:
	s_and_not1_saveexec_b32 s3, s3
	s_cbranch_execz .LBB6_2467
.LBB6_2487:
	v_cmp_ne_u16_e32 vcc_lo, 0, v1
	s_and_not1_b32 s6, s6, exec_lo
	s_and_b32 s7, vcc_lo, exec_lo
	s_delay_alu instid0(SALU_CYCLE_1)
	s_or_b32 s6, s6, s7
	s_or_b32 exec_lo, exec_lo, s3
	v_mov_b32_e32 v6, 0
	s_and_saveexec_b32 s3, s6
	s_cbranch_execnz .LBB6_2468
	s_branch .LBB6_2469
.LBB6_2488:
	s_mov_b32 s2, -1
.LBB6_2489:
                                        ; implicit-def: $vgpr6
.LBB6_2490:
	s_and_b32 vcc_lo, exec_lo, s3
	s_mov_b32 s3, 0
	s_cbranch_vccz .LBB6_2492
; %bb.2491:
	s_cmp_lg_u32 s0, 11
	s_mov_b32 s3, -1
	s_cselect_b32 s2, -1, 0
.LBB6_2492:
	s_delay_alu instid0(SALU_CYCLE_1)
	s_and_b32 vcc_lo, exec_lo, s2
	s_cbranch_vccnz .LBB6_3029
; %bb.2493:
	s_and_not1_b32 vcc_lo, exec_lo, s3
	s_cbranch_vccnz .LBB6_2495
.LBB6_2494:
	global_load_u8 v1, v[8:9], off
	s_mov_b32 s6, -1
	s_wait_loadcnt 0x0
	v_cmp_ne_u16_e32 vcc_lo, 0, v1
	v_cndmask_b32_e64 v6, 0, 1, vcc_lo
.LBB6_2495:
	s_mov_b32 s0, 0
.LBB6_2496:
	s_delay_alu instid0(SALU_CYCLE_1)
	s_and_b32 vcc_lo, exec_lo, s0
	s_cbranch_vccz .LBB6_2545
; %bb.2497:
	s_and_b32 s0, 0xffff, s1
	s_delay_alu instid0(SALU_CYCLE_1)
	s_cmp_lt_i32 s0, 5
	s_cbranch_scc1 .LBB6_2502
; %bb.2498:
	s_cmp_lt_i32 s0, 8
	s_cbranch_scc1 .LBB6_2503
; %bb.2499:
	;; [unrolled: 3-line block ×3, first 2 shown]
	s_cmp_gt_i32 s0, 9
	s_cbranch_scc0 .LBB6_2505
; %bb.2501:
	s_wait_loadcnt 0x0
	global_load_b64 v[6:7], v[8:9], off
	s_mov_b32 s1, 0
	s_wait_loadcnt 0x0
	v_trunc_f64_e32 v[6:7], v[6:7]
	s_delay_alu instid0(VALU_DEP_1) | instskip(NEXT) | instid1(VALU_DEP_1)
	v_ldexp_f64 v[12:13], v[6:7], 0xffffffe0
	v_floor_f64_e32 v[12:13], v[12:13]
	s_delay_alu instid0(VALU_DEP_1) | instskip(NEXT) | instid1(VALU_DEP_1)
	v_fmamk_f64 v[6:7], v[12:13], 0xc1f00000, v[6:7]
	v_cvt_u32_f64_e32 v6, v[6:7]
	s_branch .LBB6_2506
.LBB6_2502:
	s_mov_b32 s1, -1
                                        ; implicit-def: $vgpr6
	s_branch .LBB6_2524
.LBB6_2503:
	s_mov_b32 s1, -1
                                        ; implicit-def: $vgpr6
	s_branch .LBB6_2512
.LBB6_2504:
	s_mov_b32 s1, -1
                                        ; implicit-def: $vgpr6
	s_branch .LBB6_2509
.LBB6_2505:
	s_mov_b32 s1, -1
                                        ; implicit-def: $vgpr6
.LBB6_2506:
	s_delay_alu instid0(SALU_CYCLE_1)
	s_and_not1_b32 vcc_lo, exec_lo, s1
	s_cbranch_vccnz .LBB6_2508
; %bb.2507:
	global_load_b32 v1, v[8:9], off
	s_wait_loadcnt 0x0
	v_trunc_f32_e32 v1, v1
	s_delay_alu instid0(VALU_DEP_1) | instskip(NEXT) | instid1(VALU_DEP_1)
	v_mul_f32_e64 v3, 0x2f800000, |v1|
	v_floor_f32_e32 v3, v3
	s_delay_alu instid0(VALU_DEP_1) | instskip(SKIP_1) | instid1(VALU_DEP_2)
	v_fma_f32 v3, 0xcf800000, v3, |v1|
	v_ashrrev_i32_e32 v1, 31, v1
	v_cvt_u32_f32_e32 v3, v3
	s_delay_alu instid0(VALU_DEP_1) | instskip(NEXT) | instid1(VALU_DEP_1)
	v_xor_b32_e32 v3, v3, v1
	v_sub_nc_u32_e32 v6, v3, v1
.LBB6_2508:
	s_mov_b32 s1, 0
.LBB6_2509:
	s_delay_alu instid0(SALU_CYCLE_1)
	s_and_not1_b32 vcc_lo, exec_lo, s1
	s_cbranch_vccnz .LBB6_2511
; %bb.2510:
	global_load_b32 v1, v[8:9], off
	s_wait_loadcnt 0x0
	v_cvt_f32_f16_e32 v1, v1
	s_delay_alu instid0(VALU_DEP_1)
	v_cvt_i32_f32_e32 v6, v1
.LBB6_2511:
	s_mov_b32 s1, 0
.LBB6_2512:
	s_delay_alu instid0(SALU_CYCLE_1)
	s_and_not1_b32 vcc_lo, exec_lo, s1
	s_cbranch_vccnz .LBB6_2523
; %bb.2513:
	s_cmp_lt_i32 s0, 6
	s_cbranch_scc1 .LBB6_2516
; %bb.2514:
	s_cmp_gt_i32 s0, 6
	s_cbranch_scc0 .LBB6_2517
; %bb.2515:
	s_wait_loadcnt 0x0
	global_load_b64 v[6:7], v[8:9], off
	s_mov_b32 s1, 0
	s_wait_loadcnt 0x0
	v_trunc_f64_e32 v[6:7], v[6:7]
	s_delay_alu instid0(VALU_DEP_1) | instskip(NEXT) | instid1(VALU_DEP_1)
	v_ldexp_f64 v[12:13], v[6:7], 0xffffffe0
	v_floor_f64_e32 v[12:13], v[12:13]
	s_delay_alu instid0(VALU_DEP_1) | instskip(NEXT) | instid1(VALU_DEP_1)
	v_fmamk_f64 v[6:7], v[12:13], 0xc1f00000, v[6:7]
	v_cvt_u32_f64_e32 v6, v[6:7]
	s_branch .LBB6_2518
.LBB6_2516:
	s_mov_b32 s1, -1
                                        ; implicit-def: $vgpr6
	s_branch .LBB6_2521
.LBB6_2517:
	s_mov_b32 s1, -1
                                        ; implicit-def: $vgpr6
.LBB6_2518:
	s_delay_alu instid0(SALU_CYCLE_1)
	s_and_not1_b32 vcc_lo, exec_lo, s1
	s_cbranch_vccnz .LBB6_2520
; %bb.2519:
	global_load_b32 v1, v[8:9], off
	s_wait_loadcnt 0x0
	v_trunc_f32_e32 v1, v1
	s_delay_alu instid0(VALU_DEP_1) | instskip(NEXT) | instid1(VALU_DEP_1)
	v_mul_f32_e64 v3, 0x2f800000, |v1|
	v_floor_f32_e32 v3, v3
	s_delay_alu instid0(VALU_DEP_1) | instskip(SKIP_1) | instid1(VALU_DEP_2)
	v_fma_f32 v3, 0xcf800000, v3, |v1|
	v_ashrrev_i32_e32 v1, 31, v1
	v_cvt_u32_f32_e32 v3, v3
	s_delay_alu instid0(VALU_DEP_1) | instskip(NEXT) | instid1(VALU_DEP_1)
	v_xor_b32_e32 v3, v3, v1
	v_sub_nc_u32_e32 v6, v3, v1
.LBB6_2520:
	s_mov_b32 s1, 0
.LBB6_2521:
	s_delay_alu instid0(SALU_CYCLE_1)
	s_and_not1_b32 vcc_lo, exec_lo, s1
	s_cbranch_vccnz .LBB6_2523
; %bb.2522:
	global_load_u16 v1, v[8:9], off
	s_wait_loadcnt 0x0
	v_cvt_f32_f16_e32 v1, v1
	s_delay_alu instid0(VALU_DEP_1)
	v_cvt_i32_f32_e32 v6, v1
.LBB6_2523:
	s_mov_b32 s1, 0
.LBB6_2524:
	s_delay_alu instid0(SALU_CYCLE_1)
	s_and_not1_b32 vcc_lo, exec_lo, s1
	s_cbranch_vccnz .LBB6_2544
; %bb.2525:
	s_cmp_lt_i32 s0, 2
	s_cbranch_scc1 .LBB6_2529
; %bb.2526:
	s_cmp_lt_i32 s0, 3
	s_cbranch_scc1 .LBB6_2530
; %bb.2527:
	s_cmp_gt_i32 s0, 3
	s_cbranch_scc0 .LBB6_2531
; %bb.2528:
	s_wait_loadcnt 0x0
	global_load_b64 v[6:7], v[8:9], off
	s_mov_b32 s1, 0
	s_branch .LBB6_2532
.LBB6_2529:
	s_mov_b32 s1, -1
                                        ; implicit-def: $vgpr6
	s_branch .LBB6_2538
.LBB6_2530:
	s_mov_b32 s1, -1
                                        ; implicit-def: $vgpr6
	s_branch .LBB6_2535
.LBB6_2531:
	s_mov_b32 s1, -1
                                        ; implicit-def: $vgpr6
.LBB6_2532:
	s_delay_alu instid0(SALU_CYCLE_1)
	s_and_not1_b32 vcc_lo, exec_lo, s1
	s_cbranch_vccnz .LBB6_2534
; %bb.2533:
	s_wait_loadcnt 0x0
	global_load_b32 v6, v[8:9], off
.LBB6_2534:
	s_mov_b32 s1, 0
.LBB6_2535:
	s_delay_alu instid0(SALU_CYCLE_1)
	s_and_not1_b32 vcc_lo, exec_lo, s1
	s_cbranch_vccnz .LBB6_2537
; %bb.2536:
	s_wait_loadcnt 0x0
	global_load_u16 v6, v[8:9], off
.LBB6_2537:
	s_mov_b32 s1, 0
.LBB6_2538:
	s_delay_alu instid0(SALU_CYCLE_1)
	s_and_not1_b32 vcc_lo, exec_lo, s1
	s_cbranch_vccnz .LBB6_2544
; %bb.2539:
	s_cmp_gt_i32 s0, 0
	s_mov_b32 s0, 0
	s_cbranch_scc0 .LBB6_2541
; %bb.2540:
	s_wait_loadcnt 0x0
	global_load_u8 v6, v[8:9], off
	s_branch .LBB6_2542
.LBB6_2541:
	s_mov_b32 s0, -1
                                        ; implicit-def: $vgpr6
.LBB6_2542:
	s_delay_alu instid0(SALU_CYCLE_1)
	s_and_not1_b32 vcc_lo, exec_lo, s0
	s_cbranch_vccnz .LBB6_2544
; %bb.2543:
	s_wait_loadcnt 0x0
	global_load_u8 v6, v[8:9], off
.LBB6_2544:
	s_mov_b32 s6, -1
.LBB6_2545:
	s_delay_alu instid0(SALU_CYCLE_1)
	s_and_not1_b32 vcc_lo, exec_lo, s6
	s_cbranch_vccnz .LBB6_2627
; %bb.2546:
	s_wait_loadcnt 0x0
	s_delay_alu instid0(VALU_DEP_4) | instskip(SKIP_3) | instid1(VALU_DEP_1)
	v_and_b32_e32 v1, 0xff, v10
	s_mov_b32 s1, 0
	s_mov_b32 s0, exec_lo
	s_wait_xcnt 0x0
	v_cmpx_ne_u16_e32 0, v1
	s_cbranch_execz .LBB6_2549
.LBB6_2547:                             ; =>This Inner Loop Header: Depth=1
	s_delay_alu instid0(VALU_DEP_3) | instskip(SKIP_1) | instid1(VALU_DEP_1)
	v_cvt_f32_ubyte0_e32 v7, v6
	v_mov_b32_e32 v1, v10
	v_cvt_f32_ubyte0_e32 v3, v1
	s_delay_alu instid0(VALU_DEP_1) | instskip(SKIP_1) | instid1(TRANS32_DEP_1)
	v_rcp_iflag_f32_e32 v5, v3
	v_nop
	v_mul_f32_e32 v5, v7, v5
	s_delay_alu instid0(VALU_DEP_1) | instskip(NEXT) | instid1(VALU_DEP_1)
	v_trunc_f32_e32 v5, v5
	v_fma_f32 v7, -v5, v3, v7
	v_cvt_u32_f32_e32 v5, v5
	s_delay_alu instid0(VALU_DEP_2) | instskip(NEXT) | instid1(VALU_DEP_1)
	v_cmp_ge_f32_e64 vcc_lo, |v7|, v3
	v_add_co_ci_u32_e64 v3, null, 0, v5, vcc_lo
	s_delay_alu instid0(VALU_DEP_1) | instskip(NEXT) | instid1(VALU_DEP_1)
	v_mul_lo_u32 v3, v3, v1
	v_dual_mov_b32 v6, v1 :: v_dual_sub_nc_u32 v3, v6, v3
	s_delay_alu instid0(VALU_DEP_1) | instskip(NEXT) | instid1(VALU_DEP_1)
	v_and_b32_e32 v10, 0xff, v3
	v_cmp_eq_u16_e32 vcc_lo, 0, v10
	s_or_b32 s1, vcc_lo, s1
	s_delay_alu instid0(SALU_CYCLE_1)
	s_and_not1_b32 exec_lo, exec_lo, s1
	s_cbranch_execnz .LBB6_2547
; %bb.2548:
	s_or_b32 exec_lo, exec_lo, s1
	v_mov_b32_e32 v6, v1
.LBB6_2549:
	s_or_b32 exec_lo, exec_lo, s0
	v_mul_lo_u32 v8, s8, v14
	s_and_b32 s16, s11, 0xff
	s_delay_alu instid0(SALU_CYCLE_1) | instskip(NEXT) | instid1(VALU_DEP_1)
	s_cmp_lt_i32 s16, 11
	v_ashrrev_i32_e32 v9, 31, v8
	s_delay_alu instid0(VALU_DEP_1)
	v_add_nc_u64_e32 v[10:11], s[4:5], v[8:9]
	s_cbranch_scc1 .LBB6_2672
; %bb.2550:
	s_and_b32 s1, 0xffff, s16
	s_mov_b32 s6, -1
	s_mov_b32 s2, 0
	s_cmp_gt_i32 s1, 25
	s_mov_b32 s3, 0
	s_mov_b32 s0, 0
	s_cbranch_scc0 .LBB6_2583
; %bb.2551:
	s_cmp_gt_i32 s1, 28
	s_cbranch_scc0 .LBB6_2566
; %bb.2552:
	s_cmp_gt_i32 s1, 43
	s_cbranch_scc0 .LBB6_2562
; %bb.2553:
	s_cmp_gt_i32 s1, 45
	s_cbranch_scc0 .LBB6_2556
; %bb.2554:
	s_mov_b32 s0, -1
	s_mov_b32 s6, 0
	s_cmp_eq_u32 s1, 46
	s_cbranch_scc0 .LBB6_2556
; %bb.2555:
	v_cvt_f32_ubyte0_e32 v1, v0
	s_mov_b32 s0, 0
	s_mov_b32 s3, -1
	s_delay_alu instid0(VALU_DEP_1) | instskip(NEXT) | instid1(VALU_DEP_1)
	v_bfe_u32 v3, v1, 16, 1
	v_add3_u32 v1, v1, v3, 0x7fff
	s_delay_alu instid0(VALU_DEP_1)
	v_lshrrev_b32_e32 v1, 16, v1
	global_store_b32 v[10:11], v1, off
.LBB6_2556:
	s_and_b32 vcc_lo, exec_lo, s6
	s_cbranch_vccz .LBB6_2561
; %bb.2557:
	s_cmp_eq_u32 s1, 44
	s_mov_b32 s0, -1
	s_cbranch_scc0 .LBB6_2561
; %bb.2558:
	v_cvt_f32_ubyte0_e32 v5, v0
	v_mov_b32_e32 v3, 0xff
	s_mov_b32 s3, exec_lo
	s_wait_xcnt 0x0
	s_delay_alu instid0(VALU_DEP_2) | instskip(NEXT) | instid1(VALU_DEP_1)
	v_lshrrev_b32_e32 v1, 23, v5
	v_cmpx_ne_u32_e32 0xff, v1
; %bb.2559:
	v_and_b32_e32 v3, 0x400000, v5
	v_and_or_b32 v5, 0x3fffff, v5, v1
	s_delay_alu instid0(VALU_DEP_2) | instskip(NEXT) | instid1(VALU_DEP_2)
	v_cmp_ne_u32_e32 vcc_lo, 0, v3
	v_cmp_ne_u32_e64 s0, 0, v5
	s_and_b32 s0, vcc_lo, s0
	s_delay_alu instid0(SALU_CYCLE_1) | instskip(NEXT) | instid1(VALU_DEP_1)
	v_cndmask_b32_e64 v3, 0, 1, s0
	v_add_nc_u32_e32 v3, v1, v3
; %bb.2560:
	s_or_b32 exec_lo, exec_lo, s3
	s_mov_b32 s0, 0
	s_mov_b32 s3, -1
	global_store_b8 v[10:11], v3, off
.LBB6_2561:
	s_mov_b32 s6, 0
.LBB6_2562:
	s_delay_alu instid0(SALU_CYCLE_1)
	s_and_b32 vcc_lo, exec_lo, s6
	s_cbranch_vccz .LBB6_2565
; %bb.2563:
	s_cmp_eq_u32 s1, 29
	s_mov_b32 s0, -1
	s_cbranch_scc0 .LBB6_2565
; %bb.2564:
	v_and_b32_e32 v12, 0xff, v0
	v_mov_b32_e32 v13, 0
	s_mov_b32 s0, 0
	s_mov_b32 s3, -1
	global_store_b64 v[10:11], v[12:13], off
.LBB6_2565:
	s_mov_b32 s6, 0
.LBB6_2566:
	s_delay_alu instid0(SALU_CYCLE_1)
	s_and_b32 vcc_lo, exec_lo, s6
	s_cbranch_vccz .LBB6_2582
; %bb.2567:
	s_cmp_lt_i32 s1, 27
	s_mov_b32 s3, -1
	s_cbranch_scc1 .LBB6_2573
; %bb.2568:
	s_cmp_gt_i32 s1, 27
	s_cbranch_scc0 .LBB6_2570
; %bb.2569:
	s_wait_xcnt 0x0
	v_and_b32_e32 v1, 0xff, v0
	s_mov_b32 s3, 0
	global_store_b32 v[10:11], v1, off
.LBB6_2570:
	s_and_not1_b32 vcc_lo, exec_lo, s3
	s_cbranch_vccnz .LBB6_2572
; %bb.2571:
	s_wait_xcnt 0x0
	v_and_b32_e32 v1, 0xff, v0
	global_store_b16 v[10:11], v1, off
.LBB6_2572:
	s_mov_b32 s3, 0
.LBB6_2573:
	s_delay_alu instid0(SALU_CYCLE_1)
	s_and_not1_b32 vcc_lo, exec_lo, s3
	s_cbranch_vccnz .LBB6_2581
; %bb.2574:
	s_wait_xcnt 0x0
	v_cvt_f32_ubyte0_e32 v3, v0
	v_mov_b32_e32 v5, 0x80
	s_mov_b32 s3, exec_lo
	s_delay_alu instid0(VALU_DEP_2)
	v_cmpx_gt_u32_e32 0x43800000, v3
	s_cbranch_execz .LBB6_2580
; %bb.2575:
	s_mov_b32 s6, 0
	s_mov_b32 s7, exec_lo
                                        ; implicit-def: $vgpr1
	v_cmpx_lt_u32_e32 0x3bffffff, v3
	s_xor_b32 s7, exec_lo, s7
	s_cbranch_execz .LBB6_3030
; %bb.2576:
	v_bfe_u32 v1, v3, 20, 1
	s_mov_b32 s6, exec_lo
	s_delay_alu instid0(VALU_DEP_1) | instskip(NEXT) | instid1(VALU_DEP_1)
	v_add3_u32 v1, v3, v1, 0x487ffff
                                        ; implicit-def: $vgpr3
	v_lshrrev_b32_e32 v1, 20, v1
	s_and_not1_saveexec_b32 s7, s7
	s_cbranch_execnz .LBB6_3031
.LBB6_2577:
	s_or_b32 exec_lo, exec_lo, s7
	v_mov_b32_e32 v5, 0
	s_and_saveexec_b32 s7, s6
.LBB6_2578:
	v_mov_b32_e32 v5, v1
.LBB6_2579:
	s_or_b32 exec_lo, exec_lo, s7
.LBB6_2580:
	s_delay_alu instid0(SALU_CYCLE_1)
	s_or_b32 exec_lo, exec_lo, s3
	global_store_b8 v[10:11], v5, off
.LBB6_2581:
	s_mov_b32 s3, -1
.LBB6_2582:
	s_mov_b32 s6, 0
.LBB6_2583:
	s_delay_alu instid0(SALU_CYCLE_1)
	s_and_b32 vcc_lo, exec_lo, s6
	s_cbranch_vccz .LBB6_2623
; %bb.2584:
	s_cmp_gt_i32 s1, 22
	s_mov_b32 s2, -1
	s_cbranch_scc0 .LBB6_2616
; %bb.2585:
	s_cmp_lt_i32 s1, 24
	s_cbranch_scc1 .LBB6_2605
; %bb.2586:
	s_cmp_gt_i32 s1, 24
	s_cbranch_scc0 .LBB6_2594
; %bb.2587:
	s_wait_xcnt 0x0
	v_cvt_f32_ubyte0_e32 v3, v0
	v_mov_b32_e32 v5, 0x80
	s_mov_b32 s2, exec_lo
	s_delay_alu instid0(VALU_DEP_2)
	v_cmpx_gt_u32_e32 0x47800000, v3
	s_cbranch_execz .LBB6_2593
; %bb.2588:
	s_mov_b32 s3, 0
	s_mov_b32 s6, exec_lo
                                        ; implicit-def: $vgpr1
	v_cmpx_lt_u32_e32 0x37ffffff, v3
	s_xor_b32 s6, exec_lo, s6
	s_cbranch_execz .LBB6_3033
; %bb.2589:
	v_bfe_u32 v1, v3, 21, 1
	s_mov_b32 s3, exec_lo
	s_delay_alu instid0(VALU_DEP_1) | instskip(NEXT) | instid1(VALU_DEP_1)
	v_add3_u32 v1, v3, v1, 0x88fffff
                                        ; implicit-def: $vgpr3
	v_lshrrev_b32_e32 v1, 21, v1
	s_and_not1_saveexec_b32 s6, s6
	s_cbranch_execnz .LBB6_3034
.LBB6_2590:
	s_or_b32 exec_lo, exec_lo, s6
	v_mov_b32_e32 v5, 0
	s_and_saveexec_b32 s6, s3
.LBB6_2591:
	v_mov_b32_e32 v5, v1
.LBB6_2592:
	s_or_b32 exec_lo, exec_lo, s6
.LBB6_2593:
	s_delay_alu instid0(SALU_CYCLE_1)
	s_or_b32 exec_lo, exec_lo, s2
	s_mov_b32 s2, 0
	global_store_b8 v[10:11], v5, off
.LBB6_2594:
	s_and_b32 vcc_lo, exec_lo, s2
	s_cbranch_vccz .LBB6_2604
; %bb.2595:
	s_wait_xcnt 0x0
	v_cvt_f32_ubyte0_e32 v3, v0
	s_mov_b32 s2, exec_lo
                                        ; implicit-def: $vgpr1
	s_delay_alu instid0(VALU_DEP_1)
	v_cmpx_gt_u32_e32 0x43f00000, v3
	s_xor_b32 s2, exec_lo, s2
	s_cbranch_execz .LBB6_2601
; %bb.2596:
	s_mov_b32 s3, exec_lo
                                        ; implicit-def: $vgpr1
	v_cmpx_lt_u32_e32 0x3c7fffff, v3
	s_xor_b32 s3, exec_lo, s3
; %bb.2597:
	v_bfe_u32 v1, v3, 20, 1
	s_delay_alu instid0(VALU_DEP_1) | instskip(NEXT) | instid1(VALU_DEP_1)
	v_add3_u32 v1, v3, v1, 0x407ffff
	v_and_b32_e32 v3, 0xff00000, v1
	v_lshrrev_b32_e32 v1, 20, v1
	s_delay_alu instid0(VALU_DEP_2) | instskip(NEXT) | instid1(VALU_DEP_2)
	v_cmp_ne_u32_e32 vcc_lo, 0x7f00000, v3
                                        ; implicit-def: $vgpr3
	v_cndmask_b32_e32 v1, 0x7e, v1, vcc_lo
; %bb.2598:
	s_and_not1_saveexec_b32 s3, s3
; %bb.2599:
	v_add_f32_e32 v1, 0x46800000, v3
; %bb.2600:
	s_or_b32 exec_lo, exec_lo, s3
                                        ; implicit-def: $vgpr3
.LBB6_2601:
	s_and_not1_saveexec_b32 s2, s2
; %bb.2602:
	v_mov_b32_e32 v1, 0x7f
	v_cmp_lt_u32_e32 vcc_lo, 0x7f800000, v3
	s_delay_alu instid0(VALU_DEP_2)
	v_cndmask_b32_e32 v1, 0x7e, v1, vcc_lo
; %bb.2603:
	s_or_b32 exec_lo, exec_lo, s2
	global_store_b8 v[10:11], v1, off
.LBB6_2604:
	s_mov_b32 s2, 0
.LBB6_2605:
	s_delay_alu instid0(SALU_CYCLE_1)
	s_and_not1_b32 vcc_lo, exec_lo, s2
	s_cbranch_vccnz .LBB6_2615
; %bb.2606:
	s_wait_xcnt 0x0
	v_cvt_f32_ubyte0_e32 v3, v0
	s_mov_b32 s2, exec_lo
                                        ; implicit-def: $vgpr1
	s_delay_alu instid0(VALU_DEP_1)
	v_cmpx_gt_u32_e32 0x47800000, v3
	s_xor_b32 s2, exec_lo, s2
	s_cbranch_execz .LBB6_2612
; %bb.2607:
	s_mov_b32 s3, exec_lo
                                        ; implicit-def: $vgpr1
	v_cmpx_lt_u32_e32 0x387fffff, v3
	s_xor_b32 s3, exec_lo, s3
; %bb.2608:
	v_bfe_u32 v1, v3, 21, 1
	s_delay_alu instid0(VALU_DEP_1) | instskip(NEXT) | instid1(VALU_DEP_1)
	v_add3_u32 v1, v3, v1, 0x80fffff
                                        ; implicit-def: $vgpr3
	v_lshrrev_b32_e32 v1, 21, v1
; %bb.2609:
	s_and_not1_saveexec_b32 s3, s3
; %bb.2610:
	v_add_f32_e32 v1, 0x43000000, v3
; %bb.2611:
	s_or_b32 exec_lo, exec_lo, s3
                                        ; implicit-def: $vgpr3
.LBB6_2612:
	s_and_not1_saveexec_b32 s2, s2
; %bb.2613:
	v_mov_b32_e32 v1, 0x7f
	v_cmp_lt_u32_e32 vcc_lo, 0x7f800000, v3
	s_delay_alu instid0(VALU_DEP_2)
	v_cndmask_b32_e32 v1, 0x7c, v1, vcc_lo
; %bb.2614:
	s_or_b32 exec_lo, exec_lo, s2
	global_store_b8 v[10:11], v1, off
.LBB6_2615:
	s_mov_b32 s2, 0
	s_mov_b32 s3, -1
.LBB6_2616:
	s_and_not1_b32 vcc_lo, exec_lo, s2
	s_mov_b32 s2, 0
	s_cbranch_vccnz .LBB6_2623
; %bb.2617:
	s_cmp_gt_i32 s1, 14
	s_mov_b32 s2, -1
	s_cbranch_scc0 .LBB6_2621
; %bb.2618:
	s_cmp_eq_u32 s1, 15
	s_mov_b32 s0, -1
	s_cbranch_scc0 .LBB6_2620
; %bb.2619:
	s_wait_xcnt 0x0
	v_cvt_f32_ubyte0_e32 v1, v0
	s_mov_b32 s0, 0
	s_mov_b32 s3, -1
	s_delay_alu instid0(VALU_DEP_1) | instskip(NEXT) | instid1(VALU_DEP_1)
	v_bfe_u32 v3, v1, 16, 1
	v_add3_u32 v1, v1, v3, 0x7fff
	global_store_d16_hi_b16 v[10:11], v1, off
.LBB6_2620:
	s_mov_b32 s2, 0
.LBB6_2621:
	s_delay_alu instid0(SALU_CYCLE_1)
	s_and_b32 vcc_lo, exec_lo, s2
	s_mov_b32 s2, 0
	s_cbranch_vccz .LBB6_2623
; %bb.2622:
	s_cmp_lg_u32 s1, 11
	s_mov_b32 s2, -1
	s_cselect_b32 s0, -1, 0
.LBB6_2623:
	s_delay_alu instid0(SALU_CYCLE_1)
	s_and_b32 vcc_lo, exec_lo, s0
	s_cbranch_vccnz .LBB6_3032
; %bb.2624:
	s_and_not1_b32 vcc_lo, exec_lo, s2
	s_cbranch_vccnz .LBB6_2626
.LBB6_2625:
	s_wait_xcnt 0x0
	v_and_b32_e32 v1, 0xff, v0
	s_mov_b32 s3, -1
	s_delay_alu instid0(VALU_DEP_1)
	v_cmp_ne_u16_e32 vcc_lo, 0, v1
	v_cndmask_b32_e64 v1, 0, 1, vcc_lo
	global_store_b8 v[10:11], v1, off
.LBB6_2626:
	s_mov_b32 s0, 0
	s_branch .LBB6_2673
.LBB6_2627:
	s_mov_b32 s0, 0
	s_mov_b32 s2, 0
                                        ; implicit-def: $sgpr16
                                        ; implicit-def: $vgpr0_vgpr1
                                        ; implicit-def: $vgpr6
.LBB6_2628:
	s_and_not1_b32 s1, s15, exec_lo
	s_and_b32 s3, s12, exec_lo
	s_and_b32 s0, s0, exec_lo
	;; [unrolled: 1-line block ×3, first 2 shown]
	s_or_b32 s15, s1, s3
.LBB6_2629:
	s_wait_xcnt 0x0
	s_or_b32 exec_lo, exec_lo, s14
	s_and_saveexec_b32 s1, s15
	s_cbranch_execz .LBB6_2632
; %bb.2630:
	; divergent unreachable
	s_or_b32 exec_lo, exec_lo, s1
	s_and_saveexec_b32 s1, s12
	s_delay_alu instid0(SALU_CYCLE_1)
	s_xor_b32 s1, exec_lo, s1
	s_cbranch_execnz .LBB6_2633
.LBB6_2631:
	s_or_b32 exec_lo, exec_lo, s1
	s_and_saveexec_b32 s1, s0
	s_cbranch_execnz .LBB6_2634
	s_branch .LBB6_2671
.LBB6_2632:
	s_or_b32 exec_lo, exec_lo, s1
	s_and_saveexec_b32 s1, s12
	s_delay_alu instid0(SALU_CYCLE_1)
	s_xor_b32 s1, exec_lo, s1
	s_cbranch_execz .LBB6_2631
.LBB6_2633:
	s_wait_loadcnt 0x0
	s_delay_alu instid0(VALU_DEP_1) | instskip(NEXT) | instid1(VALU_DEP_1)
	v_and_b32_e32 v2, 0xff, v6
	v_cmp_ne_u16_e32 vcc_lo, 0, v2
	v_cndmask_b32_e64 v2, 0, 1, vcc_lo
	global_store_b8 v[0:1], v2, off
	s_wait_xcnt 0x0
	s_or_b32 exec_lo, exec_lo, s1
	s_and_saveexec_b32 s1, s0
	s_cbranch_execz .LBB6_2671
.LBB6_2634:
	s_sext_i32_i16 s1, s16
	s_mov_b32 s0, -1
	s_cmp_lt_i32 s1, 5
	s_cbranch_scc1 .LBB6_2655
; %bb.2635:
	s_cmp_lt_i32 s1, 8
	s_cbranch_scc1 .LBB6_2645
; %bb.2636:
	;; [unrolled: 3-line block ×3, first 2 shown]
	s_cmp_gt_i32 s1, 9
	s_cbranch_scc0 .LBB6_2639
; %bb.2638:
	s_wait_loadcnt 0x0
	v_and_b32_e32 v2, 0xff, v6
	v_mov_b32_e32 v4, 0
	s_mov_b32 s0, 0
	s_delay_alu instid0(VALU_DEP_2) | instskip(NEXT) | instid1(VALU_DEP_2)
	v_and_b32_e32 v2, 0xffff, v2
	v_mov_b32_e32 v5, v4
	s_delay_alu instid0(VALU_DEP_2)
	v_cvt_f64_u32_e32 v[2:3], v2
	global_store_b128 v[0:1], v[2:5], off
.LBB6_2639:
	s_and_not1_b32 vcc_lo, exec_lo, s0
	s_cbranch_vccnz .LBB6_2641
; %bb.2640:
	s_wait_loadcnt 0x0
	v_cvt_f32_ubyte0_e32 v2, v6
	v_mov_b32_e32 v3, 0
	global_store_b64 v[0:1], v[2:3], off
.LBB6_2641:
	s_mov_b32 s0, 0
.LBB6_2642:
	s_delay_alu instid0(SALU_CYCLE_1)
	s_and_not1_b32 vcc_lo, exec_lo, s0
	s_cbranch_vccnz .LBB6_2644
; %bb.2643:
	s_wait_loadcnt 0x0
	v_and_b32_e32 v2, 0xff, v6
	s_delay_alu instid0(VALU_DEP_1) | instskip(NEXT) | instid1(VALU_DEP_1)
	v_cvt_f16_u16_e32 v2, v2
	v_and_b32_e32 v2, 0xffff, v2
	global_store_b32 v[0:1], v2, off
.LBB6_2644:
	s_mov_b32 s0, 0
.LBB6_2645:
	s_delay_alu instid0(SALU_CYCLE_1)
	s_and_not1_b32 vcc_lo, exec_lo, s0
	s_cbranch_vccnz .LBB6_2654
; %bb.2646:
	s_sext_i32_i16 s1, s16
	s_mov_b32 s0, -1
	s_cmp_lt_i32 s1, 6
	s_cbranch_scc1 .LBB6_2652
; %bb.2647:
	s_cmp_gt_i32 s1, 6
	s_cbranch_scc0 .LBB6_2649
; %bb.2648:
	s_wait_loadcnt 0x0
	v_and_b32_e32 v2, 0xff, v6
	s_mov_b32 s0, 0
	s_delay_alu instid0(VALU_DEP_1) | instskip(NEXT) | instid1(VALU_DEP_1)
	v_and_b32_e32 v2, 0xffff, v2
	v_cvt_f64_u32_e32 v[2:3], v2
	global_store_b64 v[0:1], v[2:3], off
.LBB6_2649:
	s_and_not1_b32 vcc_lo, exec_lo, s0
	s_cbranch_vccnz .LBB6_2651
; %bb.2650:
	s_wait_loadcnt 0x0
	v_cvt_f32_ubyte0_e32 v2, v6
	global_store_b32 v[0:1], v2, off
.LBB6_2651:
	s_mov_b32 s0, 0
.LBB6_2652:
	s_delay_alu instid0(SALU_CYCLE_1)
	s_and_not1_b32 vcc_lo, exec_lo, s0
	s_cbranch_vccnz .LBB6_2654
; %bb.2653:
	s_wait_loadcnt 0x0
	v_and_b32_e32 v2, 0xff, v6
	s_delay_alu instid0(VALU_DEP_1)
	v_cvt_f16_u16_e32 v2, v2
	global_store_b16 v[0:1], v2, off
.LBB6_2654:
	s_mov_b32 s0, 0
.LBB6_2655:
	s_delay_alu instid0(SALU_CYCLE_1)
	s_and_not1_b32 vcc_lo, exec_lo, s0
	s_cbranch_vccnz .LBB6_2671
; %bb.2656:
	s_sext_i32_i16 s1, s16
	s_mov_b32 s0, -1
	s_cmp_lt_i32 s1, 2
	s_cbranch_scc1 .LBB6_2666
; %bb.2657:
	s_cmp_lt_i32 s1, 3
	s_cbranch_scc1 .LBB6_2663
; %bb.2658:
	s_wait_loadcnt 0x0
	v_and_b32_e32 v2, 0xff, v6
	s_cmp_gt_i32 s1, 3
	s_cbranch_scc0 .LBB6_2660
; %bb.2659:
	v_mov_b32_e32 v3, 0
	s_mov_b32 s0, 0
	global_store_b64 v[0:1], v[2:3], off
.LBB6_2660:
	s_and_not1_b32 vcc_lo, exec_lo, s0
	s_cbranch_vccnz .LBB6_2662
; %bb.2661:
	global_store_b32 v[0:1], v2, off
.LBB6_2662:
	s_mov_b32 s0, 0
.LBB6_2663:
	s_delay_alu instid0(SALU_CYCLE_1)
	s_and_not1_b32 vcc_lo, exec_lo, s0
	s_cbranch_vccnz .LBB6_2665
; %bb.2664:
	s_wait_loadcnt 0x0
	v_and_b32_e32 v2, 0xff, v6
	global_store_b16 v[0:1], v2, off
.LBB6_2665:
	s_mov_b32 s0, 0
.LBB6_2666:
	s_delay_alu instid0(SALU_CYCLE_1)
	s_and_not1_b32 vcc_lo, exec_lo, s0
	s_cbranch_vccnz .LBB6_2671
; %bb.2667:
	s_sext_i32_i16 s0, s16
	s_delay_alu instid0(SALU_CYCLE_1)
	s_cmp_gt_i32 s0, 0
	s_mov_b32 s0, -1
	s_cbranch_scc0 .LBB6_2669
; %bb.2668:
	s_mov_b32 s0, 0
	s_wait_loadcnt 0x0
	global_store_b8 v[0:1], v6, off
.LBB6_2669:
	s_and_not1_b32 vcc_lo, exec_lo, s0
	s_cbranch_vccnz .LBB6_2671
; %bb.2670:
	s_wait_loadcnt 0x0
	global_store_b8 v[0:1], v6, off
	s_endpgm
.LBB6_2671:
	s_endpgm
.LBB6_2672:
	s_mov_b32 s0, -1
	s_mov_b32 s3, 0
.LBB6_2673:
	s_and_b32 vcc_lo, exec_lo, s0
	s_cbranch_vccz .LBB6_2712
; %bb.2674:
	s_and_b32 s0, 0xffff, s16
	s_mov_b32 s1, -1
	s_cmp_lt_i32 s0, 5
	s_cbranch_scc1 .LBB6_2695
; %bb.2675:
	s_cmp_lt_i32 s0, 8
	s_cbranch_scc1 .LBB6_2685
; %bb.2676:
	;; [unrolled: 3-line block ×3, first 2 shown]
	s_cmp_gt_i32 s0, 9
	s_cbranch_scc0 .LBB6_2679
; %bb.2678:
	s_wait_xcnt 0x0
	v_and_b32_e32 v1, 0xff, v0
	v_mov_b32_e32 v14, 0
	s_mov_b32 s1, 0
	s_delay_alu instid0(VALU_DEP_2) | instskip(NEXT) | instid1(VALU_DEP_2)
	v_and_b32_e32 v1, 0xffff, v1
	v_mov_b32_e32 v15, v14
	s_delay_alu instid0(VALU_DEP_2)
	v_cvt_f64_u32_e32 v[12:13], v1
	global_store_b128 v[10:11], v[12:15], off
.LBB6_2679:
	s_and_not1_b32 vcc_lo, exec_lo, s1
	s_cbranch_vccnz .LBB6_2681
; %bb.2680:
	s_wait_xcnt 0x0
	v_cvt_f32_ubyte0_e32 v12, v0
	v_mov_b32_e32 v13, 0
	global_store_b64 v[10:11], v[12:13], off
.LBB6_2681:
	s_mov_b32 s1, 0
.LBB6_2682:
	s_delay_alu instid0(SALU_CYCLE_1)
	s_and_not1_b32 vcc_lo, exec_lo, s1
	s_cbranch_vccnz .LBB6_2684
; %bb.2683:
	s_wait_xcnt 0x0
	v_and_b32_e32 v1, 0xff, v0
	s_delay_alu instid0(VALU_DEP_1) | instskip(NEXT) | instid1(VALU_DEP_1)
	v_cvt_f16_u16_e32 v1, v1
	v_and_b32_e32 v1, 0xffff, v1
	global_store_b32 v[10:11], v1, off
.LBB6_2684:
	s_mov_b32 s1, 0
.LBB6_2685:
	s_delay_alu instid0(SALU_CYCLE_1)
	s_and_not1_b32 vcc_lo, exec_lo, s1
	s_cbranch_vccnz .LBB6_2694
; %bb.2686:
	s_cmp_lt_i32 s0, 6
	s_mov_b32 s1, -1
	s_cbranch_scc1 .LBB6_2692
; %bb.2687:
	s_cmp_gt_i32 s0, 6
	s_cbranch_scc0 .LBB6_2689
; %bb.2688:
	s_wait_xcnt 0x0
	v_and_b32_e32 v1, 0xff, v0
	s_mov_b32 s1, 0
	s_delay_alu instid0(VALU_DEP_1) | instskip(NEXT) | instid1(VALU_DEP_1)
	v_and_b32_e32 v1, 0xffff, v1
	v_cvt_f64_u32_e32 v[12:13], v1
	global_store_b64 v[10:11], v[12:13], off
.LBB6_2689:
	s_and_not1_b32 vcc_lo, exec_lo, s1
	s_cbranch_vccnz .LBB6_2691
; %bb.2690:
	s_wait_xcnt 0x0
	v_cvt_f32_ubyte0_e32 v1, v0
	global_store_b32 v[10:11], v1, off
.LBB6_2691:
	s_mov_b32 s1, 0
.LBB6_2692:
	s_delay_alu instid0(SALU_CYCLE_1)
	s_and_not1_b32 vcc_lo, exec_lo, s1
	s_cbranch_vccnz .LBB6_2694
; %bb.2693:
	s_wait_xcnt 0x0
	v_and_b32_e32 v1, 0xff, v0
	s_delay_alu instid0(VALU_DEP_1)
	v_cvt_f16_u16_e32 v1, v1
	global_store_b16 v[10:11], v1, off
.LBB6_2694:
	s_mov_b32 s1, 0
.LBB6_2695:
	s_delay_alu instid0(SALU_CYCLE_1)
	s_and_not1_b32 vcc_lo, exec_lo, s1
	s_cbranch_vccnz .LBB6_2711
; %bb.2696:
	s_cmp_lt_i32 s0, 2
	s_mov_b32 s1, -1
	s_cbranch_scc1 .LBB6_2706
; %bb.2697:
	s_cmp_lt_i32 s0, 3
	s_cbranch_scc1 .LBB6_2703
; %bb.2698:
	s_cmp_gt_i32 s0, 3
	s_cbranch_scc0 .LBB6_2700
; %bb.2699:
	s_wait_xcnt 0x0
	v_and_b32_e32 v12, 0xff, v0
	v_mov_b32_e32 v13, 0
	s_mov_b32 s1, 0
	global_store_b64 v[10:11], v[12:13], off
.LBB6_2700:
	s_and_not1_b32 vcc_lo, exec_lo, s1
	s_cbranch_vccnz .LBB6_2702
; %bb.2701:
	s_wait_xcnt 0x0
	v_and_b32_e32 v1, 0xff, v0
	global_store_b32 v[10:11], v1, off
.LBB6_2702:
	s_mov_b32 s1, 0
.LBB6_2703:
	s_delay_alu instid0(SALU_CYCLE_1)
	s_and_not1_b32 vcc_lo, exec_lo, s1
	s_cbranch_vccnz .LBB6_2705
; %bb.2704:
	s_wait_xcnt 0x0
	v_and_b32_e32 v1, 0xff, v0
	global_store_b16 v[10:11], v1, off
.LBB6_2705:
	s_mov_b32 s1, 0
.LBB6_2706:
	s_delay_alu instid0(SALU_CYCLE_1)
	s_and_not1_b32 vcc_lo, exec_lo, s1
	s_cbranch_vccnz .LBB6_2711
; %bb.2707:
	s_cmp_gt_i32 s0, 0
	s_mov_b32 s0, -1
	s_cbranch_scc0 .LBB6_2709
; %bb.2708:
	s_mov_b32 s0, 0
	global_store_b8 v[10:11], v0, off
.LBB6_2709:
	s_and_not1_b32 vcc_lo, exec_lo, s0
	s_cbranch_vccnz .LBB6_2711
; %bb.2710:
	global_store_b8 v[10:11], v0, off
.LBB6_2711:
	s_mov_b32 s3, -1
.LBB6_2712:
	s_delay_alu instid0(SALU_CYCLE_1)
	s_and_not1_b32 vcc_lo, exec_lo, s3
	s_cbranch_vccnz .LBB6_3027
; %bb.2713:
	s_lshl_b32 s1, s8, 7
	s_cmp_lt_i32 s16, 11
	s_wait_xcnt 0x0
	v_add_nc_u32_e32 v0, s1, v8
	s_delay_alu instid0(VALU_DEP_1) | instskip(NEXT) | instid1(VALU_DEP_1)
	v_ashrrev_i32_e32 v1, 31, v0
	v_add_nc_u64_e32 v[8:9], s[4:5], v[0:1]
	s_cbranch_scc1 .LBB6_2791
; %bb.2714:
	s_and_b32 s2, 0xffff, s16
	s_mov_b32 s7, -1
	s_mov_b32 s3, 0
	s_cmp_gt_i32 s2, 25
	s_mov_b32 s6, 0
	s_mov_b32 s0, 0
	s_cbranch_scc0 .LBB6_2747
; %bb.2715:
	s_cmp_gt_i32 s2, 28
	s_cbranch_scc0 .LBB6_2730
; %bb.2716:
	s_cmp_gt_i32 s2, 43
	;; [unrolled: 3-line block ×3, first 2 shown]
	s_cbranch_scc0 .LBB6_2720
; %bb.2718:
	s_mov_b32 s0, -1
	s_mov_b32 s7, 0
	s_cmp_eq_u32 s2, 46
	s_cbranch_scc0 .LBB6_2720
; %bb.2719:
	v_cvt_f32_ubyte0_e32 v1, v2
	s_mov_b32 s0, 0
	s_mov_b32 s6, -1
	s_delay_alu instid0(VALU_DEP_1) | instskip(NEXT) | instid1(VALU_DEP_1)
	v_bfe_u32 v3, v1, 16, 1
	v_add3_u32 v1, v1, v3, 0x7fff
	s_delay_alu instid0(VALU_DEP_1)
	v_lshrrev_b32_e32 v1, 16, v1
	global_store_b32 v[8:9], v1, off
.LBB6_2720:
	s_and_b32 vcc_lo, exec_lo, s7
	s_cbranch_vccz .LBB6_2725
; %bb.2721:
	s_cmp_eq_u32 s2, 44
	s_mov_b32 s0, -1
	s_cbranch_scc0 .LBB6_2725
; %bb.2722:
	v_cvt_f32_ubyte0_e32 v5, v2
	v_mov_b32_e32 v3, 0xff
	s_mov_b32 s6, exec_lo
	s_wait_xcnt 0x0
	s_delay_alu instid0(VALU_DEP_2) | instskip(NEXT) | instid1(VALU_DEP_1)
	v_lshrrev_b32_e32 v1, 23, v5
	v_cmpx_ne_u32_e32 0xff, v1
; %bb.2723:
	v_and_b32_e32 v3, 0x400000, v5
	v_and_or_b32 v5, 0x3fffff, v5, v1
	s_delay_alu instid0(VALU_DEP_2) | instskip(NEXT) | instid1(VALU_DEP_2)
	v_cmp_ne_u32_e32 vcc_lo, 0, v3
	v_cmp_ne_u32_e64 s0, 0, v5
	s_and_b32 s0, vcc_lo, s0
	s_delay_alu instid0(SALU_CYCLE_1) | instskip(NEXT) | instid1(VALU_DEP_1)
	v_cndmask_b32_e64 v3, 0, 1, s0
	v_add_nc_u32_e32 v3, v1, v3
; %bb.2724:
	s_or_b32 exec_lo, exec_lo, s6
	s_mov_b32 s0, 0
	s_mov_b32 s6, -1
	global_store_b8 v[8:9], v3, off
.LBB6_2725:
	s_mov_b32 s7, 0
.LBB6_2726:
	s_delay_alu instid0(SALU_CYCLE_1)
	s_and_b32 vcc_lo, exec_lo, s7
	s_cbranch_vccz .LBB6_2729
; %bb.2727:
	s_cmp_eq_u32 s2, 29
	s_mov_b32 s0, -1
	s_cbranch_scc0 .LBB6_2729
; %bb.2728:
	v_and_b32_e32 v10, 0xff, v2
	v_mov_b32_e32 v11, 0
	s_mov_b32 s0, 0
	s_mov_b32 s6, -1
	global_store_b64 v[8:9], v[10:11], off
.LBB6_2729:
	s_mov_b32 s7, 0
.LBB6_2730:
	s_delay_alu instid0(SALU_CYCLE_1)
	s_and_b32 vcc_lo, exec_lo, s7
	s_cbranch_vccz .LBB6_2746
; %bb.2731:
	s_cmp_lt_i32 s2, 27
	s_mov_b32 s6, -1
	s_cbranch_scc1 .LBB6_2737
; %bb.2732:
	s_cmp_gt_i32 s2, 27
	s_cbranch_scc0 .LBB6_2734
; %bb.2733:
	s_wait_xcnt 0x0
	v_and_b32_e32 v1, 0xff, v2
	s_mov_b32 s6, 0
	global_store_b32 v[8:9], v1, off
.LBB6_2734:
	s_and_not1_b32 vcc_lo, exec_lo, s6
	s_cbranch_vccnz .LBB6_2736
; %bb.2735:
	s_wait_xcnt 0x0
	v_and_b32_e32 v1, 0xff, v2
	global_store_b16 v[8:9], v1, off
.LBB6_2736:
	s_mov_b32 s6, 0
.LBB6_2737:
	s_delay_alu instid0(SALU_CYCLE_1)
	s_and_not1_b32 vcc_lo, exec_lo, s6
	s_cbranch_vccnz .LBB6_2745
; %bb.2738:
	s_wait_xcnt 0x0
	v_cvt_f32_ubyte0_e32 v3, v2
	v_mov_b32_e32 v5, 0x80
	s_mov_b32 s6, exec_lo
	s_delay_alu instid0(VALU_DEP_2)
	v_cmpx_gt_u32_e32 0x43800000, v3
	s_cbranch_execz .LBB6_2744
; %bb.2739:
	s_mov_b32 s7, 0
	s_mov_b32 s8, exec_lo
                                        ; implicit-def: $vgpr1
	v_cmpx_lt_u32_e32 0x3bffffff, v3
	s_xor_b32 s8, exec_lo, s8
	s_cbranch_execz .LBB6_3035
; %bb.2740:
	v_bfe_u32 v1, v3, 20, 1
	s_mov_b32 s7, exec_lo
	s_delay_alu instid0(VALU_DEP_1) | instskip(NEXT) | instid1(VALU_DEP_1)
	v_add3_u32 v1, v3, v1, 0x487ffff
                                        ; implicit-def: $vgpr3
	v_lshrrev_b32_e32 v1, 20, v1
	s_and_not1_saveexec_b32 s8, s8
	s_cbranch_execnz .LBB6_3036
.LBB6_2741:
	s_or_b32 exec_lo, exec_lo, s8
	v_mov_b32_e32 v5, 0
	s_and_saveexec_b32 s8, s7
.LBB6_2742:
	v_mov_b32_e32 v5, v1
.LBB6_2743:
	s_or_b32 exec_lo, exec_lo, s8
.LBB6_2744:
	s_delay_alu instid0(SALU_CYCLE_1)
	s_or_b32 exec_lo, exec_lo, s6
	global_store_b8 v[8:9], v5, off
.LBB6_2745:
	s_mov_b32 s6, -1
.LBB6_2746:
	s_mov_b32 s7, 0
.LBB6_2747:
	s_delay_alu instid0(SALU_CYCLE_1)
	s_and_b32 vcc_lo, exec_lo, s7
	s_cbranch_vccz .LBB6_2787
; %bb.2748:
	s_cmp_gt_i32 s2, 22
	s_mov_b32 s3, -1
	s_cbranch_scc0 .LBB6_2780
; %bb.2749:
	s_cmp_lt_i32 s2, 24
	s_cbranch_scc1 .LBB6_2769
; %bb.2750:
	s_cmp_gt_i32 s2, 24
	s_cbranch_scc0 .LBB6_2758
; %bb.2751:
	s_wait_xcnt 0x0
	v_cvt_f32_ubyte0_e32 v3, v2
	v_mov_b32_e32 v5, 0x80
	s_mov_b32 s3, exec_lo
	s_delay_alu instid0(VALU_DEP_2)
	v_cmpx_gt_u32_e32 0x47800000, v3
	s_cbranch_execz .LBB6_2757
; %bb.2752:
	s_mov_b32 s6, 0
	s_mov_b32 s7, exec_lo
                                        ; implicit-def: $vgpr1
	v_cmpx_lt_u32_e32 0x37ffffff, v3
	s_xor_b32 s7, exec_lo, s7
	s_cbranch_execz .LBB6_3038
; %bb.2753:
	v_bfe_u32 v1, v3, 21, 1
	s_mov_b32 s6, exec_lo
	s_delay_alu instid0(VALU_DEP_1) | instskip(NEXT) | instid1(VALU_DEP_1)
	v_add3_u32 v1, v3, v1, 0x88fffff
                                        ; implicit-def: $vgpr3
	v_lshrrev_b32_e32 v1, 21, v1
	s_and_not1_saveexec_b32 s7, s7
	s_cbranch_execnz .LBB6_3039
.LBB6_2754:
	s_or_b32 exec_lo, exec_lo, s7
	v_mov_b32_e32 v5, 0
	s_and_saveexec_b32 s7, s6
.LBB6_2755:
	v_mov_b32_e32 v5, v1
.LBB6_2756:
	s_or_b32 exec_lo, exec_lo, s7
.LBB6_2757:
	s_delay_alu instid0(SALU_CYCLE_1)
	s_or_b32 exec_lo, exec_lo, s3
	s_mov_b32 s3, 0
	global_store_b8 v[8:9], v5, off
.LBB6_2758:
	s_and_b32 vcc_lo, exec_lo, s3
	s_cbranch_vccz .LBB6_2768
; %bb.2759:
	s_wait_xcnt 0x0
	v_cvt_f32_ubyte0_e32 v3, v2
	s_mov_b32 s3, exec_lo
                                        ; implicit-def: $vgpr1
	s_delay_alu instid0(VALU_DEP_1)
	v_cmpx_gt_u32_e32 0x43f00000, v3
	s_xor_b32 s3, exec_lo, s3
	s_cbranch_execz .LBB6_2765
; %bb.2760:
	s_mov_b32 s6, exec_lo
                                        ; implicit-def: $vgpr1
	v_cmpx_lt_u32_e32 0x3c7fffff, v3
	s_xor_b32 s6, exec_lo, s6
; %bb.2761:
	v_bfe_u32 v1, v3, 20, 1
	s_delay_alu instid0(VALU_DEP_1) | instskip(NEXT) | instid1(VALU_DEP_1)
	v_add3_u32 v1, v3, v1, 0x407ffff
	v_and_b32_e32 v3, 0xff00000, v1
	v_lshrrev_b32_e32 v1, 20, v1
	s_delay_alu instid0(VALU_DEP_2) | instskip(NEXT) | instid1(VALU_DEP_2)
	v_cmp_ne_u32_e32 vcc_lo, 0x7f00000, v3
                                        ; implicit-def: $vgpr3
	v_cndmask_b32_e32 v1, 0x7e, v1, vcc_lo
; %bb.2762:
	s_and_not1_saveexec_b32 s6, s6
; %bb.2763:
	v_add_f32_e32 v1, 0x46800000, v3
; %bb.2764:
	s_or_b32 exec_lo, exec_lo, s6
                                        ; implicit-def: $vgpr3
.LBB6_2765:
	s_and_not1_saveexec_b32 s3, s3
; %bb.2766:
	v_mov_b32_e32 v1, 0x7f
	v_cmp_lt_u32_e32 vcc_lo, 0x7f800000, v3
	s_delay_alu instid0(VALU_DEP_2)
	v_cndmask_b32_e32 v1, 0x7e, v1, vcc_lo
; %bb.2767:
	s_or_b32 exec_lo, exec_lo, s3
	global_store_b8 v[8:9], v1, off
.LBB6_2768:
	s_mov_b32 s3, 0
.LBB6_2769:
	s_delay_alu instid0(SALU_CYCLE_1)
	s_and_not1_b32 vcc_lo, exec_lo, s3
	s_cbranch_vccnz .LBB6_2779
; %bb.2770:
	s_wait_xcnt 0x0
	v_cvt_f32_ubyte0_e32 v3, v2
	s_mov_b32 s3, exec_lo
                                        ; implicit-def: $vgpr1
	s_delay_alu instid0(VALU_DEP_1)
	v_cmpx_gt_u32_e32 0x47800000, v3
	s_xor_b32 s3, exec_lo, s3
	s_cbranch_execz .LBB6_2776
; %bb.2771:
	s_mov_b32 s6, exec_lo
                                        ; implicit-def: $vgpr1
	v_cmpx_lt_u32_e32 0x387fffff, v3
	s_xor_b32 s6, exec_lo, s6
; %bb.2772:
	v_bfe_u32 v1, v3, 21, 1
	s_delay_alu instid0(VALU_DEP_1) | instskip(NEXT) | instid1(VALU_DEP_1)
	v_add3_u32 v1, v3, v1, 0x80fffff
                                        ; implicit-def: $vgpr3
	v_lshrrev_b32_e32 v1, 21, v1
; %bb.2773:
	s_and_not1_saveexec_b32 s6, s6
; %bb.2774:
	v_add_f32_e32 v1, 0x43000000, v3
; %bb.2775:
	s_or_b32 exec_lo, exec_lo, s6
                                        ; implicit-def: $vgpr3
.LBB6_2776:
	s_and_not1_saveexec_b32 s3, s3
; %bb.2777:
	v_mov_b32_e32 v1, 0x7f
	v_cmp_lt_u32_e32 vcc_lo, 0x7f800000, v3
	s_delay_alu instid0(VALU_DEP_2)
	v_cndmask_b32_e32 v1, 0x7c, v1, vcc_lo
; %bb.2778:
	s_or_b32 exec_lo, exec_lo, s3
	global_store_b8 v[8:9], v1, off
.LBB6_2779:
	s_mov_b32 s3, 0
	s_mov_b32 s6, -1
.LBB6_2780:
	s_and_not1_b32 vcc_lo, exec_lo, s3
	s_mov_b32 s3, 0
	s_cbranch_vccnz .LBB6_2787
; %bb.2781:
	s_cmp_gt_i32 s2, 14
	s_mov_b32 s3, -1
	s_cbranch_scc0 .LBB6_2785
; %bb.2782:
	s_cmp_eq_u32 s2, 15
	s_mov_b32 s0, -1
	s_cbranch_scc0 .LBB6_2784
; %bb.2783:
	s_wait_xcnt 0x0
	v_cvt_f32_ubyte0_e32 v1, v2
	s_mov_b32 s0, 0
	s_mov_b32 s6, -1
	s_delay_alu instid0(VALU_DEP_1) | instskip(NEXT) | instid1(VALU_DEP_1)
	v_bfe_u32 v3, v1, 16, 1
	v_add3_u32 v1, v1, v3, 0x7fff
	global_store_d16_hi_b16 v[8:9], v1, off
.LBB6_2784:
	s_mov_b32 s3, 0
.LBB6_2785:
	s_delay_alu instid0(SALU_CYCLE_1)
	s_and_b32 vcc_lo, exec_lo, s3
	s_mov_b32 s3, 0
	s_cbranch_vccz .LBB6_2787
; %bb.2786:
	s_cmp_lg_u32 s2, 11
	s_mov_b32 s3, -1
	s_cselect_b32 s0, -1, 0
.LBB6_2787:
	s_delay_alu instid0(SALU_CYCLE_1)
	s_and_b32 vcc_lo, exec_lo, s0
	s_cbranch_vccnz .LBB6_3037
; %bb.2788:
	s_and_not1_b32 vcc_lo, exec_lo, s3
	s_cbranch_vccnz .LBB6_2790
.LBB6_2789:
	s_wait_xcnt 0x0
	v_and_b32_e32 v1, 0xff, v2
	s_mov_b32 s6, -1
	s_delay_alu instid0(VALU_DEP_1)
	v_cmp_ne_u16_e32 vcc_lo, 0, v1
	v_cndmask_b32_e64 v1, 0, 1, vcc_lo
	global_store_b8 v[8:9], v1, off
.LBB6_2790:
	s_mov_b32 s0, 0
	s_branch .LBB6_2792
.LBB6_2791:
	s_mov_b32 s0, -1
	s_mov_b32 s6, 0
.LBB6_2792:
	s_and_b32 vcc_lo, exec_lo, s0
	s_cbranch_vccz .LBB6_2831
; %bb.2793:
	s_and_b32 s0, 0xffff, s16
	s_mov_b32 s2, -1
	s_cmp_lt_i32 s0, 5
	s_cbranch_scc1 .LBB6_2814
; %bb.2794:
	s_cmp_lt_i32 s0, 8
	s_cbranch_scc1 .LBB6_2804
; %bb.2795:
	;; [unrolled: 3-line block ×3, first 2 shown]
	s_cmp_gt_i32 s0, 9
	s_cbranch_scc0 .LBB6_2798
; %bb.2797:
	s_wait_xcnt 0x0
	v_and_b32_e32 v1, 0xff, v2
	v_mov_b32_e32 v12, 0
	s_mov_b32 s2, 0
	s_delay_alu instid0(VALU_DEP_2) | instskip(NEXT) | instid1(VALU_DEP_2)
	v_and_b32_e32 v1, 0xffff, v1
	v_mov_b32_e32 v13, v12
	s_delay_alu instid0(VALU_DEP_2)
	v_cvt_f64_u32_e32 v[10:11], v1
	global_store_b128 v[8:9], v[10:13], off
.LBB6_2798:
	s_and_not1_b32 vcc_lo, exec_lo, s2
	s_cbranch_vccnz .LBB6_2800
; %bb.2799:
	s_wait_xcnt 0x0
	v_cvt_f32_ubyte0_e32 v10, v2
	v_mov_b32_e32 v11, 0
	global_store_b64 v[8:9], v[10:11], off
.LBB6_2800:
	s_mov_b32 s2, 0
.LBB6_2801:
	s_delay_alu instid0(SALU_CYCLE_1)
	s_and_not1_b32 vcc_lo, exec_lo, s2
	s_cbranch_vccnz .LBB6_2803
; %bb.2802:
	s_wait_xcnt 0x0
	v_and_b32_e32 v1, 0xff, v2
	s_delay_alu instid0(VALU_DEP_1) | instskip(NEXT) | instid1(VALU_DEP_1)
	v_cvt_f16_u16_e32 v1, v1
	v_and_b32_e32 v1, 0xffff, v1
	global_store_b32 v[8:9], v1, off
.LBB6_2803:
	s_mov_b32 s2, 0
.LBB6_2804:
	s_delay_alu instid0(SALU_CYCLE_1)
	s_and_not1_b32 vcc_lo, exec_lo, s2
	s_cbranch_vccnz .LBB6_2813
; %bb.2805:
	s_cmp_lt_i32 s0, 6
	s_mov_b32 s2, -1
	s_cbranch_scc1 .LBB6_2811
; %bb.2806:
	s_cmp_gt_i32 s0, 6
	s_cbranch_scc0 .LBB6_2808
; %bb.2807:
	s_wait_xcnt 0x0
	v_and_b32_e32 v1, 0xff, v2
	s_mov_b32 s2, 0
	s_delay_alu instid0(VALU_DEP_1) | instskip(NEXT) | instid1(VALU_DEP_1)
	v_and_b32_e32 v1, 0xffff, v1
	v_cvt_f64_u32_e32 v[10:11], v1
	global_store_b64 v[8:9], v[10:11], off
.LBB6_2808:
	s_and_not1_b32 vcc_lo, exec_lo, s2
	s_cbranch_vccnz .LBB6_2810
; %bb.2809:
	s_wait_xcnt 0x0
	v_cvt_f32_ubyte0_e32 v1, v2
	global_store_b32 v[8:9], v1, off
.LBB6_2810:
	s_mov_b32 s2, 0
.LBB6_2811:
	s_delay_alu instid0(SALU_CYCLE_1)
	s_and_not1_b32 vcc_lo, exec_lo, s2
	s_cbranch_vccnz .LBB6_2813
; %bb.2812:
	s_wait_xcnt 0x0
	v_and_b32_e32 v1, 0xff, v2
	s_delay_alu instid0(VALU_DEP_1)
	v_cvt_f16_u16_e32 v1, v1
	global_store_b16 v[8:9], v1, off
.LBB6_2813:
	s_mov_b32 s2, 0
.LBB6_2814:
	s_delay_alu instid0(SALU_CYCLE_1)
	s_and_not1_b32 vcc_lo, exec_lo, s2
	s_cbranch_vccnz .LBB6_2830
; %bb.2815:
	s_cmp_lt_i32 s0, 2
	s_mov_b32 s2, -1
	s_cbranch_scc1 .LBB6_2825
; %bb.2816:
	s_cmp_lt_i32 s0, 3
	s_cbranch_scc1 .LBB6_2822
; %bb.2817:
	s_cmp_gt_i32 s0, 3
	s_cbranch_scc0 .LBB6_2819
; %bb.2818:
	s_wait_xcnt 0x0
	v_and_b32_e32 v10, 0xff, v2
	v_mov_b32_e32 v11, 0
	s_mov_b32 s2, 0
	global_store_b64 v[8:9], v[10:11], off
.LBB6_2819:
	s_and_not1_b32 vcc_lo, exec_lo, s2
	s_cbranch_vccnz .LBB6_2821
; %bb.2820:
	s_wait_xcnt 0x0
	v_and_b32_e32 v1, 0xff, v2
	global_store_b32 v[8:9], v1, off
.LBB6_2821:
	s_mov_b32 s2, 0
.LBB6_2822:
	s_delay_alu instid0(SALU_CYCLE_1)
	s_and_not1_b32 vcc_lo, exec_lo, s2
	s_cbranch_vccnz .LBB6_2824
; %bb.2823:
	s_wait_xcnt 0x0
	v_and_b32_e32 v1, 0xff, v2
	global_store_b16 v[8:9], v1, off
.LBB6_2824:
	s_mov_b32 s2, 0
.LBB6_2825:
	s_delay_alu instid0(SALU_CYCLE_1)
	s_and_not1_b32 vcc_lo, exec_lo, s2
	s_cbranch_vccnz .LBB6_2830
; %bb.2826:
	s_cmp_gt_i32 s0, 0
	s_mov_b32 s0, -1
	s_cbranch_scc0 .LBB6_2828
; %bb.2827:
	s_mov_b32 s0, 0
	global_store_b8 v[8:9], v2, off
.LBB6_2828:
	s_and_not1_b32 vcc_lo, exec_lo, s0
	s_cbranch_vccnz .LBB6_2830
; %bb.2829:
	global_store_b8 v[8:9], v2, off
.LBB6_2830:
	s_mov_b32 s6, -1
.LBB6_2831:
	s_delay_alu instid0(SALU_CYCLE_1)
	s_and_not1_b32 vcc_lo, exec_lo, s6
	s_cbranch_vccnz .LBB6_3027
; %bb.2832:
	v_add_nc_u32_e32 v0, s1, v0
	s_cmp_lt_i32 s16, 11
	s_wait_xcnt 0x0
	s_delay_alu instid0(VALU_DEP_1) | instskip(NEXT) | instid1(VALU_DEP_1)
	v_ashrrev_i32_e32 v1, 31, v0
	v_add_nc_u64_e32 v[2:3], s[4:5], v[0:1]
	s_cbranch_scc1 .LBB6_2910
; %bb.2833:
	s_and_b32 s2, 0xffff, s16
	s_mov_b32 s7, -1
	s_mov_b32 s3, 0
	s_cmp_gt_i32 s2, 25
	s_mov_b32 s6, 0
	s_mov_b32 s0, 0
	s_cbranch_scc0 .LBB6_2866
; %bb.2834:
	s_cmp_gt_i32 s2, 28
	s_cbranch_scc0 .LBB6_2849
; %bb.2835:
	s_cmp_gt_i32 s2, 43
	;; [unrolled: 3-line block ×3, first 2 shown]
	s_cbranch_scc0 .LBB6_2839
; %bb.2837:
	s_mov_b32 s0, -1
	s_mov_b32 s7, 0
	s_cmp_eq_u32 s2, 46
	s_cbranch_scc0 .LBB6_2839
; %bb.2838:
	v_cvt_f32_ubyte0_e32 v1, v4
	s_mov_b32 s0, 0
	s_mov_b32 s6, -1
	s_delay_alu instid0(VALU_DEP_1) | instskip(NEXT) | instid1(VALU_DEP_1)
	v_bfe_u32 v5, v1, 16, 1
	v_add3_u32 v1, v1, v5, 0x7fff
	s_delay_alu instid0(VALU_DEP_1)
	v_lshrrev_b32_e32 v1, 16, v1
	global_store_b32 v[2:3], v1, off
.LBB6_2839:
	s_and_b32 vcc_lo, exec_lo, s7
	s_cbranch_vccz .LBB6_2844
; %bb.2840:
	s_cmp_eq_u32 s2, 44
	s_mov_b32 s0, -1
	s_cbranch_scc0 .LBB6_2844
; %bb.2841:
	v_cvt_f32_ubyte0_e32 v7, v4
	v_mov_b32_e32 v5, 0xff
	s_mov_b32 s6, exec_lo
	s_wait_xcnt 0x0
	s_delay_alu instid0(VALU_DEP_2) | instskip(NEXT) | instid1(VALU_DEP_1)
	v_lshrrev_b32_e32 v1, 23, v7
	v_cmpx_ne_u32_e32 0xff, v1
; %bb.2842:
	v_and_b32_e32 v5, 0x400000, v7
	v_and_or_b32 v7, 0x3fffff, v7, v1
	s_delay_alu instid0(VALU_DEP_2) | instskip(NEXT) | instid1(VALU_DEP_2)
	v_cmp_ne_u32_e32 vcc_lo, 0, v5
	v_cmp_ne_u32_e64 s0, 0, v7
	s_and_b32 s0, vcc_lo, s0
	s_delay_alu instid0(SALU_CYCLE_1) | instskip(NEXT) | instid1(VALU_DEP_1)
	v_cndmask_b32_e64 v5, 0, 1, s0
	v_add_nc_u32_e32 v5, v1, v5
; %bb.2843:
	s_or_b32 exec_lo, exec_lo, s6
	s_mov_b32 s0, 0
	s_mov_b32 s6, -1
	global_store_b8 v[2:3], v5, off
.LBB6_2844:
	s_mov_b32 s7, 0
.LBB6_2845:
	s_delay_alu instid0(SALU_CYCLE_1)
	s_and_b32 vcc_lo, exec_lo, s7
	s_cbranch_vccz .LBB6_2848
; %bb.2846:
	s_cmp_eq_u32 s2, 29
	s_mov_b32 s0, -1
	s_cbranch_scc0 .LBB6_2848
; %bb.2847:
	v_and_b32_e32 v8, 0xff, v4
	v_mov_b32_e32 v9, 0
	s_mov_b32 s0, 0
	s_mov_b32 s6, -1
	global_store_b64 v[2:3], v[8:9], off
.LBB6_2848:
	s_mov_b32 s7, 0
.LBB6_2849:
	s_delay_alu instid0(SALU_CYCLE_1)
	s_and_b32 vcc_lo, exec_lo, s7
	s_cbranch_vccz .LBB6_2865
; %bb.2850:
	s_cmp_lt_i32 s2, 27
	s_mov_b32 s6, -1
	s_cbranch_scc1 .LBB6_2856
; %bb.2851:
	s_cmp_gt_i32 s2, 27
	s_cbranch_scc0 .LBB6_2853
; %bb.2852:
	s_wait_xcnt 0x0
	v_and_b32_e32 v1, 0xff, v4
	s_mov_b32 s6, 0
	global_store_b32 v[2:3], v1, off
.LBB6_2853:
	s_and_not1_b32 vcc_lo, exec_lo, s6
	s_cbranch_vccnz .LBB6_2855
; %bb.2854:
	s_wait_xcnt 0x0
	v_and_b32_e32 v1, 0xff, v4
	global_store_b16 v[2:3], v1, off
.LBB6_2855:
	s_mov_b32 s6, 0
.LBB6_2856:
	s_delay_alu instid0(SALU_CYCLE_1)
	s_and_not1_b32 vcc_lo, exec_lo, s6
	s_cbranch_vccnz .LBB6_2864
; %bb.2857:
	s_wait_xcnt 0x0
	v_cvt_f32_ubyte0_e32 v5, v4
	v_mov_b32_e32 v7, 0x80
	s_mov_b32 s6, exec_lo
	s_delay_alu instid0(VALU_DEP_2)
	v_cmpx_gt_u32_e32 0x43800000, v5
	s_cbranch_execz .LBB6_2863
; %bb.2858:
	s_mov_b32 s7, 0
	s_mov_b32 s8, exec_lo
                                        ; implicit-def: $vgpr1
	v_cmpx_lt_u32_e32 0x3bffffff, v5
	s_xor_b32 s8, exec_lo, s8
	s_cbranch_execz .LBB6_3040
; %bb.2859:
	v_bfe_u32 v1, v5, 20, 1
	s_mov_b32 s7, exec_lo
	s_delay_alu instid0(VALU_DEP_1) | instskip(NEXT) | instid1(VALU_DEP_1)
	v_add3_u32 v1, v5, v1, 0x487ffff
                                        ; implicit-def: $vgpr5
	v_lshrrev_b32_e32 v1, 20, v1
	s_and_not1_saveexec_b32 s8, s8
	s_cbranch_execnz .LBB6_3041
.LBB6_2860:
	s_or_b32 exec_lo, exec_lo, s8
	v_mov_b32_e32 v7, 0
	s_and_saveexec_b32 s8, s7
.LBB6_2861:
	v_mov_b32_e32 v7, v1
.LBB6_2862:
	s_or_b32 exec_lo, exec_lo, s8
.LBB6_2863:
	s_delay_alu instid0(SALU_CYCLE_1)
	s_or_b32 exec_lo, exec_lo, s6
	global_store_b8 v[2:3], v7, off
.LBB6_2864:
	s_mov_b32 s6, -1
.LBB6_2865:
	s_mov_b32 s7, 0
.LBB6_2866:
	s_delay_alu instid0(SALU_CYCLE_1)
	s_and_b32 vcc_lo, exec_lo, s7
	s_cbranch_vccz .LBB6_2906
; %bb.2867:
	s_cmp_gt_i32 s2, 22
	s_mov_b32 s3, -1
	s_cbranch_scc0 .LBB6_2899
; %bb.2868:
	s_cmp_lt_i32 s2, 24
	s_cbranch_scc1 .LBB6_2888
; %bb.2869:
	s_cmp_gt_i32 s2, 24
	s_cbranch_scc0 .LBB6_2877
; %bb.2870:
	s_wait_xcnt 0x0
	v_cvt_f32_ubyte0_e32 v5, v4
	v_mov_b32_e32 v7, 0x80
	s_mov_b32 s3, exec_lo
	s_delay_alu instid0(VALU_DEP_2)
	v_cmpx_gt_u32_e32 0x47800000, v5
	s_cbranch_execz .LBB6_2876
; %bb.2871:
	s_mov_b32 s6, 0
	s_mov_b32 s7, exec_lo
                                        ; implicit-def: $vgpr1
	v_cmpx_lt_u32_e32 0x37ffffff, v5
	s_xor_b32 s7, exec_lo, s7
	s_cbranch_execz .LBB6_3043
; %bb.2872:
	v_bfe_u32 v1, v5, 21, 1
	s_mov_b32 s6, exec_lo
	s_delay_alu instid0(VALU_DEP_1) | instskip(NEXT) | instid1(VALU_DEP_1)
	v_add3_u32 v1, v5, v1, 0x88fffff
                                        ; implicit-def: $vgpr5
	v_lshrrev_b32_e32 v1, 21, v1
	s_and_not1_saveexec_b32 s7, s7
	s_cbranch_execnz .LBB6_3044
.LBB6_2873:
	s_or_b32 exec_lo, exec_lo, s7
	v_mov_b32_e32 v7, 0
	s_and_saveexec_b32 s7, s6
.LBB6_2874:
	v_mov_b32_e32 v7, v1
.LBB6_2875:
	s_or_b32 exec_lo, exec_lo, s7
.LBB6_2876:
	s_delay_alu instid0(SALU_CYCLE_1)
	s_or_b32 exec_lo, exec_lo, s3
	s_mov_b32 s3, 0
	global_store_b8 v[2:3], v7, off
.LBB6_2877:
	s_and_b32 vcc_lo, exec_lo, s3
	s_cbranch_vccz .LBB6_2887
; %bb.2878:
	s_wait_xcnt 0x0
	v_cvt_f32_ubyte0_e32 v5, v4
	s_mov_b32 s3, exec_lo
                                        ; implicit-def: $vgpr1
	s_delay_alu instid0(VALU_DEP_1)
	v_cmpx_gt_u32_e32 0x43f00000, v5
	s_xor_b32 s3, exec_lo, s3
	s_cbranch_execz .LBB6_2884
; %bb.2879:
	s_mov_b32 s6, exec_lo
                                        ; implicit-def: $vgpr1
	v_cmpx_lt_u32_e32 0x3c7fffff, v5
	s_xor_b32 s6, exec_lo, s6
; %bb.2880:
	v_bfe_u32 v1, v5, 20, 1
	s_delay_alu instid0(VALU_DEP_1) | instskip(NEXT) | instid1(VALU_DEP_1)
	v_add3_u32 v1, v5, v1, 0x407ffff
	v_and_b32_e32 v5, 0xff00000, v1
	v_lshrrev_b32_e32 v1, 20, v1
	s_delay_alu instid0(VALU_DEP_2) | instskip(NEXT) | instid1(VALU_DEP_2)
	v_cmp_ne_u32_e32 vcc_lo, 0x7f00000, v5
                                        ; implicit-def: $vgpr5
	v_cndmask_b32_e32 v1, 0x7e, v1, vcc_lo
; %bb.2881:
	s_and_not1_saveexec_b32 s6, s6
; %bb.2882:
	v_add_f32_e32 v1, 0x46800000, v5
; %bb.2883:
	s_or_b32 exec_lo, exec_lo, s6
                                        ; implicit-def: $vgpr5
.LBB6_2884:
	s_and_not1_saveexec_b32 s3, s3
; %bb.2885:
	v_mov_b32_e32 v1, 0x7f
	v_cmp_lt_u32_e32 vcc_lo, 0x7f800000, v5
	s_delay_alu instid0(VALU_DEP_2)
	v_cndmask_b32_e32 v1, 0x7e, v1, vcc_lo
; %bb.2886:
	s_or_b32 exec_lo, exec_lo, s3
	global_store_b8 v[2:3], v1, off
.LBB6_2887:
	s_mov_b32 s3, 0
.LBB6_2888:
	s_delay_alu instid0(SALU_CYCLE_1)
	s_and_not1_b32 vcc_lo, exec_lo, s3
	s_cbranch_vccnz .LBB6_2898
; %bb.2889:
	s_wait_xcnt 0x0
	v_cvt_f32_ubyte0_e32 v5, v4
	s_mov_b32 s3, exec_lo
                                        ; implicit-def: $vgpr1
	s_delay_alu instid0(VALU_DEP_1)
	v_cmpx_gt_u32_e32 0x47800000, v5
	s_xor_b32 s3, exec_lo, s3
	s_cbranch_execz .LBB6_2895
; %bb.2890:
	s_mov_b32 s6, exec_lo
                                        ; implicit-def: $vgpr1
	v_cmpx_lt_u32_e32 0x387fffff, v5
	s_xor_b32 s6, exec_lo, s6
; %bb.2891:
	v_bfe_u32 v1, v5, 21, 1
	s_delay_alu instid0(VALU_DEP_1) | instskip(NEXT) | instid1(VALU_DEP_1)
	v_add3_u32 v1, v5, v1, 0x80fffff
                                        ; implicit-def: $vgpr5
	v_lshrrev_b32_e32 v1, 21, v1
; %bb.2892:
	s_and_not1_saveexec_b32 s6, s6
; %bb.2893:
	v_add_f32_e32 v1, 0x43000000, v5
; %bb.2894:
	s_or_b32 exec_lo, exec_lo, s6
                                        ; implicit-def: $vgpr5
.LBB6_2895:
	s_and_not1_saveexec_b32 s3, s3
; %bb.2896:
	v_mov_b32_e32 v1, 0x7f
	v_cmp_lt_u32_e32 vcc_lo, 0x7f800000, v5
	s_delay_alu instid0(VALU_DEP_2)
	v_cndmask_b32_e32 v1, 0x7c, v1, vcc_lo
; %bb.2897:
	s_or_b32 exec_lo, exec_lo, s3
	global_store_b8 v[2:3], v1, off
.LBB6_2898:
	s_mov_b32 s3, 0
	s_mov_b32 s6, -1
.LBB6_2899:
	s_and_not1_b32 vcc_lo, exec_lo, s3
	s_mov_b32 s3, 0
	s_cbranch_vccnz .LBB6_2906
; %bb.2900:
	s_cmp_gt_i32 s2, 14
	s_mov_b32 s3, -1
	s_cbranch_scc0 .LBB6_2904
; %bb.2901:
	s_cmp_eq_u32 s2, 15
	s_mov_b32 s0, -1
	s_cbranch_scc0 .LBB6_2903
; %bb.2902:
	s_wait_xcnt 0x0
	v_cvt_f32_ubyte0_e32 v1, v4
	s_mov_b32 s0, 0
	s_mov_b32 s6, -1
	s_delay_alu instid0(VALU_DEP_1) | instskip(NEXT) | instid1(VALU_DEP_1)
	v_bfe_u32 v5, v1, 16, 1
	v_add3_u32 v1, v1, v5, 0x7fff
	global_store_d16_hi_b16 v[2:3], v1, off
.LBB6_2903:
	s_mov_b32 s3, 0
.LBB6_2904:
	s_delay_alu instid0(SALU_CYCLE_1)
	s_and_b32 vcc_lo, exec_lo, s3
	s_mov_b32 s3, 0
	s_cbranch_vccz .LBB6_2906
; %bb.2905:
	s_cmp_lg_u32 s2, 11
	s_mov_b32 s3, -1
	s_cselect_b32 s0, -1, 0
.LBB6_2906:
	s_delay_alu instid0(SALU_CYCLE_1)
	s_and_b32 vcc_lo, exec_lo, s0
	s_cbranch_vccnz .LBB6_3042
; %bb.2907:
	s_and_not1_b32 vcc_lo, exec_lo, s3
	s_cbranch_vccnz .LBB6_2909
.LBB6_2908:
	s_wait_xcnt 0x0
	v_and_b32_e32 v1, 0xff, v4
	s_mov_b32 s6, -1
	s_delay_alu instid0(VALU_DEP_1)
	v_cmp_ne_u16_e32 vcc_lo, 0, v1
	v_cndmask_b32_e64 v1, 0, 1, vcc_lo
	global_store_b8 v[2:3], v1, off
.LBB6_2909:
	s_mov_b32 s0, 0
	s_branch .LBB6_2911
.LBB6_2910:
	s_mov_b32 s0, -1
	s_mov_b32 s6, 0
.LBB6_2911:
	s_and_b32 vcc_lo, exec_lo, s0
	s_cbranch_vccz .LBB6_2950
; %bb.2912:
	s_and_b32 s0, 0xffff, s16
	s_mov_b32 s2, -1
	s_cmp_lt_i32 s0, 5
	s_cbranch_scc1 .LBB6_2933
; %bb.2913:
	s_cmp_lt_i32 s0, 8
	s_cbranch_scc1 .LBB6_2923
; %bb.2914:
	s_cmp_lt_i32 s0, 9
	s_cbranch_scc1 .LBB6_2920
; %bb.2915:
	s_cmp_gt_i32 s0, 9
	s_cbranch_scc0 .LBB6_2917
; %bb.2916:
	s_wait_xcnt 0x0
	v_and_b32_e32 v1, 0xff, v4
	v_mov_b32_e32 v10, 0
	s_mov_b32 s2, 0
	s_delay_alu instid0(VALU_DEP_2) | instskip(NEXT) | instid1(VALU_DEP_2)
	v_and_b32_e32 v1, 0xffff, v1
	v_mov_b32_e32 v11, v10
	s_delay_alu instid0(VALU_DEP_2)
	v_cvt_f64_u32_e32 v[8:9], v1
	global_store_b128 v[2:3], v[8:11], off
.LBB6_2917:
	s_and_not1_b32 vcc_lo, exec_lo, s2
	s_cbranch_vccnz .LBB6_2919
; %bb.2918:
	s_wait_xcnt 0x0
	v_cvt_f32_ubyte0_e32 v8, v4
	v_mov_b32_e32 v9, 0
	global_store_b64 v[2:3], v[8:9], off
.LBB6_2919:
	s_mov_b32 s2, 0
.LBB6_2920:
	s_delay_alu instid0(SALU_CYCLE_1)
	s_and_not1_b32 vcc_lo, exec_lo, s2
	s_cbranch_vccnz .LBB6_2922
; %bb.2921:
	s_wait_xcnt 0x0
	v_and_b32_e32 v1, 0xff, v4
	s_delay_alu instid0(VALU_DEP_1) | instskip(NEXT) | instid1(VALU_DEP_1)
	v_cvt_f16_u16_e32 v1, v1
	v_and_b32_e32 v1, 0xffff, v1
	global_store_b32 v[2:3], v1, off
.LBB6_2922:
	s_mov_b32 s2, 0
.LBB6_2923:
	s_delay_alu instid0(SALU_CYCLE_1)
	s_and_not1_b32 vcc_lo, exec_lo, s2
	s_cbranch_vccnz .LBB6_2932
; %bb.2924:
	s_cmp_lt_i32 s0, 6
	s_mov_b32 s2, -1
	s_cbranch_scc1 .LBB6_2930
; %bb.2925:
	s_cmp_gt_i32 s0, 6
	s_cbranch_scc0 .LBB6_2927
; %bb.2926:
	s_wait_xcnt 0x0
	v_and_b32_e32 v1, 0xff, v4
	s_mov_b32 s2, 0
	s_delay_alu instid0(VALU_DEP_1) | instskip(NEXT) | instid1(VALU_DEP_1)
	v_and_b32_e32 v1, 0xffff, v1
	v_cvt_f64_u32_e32 v[8:9], v1
	global_store_b64 v[2:3], v[8:9], off
.LBB6_2927:
	s_and_not1_b32 vcc_lo, exec_lo, s2
	s_cbranch_vccnz .LBB6_2929
; %bb.2928:
	s_wait_xcnt 0x0
	v_cvt_f32_ubyte0_e32 v1, v4
	global_store_b32 v[2:3], v1, off
.LBB6_2929:
	s_mov_b32 s2, 0
.LBB6_2930:
	s_delay_alu instid0(SALU_CYCLE_1)
	s_and_not1_b32 vcc_lo, exec_lo, s2
	s_cbranch_vccnz .LBB6_2932
; %bb.2931:
	s_wait_xcnt 0x0
	v_and_b32_e32 v1, 0xff, v4
	s_delay_alu instid0(VALU_DEP_1)
	v_cvt_f16_u16_e32 v1, v1
	global_store_b16 v[2:3], v1, off
.LBB6_2932:
	s_mov_b32 s2, 0
.LBB6_2933:
	s_delay_alu instid0(SALU_CYCLE_1)
	s_and_not1_b32 vcc_lo, exec_lo, s2
	s_cbranch_vccnz .LBB6_2949
; %bb.2934:
	s_cmp_lt_i32 s0, 2
	s_mov_b32 s2, -1
	s_cbranch_scc1 .LBB6_2944
; %bb.2935:
	s_cmp_lt_i32 s0, 3
	s_cbranch_scc1 .LBB6_2941
; %bb.2936:
	s_cmp_gt_i32 s0, 3
	s_cbranch_scc0 .LBB6_2938
; %bb.2937:
	s_wait_xcnt 0x0
	v_and_b32_e32 v8, 0xff, v4
	v_mov_b32_e32 v9, 0
	s_mov_b32 s2, 0
	global_store_b64 v[2:3], v[8:9], off
.LBB6_2938:
	s_and_not1_b32 vcc_lo, exec_lo, s2
	s_cbranch_vccnz .LBB6_2940
; %bb.2939:
	s_wait_xcnt 0x0
	v_and_b32_e32 v1, 0xff, v4
	global_store_b32 v[2:3], v1, off
.LBB6_2940:
	s_mov_b32 s2, 0
.LBB6_2941:
	s_delay_alu instid0(SALU_CYCLE_1)
	s_and_not1_b32 vcc_lo, exec_lo, s2
	s_cbranch_vccnz .LBB6_2943
; %bb.2942:
	s_wait_xcnt 0x0
	v_and_b32_e32 v1, 0xff, v4
	global_store_b16 v[2:3], v1, off
.LBB6_2943:
	s_mov_b32 s2, 0
.LBB6_2944:
	s_delay_alu instid0(SALU_CYCLE_1)
	s_and_not1_b32 vcc_lo, exec_lo, s2
	s_cbranch_vccnz .LBB6_2949
; %bb.2945:
	s_cmp_gt_i32 s0, 0
	s_mov_b32 s0, -1
	s_cbranch_scc0 .LBB6_2947
; %bb.2946:
	s_mov_b32 s0, 0
	global_store_b8 v[2:3], v4, off
.LBB6_2947:
	s_and_not1_b32 vcc_lo, exec_lo, s0
	s_cbranch_vccnz .LBB6_2949
; %bb.2948:
	global_store_b8 v[2:3], v4, off
.LBB6_2949:
	s_mov_b32 s6, -1
.LBB6_2950:
	s_delay_alu instid0(SALU_CYCLE_1)
	s_and_not1_b32 vcc_lo, exec_lo, s6
	s_cbranch_vccnz .LBB6_3027
; %bb.2951:
	v_add_nc_u32_e32 v0, s1, v0
	s_cmp_lt_i32 s16, 11
	s_wait_xcnt 0x0
	s_delay_alu instid0(VALU_DEP_1) | instskip(NEXT) | instid1(VALU_DEP_1)
	v_ashrrev_i32_e32 v1, 31, v0
	v_add_nc_u64_e32 v[0:1], s[4:5], v[0:1]
	s_cbranch_scc1 .LBB6_3028
; %bb.2952:
	s_and_b32 s1, 0xffff, s16
	s_mov_b32 s3, -1
	s_mov_b32 s2, 0
	s_cmp_gt_i32 s1, 25
	s_mov_b32 s0, 0
	s_cbranch_scc0 .LBB6_2985
; %bb.2953:
	s_cmp_gt_i32 s1, 28
	s_cbranch_scc0 .LBB6_2969
; %bb.2954:
	s_cmp_gt_i32 s1, 43
	;; [unrolled: 3-line block ×3, first 2 shown]
	s_cbranch_scc0 .LBB6_2959
; %bb.2956:
	s_cmp_eq_u32 s1, 46
	s_mov_b32 s0, -1
	s_cbranch_scc0 .LBB6_2958
; %bb.2957:
	v_cvt_f32_ubyte0_e32 v2, v6
	s_mov_b32 s0, 0
	s_delay_alu instid0(VALU_DEP_1) | instskip(NEXT) | instid1(VALU_DEP_1)
	v_bfe_u32 v3, v2, 16, 1
	v_add3_u32 v2, v2, v3, 0x7fff
	s_delay_alu instid0(VALU_DEP_1)
	v_lshrrev_b32_e32 v2, 16, v2
	global_store_b32 v[0:1], v2, off
.LBB6_2958:
	s_mov_b32 s3, 0
.LBB6_2959:
	s_delay_alu instid0(SALU_CYCLE_1)
	s_and_b32 vcc_lo, exec_lo, s3
	s_cbranch_vccz .LBB6_2964
; %bb.2960:
	s_cmp_eq_u32 s1, 44
	s_mov_b32 s0, -1
	s_cbranch_scc0 .LBB6_2964
; %bb.2961:
	v_cvt_f32_ubyte0_e32 v4, v6
	s_mov_b32 s3, exec_lo
	s_wait_xcnt 0x0
	s_delay_alu instid0(VALU_DEP_1) | instskip(NEXT) | instid1(VALU_DEP_1)
	v_dual_mov_b32 v3, 0xff :: v_dual_lshrrev_b32 v2, 23, v4
	v_cmpx_ne_u32_e32 0xff, v2
; %bb.2962:
	v_and_b32_e32 v3, 0x400000, v4
	v_and_or_b32 v4, 0x3fffff, v4, v2
	s_delay_alu instid0(VALU_DEP_2) | instskip(NEXT) | instid1(VALU_DEP_2)
	v_cmp_ne_u32_e32 vcc_lo, 0, v3
	v_cmp_ne_u32_e64 s0, 0, v4
	s_and_b32 s0, vcc_lo, s0
	s_delay_alu instid0(SALU_CYCLE_1) | instskip(NEXT) | instid1(VALU_DEP_1)
	v_cndmask_b32_e64 v3, 0, 1, s0
	v_add_nc_u32_e32 v3, v2, v3
; %bb.2963:
	s_or_b32 exec_lo, exec_lo, s3
	s_mov_b32 s0, 0
	global_store_b8 v[0:1], v3, off
.LBB6_2964:
	s_mov_b32 s3, 0
.LBB6_2965:
	s_delay_alu instid0(SALU_CYCLE_1)
	s_and_b32 vcc_lo, exec_lo, s3
	s_cbranch_vccz .LBB6_2968
; %bb.2966:
	s_cmp_eq_u32 s1, 29
	s_mov_b32 s0, -1
	s_cbranch_scc0 .LBB6_2968
; %bb.2967:
	s_wait_xcnt 0x0
	v_and_b32_e32 v2, 0xff, v6
	v_mov_b32_e32 v3, 0
	s_mov_b32 s0, 0
	global_store_b64 v[0:1], v[2:3], off
.LBB6_2968:
	s_mov_b32 s3, 0
.LBB6_2969:
	s_delay_alu instid0(SALU_CYCLE_1)
	s_and_b32 vcc_lo, exec_lo, s3
	s_cbranch_vccz .LBB6_2984
; %bb.2970:
	s_cmp_lt_i32 s1, 27
	s_mov_b32 s3, -1
	s_cbranch_scc1 .LBB6_2976
; %bb.2971:
	s_wait_xcnt 0x0
	v_and_b32_e32 v2, 0xff, v6
	s_cmp_gt_i32 s1, 27
	s_cbranch_scc0 .LBB6_2973
; %bb.2972:
	s_mov_b32 s3, 0
	global_store_b32 v[0:1], v2, off
.LBB6_2973:
	s_and_not1_b32 vcc_lo, exec_lo, s3
	s_cbranch_vccnz .LBB6_2975
; %bb.2974:
	global_store_b16 v[0:1], v2, off
.LBB6_2975:
	s_mov_b32 s3, 0
.LBB6_2976:
	s_delay_alu instid0(SALU_CYCLE_1)
	s_and_not1_b32 vcc_lo, exec_lo, s3
	s_cbranch_vccnz .LBB6_2984
; %bb.2977:
	s_wait_xcnt 0x0
	v_cvt_f32_ubyte0_e32 v3, v6
	v_mov_b32_e32 v4, 0x80
	s_mov_b32 s3, exec_lo
	s_delay_alu instid0(VALU_DEP_2)
	v_cmpx_gt_u32_e32 0x43800000, v3
	s_cbranch_execz .LBB6_2983
; %bb.2978:
	s_mov_b32 s4, 0
	s_mov_b32 s5, exec_lo
                                        ; implicit-def: $vgpr2
	v_cmpx_lt_u32_e32 0x3bffffff, v3
	s_xor_b32 s5, exec_lo, s5
	s_cbranch_execz .LBB6_3045
; %bb.2979:
	v_bfe_u32 v2, v3, 20, 1
	s_mov_b32 s4, exec_lo
	s_delay_alu instid0(VALU_DEP_1) | instskip(NEXT) | instid1(VALU_DEP_1)
	v_add3_u32 v2, v3, v2, 0x487ffff
                                        ; implicit-def: $vgpr3
	v_lshrrev_b32_e32 v2, 20, v2
	s_and_not1_saveexec_b32 s5, s5
	s_cbranch_execnz .LBB6_3046
.LBB6_2980:
	s_or_b32 exec_lo, exec_lo, s5
	v_mov_b32_e32 v4, 0
	s_and_saveexec_b32 s5, s4
.LBB6_2981:
	v_mov_b32_e32 v4, v2
.LBB6_2982:
	s_or_b32 exec_lo, exec_lo, s5
.LBB6_2983:
	s_delay_alu instid0(SALU_CYCLE_1)
	s_or_b32 exec_lo, exec_lo, s3
	global_store_b8 v[0:1], v4, off
.LBB6_2984:
	s_mov_b32 s3, 0
.LBB6_2985:
	s_delay_alu instid0(SALU_CYCLE_1)
	s_and_b32 vcc_lo, exec_lo, s3
	s_cbranch_vccz .LBB6_3025
; %bb.2986:
	s_cmp_gt_i32 s1, 22
	s_mov_b32 s2, -1
	s_cbranch_scc0 .LBB6_3018
; %bb.2987:
	s_cmp_lt_i32 s1, 24
	s_cbranch_scc1 .LBB6_3007
; %bb.2988:
	s_cmp_gt_i32 s1, 24
	s_cbranch_scc0 .LBB6_2996
; %bb.2989:
	s_wait_xcnt 0x0
	v_cvt_f32_ubyte0_e32 v3, v6
	v_mov_b32_e32 v4, 0x80
	s_mov_b32 s2, exec_lo
	s_delay_alu instid0(VALU_DEP_2)
	v_cmpx_gt_u32_e32 0x47800000, v3
	s_cbranch_execz .LBB6_2995
; %bb.2990:
	s_mov_b32 s3, 0
	s_mov_b32 s4, exec_lo
                                        ; implicit-def: $vgpr2
	v_cmpx_lt_u32_e32 0x37ffffff, v3
	s_xor_b32 s4, exec_lo, s4
	s_cbranch_execz .LBB6_3048
; %bb.2991:
	v_bfe_u32 v2, v3, 21, 1
	s_mov_b32 s3, exec_lo
	s_delay_alu instid0(VALU_DEP_1) | instskip(NEXT) | instid1(VALU_DEP_1)
	v_add3_u32 v2, v3, v2, 0x88fffff
                                        ; implicit-def: $vgpr3
	v_lshrrev_b32_e32 v2, 21, v2
	s_and_not1_saveexec_b32 s4, s4
	s_cbranch_execnz .LBB6_3049
.LBB6_2992:
	s_or_b32 exec_lo, exec_lo, s4
	v_mov_b32_e32 v4, 0
	s_and_saveexec_b32 s4, s3
.LBB6_2993:
	v_mov_b32_e32 v4, v2
.LBB6_2994:
	s_or_b32 exec_lo, exec_lo, s4
.LBB6_2995:
	s_delay_alu instid0(SALU_CYCLE_1)
	s_or_b32 exec_lo, exec_lo, s2
	s_mov_b32 s2, 0
	global_store_b8 v[0:1], v4, off
.LBB6_2996:
	s_and_b32 vcc_lo, exec_lo, s2
	s_cbranch_vccz .LBB6_3006
; %bb.2997:
	s_wait_xcnt 0x0
	v_cvt_f32_ubyte0_e32 v3, v6
	s_mov_b32 s2, exec_lo
                                        ; implicit-def: $vgpr2
	s_delay_alu instid0(VALU_DEP_1)
	v_cmpx_gt_u32_e32 0x43f00000, v3
	s_xor_b32 s2, exec_lo, s2
	s_cbranch_execz .LBB6_3003
; %bb.2998:
	s_mov_b32 s3, exec_lo
                                        ; implicit-def: $vgpr2
	v_cmpx_lt_u32_e32 0x3c7fffff, v3
	s_xor_b32 s3, exec_lo, s3
; %bb.2999:
	v_bfe_u32 v2, v3, 20, 1
	s_delay_alu instid0(VALU_DEP_1) | instskip(NEXT) | instid1(VALU_DEP_1)
	v_add3_u32 v2, v3, v2, 0x407ffff
	v_and_b32_e32 v3, 0xff00000, v2
	v_lshrrev_b32_e32 v2, 20, v2
	s_delay_alu instid0(VALU_DEP_2) | instskip(NEXT) | instid1(VALU_DEP_2)
	v_cmp_ne_u32_e32 vcc_lo, 0x7f00000, v3
                                        ; implicit-def: $vgpr3
	v_cndmask_b32_e32 v2, 0x7e, v2, vcc_lo
; %bb.3000:
	s_and_not1_saveexec_b32 s3, s3
; %bb.3001:
	v_add_f32_e32 v2, 0x46800000, v3
; %bb.3002:
	s_or_b32 exec_lo, exec_lo, s3
                                        ; implicit-def: $vgpr3
.LBB6_3003:
	s_and_not1_saveexec_b32 s2, s2
; %bb.3004:
	v_mov_b32_e32 v2, 0x7f
	v_cmp_lt_u32_e32 vcc_lo, 0x7f800000, v3
	s_delay_alu instid0(VALU_DEP_2)
	v_cndmask_b32_e32 v2, 0x7e, v2, vcc_lo
; %bb.3005:
	s_or_b32 exec_lo, exec_lo, s2
	global_store_b8 v[0:1], v2, off
.LBB6_3006:
	s_mov_b32 s2, 0
.LBB6_3007:
	s_delay_alu instid0(SALU_CYCLE_1)
	s_and_not1_b32 vcc_lo, exec_lo, s2
	s_cbranch_vccnz .LBB6_3017
; %bb.3008:
	s_wait_xcnt 0x0
	v_cvt_f32_ubyte0_e32 v3, v6
	s_mov_b32 s2, exec_lo
                                        ; implicit-def: $vgpr2
	s_delay_alu instid0(VALU_DEP_1)
	v_cmpx_gt_u32_e32 0x47800000, v3
	s_xor_b32 s2, exec_lo, s2
	s_cbranch_execz .LBB6_3014
; %bb.3009:
	s_mov_b32 s3, exec_lo
                                        ; implicit-def: $vgpr2
	v_cmpx_lt_u32_e32 0x387fffff, v3
	s_xor_b32 s3, exec_lo, s3
; %bb.3010:
	v_bfe_u32 v2, v3, 21, 1
	s_delay_alu instid0(VALU_DEP_1) | instskip(NEXT) | instid1(VALU_DEP_1)
	v_add3_u32 v2, v3, v2, 0x80fffff
                                        ; implicit-def: $vgpr3
	v_lshrrev_b32_e32 v2, 21, v2
; %bb.3011:
	s_and_not1_saveexec_b32 s3, s3
; %bb.3012:
	v_add_f32_e32 v2, 0x43000000, v3
; %bb.3013:
	s_or_b32 exec_lo, exec_lo, s3
                                        ; implicit-def: $vgpr3
.LBB6_3014:
	s_and_not1_saveexec_b32 s2, s2
; %bb.3015:
	v_mov_b32_e32 v2, 0x7f
	v_cmp_lt_u32_e32 vcc_lo, 0x7f800000, v3
	s_delay_alu instid0(VALU_DEP_2)
	v_cndmask_b32_e32 v2, 0x7c, v2, vcc_lo
; %bb.3016:
	s_or_b32 exec_lo, exec_lo, s2
	global_store_b8 v[0:1], v2, off
.LBB6_3017:
	s_mov_b32 s2, 0
.LBB6_3018:
	s_delay_alu instid0(SALU_CYCLE_1)
	s_and_not1_b32 vcc_lo, exec_lo, s2
	s_mov_b32 s2, 0
	s_cbranch_vccnz .LBB6_3025
; %bb.3019:
	s_cmp_gt_i32 s1, 14
	s_mov_b32 s2, -1
	s_cbranch_scc0 .LBB6_3023
; %bb.3020:
	s_cmp_eq_u32 s1, 15
	s_mov_b32 s0, -1
	s_cbranch_scc0 .LBB6_3022
; %bb.3021:
	s_wait_xcnt 0x0
	v_cvt_f32_ubyte0_e32 v2, v6
	s_mov_b32 s0, 0
	s_delay_alu instid0(VALU_DEP_1) | instskip(NEXT) | instid1(VALU_DEP_1)
	v_bfe_u32 v3, v2, 16, 1
	v_add3_u32 v2, v2, v3, 0x7fff
	global_store_d16_hi_b16 v[0:1], v2, off
.LBB6_3022:
	s_mov_b32 s2, 0
.LBB6_3023:
	s_delay_alu instid0(SALU_CYCLE_1)
	s_and_b32 vcc_lo, exec_lo, s2
	s_mov_b32 s2, 0
	s_cbranch_vccz .LBB6_3025
; %bb.3024:
	s_cmp_lg_u32 s1, 11
	s_mov_b32 s2, -1
	s_cselect_b32 s0, -1, 0
.LBB6_3025:
	s_delay_alu instid0(SALU_CYCLE_1)
	s_and_b32 vcc_lo, exec_lo, s0
	s_cbranch_vccnz .LBB6_3047
.LBB6_3026:
	s_mov_b32 s0, 0
	s_branch .LBB6_2628
.LBB6_3027:
	s_mov_b32 s0, 0
	s_mov_b32 s2, 0
                                        ; implicit-def: $sgpr16
                                        ; implicit-def: $vgpr0_vgpr1
	s_branch .LBB6_2628
.LBB6_3028:
	s_mov_b32 s2, 0
	s_mov_b32 s0, -1
	s_branch .LBB6_2628
.LBB6_3029:
	s_or_b32 s12, s12, exec_lo
	s_trap 2
	s_cbranch_execz .LBB6_2494
	s_branch .LBB6_2495
.LBB6_3030:
	s_and_not1_saveexec_b32 s7, s7
	s_cbranch_execz .LBB6_2577
.LBB6_3031:
	v_add_f32_e32 v1, 0x46000000, v3
	s_and_not1_b32 s6, s6, exec_lo
	s_delay_alu instid0(VALU_DEP_1) | instskip(NEXT) | instid1(VALU_DEP_1)
	v_and_b32_e32 v1, 0xff, v1
	v_cmp_ne_u32_e32 vcc_lo, 0, v1
	s_and_b32 s9, vcc_lo, exec_lo
	s_delay_alu instid0(SALU_CYCLE_1)
	s_or_b32 s6, s6, s9
	s_or_b32 exec_lo, exec_lo, s7
	v_mov_b32_e32 v5, 0
	s_and_saveexec_b32 s7, s6
	s_cbranch_execnz .LBB6_2578
	s_branch .LBB6_2579
.LBB6_3032:
	s_or_b32 s12, s12, exec_lo
	s_trap 2
	s_cbranch_execz .LBB6_2625
	s_branch .LBB6_2626
.LBB6_3033:
	s_and_not1_saveexec_b32 s6, s6
	s_cbranch_execz .LBB6_2590
.LBB6_3034:
	v_add_f32_e32 v1, 0x42800000, v3
	s_and_not1_b32 s3, s3, exec_lo
	s_delay_alu instid0(VALU_DEP_1) | instskip(NEXT) | instid1(VALU_DEP_1)
	v_and_b32_e32 v1, 0xff, v1
	v_cmp_ne_u32_e32 vcc_lo, 0, v1
	s_and_b32 s7, vcc_lo, exec_lo
	s_delay_alu instid0(SALU_CYCLE_1)
	s_or_b32 s3, s3, s7
	s_or_b32 exec_lo, exec_lo, s6
	v_mov_b32_e32 v5, 0
	s_and_saveexec_b32 s6, s3
	s_cbranch_execnz .LBB6_2591
	s_branch .LBB6_2592
.LBB6_3035:
	s_and_not1_saveexec_b32 s8, s8
	s_cbranch_execz .LBB6_2741
.LBB6_3036:
	v_add_f32_e32 v1, 0x46000000, v3
	s_and_not1_b32 s7, s7, exec_lo
	s_delay_alu instid0(VALU_DEP_1) | instskip(NEXT) | instid1(VALU_DEP_1)
	v_and_b32_e32 v1, 0xff, v1
	v_cmp_ne_u32_e32 vcc_lo, 0, v1
	s_and_b32 s9, vcc_lo, exec_lo
	s_delay_alu instid0(SALU_CYCLE_1)
	s_or_b32 s7, s7, s9
	s_or_b32 exec_lo, exec_lo, s8
	v_mov_b32_e32 v5, 0
	s_and_saveexec_b32 s8, s7
	s_cbranch_execnz .LBB6_2742
	s_branch .LBB6_2743
.LBB6_3037:
	s_or_b32 s12, s12, exec_lo
	s_trap 2
	s_cbranch_execz .LBB6_2789
	s_branch .LBB6_2790
.LBB6_3038:
	s_and_not1_saveexec_b32 s7, s7
	s_cbranch_execz .LBB6_2754
.LBB6_3039:
	v_add_f32_e32 v1, 0x42800000, v3
	s_and_not1_b32 s6, s6, exec_lo
	s_delay_alu instid0(VALU_DEP_1) | instskip(NEXT) | instid1(VALU_DEP_1)
	v_and_b32_e32 v1, 0xff, v1
	v_cmp_ne_u32_e32 vcc_lo, 0, v1
	s_and_b32 s8, vcc_lo, exec_lo
	s_delay_alu instid0(SALU_CYCLE_1)
	s_or_b32 s6, s6, s8
	s_or_b32 exec_lo, exec_lo, s7
	v_mov_b32_e32 v5, 0
	s_and_saveexec_b32 s7, s6
	s_cbranch_execnz .LBB6_2755
	s_branch .LBB6_2756
.LBB6_3040:
	s_and_not1_saveexec_b32 s8, s8
	s_cbranch_execz .LBB6_2860
.LBB6_3041:
	v_add_f32_e32 v1, 0x46000000, v5
	s_and_not1_b32 s7, s7, exec_lo
	s_delay_alu instid0(VALU_DEP_1) | instskip(NEXT) | instid1(VALU_DEP_1)
	v_and_b32_e32 v1, 0xff, v1
	v_cmp_ne_u32_e32 vcc_lo, 0, v1
	s_and_b32 s9, vcc_lo, exec_lo
	s_delay_alu instid0(SALU_CYCLE_1)
	s_or_b32 s7, s7, s9
	s_or_b32 exec_lo, exec_lo, s8
	v_mov_b32_e32 v7, 0
	s_and_saveexec_b32 s8, s7
	s_cbranch_execnz .LBB6_2861
	s_branch .LBB6_2862
.LBB6_3042:
	s_or_b32 s12, s12, exec_lo
	s_trap 2
	s_cbranch_execz .LBB6_2908
	s_branch .LBB6_2909
.LBB6_3043:
	s_and_not1_saveexec_b32 s7, s7
	s_cbranch_execz .LBB6_2873
.LBB6_3044:
	v_add_f32_e32 v1, 0x42800000, v5
	s_and_not1_b32 s6, s6, exec_lo
	s_delay_alu instid0(VALU_DEP_1) | instskip(NEXT) | instid1(VALU_DEP_1)
	v_and_b32_e32 v1, 0xff, v1
	v_cmp_ne_u32_e32 vcc_lo, 0, v1
	s_and_b32 s8, vcc_lo, exec_lo
	s_delay_alu instid0(SALU_CYCLE_1)
	s_or_b32 s6, s6, s8
	s_or_b32 exec_lo, exec_lo, s7
	v_mov_b32_e32 v7, 0
	s_and_saveexec_b32 s7, s6
	s_cbranch_execnz .LBB6_2874
	s_branch .LBB6_2875
.LBB6_3045:
	s_and_not1_saveexec_b32 s5, s5
	s_cbranch_execz .LBB6_2980
.LBB6_3046:
	v_add_f32_e32 v2, 0x46000000, v3
	s_and_not1_b32 s4, s4, exec_lo
	s_delay_alu instid0(VALU_DEP_1) | instskip(NEXT) | instid1(VALU_DEP_1)
	v_and_b32_e32 v2, 0xff, v2
	v_cmp_ne_u32_e32 vcc_lo, 0, v2
	s_and_b32 s6, vcc_lo, exec_lo
	s_delay_alu instid0(SALU_CYCLE_1)
	s_or_b32 s4, s4, s6
	s_or_b32 exec_lo, exec_lo, s5
	v_mov_b32_e32 v4, 0
	s_and_saveexec_b32 s5, s4
	s_cbranch_execnz .LBB6_2981
	s_branch .LBB6_2982
.LBB6_3047:
	s_mov_b32 s2, 0
	s_or_b32 s12, s12, exec_lo
	s_trap 2
	s_branch .LBB6_3026
.LBB6_3048:
	s_and_not1_saveexec_b32 s4, s4
	s_cbranch_execz .LBB6_2992
.LBB6_3049:
	v_add_f32_e32 v2, 0x42800000, v3
	s_and_not1_b32 s3, s3, exec_lo
	s_delay_alu instid0(VALU_DEP_1) | instskip(NEXT) | instid1(VALU_DEP_1)
	v_and_b32_e32 v2, 0xff, v2
	v_cmp_ne_u32_e32 vcc_lo, 0, v2
	s_and_b32 s5, vcc_lo, exec_lo
	s_delay_alu instid0(SALU_CYCLE_1)
	s_or_b32 s3, s3, s5
	s_or_b32 exec_lo, exec_lo, s4
	v_mov_b32_e32 v4, 0
	s_and_saveexec_b32 s4, s3
	s_cbranch_execnz .LBB6_2993
	s_branch .LBB6_2994
	.section	.rodata,"a",@progbits
	.p2align	6, 0x0
	.amdhsa_kernel _ZN2at6native32elementwise_kernel_manual_unrollILi128ELi4EZNS0_15gpu_kernel_implIZZZNS0_15gcd_kernel_cudaERNS_18TensorIteratorBaseEENKUlvE_clEvENKUlvE_clEvEUlhhE_EEvS4_RKT_EUlibE_EEviT1_
		.amdhsa_group_segment_fixed_size 0
		.amdhsa_private_segment_fixed_size 0
		.amdhsa_kernarg_size 48
		.amdhsa_user_sgpr_count 2
		.amdhsa_user_sgpr_dispatch_ptr 0
		.amdhsa_user_sgpr_queue_ptr 0
		.amdhsa_user_sgpr_kernarg_segment_ptr 1
		.amdhsa_user_sgpr_dispatch_id 0
		.amdhsa_user_sgpr_kernarg_preload_length 0
		.amdhsa_user_sgpr_kernarg_preload_offset 0
		.amdhsa_user_sgpr_private_segment_size 0
		.amdhsa_wavefront_size32 1
		.amdhsa_uses_dynamic_stack 0
		.amdhsa_enable_private_segment 0
		.amdhsa_system_sgpr_workgroup_id_x 1
		.amdhsa_system_sgpr_workgroup_id_y 0
		.amdhsa_system_sgpr_workgroup_id_z 0
		.amdhsa_system_sgpr_workgroup_info 0
		.amdhsa_system_vgpr_workitem_id 0
		.amdhsa_next_free_vgpr 18
		.amdhsa_next_free_sgpr 35
		.amdhsa_named_barrier_count 0
		.amdhsa_reserve_vcc 1
		.amdhsa_float_round_mode_32 0
		.amdhsa_float_round_mode_16_64 0
		.amdhsa_float_denorm_mode_32 3
		.amdhsa_float_denorm_mode_16_64 3
		.amdhsa_fp16_overflow 0
		.amdhsa_memory_ordered 1
		.amdhsa_forward_progress 1
		.amdhsa_inst_pref_size 255
		.amdhsa_round_robin_scheduling 0
		.amdhsa_exception_fp_ieee_invalid_op 0
		.amdhsa_exception_fp_denorm_src 0
		.amdhsa_exception_fp_ieee_div_zero 0
		.amdhsa_exception_fp_ieee_overflow 0
		.amdhsa_exception_fp_ieee_underflow 0
		.amdhsa_exception_fp_ieee_inexact 0
		.amdhsa_exception_int_div_zero 0
	.end_amdhsa_kernel
	.section	.text._ZN2at6native32elementwise_kernel_manual_unrollILi128ELi4EZNS0_15gpu_kernel_implIZZZNS0_15gcd_kernel_cudaERNS_18TensorIteratorBaseEENKUlvE_clEvENKUlvE_clEvEUlhhE_EEvS4_RKT_EUlibE_EEviT1_,"axG",@progbits,_ZN2at6native32elementwise_kernel_manual_unrollILi128ELi4EZNS0_15gpu_kernel_implIZZZNS0_15gcd_kernel_cudaERNS_18TensorIteratorBaseEENKUlvE_clEvENKUlvE_clEvEUlhhE_EEvS4_RKT_EUlibE_EEviT1_,comdat
.Lfunc_end6:
	.size	_ZN2at6native32elementwise_kernel_manual_unrollILi128ELi4EZNS0_15gpu_kernel_implIZZZNS0_15gcd_kernel_cudaERNS_18TensorIteratorBaseEENKUlvE_clEvENKUlvE_clEvEUlhhE_EEvS4_RKT_EUlibE_EEviT1_, .Lfunc_end6-_ZN2at6native32elementwise_kernel_manual_unrollILi128ELi4EZNS0_15gpu_kernel_implIZZZNS0_15gcd_kernel_cudaERNS_18TensorIteratorBaseEENKUlvE_clEvENKUlvE_clEvEUlhhE_EEvS4_RKT_EUlibE_EEviT1_
                                        ; -- End function
	.set _ZN2at6native32elementwise_kernel_manual_unrollILi128ELi4EZNS0_15gpu_kernel_implIZZZNS0_15gcd_kernel_cudaERNS_18TensorIteratorBaseEENKUlvE_clEvENKUlvE_clEvEUlhhE_EEvS4_RKT_EUlibE_EEviT1_.num_vgpr, 18
	.set _ZN2at6native32elementwise_kernel_manual_unrollILi128ELi4EZNS0_15gpu_kernel_implIZZZNS0_15gcd_kernel_cudaERNS_18TensorIteratorBaseEENKUlvE_clEvENKUlvE_clEvEUlhhE_EEvS4_RKT_EUlibE_EEviT1_.num_agpr, 0
	.set _ZN2at6native32elementwise_kernel_manual_unrollILi128ELi4EZNS0_15gpu_kernel_implIZZZNS0_15gcd_kernel_cudaERNS_18TensorIteratorBaseEENKUlvE_clEvENKUlvE_clEvEUlhhE_EEvS4_RKT_EUlibE_EEviT1_.numbered_sgpr, 35
	.set _ZN2at6native32elementwise_kernel_manual_unrollILi128ELi4EZNS0_15gpu_kernel_implIZZZNS0_15gcd_kernel_cudaERNS_18TensorIteratorBaseEENKUlvE_clEvENKUlvE_clEvEUlhhE_EEvS4_RKT_EUlibE_EEviT1_.num_named_barrier, 0
	.set _ZN2at6native32elementwise_kernel_manual_unrollILi128ELi4EZNS0_15gpu_kernel_implIZZZNS0_15gcd_kernel_cudaERNS_18TensorIteratorBaseEENKUlvE_clEvENKUlvE_clEvEUlhhE_EEvS4_RKT_EUlibE_EEviT1_.private_seg_size, 0
	.set _ZN2at6native32elementwise_kernel_manual_unrollILi128ELi4EZNS0_15gpu_kernel_implIZZZNS0_15gcd_kernel_cudaERNS_18TensorIteratorBaseEENKUlvE_clEvENKUlvE_clEvEUlhhE_EEvS4_RKT_EUlibE_EEviT1_.uses_vcc, 1
	.set _ZN2at6native32elementwise_kernel_manual_unrollILi128ELi4EZNS0_15gpu_kernel_implIZZZNS0_15gcd_kernel_cudaERNS_18TensorIteratorBaseEENKUlvE_clEvENKUlvE_clEvEUlhhE_EEvS4_RKT_EUlibE_EEviT1_.uses_flat_scratch, 0
	.set _ZN2at6native32elementwise_kernel_manual_unrollILi128ELi4EZNS0_15gpu_kernel_implIZZZNS0_15gcd_kernel_cudaERNS_18TensorIteratorBaseEENKUlvE_clEvENKUlvE_clEvEUlhhE_EEvS4_RKT_EUlibE_EEviT1_.has_dyn_sized_stack, 0
	.set _ZN2at6native32elementwise_kernel_manual_unrollILi128ELi4EZNS0_15gpu_kernel_implIZZZNS0_15gcd_kernel_cudaERNS_18TensorIteratorBaseEENKUlvE_clEvENKUlvE_clEvEUlhhE_EEvS4_RKT_EUlibE_EEviT1_.has_recursion, 0
	.set _ZN2at6native32elementwise_kernel_manual_unrollILi128ELi4EZNS0_15gpu_kernel_implIZZZNS0_15gcd_kernel_cudaERNS_18TensorIteratorBaseEENKUlvE_clEvENKUlvE_clEvEUlhhE_EEvS4_RKT_EUlibE_EEviT1_.has_indirect_call, 0
	.section	.AMDGPU.csdata,"",@progbits
; Kernel info:
; codeLenInByte = 62076
; TotalNumSgprs: 37
; NumVgprs: 18
; ScratchSize: 0
; MemoryBound: 1
; FloatMode: 240
; IeeeMode: 1
; LDSByteSize: 0 bytes/workgroup (compile time only)
; SGPRBlocks: 0
; VGPRBlocks: 1
; NumSGPRsForWavesPerEU: 37
; NumVGPRsForWavesPerEU: 18
; NamedBarCnt: 0
; Occupancy: 16
; WaveLimiterHint : 0
; COMPUTE_PGM_RSRC2:SCRATCH_EN: 0
; COMPUTE_PGM_RSRC2:USER_SGPR: 2
; COMPUTE_PGM_RSRC2:TRAP_HANDLER: 0
; COMPUTE_PGM_RSRC2:TGID_X_EN: 1
; COMPUTE_PGM_RSRC2:TGID_Y_EN: 0
; COMPUTE_PGM_RSRC2:TGID_Z_EN: 0
; COMPUTE_PGM_RSRC2:TIDIG_COMP_CNT: 0
	.section	.text._ZN2at6native32elementwise_kernel_manual_unrollILi128ELi4EZNS0_15gpu_kernel_implIZZZNS0_15gcd_kernel_cudaERNS_18TensorIteratorBaseEENKUlvE_clEvENKUlvE_clEvEUlhhE_EEvS4_RKT_EUlibE0_EEviT1_,"axG",@progbits,_ZN2at6native32elementwise_kernel_manual_unrollILi128ELi4EZNS0_15gpu_kernel_implIZZZNS0_15gcd_kernel_cudaERNS_18TensorIteratorBaseEENKUlvE_clEvENKUlvE_clEvEUlhhE_EEvS4_RKT_EUlibE0_EEviT1_,comdat
	.globl	_ZN2at6native32elementwise_kernel_manual_unrollILi128ELi4EZNS0_15gpu_kernel_implIZZZNS0_15gcd_kernel_cudaERNS_18TensorIteratorBaseEENKUlvE_clEvENKUlvE_clEvEUlhhE_EEvS4_RKT_EUlibE0_EEviT1_ ; -- Begin function _ZN2at6native32elementwise_kernel_manual_unrollILi128ELi4EZNS0_15gpu_kernel_implIZZZNS0_15gcd_kernel_cudaERNS_18TensorIteratorBaseEENKUlvE_clEvENKUlvE_clEvEUlhhE_EEvS4_RKT_EUlibE0_EEviT1_
	.p2align	8
	.type	_ZN2at6native32elementwise_kernel_manual_unrollILi128ELi4EZNS0_15gpu_kernel_implIZZZNS0_15gcd_kernel_cudaERNS_18TensorIteratorBaseEENKUlvE_clEvENKUlvE_clEvEUlhhE_EEvS4_RKT_EUlibE0_EEviT1_,@function
_ZN2at6native32elementwise_kernel_manual_unrollILi128ELi4EZNS0_15gpu_kernel_implIZZZNS0_15gcd_kernel_cudaERNS_18TensorIteratorBaseEENKUlvE_clEvENKUlvE_clEvEUlhhE_EEvS4_RKT_EUlibE0_EEviT1_: ; @_ZN2at6native32elementwise_kernel_manual_unrollILi128ELi4EZNS0_15gpu_kernel_implIZZZNS0_15gcd_kernel_cudaERNS_18TensorIteratorBaseEENKUlvE_clEvENKUlvE_clEvEUlhhE_EEvS4_RKT_EUlibE0_EEviT1_
; %bb.0:
	s_clause 0x1
	s_load_b32 s26, s[0:1], 0x8
	s_load_b32 s36, s[0:1], 0x0
	s_bfe_u32 s2, ttmp6, 0x4000c
	s_and_b32 s3, ttmp6, 15
	s_add_co_i32 s2, s2, 1
	s_getreg_b32 s4, hwreg(HW_REG_IB_STS2, 6, 4)
	s_mul_i32 s2, ttmp9, s2
	s_mov_b32 s28, 0
	s_add_co_i32 s3, s3, s2
	s_cmp_eq_u32 s4, 0
	s_mov_b32 s25, -1
	s_cselect_b32 s2, ttmp9, s3
	s_mov_b32 s8, 0
	v_lshl_or_b32 v0, s2, 9, v0
	s_add_nc_u64 s[2:3], s[0:1], 8
	s_wait_xcnt 0x0
	s_mov_b32 s0, exec_lo
	s_delay_alu instid0(VALU_DEP_1) | instskip(SKIP_2) | instid1(SALU_CYCLE_1)
	v_or_b32_e32 v1, 0x180, v0
	s_wait_kmcnt 0x0
	s_add_co_i32 s27, s26, -1
	s_cmp_gt_u32 s27, 1
	s_cselect_b32 s29, -1, 0
	v_cmpx_le_i32_e64 s36, v1
	s_xor_b32 s30, exec_lo, s0
	s_cbranch_execz .LBB7_1573
; %bb.1:
	v_mov_b32_e32 v1, 0
	s_cmp_lg_u32 s26, 0
	s_mov_b32 s19, 0
	s_cselect_b32 s37, -1, 0
	s_min_u32 s35, s27, 15
	s_clause 0x1
	global_load_u16 v2, v1, s[2:3] offset:417
	global_load_i8 v3, v1, s[2:3] offset:419
	s_clause 0x5
	s_load_b128 s[8:11], s[2:3], 0x4
	s_load_b64 s[0:1], s[2:3], 0x14
	s_load_b128 s[12:15], s[2:3], 0xc4
	s_load_b64 s[20:21], s[2:3], 0xd4
	s_load_b64 s[16:17], s[2:3], 0x198
	s_load_b128 s[4:7], s[2:3], 0x188
	s_cmp_gt_u32 s26, 1
	s_mov_b32 s23, s19
	s_mov_b32 s40, s19
	s_mov_b32 s39, s19
	s_cselect_b32 s34, -1, 0
	s_mov_b32 s38, s19
	s_mov_b32 s41, exec_lo
	s_wait_kmcnt 0x0
	s_mov_b32 s18, s9
	s_mov_b32 s22, s0
	s_wait_loadcnt 0x1
	v_readfirstlane_b32 s31, v2
	s_wait_loadcnt 0x0
	v_readfirstlane_b32 s9, v3
	s_lshr_b32 s33, s31, 8
	v_cmpx_gt_i32_e64 s36, v0
	s_cbranch_execz .LBB7_388
; %bb.2:
	s_and_not1_b32 vcc_lo, exec_lo, s29
	s_cbranch_vccnz .LBB7_8
; %bb.3:
	s_and_not1_b32 vcc_lo, exec_lo, s37
	s_cbranch_vccnz .LBB7_9
; %bb.4:
	v_dual_mov_b32 v2, 0 :: v_dual_mov_b32 v1, v0
	v_dual_mov_b32 v4, 0 :: v_dual_mov_b32 v6, 0
	s_add_co_i32 s0, s35, 1
	s_mov_b64 s[24:25], 0xffffffffffffffe8
	s_and_b32 s0, s0, 30
	s_add_nc_u64 s[24:25], s[2:3], s[24:25]
.LBB7_5:                                ; =>This Inner Loop Header: Depth=1
	s_clause 0x3
	s_load_b128 s[44:47], s[24:25], 0x1c
	s_load_b64 s[38:39], s[24:25], 0x2c
	s_load_b128 s[48:51], s[24:25], 0xdc
	s_load_b64 s[42:43], s[24:25], 0xec
	s_add_co_i32 s0, s0, -2
	s_wait_xcnt 0x0
	s_add_nc_u64 s[24:25], s[24:25], 24
	s_cmp_lg_u32 s0, 0
	s_wait_kmcnt 0x0
	v_mul_hi_u32 v3, s45, v1
	s_delay_alu instid0(VALU_DEP_1) | instskip(NEXT) | instid1(VALU_DEP_1)
	v_add_nc_u32_e32 v3, v1, v3
	v_lshrrev_b32_e32 v3, s46, v3
	s_delay_alu instid0(VALU_DEP_1) | instskip(SKIP_1) | instid1(VALU_DEP_1)
	v_mul_hi_u32 v5, s38, v3
	v_mul_lo_u32 v7, v3, s44
	v_dual_add_nc_u32 v5, v3, v5 :: v_dual_sub_nc_u32 v7, v1, v7
	s_delay_alu instid0(VALU_DEP_1) | instskip(NEXT) | instid1(VALU_DEP_2)
	v_lshrrev_b32_e32 v1, s39, v5
	v_mad_u32 v2, v7, s48, v2
	v_mad_u32 v6, v7, s50, v6
	;; [unrolled: 1-line block ×3, first 2 shown]
	s_delay_alu instid0(VALU_DEP_4) | instskip(NEXT) | instid1(VALU_DEP_1)
	v_mul_lo_u32 v5, v1, s47
	v_sub_nc_u32_e32 v3, v3, v5
	s_delay_alu instid0(VALU_DEP_1)
	v_mad_u32 v2, v3, s51, v2
	v_mad_u32 v6, v3, s43, v6
	;; [unrolled: 1-line block ×3, first 2 shown]
	s_cbranch_scc1 .LBB7_5
; %bb.6:
	s_bitcmp1_b32 s35, 0
	s_cselect_b32 s0, -1, 0
	s_delay_alu instid0(SALU_CYCLE_1)
	s_and_b32 vcc_lo, exec_lo, s0
	s_cbranch_vccnz .LBB7_10
; %bb.7:
	s_clause 0x1
	s_load_b96 s[44:46], s[24:25], 0x1c
	s_load_b96 s[48:50], s[24:25], 0xdc
	s_wait_kmcnt 0x0
	v_mul_hi_u32 v3, s45, v1
	s_delay_alu instid0(VALU_DEP_1) | instskip(NEXT) | instid1(VALU_DEP_1)
	v_add_nc_u32_e32 v3, v1, v3
	v_lshrrev_b32_e32 v3, s46, v3
	s_delay_alu instid0(VALU_DEP_1) | instskip(NEXT) | instid1(VALU_DEP_1)
	v_mul_lo_u32 v3, v3, s44
	v_sub_nc_u32_e32 v1, v1, v3
	s_delay_alu instid0(VALU_DEP_1)
	v_mad_u32 v2, v1, s48, v2
	v_mad_u32 v4, v1, s49, v4
	v_mad_u32 v6, v1, s50, v6
	s_cbranch_execz .LBB7_11
	s_branch .LBB7_13
.LBB7_8:
                                        ; implicit-def: $vgpr6
                                        ; implicit-def: $vgpr4
                                        ; implicit-def: $vgpr2
	s_branch .LBB7_11
.LBB7_9:
	v_dual_mov_b32 v6, 0 :: v_dual_mov_b32 v4, 0
	v_mov_b32_e32 v2, 0
.LBB7_10:
	s_cbranch_execnz .LBB7_13
.LBB7_11:
	v_mov_b32_e32 v1, 0
	s_and_not1_b32 vcc_lo, exec_lo, s34
	s_delay_alu instid0(VALU_DEP_1) | instskip(NEXT) | instid1(VALU_DEP_1)
	v_mul_u64_e32 v[2:3], s[18:19], v[0:1]
	v_add_nc_u32_e32 v2, v0, v3
	s_delay_alu instid0(VALU_DEP_1) | instskip(NEXT) | instid1(VALU_DEP_1)
	v_lshrrev_b32_e32 v8, s10, v2
	v_mul_lo_u32 v2, v8, s8
	s_delay_alu instid0(VALU_DEP_1) | instskip(NEXT) | instid1(VALU_DEP_1)
	v_sub_nc_u32_e32 v3, v0, v2
	v_mul_lo_u32 v2, v3, s12
	v_mul_lo_u32 v6, v3, s14
	;; [unrolled: 1-line block ×3, first 2 shown]
	s_cbranch_vccnz .LBB7_13
; %bb.12:
	v_mov_b32_e32 v9, v1
	s_delay_alu instid0(VALU_DEP_1) | instskip(NEXT) | instid1(VALU_DEP_1)
	v_mul_u64_e32 v[10:11], s[22:23], v[8:9]
	v_add_nc_u32_e32 v1, v8, v11
	s_delay_alu instid0(VALU_DEP_1) | instskip(NEXT) | instid1(VALU_DEP_1)
	v_lshrrev_b32_e32 v1, s1, v1
	v_mul_lo_u32 v1, v1, s11
	s_delay_alu instid0(VALU_DEP_1) | instskip(NEXT) | instid1(VALU_DEP_1)
	v_sub_nc_u32_e32 v1, v8, v1
	v_mad_u32 v2, v1, s15, v2
	v_mad_u32 v4, v1, s20, v4
	;; [unrolled: 1-line block ×3, first 2 shown]
.LBB7_13:
	v_mov_b32_e32 v5, 0
	s_and_b32 s0, s33, 0xff
	s_delay_alu instid0(SALU_CYCLE_1) | instskip(NEXT) | instid1(VALU_DEP_1)
	s_cmp_lt_i32 s0, 11
	v_add_nc_u64_e32 v[8:9], s[6:7], v[4:5]
	s_cbranch_scc1 .LBB7_20
; %bb.14:
	s_and_b32 s25, 0xffff, s0
	s_delay_alu instid0(SALU_CYCLE_1)
	s_cmp_gt_i32 s25, 25
	s_cbranch_scc0 .LBB7_29
; %bb.15:
	s_cmp_gt_i32 s25, 28
	s_cbranch_scc0 .LBB7_42
; %bb.16:
	;; [unrolled: 3-line block ×4, first 2 shown]
	s_cmp_eq_u32 s25, 46
	s_mov_b32 s39, 0
	s_cbranch_scc0 .LBB7_51
; %bb.19:
	global_load_b32 v1, v[8:9], off
	s_mov_b32 s38, -1
	s_mov_b32 s24, 0
	s_wait_loadcnt 0x0
	v_lshlrev_b32_e32 v1, 16, v1
	s_delay_alu instid0(VALU_DEP_1) | instskip(NEXT) | instid1(VALU_DEP_1)
	v_trunc_f32_e32 v1, v1
	v_mul_f32_e64 v3, 0x2f800000, |v1|
	s_delay_alu instid0(VALU_DEP_1) | instskip(NEXT) | instid1(VALU_DEP_1)
	v_floor_f32_e32 v3, v3
	v_fma_f32 v3, 0xcf800000, v3, |v1|
	v_ashrrev_i32_e32 v1, 31, v1
	s_delay_alu instid0(VALU_DEP_2) | instskip(NEXT) | instid1(VALU_DEP_1)
	v_cvt_u32_f32_e32 v3, v3
	v_xor_b32_e32 v3, v3, v1
	s_delay_alu instid0(VALU_DEP_1)
	v_sub_nc_u32_e32 v4, v3, v1
	s_branch .LBB7_53
.LBB7_20:
	s_mov_b32 s24, 0
	s_mov_b32 s38, 0
                                        ; implicit-def: $vgpr4
	s_cbranch_execnz .LBB7_115
.LBB7_21:
	s_and_not1_b32 vcc_lo, exec_lo, s38
	s_cbranch_vccnz .LBB7_162
.LBB7_22:
	v_mov_b32_e32 v7, 0
	s_and_b32 s0, s9, 0xff
	s_delay_alu instid0(SALU_CYCLE_1) | instskip(SKIP_1) | instid1(VALU_DEP_1)
	s_cmp_lt_i32 s0, 11
	s_wait_xcnt 0x0
	v_add_nc_u64_e32 v[8:9], s[16:17], v[6:7]
	s_cbranch_scc1 .LBB7_30
; %bb.23:
	s_and_b32 s38, 0xffff, s0
	s_delay_alu instid0(SALU_CYCLE_1)
	s_cmp_gt_i32 s38, 25
	s_cbranch_scc0 .LBB7_43
; %bb.24:
	s_cmp_gt_i32 s38, 28
	s_cbranch_scc0 .LBB7_46
; %bb.25:
	;; [unrolled: 3-line block ×4, first 2 shown]
	s_cmp_eq_u32 s38, 46
	s_mov_b32 s40, 0
	s_cbranch_scc0 .LBB7_163
; %bb.28:
	global_load_b32 v1, v[8:9], off
	s_mov_b32 s39, -1
	s_mov_b32 s25, 0
	s_wait_loadcnt 0x0
	v_lshlrev_b32_e32 v1, 16, v1
	s_delay_alu instid0(VALU_DEP_1) | instskip(NEXT) | instid1(VALU_DEP_1)
	v_trunc_f32_e32 v1, v1
	v_mul_f32_e64 v3, 0x2f800000, |v1|
	s_delay_alu instid0(VALU_DEP_1) | instskip(NEXT) | instid1(VALU_DEP_1)
	v_floor_f32_e32 v3, v3
	v_fma_f32 v3, 0xcf800000, v3, |v1|
	v_ashrrev_i32_e32 v1, 31, v1
	s_delay_alu instid0(VALU_DEP_2) | instskip(NEXT) | instid1(VALU_DEP_1)
	v_cvt_u32_f32_e32 v3, v3
	v_xor_b32_e32 v3, v3, v1
	s_delay_alu instid0(VALU_DEP_1)
	v_sub_nc_u32_e32 v6, v3, v1
	s_branch .LBB7_165
.LBB7_29:
	s_mov_b32 s24, 0
	s_mov_b32 s38, 0
                                        ; implicit-def: $vgpr4
	s_cbranch_execnz .LBB7_82
	s_branch .LBB7_114
.LBB7_30:
	s_mov_b32 s25, 0
	s_mov_b32 s39, 0
                                        ; implicit-def: $vgpr6
	s_cbranch_execnz .LBB7_337
.LBB7_31:
	s_and_not1_b32 vcc_lo, exec_lo, s39
	s_cbranch_vccnz .LBB7_385
.LBB7_32:
	s_wait_loadcnt 0x0
	s_delay_alu instid0(VALU_DEP_3) | instskip(SKIP_2) | instid1(VALU_DEP_1)
	v_and_b32_e32 v1, 0xff, v4
	s_mov_b32 s38, 0
	s_mov_b32 s0, exec_lo
	v_cmpx_ne_u16_e32 0, v1
	s_cbranch_execz .LBB7_35
.LBB7_33:                               ; =>This Inner Loop Header: Depth=1
	s_delay_alu instid0(VALU_DEP_3) | instskip(SKIP_1) | instid1(VALU_DEP_1)
	v_cvt_f32_ubyte0_e32 v5, v6
	v_mov_b32_e32 v1, v4
	v_cvt_f32_ubyte0_e32 v3, v1
	s_delay_alu instid0(VALU_DEP_1) | instskip(SKIP_1) | instid1(TRANS32_DEP_1)
	v_rcp_iflag_f32_e32 v4, v3
	v_nop
	v_mul_f32_e32 v4, v5, v4
	s_delay_alu instid0(VALU_DEP_1) | instskip(NEXT) | instid1(VALU_DEP_1)
	v_trunc_f32_e32 v4, v4
	v_fma_f32 v5, -v4, v3, v5
	v_cvt_u32_f32_e32 v4, v4
	s_delay_alu instid0(VALU_DEP_2) | instskip(NEXT) | instid1(VALU_DEP_1)
	v_cmp_ge_f32_e64 vcc_lo, |v5|, v3
	v_add_co_ci_u32_e64 v3, null, 0, v4, vcc_lo
	s_delay_alu instid0(VALU_DEP_1) | instskip(NEXT) | instid1(VALU_DEP_1)
	v_mul_lo_u32 v3, v3, v1
	v_dual_mov_b32 v6, v1 :: v_dual_sub_nc_u32 v3, v6, v3
	s_delay_alu instid0(VALU_DEP_1) | instskip(NEXT) | instid1(VALU_DEP_1)
	v_and_b32_e32 v4, 0xff, v3
	v_cmp_eq_u16_e32 vcc_lo, 0, v4
	s_or_b32 s38, vcc_lo, s38
	s_delay_alu instid0(SALU_CYCLE_1)
	s_and_not1_b32 exec_lo, exec_lo, s38
	s_cbranch_execnz .LBB7_33
; %bb.34:
	s_or_b32 exec_lo, exec_lo, s38
	v_mov_b32_e32 v6, v1
.LBB7_35:
	s_or_b32 exec_lo, exec_lo, s0
	v_mov_b32_e32 v3, 0
	s_and_b32 s38, s31, 0xff
	s_delay_alu instid0(SALU_CYCLE_1) | instskip(NEXT) | instid1(VALU_DEP_1)
	s_cmp_lt_i32 s38, 11
	v_add_nc_u64_e32 v[2:3], s[4:5], v[2:3]
	s_cbranch_scc1 .LBB7_44
; %bb.36:
	s_and_b32 s39, 0xffff, s38
	s_delay_alu instid0(SALU_CYCLE_1)
	s_cmp_gt_i32 s39, 25
	s_cbranch_scc0 .LBB7_47
; %bb.37:
	s_cmp_gt_i32 s39, 28
	s_cbranch_scc0 .LBB7_50
; %bb.38:
	;; [unrolled: 3-line block ×4, first 2 shown]
	s_mov_b32 s42, 0
	s_mov_b32 s0, -1
	s_cmp_eq_u32 s39, 46
	s_mov_b32 s40, 0
	s_cbranch_scc0 .LBB7_169
; %bb.41:
	v_cvt_f32_ubyte0_e32 v1, v6
	s_mov_b32 s40, -1
	s_mov_b32 s0, 0
	s_delay_alu instid0(VALU_DEP_1) | instskip(NEXT) | instid1(VALU_DEP_1)
	v_bfe_u32 v4, v1, 16, 1
	v_add3_u32 v1, v1, v4, 0x7fff
	s_delay_alu instid0(VALU_DEP_1)
	v_lshrrev_b32_e32 v1, 16, v1
	global_store_b32 v[2:3], v1, off
	s_branch .LBB7_169
.LBB7_42:
	s_mov_b32 s39, -1
	s_mov_b32 s24, 0
	s_mov_b32 s38, 0
                                        ; implicit-def: $vgpr4
	s_branch .LBB7_65
.LBB7_43:
	s_mov_b32 s40, -1
	s_mov_b32 s25, 0
	s_mov_b32 s39, 0
                                        ; implicit-def: $vgpr6
	s_branch .LBB7_303
.LBB7_44:
	s_mov_b32 s39, -1
	s_mov_b32 s0, 0
	s_mov_b32 s40, 0
	s_branch .LBB7_238
.LBB7_45:
	s_mov_b32 s39, -1
	s_mov_b32 s24, 0
	s_mov_b32 s38, 0
                                        ; implicit-def: $vgpr4
	s_branch .LBB7_60
.LBB7_46:
	s_mov_b32 s40, -1
	s_mov_b32 s25, 0
	s_mov_b32 s39, 0
                                        ; implicit-def: $vgpr6
	s_branch .LBB7_286
.LBB7_47:
	s_mov_b32 s42, -1
	s_mov_b32 s0, 0
	s_mov_b32 s40, 0
	s_branch .LBB7_196
.LBB7_48:
	s_mov_b32 s39, -1
	s_mov_b32 s24, 0
	s_branch .LBB7_52
.LBB7_49:
	s_mov_b32 s40, -1
	s_mov_b32 s25, 0
	s_mov_b32 s39, 0
                                        ; implicit-def: $vgpr6
	s_branch .LBB7_281
.LBB7_50:
	s_mov_b32 s42, -1
	s_mov_b32 s0, 0
	s_mov_b32 s40, 0
	s_branch .LBB7_179
.LBB7_51:
	s_mov_b32 s24, -1
.LBB7_52:
	s_mov_b32 s38, 0
                                        ; implicit-def: $vgpr4
.LBB7_53:
	s_and_b32 vcc_lo, exec_lo, s39
	s_cbranch_vccz .LBB7_59
; %bb.54:
	s_cmp_eq_u32 s25, 44
	s_cbranch_scc0 .LBB7_58
; %bb.55:
	global_load_u8 v1, v[8:9], off
	s_mov_b32 s24, 0
	s_mov_b32 s38, -1
	s_wait_loadcnt 0x0
	v_lshlrev_b32_e32 v3, 23, v1
	v_cmp_ne_u32_e32 vcc_lo, 0, v1
	s_delay_alu instid0(VALU_DEP_2) | instskip(NEXT) | instid1(VALU_DEP_1)
	v_trunc_f32_e32 v3, v3
	v_mul_f32_e64 v4, 0x2f800000, |v3|
	s_delay_alu instid0(VALU_DEP_1) | instskip(NEXT) | instid1(VALU_DEP_1)
	v_floor_f32_e32 v4, v4
	v_fma_f32 v4, 0xcf800000, v4, |v3|
	v_ashrrev_i32_e32 v3, 31, v3
	s_delay_alu instid0(VALU_DEP_2) | instskip(NEXT) | instid1(VALU_DEP_1)
	v_cvt_u32_f32_e32 v4, v4
	v_xor_b32_e32 v4, v4, v3
	s_delay_alu instid0(VALU_DEP_1) | instskip(NEXT) | instid1(VALU_DEP_1)
	v_sub_nc_u32_e32 v3, v4, v3
	v_cndmask_b32_e32 v4, 0, v3, vcc_lo
	s_branch .LBB7_59
.LBB7_56:
	s_mov_b32 s40, -1
	s_mov_b32 s25, 0
	s_branch .LBB7_164
.LBB7_57:
	s_mov_b32 s42, -1
	s_mov_b32 s0, 0
	s_mov_b32 s40, 0
	s_branch .LBB7_175
.LBB7_58:
	s_mov_b32 s24, -1
                                        ; implicit-def: $vgpr4
.LBB7_59:
	s_mov_b32 s39, 0
.LBB7_60:
	s_delay_alu instid0(SALU_CYCLE_1)
	s_and_b32 vcc_lo, exec_lo, s39
	s_cbranch_vccz .LBB7_64
; %bb.61:
	s_cmp_eq_u32 s25, 29
	s_cbranch_scc0 .LBB7_63
; %bb.62:
	global_load_b64 v[4:5], v[8:9], off
	s_mov_b32 s38, -1
	s_mov_b32 s24, 0
	s_branch .LBB7_64
.LBB7_63:
	s_mov_b32 s24, -1
                                        ; implicit-def: $vgpr4
.LBB7_64:
	s_mov_b32 s39, 0
.LBB7_65:
	s_delay_alu instid0(SALU_CYCLE_1)
	s_and_b32 vcc_lo, exec_lo, s39
	s_cbranch_vccz .LBB7_81
; %bb.66:
	s_cmp_lt_i32 s25, 27
	s_cbranch_scc1 .LBB7_69
; %bb.67:
	s_cmp_gt_i32 s25, 27
	s_cbranch_scc0 .LBB7_70
; %bb.68:
	s_wait_loadcnt 0x0
	global_load_b32 v4, v[8:9], off
	s_mov_b32 s38, 0
	s_branch .LBB7_71
.LBB7_69:
	s_mov_b32 s38, -1
                                        ; implicit-def: $vgpr4
	s_branch .LBB7_74
.LBB7_70:
	s_mov_b32 s38, -1
                                        ; implicit-def: $vgpr4
.LBB7_71:
	s_delay_alu instid0(SALU_CYCLE_1)
	s_and_not1_b32 vcc_lo, exec_lo, s38
	s_cbranch_vccnz .LBB7_73
; %bb.72:
	s_wait_loadcnt 0x0
	global_load_u16 v4, v[8:9], off
.LBB7_73:
	s_mov_b32 s38, 0
.LBB7_74:
	s_delay_alu instid0(SALU_CYCLE_1)
	s_and_not1_b32 vcc_lo, exec_lo, s38
	s_cbranch_vccnz .LBB7_80
; %bb.75:
	global_load_u8 v1, v[8:9], off
	s_mov_b32 s39, 0
	s_mov_b32 s38, exec_lo
	s_wait_loadcnt 0x0
	v_cmpx_lt_i16_e32 0x7f, v1
	s_xor_b32 s38, exec_lo, s38
	s_cbranch_execz .LBB7_91
; %bb.76:
	v_cmp_ne_u16_e32 vcc_lo, 0x80, v1
	s_and_b32 s39, vcc_lo, exec_lo
	s_and_not1_saveexec_b32 s38, s38
	s_cbranch_execnz .LBB7_92
.LBB7_77:
	s_or_b32 exec_lo, exec_lo, s38
	v_mov_b32_e32 v4, 0
	s_and_saveexec_b32 s38, s39
	s_cbranch_execz .LBB7_79
.LBB7_78:
	v_and_b32_e32 v3, 0xffff, v1
	s_delay_alu instid0(VALU_DEP_1) | instskip(SKIP_1) | instid1(VALU_DEP_2)
	v_and_b32_e32 v4, 7, v3
	v_bfe_u32 v10, v3, 3, 4
	v_clz_i32_u32_e32 v5, v4
	s_delay_alu instid0(VALU_DEP_2) | instskip(NEXT) | instid1(VALU_DEP_2)
	v_cmp_eq_u32_e32 vcc_lo, 0, v10
	v_min_u32_e32 v5, 32, v5
	s_delay_alu instid0(VALU_DEP_1) | instskip(NEXT) | instid1(VALU_DEP_1)
	v_subrev_nc_u32_e32 v7, 28, v5
	v_dual_lshlrev_b32 v3, v7, v3 :: v_dual_sub_nc_u32 v5, 29, v5
	s_delay_alu instid0(VALU_DEP_1) | instskip(NEXT) | instid1(VALU_DEP_1)
	v_dual_lshlrev_b32 v1, 24, v1 :: v_dual_bitop2_b32 v3, 7, v3 bitop3:0x40
	v_dual_cndmask_b32 v3, v4, v3, vcc_lo :: v_dual_cndmask_b32 v5, v10, v5, vcc_lo
	s_delay_alu instid0(VALU_DEP_2) | instskip(NEXT) | instid1(VALU_DEP_2)
	v_and_b32_e32 v1, 0x80000000, v1
	v_lshlrev_b32_e32 v3, 20, v3
	s_delay_alu instid0(VALU_DEP_3) | instskip(NEXT) | instid1(VALU_DEP_1)
	v_lshl_add_u32 v4, v5, 23, 0x3b800000
	v_or3_b32 v1, v1, v4, v3
	s_delay_alu instid0(VALU_DEP_1) | instskip(NEXT) | instid1(VALU_DEP_1)
	v_trunc_f32_e32 v1, v1
	v_mul_f32_e64 v3, 0x2f800000, |v1|
	s_delay_alu instid0(VALU_DEP_1) | instskip(NEXT) | instid1(VALU_DEP_1)
	v_floor_f32_e32 v3, v3
	v_fma_f32 v3, 0xcf800000, v3, |v1|
	v_ashrrev_i32_e32 v1, 31, v1
	s_delay_alu instid0(VALU_DEP_2) | instskip(NEXT) | instid1(VALU_DEP_1)
	v_cvt_u32_f32_e32 v3, v3
	v_xor_b32_e32 v3, v3, v1
	s_delay_alu instid0(VALU_DEP_1)
	v_sub_nc_u32_e32 v4, v3, v1
.LBB7_79:
	s_or_b32 exec_lo, exec_lo, s38
.LBB7_80:
	s_mov_b32 s38, -1
.LBB7_81:
	s_branch .LBB7_114
.LBB7_82:
	s_cmp_gt_i32 s25, 22
	s_cbranch_scc0 .LBB7_90
; %bb.83:
	s_cmp_lt_i32 s25, 24
	s_cbranch_scc1 .LBB7_93
; %bb.84:
	s_cmp_gt_i32 s25, 24
	s_cbranch_scc0 .LBB7_94
; %bb.85:
	global_load_u8 v1, v[8:9], off
	s_mov_b32 s39, 0
	s_mov_b32 s38, exec_lo
	s_wait_loadcnt 0x0
	v_cmpx_lt_i16_e32 0x7f, v1
	s_xor_b32 s38, exec_lo, s38
	s_cbranch_execz .LBB7_106
; %bb.86:
	v_cmp_ne_u16_e32 vcc_lo, 0x80, v1
	s_and_b32 s39, vcc_lo, exec_lo
	s_and_not1_saveexec_b32 s38, s38
	s_cbranch_execnz .LBB7_107
.LBB7_87:
	s_or_b32 exec_lo, exec_lo, s38
	v_mov_b32_e32 v4, 0
	s_and_saveexec_b32 s38, s39
	s_cbranch_execz .LBB7_89
.LBB7_88:
	v_and_b32_e32 v3, 0xffff, v1
	s_delay_alu instid0(VALU_DEP_1) | instskip(SKIP_1) | instid1(VALU_DEP_2)
	v_and_b32_e32 v4, 3, v3
	v_bfe_u32 v10, v3, 2, 5
	v_clz_i32_u32_e32 v5, v4
	s_delay_alu instid0(VALU_DEP_2) | instskip(NEXT) | instid1(VALU_DEP_2)
	v_cmp_eq_u32_e32 vcc_lo, 0, v10
	v_min_u32_e32 v5, 32, v5
	s_delay_alu instid0(VALU_DEP_1) | instskip(NEXT) | instid1(VALU_DEP_1)
	v_subrev_nc_u32_e32 v7, 29, v5
	v_dual_lshlrev_b32 v3, v7, v3 :: v_dual_sub_nc_u32 v5, 30, v5
	s_delay_alu instid0(VALU_DEP_1) | instskip(NEXT) | instid1(VALU_DEP_1)
	v_dual_lshlrev_b32 v1, 24, v1 :: v_dual_bitop2_b32 v3, 3, v3 bitop3:0x40
	v_dual_cndmask_b32 v3, v4, v3, vcc_lo :: v_dual_cndmask_b32 v5, v10, v5, vcc_lo
	s_delay_alu instid0(VALU_DEP_2) | instskip(NEXT) | instid1(VALU_DEP_2)
	v_and_b32_e32 v1, 0x80000000, v1
	v_lshlrev_b32_e32 v3, 21, v3
	s_delay_alu instid0(VALU_DEP_3) | instskip(NEXT) | instid1(VALU_DEP_1)
	v_lshl_add_u32 v4, v5, 23, 0x37800000
	v_or3_b32 v1, v1, v4, v3
	s_delay_alu instid0(VALU_DEP_1) | instskip(NEXT) | instid1(VALU_DEP_1)
	v_trunc_f32_e32 v1, v1
	v_mul_f32_e64 v3, 0x2f800000, |v1|
	s_delay_alu instid0(VALU_DEP_1) | instskip(NEXT) | instid1(VALU_DEP_1)
	v_floor_f32_e32 v3, v3
	v_fma_f32 v3, 0xcf800000, v3, |v1|
	v_ashrrev_i32_e32 v1, 31, v1
	s_delay_alu instid0(VALU_DEP_2) | instskip(NEXT) | instid1(VALU_DEP_1)
	v_cvt_u32_f32_e32 v3, v3
	v_xor_b32_e32 v3, v3, v1
	s_delay_alu instid0(VALU_DEP_1)
	v_sub_nc_u32_e32 v4, v3, v1
.LBB7_89:
	s_or_b32 exec_lo, exec_lo, s38
	s_mov_b32 s38, 0
	s_branch .LBB7_95
.LBB7_90:
	s_mov_b32 s39, -1
                                        ; implicit-def: $vgpr4
	s_branch .LBB7_101
.LBB7_91:
	s_and_not1_saveexec_b32 s38, s38
	s_cbranch_execz .LBB7_77
.LBB7_92:
	v_cmp_ne_u16_e32 vcc_lo, 0, v1
	s_and_not1_b32 s39, s39, exec_lo
	s_and_b32 s40, vcc_lo, exec_lo
	s_delay_alu instid0(SALU_CYCLE_1)
	s_or_b32 s39, s39, s40
	s_or_b32 exec_lo, exec_lo, s38
	v_mov_b32_e32 v4, 0
	s_and_saveexec_b32 s38, s39
	s_cbranch_execnz .LBB7_78
	s_branch .LBB7_79
.LBB7_93:
	s_mov_b32 s38, -1
                                        ; implicit-def: $vgpr4
	s_branch .LBB7_98
.LBB7_94:
	s_mov_b32 s38, -1
                                        ; implicit-def: $vgpr4
.LBB7_95:
	s_delay_alu instid0(SALU_CYCLE_1)
	s_and_b32 vcc_lo, exec_lo, s38
	s_cbranch_vccz .LBB7_97
; %bb.96:
	global_load_u8 v1, v[8:9], off
	s_wait_loadcnt 0x0
	v_lshlrev_b32_e32 v1, 24, v1
	s_delay_alu instid0(VALU_DEP_1) | instskip(NEXT) | instid1(VALU_DEP_1)
	v_and_b32_e32 v3, 0x7f000000, v1
	v_clz_i32_u32_e32 v4, v3
	v_add_nc_u32_e32 v7, 0x1000000, v3
	v_cmp_ne_u32_e32 vcc_lo, 0, v3
	s_delay_alu instid0(VALU_DEP_3) | instskip(NEXT) | instid1(VALU_DEP_1)
	v_min_u32_e32 v4, 32, v4
	v_sub_nc_u32_e64 v4, v4, 4 clamp
	s_delay_alu instid0(VALU_DEP_1) | instskip(NEXT) | instid1(VALU_DEP_1)
	v_dual_lshlrev_b32 v5, v4, v3 :: v_dual_lshlrev_b32 v4, 23, v4
	v_lshrrev_b32_e32 v5, 4, v5
	s_delay_alu instid0(VALU_DEP_1) | instskip(NEXT) | instid1(VALU_DEP_1)
	v_dual_sub_nc_u32 v4, v5, v4 :: v_dual_ashrrev_i32 v5, 8, v7
	v_add_nc_u32_e32 v4, 0x3c000000, v4
	s_delay_alu instid0(VALU_DEP_1) | instskip(NEXT) | instid1(VALU_DEP_1)
	v_and_or_b32 v4, 0x7f800000, v5, v4
	v_cndmask_b32_e32 v3, 0, v4, vcc_lo
	s_delay_alu instid0(VALU_DEP_1) | instskip(NEXT) | instid1(VALU_DEP_1)
	v_and_or_b32 v1, 0x80000000, v1, v3
	v_trunc_f32_e32 v1, v1
	s_delay_alu instid0(VALU_DEP_1) | instskip(NEXT) | instid1(VALU_DEP_1)
	v_mul_f32_e64 v3, 0x2f800000, |v1|
	v_floor_f32_e32 v3, v3
	s_delay_alu instid0(VALU_DEP_1) | instskip(SKIP_1) | instid1(VALU_DEP_2)
	v_fma_f32 v3, 0xcf800000, v3, |v1|
	v_ashrrev_i32_e32 v1, 31, v1
	v_cvt_u32_f32_e32 v3, v3
	s_delay_alu instid0(VALU_DEP_1) | instskip(NEXT) | instid1(VALU_DEP_1)
	v_xor_b32_e32 v3, v3, v1
	v_sub_nc_u32_e32 v4, v3, v1
.LBB7_97:
	s_mov_b32 s38, 0
.LBB7_98:
	s_delay_alu instid0(SALU_CYCLE_1)
	s_and_not1_b32 vcc_lo, exec_lo, s38
	s_cbranch_vccnz .LBB7_100
; %bb.99:
	global_load_u8 v1, v[8:9], off
	s_wait_loadcnt 0x0
	v_lshlrev_b32_e32 v3, 25, v1
	v_lshlrev_b16 v1, 8, v1
	s_delay_alu instid0(VALU_DEP_1) | instskip(NEXT) | instid1(VALU_DEP_3)
	v_and_or_b32 v5, 0x7f00, v1, 0.5
	v_lshrrev_b32_e32 v4, 4, v3
	v_bfe_i32 v1, v1, 0, 16
	s_delay_alu instid0(VALU_DEP_3) | instskip(NEXT) | instid1(VALU_DEP_3)
	v_add_f32_e32 v5, -0.5, v5
	v_or_b32_e32 v4, 0x70000000, v4
	s_delay_alu instid0(VALU_DEP_1) | instskip(SKIP_1) | instid1(VALU_DEP_2)
	v_mul_f32_e32 v4, 0x7800000, v4
	v_cmp_gt_u32_e32 vcc_lo, 0x8000000, v3
	v_cndmask_b32_e32 v3, v4, v5, vcc_lo
	s_delay_alu instid0(VALU_DEP_1) | instskip(NEXT) | instid1(VALU_DEP_1)
	v_and_or_b32 v1, 0x80000000, v1, v3
	v_trunc_f32_e32 v1, v1
	s_delay_alu instid0(VALU_DEP_1) | instskip(NEXT) | instid1(VALU_DEP_1)
	v_mul_f32_e64 v3, 0x2f800000, |v1|
	v_floor_f32_e32 v3, v3
	s_delay_alu instid0(VALU_DEP_1) | instskip(SKIP_1) | instid1(VALU_DEP_2)
	v_fma_f32 v3, 0xcf800000, v3, |v1|
	v_ashrrev_i32_e32 v1, 31, v1
	v_cvt_u32_f32_e32 v3, v3
	s_delay_alu instid0(VALU_DEP_1) | instskip(NEXT) | instid1(VALU_DEP_1)
	v_xor_b32_e32 v3, v3, v1
	v_sub_nc_u32_e32 v4, v3, v1
.LBB7_100:
	s_mov_b32 s39, 0
	s_mov_b32 s38, -1
.LBB7_101:
	s_and_not1_b32 vcc_lo, exec_lo, s39
	s_cbranch_vccnz .LBB7_114
; %bb.102:
	s_cmp_gt_i32 s25, 14
	s_cbranch_scc0 .LBB7_105
; %bb.103:
	s_cmp_eq_u32 s25, 15
	s_cbranch_scc0 .LBB7_108
; %bb.104:
	global_load_u16 v1, v[8:9], off
	s_mov_b32 s38, -1
	s_mov_b32 s24, 0
	s_wait_loadcnt 0x0
	v_lshlrev_b32_e32 v1, 16, v1
	s_delay_alu instid0(VALU_DEP_1) | instskip(NEXT) | instid1(VALU_DEP_1)
	v_trunc_f32_e32 v1, v1
	v_mul_f32_e64 v3, 0x2f800000, |v1|
	s_delay_alu instid0(VALU_DEP_1) | instskip(NEXT) | instid1(VALU_DEP_1)
	v_floor_f32_e32 v3, v3
	v_fma_f32 v3, 0xcf800000, v3, |v1|
	v_ashrrev_i32_e32 v1, 31, v1
	s_delay_alu instid0(VALU_DEP_2) | instskip(NEXT) | instid1(VALU_DEP_1)
	v_cvt_u32_f32_e32 v3, v3
	v_xor_b32_e32 v3, v3, v1
	s_delay_alu instid0(VALU_DEP_1)
	v_sub_nc_u32_e32 v4, v3, v1
	s_branch .LBB7_109
.LBB7_105:
	s_mov_b32 s39, -1
                                        ; implicit-def: $vgpr4
	s_branch .LBB7_110
.LBB7_106:
	s_and_not1_saveexec_b32 s38, s38
	s_cbranch_execz .LBB7_87
.LBB7_107:
	v_cmp_ne_u16_e32 vcc_lo, 0, v1
	s_and_not1_b32 s39, s39, exec_lo
	s_and_b32 s40, vcc_lo, exec_lo
	s_delay_alu instid0(SALU_CYCLE_1)
	s_or_b32 s39, s39, s40
	s_or_b32 exec_lo, exec_lo, s38
	v_mov_b32_e32 v4, 0
	s_and_saveexec_b32 s38, s39
	s_cbranch_execnz .LBB7_88
	s_branch .LBB7_89
.LBB7_108:
	s_mov_b32 s24, -1
                                        ; implicit-def: $vgpr4
.LBB7_109:
	s_mov_b32 s39, 0
.LBB7_110:
	s_delay_alu instid0(SALU_CYCLE_1)
	s_and_b32 vcc_lo, exec_lo, s39
	s_cbranch_vccz .LBB7_114
; %bb.111:
	s_cmp_eq_u32 s25, 11
	s_cbranch_scc0 .LBB7_113
; %bb.112:
	global_load_u8 v1, v[8:9], off
	s_mov_b32 s24, 0
	s_mov_b32 s38, -1
	s_wait_loadcnt 0x0
	v_cmp_ne_u16_e32 vcc_lo, 0, v1
	v_cndmask_b32_e64 v4, 0, 1, vcc_lo
	s_branch .LBB7_114
.LBB7_113:
	s_mov_b32 s24, -1
                                        ; implicit-def: $vgpr4
.LBB7_114:
	s_branch .LBB7_21
.LBB7_115:
	s_and_b32 s0, 0xffff, s0
	s_delay_alu instid0(SALU_CYCLE_1)
	s_cmp_lt_i32 s0, 5
	s_cbranch_scc1 .LBB7_120
; %bb.116:
	s_cmp_lt_i32 s0, 8
	s_cbranch_scc1 .LBB7_121
; %bb.117:
	;; [unrolled: 3-line block ×3, first 2 shown]
	s_cmp_gt_i32 s0, 9
	s_cbranch_scc0 .LBB7_123
; %bb.119:
	s_wait_loadcnt 0x0
	global_load_b64 v[4:5], v[8:9], off
	s_mov_b32 s25, 0
	s_wait_loadcnt 0x0
	v_trunc_f64_e32 v[4:5], v[4:5]
	s_delay_alu instid0(VALU_DEP_1) | instskip(NEXT) | instid1(VALU_DEP_1)
	v_ldexp_f64 v[10:11], v[4:5], 0xffffffe0
	v_floor_f64_e32 v[10:11], v[10:11]
	s_delay_alu instid0(VALU_DEP_1) | instskip(NEXT) | instid1(VALU_DEP_1)
	v_fmamk_f64 v[4:5], v[10:11], 0xc1f00000, v[4:5]
	v_cvt_u32_f64_e32 v4, v[4:5]
	s_branch .LBB7_124
.LBB7_120:
                                        ; implicit-def: $vgpr4
	s_branch .LBB7_142
.LBB7_121:
	s_mov_b32 s25, -1
                                        ; implicit-def: $vgpr4
	s_branch .LBB7_130
.LBB7_122:
	s_mov_b32 s25, -1
                                        ; implicit-def: $vgpr4
	s_branch .LBB7_127
.LBB7_123:
	s_mov_b32 s25, -1
                                        ; implicit-def: $vgpr4
.LBB7_124:
	s_delay_alu instid0(SALU_CYCLE_1)
	s_and_not1_b32 vcc_lo, exec_lo, s25
	s_cbranch_vccnz .LBB7_126
; %bb.125:
	global_load_b32 v1, v[8:9], off
	s_wait_loadcnt 0x0
	v_trunc_f32_e32 v1, v1
	s_delay_alu instid0(VALU_DEP_1) | instskip(NEXT) | instid1(VALU_DEP_1)
	v_mul_f32_e64 v3, 0x2f800000, |v1|
	v_floor_f32_e32 v3, v3
	s_delay_alu instid0(VALU_DEP_1) | instskip(SKIP_1) | instid1(VALU_DEP_2)
	v_fma_f32 v3, 0xcf800000, v3, |v1|
	v_ashrrev_i32_e32 v1, 31, v1
	v_cvt_u32_f32_e32 v3, v3
	s_delay_alu instid0(VALU_DEP_1) | instskip(NEXT) | instid1(VALU_DEP_1)
	v_xor_b32_e32 v3, v3, v1
	v_sub_nc_u32_e32 v4, v3, v1
.LBB7_126:
	s_mov_b32 s25, 0
.LBB7_127:
	s_delay_alu instid0(SALU_CYCLE_1)
	s_and_not1_b32 vcc_lo, exec_lo, s25
	s_cbranch_vccnz .LBB7_129
; %bb.128:
	global_load_b32 v1, v[8:9], off
	s_wait_loadcnt 0x0
	v_cvt_f32_f16_e32 v1, v1
	s_delay_alu instid0(VALU_DEP_1)
	v_cvt_i32_f32_e32 v4, v1
.LBB7_129:
	s_mov_b32 s25, 0
.LBB7_130:
	s_delay_alu instid0(SALU_CYCLE_1)
	s_and_not1_b32 vcc_lo, exec_lo, s25
	s_cbranch_vccnz .LBB7_141
; %bb.131:
	s_cmp_lt_i32 s0, 6
	s_cbranch_scc1 .LBB7_134
; %bb.132:
	s_cmp_gt_i32 s0, 6
	s_cbranch_scc0 .LBB7_135
; %bb.133:
	s_wait_loadcnt 0x0
	global_load_b64 v[4:5], v[8:9], off
	s_mov_b32 s25, 0
	s_wait_loadcnt 0x0
	v_trunc_f64_e32 v[4:5], v[4:5]
	s_delay_alu instid0(VALU_DEP_1) | instskip(NEXT) | instid1(VALU_DEP_1)
	v_ldexp_f64 v[10:11], v[4:5], 0xffffffe0
	v_floor_f64_e32 v[10:11], v[10:11]
	s_delay_alu instid0(VALU_DEP_1) | instskip(NEXT) | instid1(VALU_DEP_1)
	v_fmamk_f64 v[4:5], v[10:11], 0xc1f00000, v[4:5]
	v_cvt_u32_f64_e32 v4, v[4:5]
	s_branch .LBB7_136
.LBB7_134:
	s_mov_b32 s25, -1
                                        ; implicit-def: $vgpr4
	s_branch .LBB7_139
.LBB7_135:
	s_mov_b32 s25, -1
                                        ; implicit-def: $vgpr4
.LBB7_136:
	s_delay_alu instid0(SALU_CYCLE_1)
	s_and_not1_b32 vcc_lo, exec_lo, s25
	s_cbranch_vccnz .LBB7_138
; %bb.137:
	global_load_b32 v1, v[8:9], off
	s_wait_loadcnt 0x0
	v_trunc_f32_e32 v1, v1
	s_delay_alu instid0(VALU_DEP_1) | instskip(NEXT) | instid1(VALU_DEP_1)
	v_mul_f32_e64 v3, 0x2f800000, |v1|
	v_floor_f32_e32 v3, v3
	s_delay_alu instid0(VALU_DEP_1) | instskip(SKIP_1) | instid1(VALU_DEP_2)
	v_fma_f32 v3, 0xcf800000, v3, |v1|
	v_ashrrev_i32_e32 v1, 31, v1
	v_cvt_u32_f32_e32 v3, v3
	s_delay_alu instid0(VALU_DEP_1) | instskip(NEXT) | instid1(VALU_DEP_1)
	v_xor_b32_e32 v3, v3, v1
	v_sub_nc_u32_e32 v4, v3, v1
.LBB7_138:
	s_mov_b32 s25, 0
.LBB7_139:
	s_delay_alu instid0(SALU_CYCLE_1)
	s_and_not1_b32 vcc_lo, exec_lo, s25
	s_cbranch_vccnz .LBB7_141
; %bb.140:
	global_load_u16 v1, v[8:9], off
	s_wait_loadcnt 0x0
	v_cvt_f32_f16_e32 v1, v1
	s_delay_alu instid0(VALU_DEP_1)
	v_cvt_i32_f32_e32 v4, v1
.LBB7_141:
	s_cbranch_execnz .LBB7_161
.LBB7_142:
	s_cmp_lt_i32 s0, 2
	s_cbranch_scc1 .LBB7_146
; %bb.143:
	s_cmp_lt_i32 s0, 3
	s_cbranch_scc1 .LBB7_147
; %bb.144:
	s_cmp_gt_i32 s0, 3
	s_cbranch_scc0 .LBB7_148
; %bb.145:
	s_wait_loadcnt 0x0
	global_load_b64 v[4:5], v[8:9], off
	s_mov_b32 s25, 0
	s_branch .LBB7_149
.LBB7_146:
	s_mov_b32 s25, -1
                                        ; implicit-def: $vgpr4
	s_branch .LBB7_155
.LBB7_147:
	s_mov_b32 s25, -1
                                        ; implicit-def: $vgpr4
	s_branch .LBB7_152
.LBB7_148:
	s_mov_b32 s25, -1
                                        ; implicit-def: $vgpr4
.LBB7_149:
	s_delay_alu instid0(SALU_CYCLE_1)
	s_and_not1_b32 vcc_lo, exec_lo, s25
	s_cbranch_vccnz .LBB7_151
; %bb.150:
	s_wait_loadcnt 0x0
	global_load_b32 v4, v[8:9], off
.LBB7_151:
	s_mov_b32 s25, 0
.LBB7_152:
	s_delay_alu instid0(SALU_CYCLE_1)
	s_and_not1_b32 vcc_lo, exec_lo, s25
	s_cbranch_vccnz .LBB7_154
; %bb.153:
	s_wait_loadcnt 0x0
	global_load_u16 v4, v[8:9], off
.LBB7_154:
	s_mov_b32 s25, 0
.LBB7_155:
	s_delay_alu instid0(SALU_CYCLE_1)
	s_and_not1_b32 vcc_lo, exec_lo, s25
	s_cbranch_vccnz .LBB7_161
; %bb.156:
	s_cmp_gt_i32 s0, 0
	s_mov_b32 s0, 0
	s_cbranch_scc0 .LBB7_158
; %bb.157:
	s_wait_loadcnt 0x0
	global_load_u8 v4, v[8:9], off
	s_branch .LBB7_159
.LBB7_158:
	s_mov_b32 s0, -1
                                        ; implicit-def: $vgpr4
.LBB7_159:
	s_delay_alu instid0(SALU_CYCLE_1)
	s_and_not1_b32 vcc_lo, exec_lo, s0
	s_cbranch_vccnz .LBB7_161
; %bb.160:
	s_wait_loadcnt 0x0
	global_load_u8 v4, v[8:9], off
.LBB7_161:
	s_branch .LBB7_22
.LBB7_162:
	s_mov_b32 s0, 0
	s_mov_b32 s25, 0
	s_branch .LBB7_386
.LBB7_163:
	s_mov_b32 s25, -1
.LBB7_164:
	s_mov_b32 s39, 0
                                        ; implicit-def: $vgpr6
.LBB7_165:
	s_and_b32 vcc_lo, exec_lo, s40
	s_cbranch_vccz .LBB7_280
; %bb.166:
	s_cmp_eq_u32 s38, 44
	s_cbranch_scc0 .LBB7_279
; %bb.167:
	global_load_u8 v1, v[8:9], off
	s_mov_b32 s25, 0
	s_mov_b32 s39, -1
	s_wait_loadcnt 0x0
	v_lshlrev_b32_e32 v3, 23, v1
	v_cmp_ne_u32_e32 vcc_lo, 0, v1
	s_delay_alu instid0(VALU_DEP_2) | instskip(NEXT) | instid1(VALU_DEP_1)
	v_trunc_f32_e32 v3, v3
	v_mul_f32_e64 v5, 0x2f800000, |v3|
	s_delay_alu instid0(VALU_DEP_1) | instskip(NEXT) | instid1(VALU_DEP_1)
	v_floor_f32_e32 v5, v5
	v_fma_f32 v5, 0xcf800000, v5, |v3|
	v_ashrrev_i32_e32 v3, 31, v3
	s_delay_alu instid0(VALU_DEP_2) | instskip(NEXT) | instid1(VALU_DEP_1)
	v_cvt_u32_f32_e32 v5, v5
	v_xor_b32_e32 v5, v5, v3
	s_delay_alu instid0(VALU_DEP_1) | instskip(NEXT) | instid1(VALU_DEP_1)
	v_sub_nc_u32_e32 v3, v5, v3
	v_cndmask_b32_e32 v6, 0, v3, vcc_lo
	s_branch .LBB7_280
.LBB7_168:
	s_mov_b32 s42, -1
	s_mov_b32 s0, 0
	s_mov_b32 s40, 0
.LBB7_169:
	s_and_b32 vcc_lo, exec_lo, s42
	s_cbranch_vccz .LBB7_174
; %bb.170:
	s_cmp_eq_u32 s39, 44
	s_mov_b32 s0, -1
	s_cbranch_scc0 .LBB7_174
; %bb.171:
	v_cvt_f32_ubyte0_e32 v5, v6
	s_mov_b32 s40, exec_lo
	s_wait_xcnt 0x0
	s_delay_alu instid0(VALU_DEP_1) | instskip(NEXT) | instid1(VALU_DEP_1)
	v_dual_mov_b32 v4, 0xff :: v_dual_lshrrev_b32 v1, 23, v5
	v_cmpx_ne_u32_e32 0xff, v1
; %bb.172:
	v_and_b32_e32 v4, 0x400000, v5
	v_and_or_b32 v5, 0x3fffff, v5, v1
	s_delay_alu instid0(VALU_DEP_2) | instskip(NEXT) | instid1(VALU_DEP_2)
	v_cmp_ne_u32_e32 vcc_lo, 0, v4
	v_cmp_ne_u32_e64 s0, 0, v5
	s_and_b32 s0, vcc_lo, s0
	s_delay_alu instid0(SALU_CYCLE_1) | instskip(NEXT) | instid1(VALU_DEP_1)
	v_cndmask_b32_e64 v4, 0, 1, s0
	v_add_nc_u32_e32 v4, v1, v4
; %bb.173:
	s_or_b32 exec_lo, exec_lo, s40
	s_mov_b32 s40, -1
	s_mov_b32 s0, 0
	global_store_b8 v[2:3], v4, off
.LBB7_174:
	s_mov_b32 s42, 0
.LBB7_175:
	s_delay_alu instid0(SALU_CYCLE_1)
	s_and_b32 vcc_lo, exec_lo, s42
	s_cbranch_vccz .LBB7_178
; %bb.176:
	s_cmp_eq_u32 s39, 29
	s_mov_b32 s0, -1
	s_cbranch_scc0 .LBB7_178
; %bb.177:
	s_wait_xcnt 0x0
	v_and_b32_e32 v4, 0xff, v6
	v_mov_b32_e32 v5, 0
	s_mov_b32 s40, -1
	s_mov_b32 s0, 0
	s_mov_b32 s42, 0
	global_store_b64 v[2:3], v[4:5], off
	s_branch .LBB7_179
.LBB7_178:
	s_mov_b32 s42, 0
.LBB7_179:
	s_delay_alu instid0(SALU_CYCLE_1)
	s_and_b32 vcc_lo, exec_lo, s42
	s_cbranch_vccz .LBB7_195
; %bb.180:
	s_cmp_lt_i32 s39, 27
	s_mov_b32 s40, -1
	s_cbranch_scc1 .LBB7_186
; %bb.181:
	s_cmp_gt_i32 s39, 27
	s_cbranch_scc0 .LBB7_183
; %bb.182:
	s_wait_xcnt 0x0
	v_and_b32_e32 v1, 0xff, v6
	s_mov_b32 s40, 0
	global_store_b32 v[2:3], v1, off
.LBB7_183:
	s_and_not1_b32 vcc_lo, exec_lo, s40
	s_cbranch_vccnz .LBB7_185
; %bb.184:
	s_wait_xcnt 0x0
	v_and_b32_e32 v1, 0xff, v6
	global_store_b16 v[2:3], v1, off
.LBB7_185:
	s_mov_b32 s40, 0
.LBB7_186:
	s_delay_alu instid0(SALU_CYCLE_1)
	s_and_not1_b32 vcc_lo, exec_lo, s40
	s_cbranch_vccnz .LBB7_194
; %bb.187:
	s_wait_xcnt 0x0
	v_cvt_f32_ubyte0_e32 v4, v6
	v_mov_b32_e32 v5, 0x80
	s_mov_b32 s40, exec_lo
	s_delay_alu instid0(VALU_DEP_2)
	v_cmpx_gt_u32_e32 0x43800000, v4
	s_cbranch_execz .LBB7_193
; %bb.188:
	s_mov_b32 s42, 0
	s_mov_b32 s43, exec_lo
                                        ; implicit-def: $vgpr1
	v_cmpx_lt_u32_e32 0x3bffffff, v4
	s_xor_b32 s43, exec_lo, s43
	s_cbranch_execz .LBB7_428
; %bb.189:
	v_bfe_u32 v1, v4, 20, 1
	s_mov_b32 s42, exec_lo
	s_delay_alu instid0(VALU_DEP_1) | instskip(NEXT) | instid1(VALU_DEP_1)
	v_add3_u32 v1, v4, v1, 0x487ffff
                                        ; implicit-def: $vgpr4
	v_lshrrev_b32_e32 v1, 20, v1
	s_and_not1_saveexec_b32 s43, s43
	s_cbranch_execnz .LBB7_429
.LBB7_190:
	s_or_b32 exec_lo, exec_lo, s43
	v_mov_b32_e32 v5, 0
	s_and_saveexec_b32 s43, s42
.LBB7_191:
	v_mov_b32_e32 v5, v1
.LBB7_192:
	s_or_b32 exec_lo, exec_lo, s43
.LBB7_193:
	s_delay_alu instid0(SALU_CYCLE_1)
	s_or_b32 exec_lo, exec_lo, s40
	global_store_b8 v[2:3], v5, off
.LBB7_194:
	s_mov_b32 s40, -1
.LBB7_195:
	s_mov_b32 s42, 0
.LBB7_196:
	s_delay_alu instid0(SALU_CYCLE_1)
	s_and_b32 vcc_lo, exec_lo, s42
	s_cbranch_vccz .LBB7_237
; %bb.197:
	s_cmp_gt_i32 s39, 22
	s_mov_b32 s42, -1
	s_cbranch_scc0 .LBB7_229
; %bb.198:
	s_cmp_lt_i32 s39, 24
	s_mov_b32 s40, -1
	s_cbranch_scc1 .LBB7_218
; %bb.199:
	s_cmp_gt_i32 s39, 24
	s_cbranch_scc0 .LBB7_207
; %bb.200:
	s_wait_xcnt 0x0
	v_cvt_f32_ubyte0_e32 v4, v6
	v_mov_b32_e32 v5, 0x80
	s_mov_b32 s40, exec_lo
	s_delay_alu instid0(VALU_DEP_2)
	v_cmpx_gt_u32_e32 0x47800000, v4
	s_cbranch_execz .LBB7_206
; %bb.201:
	s_mov_b32 s42, 0
	s_mov_b32 s43, exec_lo
                                        ; implicit-def: $vgpr1
	v_cmpx_lt_u32_e32 0x37ffffff, v4
	s_xor_b32 s43, exec_lo, s43
	s_cbranch_execz .LBB7_543
; %bb.202:
	v_bfe_u32 v1, v4, 21, 1
	s_mov_b32 s42, exec_lo
	s_delay_alu instid0(VALU_DEP_1) | instskip(NEXT) | instid1(VALU_DEP_1)
	v_add3_u32 v1, v4, v1, 0x88fffff
                                        ; implicit-def: $vgpr4
	v_lshrrev_b32_e32 v1, 21, v1
	s_and_not1_saveexec_b32 s43, s43
	s_cbranch_execnz .LBB7_544
.LBB7_203:
	s_or_b32 exec_lo, exec_lo, s43
	v_mov_b32_e32 v5, 0
	s_and_saveexec_b32 s43, s42
.LBB7_204:
	v_mov_b32_e32 v5, v1
.LBB7_205:
	s_or_b32 exec_lo, exec_lo, s43
.LBB7_206:
	s_delay_alu instid0(SALU_CYCLE_1)
	s_or_b32 exec_lo, exec_lo, s40
	s_mov_b32 s40, 0
	global_store_b8 v[2:3], v5, off
.LBB7_207:
	s_and_b32 vcc_lo, exec_lo, s40
	s_cbranch_vccz .LBB7_217
; %bb.208:
	s_wait_xcnt 0x0
	v_cvt_f32_ubyte0_e32 v4, v6
	s_mov_b32 s40, exec_lo
                                        ; implicit-def: $vgpr1
	s_delay_alu instid0(VALU_DEP_1)
	v_cmpx_gt_u32_e32 0x43f00000, v4
	s_xor_b32 s40, exec_lo, s40
	s_cbranch_execz .LBB7_214
; %bb.209:
	s_mov_b32 s42, exec_lo
                                        ; implicit-def: $vgpr1
	v_cmpx_lt_u32_e32 0x3c7fffff, v4
	s_xor_b32 s42, exec_lo, s42
; %bb.210:
	v_bfe_u32 v1, v4, 20, 1
	s_delay_alu instid0(VALU_DEP_1) | instskip(NEXT) | instid1(VALU_DEP_1)
	v_add3_u32 v1, v4, v1, 0x407ffff
	v_and_b32_e32 v4, 0xff00000, v1
	v_lshrrev_b32_e32 v1, 20, v1
	s_delay_alu instid0(VALU_DEP_2) | instskip(NEXT) | instid1(VALU_DEP_2)
	v_cmp_ne_u32_e32 vcc_lo, 0x7f00000, v4
                                        ; implicit-def: $vgpr4
	v_cndmask_b32_e32 v1, 0x7e, v1, vcc_lo
; %bb.211:
	s_and_not1_saveexec_b32 s42, s42
; %bb.212:
	v_add_f32_e32 v1, 0x46800000, v4
; %bb.213:
	s_or_b32 exec_lo, exec_lo, s42
                                        ; implicit-def: $vgpr4
.LBB7_214:
	s_and_not1_saveexec_b32 s40, s40
; %bb.215:
	v_mov_b32_e32 v1, 0x7f
	v_cmp_lt_u32_e32 vcc_lo, 0x7f800000, v4
	s_delay_alu instid0(VALU_DEP_2)
	v_cndmask_b32_e32 v1, 0x7e, v1, vcc_lo
; %bb.216:
	s_or_b32 exec_lo, exec_lo, s40
	global_store_b8 v[2:3], v1, off
.LBB7_217:
	s_mov_b32 s40, 0
.LBB7_218:
	s_delay_alu instid0(SALU_CYCLE_1)
	s_and_not1_b32 vcc_lo, exec_lo, s40
	s_cbranch_vccnz .LBB7_228
; %bb.219:
	s_wait_xcnt 0x0
	v_cvt_f32_ubyte0_e32 v4, v6
	s_mov_b32 s40, exec_lo
                                        ; implicit-def: $vgpr1
	s_delay_alu instid0(VALU_DEP_1)
	v_cmpx_gt_u32_e32 0x47800000, v4
	s_xor_b32 s40, exec_lo, s40
	s_cbranch_execz .LBB7_225
; %bb.220:
	s_mov_b32 s42, exec_lo
                                        ; implicit-def: $vgpr1
	v_cmpx_lt_u32_e32 0x387fffff, v4
	s_xor_b32 s42, exec_lo, s42
; %bb.221:
	v_bfe_u32 v1, v4, 21, 1
	s_delay_alu instid0(VALU_DEP_1) | instskip(NEXT) | instid1(VALU_DEP_1)
	v_add3_u32 v1, v4, v1, 0x80fffff
                                        ; implicit-def: $vgpr4
	v_lshrrev_b32_e32 v1, 21, v1
; %bb.222:
	s_and_not1_saveexec_b32 s42, s42
; %bb.223:
	v_add_f32_e32 v1, 0x43000000, v4
; %bb.224:
	s_or_b32 exec_lo, exec_lo, s42
                                        ; implicit-def: $vgpr4
.LBB7_225:
	s_and_not1_saveexec_b32 s40, s40
; %bb.226:
	v_mov_b32_e32 v1, 0x7f
	v_cmp_lt_u32_e32 vcc_lo, 0x7f800000, v4
	s_delay_alu instid0(VALU_DEP_2)
	v_cndmask_b32_e32 v1, 0x7c, v1, vcc_lo
; %bb.227:
	s_or_b32 exec_lo, exec_lo, s40
	global_store_b8 v[2:3], v1, off
.LBB7_228:
	s_mov_b32 s42, 0
	s_mov_b32 s40, -1
.LBB7_229:
	s_and_not1_b32 vcc_lo, exec_lo, s42
	s_cbranch_vccnz .LBB7_237
; %bb.230:
	s_cmp_gt_i32 s39, 14
	s_mov_b32 s42, -1
	s_cbranch_scc0 .LBB7_234
; %bb.231:
	s_cmp_eq_u32 s39, 15
	s_mov_b32 s0, -1
	s_cbranch_scc0 .LBB7_233
; %bb.232:
	s_wait_xcnt 0x0
	v_cvt_f32_ubyte0_e32 v1, v6
	s_mov_b32 s40, -1
	s_mov_b32 s0, 0
	s_delay_alu instid0(VALU_DEP_1) | instskip(NEXT) | instid1(VALU_DEP_1)
	v_bfe_u32 v4, v1, 16, 1
	v_add3_u32 v1, v1, v4, 0x7fff
	global_store_d16_hi_b16 v[2:3], v1, off
.LBB7_233:
	s_mov_b32 s42, 0
.LBB7_234:
	s_delay_alu instid0(SALU_CYCLE_1)
	s_and_b32 vcc_lo, exec_lo, s42
	s_cbranch_vccz .LBB7_237
; %bb.235:
	s_cmp_eq_u32 s39, 11
	s_mov_b32 s0, -1
	s_cbranch_scc0 .LBB7_237
; %bb.236:
	s_wait_xcnt 0x0
	v_and_b32_e32 v1, 0xff, v6
	s_mov_b32 s0, 0
	s_mov_b32 s40, -1
	s_delay_alu instid0(VALU_DEP_1)
	v_cmp_ne_u16_e32 vcc_lo, 0, v1
	v_cndmask_b32_e64 v1, 0, 1, vcc_lo
	global_store_b8 v[2:3], v1, off
.LBB7_237:
	s_mov_b32 s39, 0
.LBB7_238:
	s_delay_alu instid0(SALU_CYCLE_1)
	s_and_b32 vcc_lo, exec_lo, s39
	s_cbranch_vccz .LBB7_277
; %bb.239:
	s_and_b32 s38, 0xffff, s38
	s_mov_b32 s39, -1
	s_cmp_lt_i32 s38, 5
	s_cbranch_scc1 .LBB7_260
; %bb.240:
	s_cmp_lt_i32 s38, 8
	s_cbranch_scc1 .LBB7_250
; %bb.241:
	;; [unrolled: 3-line block ×3, first 2 shown]
	s_cmp_gt_i32 s38, 9
	s_cbranch_scc0 .LBB7_244
; %bb.243:
	s_wait_xcnt 0x0
	v_and_b32_e32 v1, 0xff, v6
	v_mov_b32_e32 v10, 0
	s_mov_b32 s39, 0
	s_delay_alu instid0(VALU_DEP_2) | instskip(NEXT) | instid1(VALU_DEP_2)
	v_and_b32_e32 v1, 0xffff, v1
	v_mov_b32_e32 v11, v10
	s_delay_alu instid0(VALU_DEP_2)
	v_cvt_f64_u32_e32 v[8:9], v1
	global_store_b128 v[2:3], v[8:11], off
.LBB7_244:
	s_and_not1_b32 vcc_lo, exec_lo, s39
	s_cbranch_vccnz .LBB7_246
; %bb.245:
	s_wait_xcnt 0x0
	v_cvt_f32_ubyte0_e32 v4, v6
	v_mov_b32_e32 v5, 0
	global_store_b64 v[2:3], v[4:5], off
.LBB7_246:
	s_mov_b32 s39, 0
.LBB7_247:
	s_delay_alu instid0(SALU_CYCLE_1)
	s_and_not1_b32 vcc_lo, exec_lo, s39
	s_cbranch_vccnz .LBB7_249
; %bb.248:
	s_wait_xcnt 0x0
	v_and_b32_e32 v1, 0xff, v6
	s_delay_alu instid0(VALU_DEP_1) | instskip(NEXT) | instid1(VALU_DEP_1)
	v_cvt_f16_u16_e32 v1, v1
	v_and_b32_e32 v1, 0xffff, v1
	global_store_b32 v[2:3], v1, off
.LBB7_249:
	s_mov_b32 s39, 0
.LBB7_250:
	s_delay_alu instid0(SALU_CYCLE_1)
	s_and_not1_b32 vcc_lo, exec_lo, s39
	s_cbranch_vccnz .LBB7_259
; %bb.251:
	s_cmp_lt_i32 s38, 6
	s_mov_b32 s39, -1
	s_cbranch_scc1 .LBB7_257
; %bb.252:
	s_cmp_gt_i32 s38, 6
	s_cbranch_scc0 .LBB7_254
; %bb.253:
	s_wait_xcnt 0x0
	v_and_b32_e32 v1, 0xff, v6
	s_mov_b32 s39, 0
	s_delay_alu instid0(VALU_DEP_1) | instskip(NEXT) | instid1(VALU_DEP_1)
	v_and_b32_e32 v1, 0xffff, v1
	v_cvt_f64_u32_e32 v[4:5], v1
	global_store_b64 v[2:3], v[4:5], off
.LBB7_254:
	s_and_not1_b32 vcc_lo, exec_lo, s39
	s_cbranch_vccnz .LBB7_256
; %bb.255:
	s_wait_xcnt 0x0
	v_cvt_f32_ubyte0_e32 v1, v6
	global_store_b32 v[2:3], v1, off
.LBB7_256:
	s_mov_b32 s39, 0
.LBB7_257:
	s_delay_alu instid0(SALU_CYCLE_1)
	s_and_not1_b32 vcc_lo, exec_lo, s39
	s_cbranch_vccnz .LBB7_259
; %bb.258:
	s_wait_xcnt 0x0
	v_and_b32_e32 v1, 0xff, v6
	s_delay_alu instid0(VALU_DEP_1)
	v_cvt_f16_u16_e32 v1, v1
	global_store_b16 v[2:3], v1, off
.LBB7_259:
	s_mov_b32 s39, 0
.LBB7_260:
	s_delay_alu instid0(SALU_CYCLE_1)
	s_and_not1_b32 vcc_lo, exec_lo, s39
	s_cbranch_vccnz .LBB7_276
; %bb.261:
	s_cmp_lt_i32 s38, 2
	s_mov_b32 s39, -1
	s_cbranch_scc1 .LBB7_271
; %bb.262:
	s_cmp_lt_i32 s38, 3
	s_cbranch_scc1 .LBB7_268
; %bb.263:
	s_cmp_gt_i32 s38, 3
	s_cbranch_scc0 .LBB7_265
; %bb.264:
	s_wait_xcnt 0x0
	v_and_b32_e32 v4, 0xff, v6
	v_mov_b32_e32 v5, 0
	s_mov_b32 s39, 0
	global_store_b64 v[2:3], v[4:5], off
.LBB7_265:
	s_and_not1_b32 vcc_lo, exec_lo, s39
	s_cbranch_vccnz .LBB7_267
; %bb.266:
	s_wait_xcnt 0x0
	v_and_b32_e32 v1, 0xff, v6
	global_store_b32 v[2:3], v1, off
.LBB7_267:
	s_mov_b32 s39, 0
.LBB7_268:
	s_delay_alu instid0(SALU_CYCLE_1)
	s_and_not1_b32 vcc_lo, exec_lo, s39
	s_cbranch_vccnz .LBB7_270
; %bb.269:
	s_wait_xcnt 0x0
	v_and_b32_e32 v1, 0xff, v6
	global_store_b16 v[2:3], v1, off
.LBB7_270:
	s_mov_b32 s39, 0
.LBB7_271:
	s_delay_alu instid0(SALU_CYCLE_1)
	s_and_not1_b32 vcc_lo, exec_lo, s39
	s_cbranch_vccnz .LBB7_276
; %bb.272:
	s_cmp_gt_i32 s38, 0
	s_mov_b32 s38, -1
	s_cbranch_scc0 .LBB7_274
; %bb.273:
	s_mov_b32 s38, 0
	global_store_b8 v[2:3], v6, off
.LBB7_274:
	s_and_not1_b32 vcc_lo, exec_lo, s38
	s_cbranch_vccnz .LBB7_276
; %bb.275:
	global_store_b8 v[2:3], v6, off
.LBB7_276:
	s_mov_b32 s40, -1
.LBB7_277:
	s_delay_alu instid0(SALU_CYCLE_1)
	s_and_not1_b32 vcc_lo, exec_lo, s40
	s_cbranch_vccnz .LBB7_386
; %bb.278:
	v_add_nc_u32_e32 v0, 0x80, v0
	s_mov_b32 s42, -1
	s_branch .LBB7_387
.LBB7_279:
	s_mov_b32 s25, -1
                                        ; implicit-def: $vgpr6
.LBB7_280:
	s_mov_b32 s40, 0
.LBB7_281:
	s_delay_alu instid0(SALU_CYCLE_1)
	s_and_b32 vcc_lo, exec_lo, s40
	s_cbranch_vccz .LBB7_285
; %bb.282:
	s_cmp_eq_u32 s38, 29
	s_cbranch_scc0 .LBB7_284
; %bb.283:
	global_load_b64 v[6:7], v[8:9], off
	s_mov_b32 s39, -1
	s_mov_b32 s25, 0
	s_branch .LBB7_285
.LBB7_284:
	s_mov_b32 s25, -1
                                        ; implicit-def: $vgpr6
.LBB7_285:
	s_mov_b32 s40, 0
.LBB7_286:
	s_delay_alu instid0(SALU_CYCLE_1)
	s_and_b32 vcc_lo, exec_lo, s40
	s_cbranch_vccz .LBB7_302
; %bb.287:
	s_cmp_lt_i32 s38, 27
	s_cbranch_scc1 .LBB7_290
; %bb.288:
	s_cmp_gt_i32 s38, 27
	s_cbranch_scc0 .LBB7_291
; %bb.289:
	s_wait_loadcnt 0x0
	global_load_b32 v6, v[8:9], off
	s_mov_b32 s39, 0
	s_branch .LBB7_292
.LBB7_290:
	s_mov_b32 s39, -1
                                        ; implicit-def: $vgpr6
	s_branch .LBB7_295
.LBB7_291:
	s_mov_b32 s39, -1
                                        ; implicit-def: $vgpr6
.LBB7_292:
	s_delay_alu instid0(SALU_CYCLE_1)
	s_and_not1_b32 vcc_lo, exec_lo, s39
	s_cbranch_vccnz .LBB7_294
; %bb.293:
	s_wait_loadcnt 0x0
	global_load_u16 v6, v[8:9], off
.LBB7_294:
	s_mov_b32 s39, 0
.LBB7_295:
	s_delay_alu instid0(SALU_CYCLE_1)
	s_and_not1_b32 vcc_lo, exec_lo, s39
	s_cbranch_vccnz .LBB7_301
; %bb.296:
	global_load_u8 v1, v[8:9], off
	s_mov_b32 s40, 0
	s_mov_b32 s39, exec_lo
	s_wait_loadcnt 0x0
	v_cmpx_lt_i16_e32 0x7f, v1
	s_xor_b32 s39, exec_lo, s39
	s_cbranch_execz .LBB7_313
; %bb.297:
	v_cmp_ne_u16_e32 vcc_lo, 0x80, v1
	s_and_b32 s40, vcc_lo, exec_lo
	s_and_not1_saveexec_b32 s39, s39
	s_cbranch_execnz .LBB7_314
.LBB7_298:
	s_or_b32 exec_lo, exec_lo, s39
	v_mov_b32_e32 v6, 0
	s_and_saveexec_b32 s39, s40
	s_cbranch_execz .LBB7_300
.LBB7_299:
	v_and_b32_e32 v3, 0xffff, v1
	s_delay_alu instid0(VALU_DEP_1) | instskip(SKIP_1) | instid1(VALU_DEP_2)
	v_and_b32_e32 v5, 7, v3
	v_bfe_u32 v10, v3, 3, 4
	v_clz_i32_u32_e32 v6, v5
	s_delay_alu instid0(VALU_DEP_2) | instskip(NEXT) | instid1(VALU_DEP_2)
	v_cmp_eq_u32_e32 vcc_lo, 0, v10
	v_min_u32_e32 v6, 32, v6
	s_delay_alu instid0(VALU_DEP_1) | instskip(NEXT) | instid1(VALU_DEP_1)
	v_subrev_nc_u32_e32 v7, 28, v6
	v_dual_lshlrev_b32 v3, v7, v3 :: v_dual_sub_nc_u32 v6, 29, v6
	s_delay_alu instid0(VALU_DEP_1) | instskip(NEXT) | instid1(VALU_DEP_1)
	v_dual_lshlrev_b32 v1, 24, v1 :: v_dual_bitop2_b32 v3, 7, v3 bitop3:0x40
	v_dual_cndmask_b32 v6, v10, v6 :: v_dual_cndmask_b32 v3, v5, v3
	s_delay_alu instid0(VALU_DEP_2) | instskip(NEXT) | instid1(VALU_DEP_2)
	v_and_b32_e32 v1, 0x80000000, v1
	v_lshl_add_u32 v5, v6, 23, 0x3b800000
	s_delay_alu instid0(VALU_DEP_3) | instskip(NEXT) | instid1(VALU_DEP_1)
	v_lshlrev_b32_e32 v3, 20, v3
	v_or3_b32 v1, v1, v5, v3
	s_delay_alu instid0(VALU_DEP_1) | instskip(NEXT) | instid1(VALU_DEP_1)
	v_trunc_f32_e32 v1, v1
	v_mul_f32_e64 v3, 0x2f800000, |v1|
	s_delay_alu instid0(VALU_DEP_1) | instskip(NEXT) | instid1(VALU_DEP_1)
	v_floor_f32_e32 v3, v3
	v_fma_f32 v3, 0xcf800000, v3, |v1|
	v_ashrrev_i32_e32 v1, 31, v1
	s_delay_alu instid0(VALU_DEP_2) | instskip(NEXT) | instid1(VALU_DEP_1)
	v_cvt_u32_f32_e32 v3, v3
	v_xor_b32_e32 v3, v3, v1
	s_delay_alu instid0(VALU_DEP_1)
	v_sub_nc_u32_e32 v6, v3, v1
.LBB7_300:
	s_or_b32 exec_lo, exec_lo, s39
.LBB7_301:
	s_mov_b32 s39, -1
.LBB7_302:
	s_mov_b32 s40, 0
.LBB7_303:
	s_delay_alu instid0(SALU_CYCLE_1)
	s_and_b32 vcc_lo, exec_lo, s40
	s_cbranch_vccz .LBB7_336
; %bb.304:
	s_cmp_gt_i32 s38, 22
	s_cbranch_scc0 .LBB7_312
; %bb.305:
	s_cmp_lt_i32 s38, 24
	s_cbranch_scc1 .LBB7_315
; %bb.306:
	s_cmp_gt_i32 s38, 24
	s_cbranch_scc0 .LBB7_316
; %bb.307:
	global_load_u8 v1, v[8:9], off
	s_mov_b32 s40, 0
	s_mov_b32 s39, exec_lo
	s_wait_loadcnt 0x0
	v_cmpx_lt_i16_e32 0x7f, v1
	s_xor_b32 s39, exec_lo, s39
	s_cbranch_execz .LBB7_328
; %bb.308:
	v_cmp_ne_u16_e32 vcc_lo, 0x80, v1
	s_and_b32 s40, vcc_lo, exec_lo
	s_and_not1_saveexec_b32 s39, s39
	s_cbranch_execnz .LBB7_329
.LBB7_309:
	s_or_b32 exec_lo, exec_lo, s39
	v_mov_b32_e32 v6, 0
	s_and_saveexec_b32 s39, s40
	s_cbranch_execz .LBB7_311
.LBB7_310:
	v_and_b32_e32 v3, 0xffff, v1
	s_delay_alu instid0(VALU_DEP_1) | instskip(SKIP_1) | instid1(VALU_DEP_2)
	v_and_b32_e32 v5, 3, v3
	v_bfe_u32 v10, v3, 2, 5
	v_clz_i32_u32_e32 v6, v5
	s_delay_alu instid0(VALU_DEP_2) | instskip(NEXT) | instid1(VALU_DEP_2)
	v_cmp_eq_u32_e32 vcc_lo, 0, v10
	v_min_u32_e32 v6, 32, v6
	s_delay_alu instid0(VALU_DEP_1) | instskip(NEXT) | instid1(VALU_DEP_1)
	v_subrev_nc_u32_e32 v7, 29, v6
	v_dual_lshlrev_b32 v3, v7, v3 :: v_dual_sub_nc_u32 v6, 30, v6
	s_delay_alu instid0(VALU_DEP_1) | instskip(NEXT) | instid1(VALU_DEP_1)
	v_dual_lshlrev_b32 v1, 24, v1 :: v_dual_bitop2_b32 v3, 3, v3 bitop3:0x40
	v_dual_cndmask_b32 v6, v10, v6 :: v_dual_cndmask_b32 v3, v5, v3
	s_delay_alu instid0(VALU_DEP_2) | instskip(NEXT) | instid1(VALU_DEP_2)
	v_and_b32_e32 v1, 0x80000000, v1
	v_lshl_add_u32 v5, v6, 23, 0x37800000
	s_delay_alu instid0(VALU_DEP_3) | instskip(NEXT) | instid1(VALU_DEP_1)
	v_lshlrev_b32_e32 v3, 21, v3
	v_or3_b32 v1, v1, v5, v3
	s_delay_alu instid0(VALU_DEP_1) | instskip(NEXT) | instid1(VALU_DEP_1)
	v_trunc_f32_e32 v1, v1
	v_mul_f32_e64 v3, 0x2f800000, |v1|
	s_delay_alu instid0(VALU_DEP_1) | instskip(NEXT) | instid1(VALU_DEP_1)
	v_floor_f32_e32 v3, v3
	v_fma_f32 v3, 0xcf800000, v3, |v1|
	v_ashrrev_i32_e32 v1, 31, v1
	s_delay_alu instid0(VALU_DEP_2) | instskip(NEXT) | instid1(VALU_DEP_1)
	v_cvt_u32_f32_e32 v3, v3
	v_xor_b32_e32 v3, v3, v1
	s_delay_alu instid0(VALU_DEP_1)
	v_sub_nc_u32_e32 v6, v3, v1
.LBB7_311:
	s_or_b32 exec_lo, exec_lo, s39
	s_mov_b32 s39, 0
	s_branch .LBB7_317
.LBB7_312:
	s_mov_b32 s40, -1
                                        ; implicit-def: $vgpr6
	s_branch .LBB7_323
.LBB7_313:
	s_and_not1_saveexec_b32 s39, s39
	s_cbranch_execz .LBB7_298
.LBB7_314:
	v_cmp_ne_u16_e32 vcc_lo, 0, v1
	s_and_not1_b32 s40, s40, exec_lo
	s_and_b32 s42, vcc_lo, exec_lo
	s_delay_alu instid0(SALU_CYCLE_1)
	s_or_b32 s40, s40, s42
	s_or_b32 exec_lo, exec_lo, s39
	v_mov_b32_e32 v6, 0
	s_and_saveexec_b32 s39, s40
	s_cbranch_execnz .LBB7_299
	s_branch .LBB7_300
.LBB7_315:
	s_mov_b32 s39, -1
                                        ; implicit-def: $vgpr6
	s_branch .LBB7_320
.LBB7_316:
	s_mov_b32 s39, -1
                                        ; implicit-def: $vgpr6
.LBB7_317:
	s_delay_alu instid0(SALU_CYCLE_1)
	s_and_b32 vcc_lo, exec_lo, s39
	s_cbranch_vccz .LBB7_319
; %bb.318:
	global_load_u8 v1, v[8:9], off
	s_wait_loadcnt 0x0
	v_lshlrev_b32_e32 v1, 24, v1
	s_delay_alu instid0(VALU_DEP_1) | instskip(NEXT) | instid1(VALU_DEP_1)
	v_and_b32_e32 v3, 0x7f000000, v1
	v_clz_i32_u32_e32 v5, v3
	v_add_nc_u32_e32 v7, 0x1000000, v3
	v_cmp_ne_u32_e32 vcc_lo, 0, v3
	s_delay_alu instid0(VALU_DEP_3) | instskip(NEXT) | instid1(VALU_DEP_1)
	v_min_u32_e32 v5, 32, v5
	v_sub_nc_u32_e64 v5, v5, 4 clamp
	s_delay_alu instid0(VALU_DEP_1) | instskip(NEXT) | instid1(VALU_DEP_1)
	v_dual_lshlrev_b32 v6, v5, v3 :: v_dual_lshlrev_b32 v5, 23, v5
	v_lshrrev_b32_e32 v6, 4, v6
	s_delay_alu instid0(VALU_DEP_1) | instskip(NEXT) | instid1(VALU_DEP_1)
	v_dual_sub_nc_u32 v5, v6, v5 :: v_dual_ashrrev_i32 v6, 8, v7
	v_add_nc_u32_e32 v5, 0x3c000000, v5
	s_delay_alu instid0(VALU_DEP_1) | instskip(NEXT) | instid1(VALU_DEP_1)
	v_and_or_b32 v5, 0x7f800000, v6, v5
	v_cndmask_b32_e32 v3, 0, v5, vcc_lo
	s_delay_alu instid0(VALU_DEP_1) | instskip(NEXT) | instid1(VALU_DEP_1)
	v_and_or_b32 v1, 0x80000000, v1, v3
	v_trunc_f32_e32 v1, v1
	s_delay_alu instid0(VALU_DEP_1) | instskip(NEXT) | instid1(VALU_DEP_1)
	v_mul_f32_e64 v3, 0x2f800000, |v1|
	v_floor_f32_e32 v3, v3
	s_delay_alu instid0(VALU_DEP_1) | instskip(SKIP_1) | instid1(VALU_DEP_2)
	v_fma_f32 v3, 0xcf800000, v3, |v1|
	v_ashrrev_i32_e32 v1, 31, v1
	v_cvt_u32_f32_e32 v3, v3
	s_delay_alu instid0(VALU_DEP_1) | instskip(NEXT) | instid1(VALU_DEP_1)
	v_xor_b32_e32 v3, v3, v1
	v_sub_nc_u32_e32 v6, v3, v1
.LBB7_319:
	s_mov_b32 s39, 0
.LBB7_320:
	s_delay_alu instid0(SALU_CYCLE_1)
	s_and_not1_b32 vcc_lo, exec_lo, s39
	s_cbranch_vccnz .LBB7_322
; %bb.321:
	global_load_u8 v1, v[8:9], off
	s_wait_loadcnt 0x0
	v_lshlrev_b32_e32 v3, 25, v1
	v_lshlrev_b16 v1, 8, v1
	s_delay_alu instid0(VALU_DEP_1) | instskip(SKIP_1) | instid1(VALU_DEP_2)
	v_and_or_b32 v6, 0x7f00, v1, 0.5
	v_bfe_i32 v1, v1, 0, 16
	v_dual_add_f32 v6, -0.5, v6 :: v_dual_lshrrev_b32 v5, 4, v3
	v_cmp_gt_u32_e32 vcc_lo, 0x8000000, v3
	s_delay_alu instid0(VALU_DEP_2) | instskip(NEXT) | instid1(VALU_DEP_1)
	v_or_b32_e32 v5, 0x70000000, v5
	v_mul_f32_e32 v5, 0x7800000, v5
	s_delay_alu instid0(VALU_DEP_1) | instskip(NEXT) | instid1(VALU_DEP_1)
	v_cndmask_b32_e32 v3, v5, v6, vcc_lo
	v_and_or_b32 v1, 0x80000000, v1, v3
	s_delay_alu instid0(VALU_DEP_1) | instskip(NEXT) | instid1(VALU_DEP_1)
	v_trunc_f32_e32 v1, v1
	v_mul_f32_e64 v3, 0x2f800000, |v1|
	s_delay_alu instid0(VALU_DEP_1) | instskip(NEXT) | instid1(VALU_DEP_1)
	v_floor_f32_e32 v3, v3
	v_fma_f32 v3, 0xcf800000, v3, |v1|
	v_ashrrev_i32_e32 v1, 31, v1
	s_delay_alu instid0(VALU_DEP_2) | instskip(NEXT) | instid1(VALU_DEP_1)
	v_cvt_u32_f32_e32 v3, v3
	v_xor_b32_e32 v3, v3, v1
	s_delay_alu instid0(VALU_DEP_1)
	v_sub_nc_u32_e32 v6, v3, v1
.LBB7_322:
	s_mov_b32 s40, 0
	s_mov_b32 s39, -1
.LBB7_323:
	s_and_not1_b32 vcc_lo, exec_lo, s40
	s_cbranch_vccnz .LBB7_336
; %bb.324:
	s_cmp_gt_i32 s38, 14
	s_cbranch_scc0 .LBB7_327
; %bb.325:
	s_cmp_eq_u32 s38, 15
	s_cbranch_scc0 .LBB7_330
; %bb.326:
	global_load_u16 v1, v[8:9], off
	s_mov_b32 s39, -1
	s_mov_b32 s25, 0
	s_wait_loadcnt 0x0
	v_lshlrev_b32_e32 v1, 16, v1
	s_delay_alu instid0(VALU_DEP_1) | instskip(NEXT) | instid1(VALU_DEP_1)
	v_trunc_f32_e32 v1, v1
	v_mul_f32_e64 v3, 0x2f800000, |v1|
	s_delay_alu instid0(VALU_DEP_1) | instskip(NEXT) | instid1(VALU_DEP_1)
	v_floor_f32_e32 v3, v3
	v_fma_f32 v3, 0xcf800000, v3, |v1|
	v_ashrrev_i32_e32 v1, 31, v1
	s_delay_alu instid0(VALU_DEP_2) | instskip(NEXT) | instid1(VALU_DEP_1)
	v_cvt_u32_f32_e32 v3, v3
	v_xor_b32_e32 v3, v3, v1
	s_delay_alu instid0(VALU_DEP_1)
	v_sub_nc_u32_e32 v6, v3, v1
	s_branch .LBB7_331
.LBB7_327:
	s_mov_b32 s40, -1
                                        ; implicit-def: $vgpr6
	s_branch .LBB7_332
.LBB7_328:
	s_and_not1_saveexec_b32 s39, s39
	s_cbranch_execz .LBB7_309
.LBB7_329:
	v_cmp_ne_u16_e32 vcc_lo, 0, v1
	s_and_not1_b32 s40, s40, exec_lo
	s_and_b32 s42, vcc_lo, exec_lo
	s_delay_alu instid0(SALU_CYCLE_1)
	s_or_b32 s40, s40, s42
	s_or_b32 exec_lo, exec_lo, s39
	v_mov_b32_e32 v6, 0
	s_and_saveexec_b32 s39, s40
	s_cbranch_execnz .LBB7_310
	s_branch .LBB7_311
.LBB7_330:
	s_mov_b32 s25, -1
                                        ; implicit-def: $vgpr6
.LBB7_331:
	s_mov_b32 s40, 0
.LBB7_332:
	s_delay_alu instid0(SALU_CYCLE_1)
	s_and_b32 vcc_lo, exec_lo, s40
	s_cbranch_vccz .LBB7_336
; %bb.333:
	s_cmp_eq_u32 s38, 11
	s_cbranch_scc0 .LBB7_335
; %bb.334:
	global_load_u8 v1, v[8:9], off
	s_mov_b32 s25, 0
	s_mov_b32 s39, -1
	s_wait_loadcnt 0x0
	v_cmp_ne_u16_e32 vcc_lo, 0, v1
	v_cndmask_b32_e64 v6, 0, 1, vcc_lo
	s_branch .LBB7_336
.LBB7_335:
	s_mov_b32 s25, -1
                                        ; implicit-def: $vgpr6
.LBB7_336:
	s_branch .LBB7_31
.LBB7_337:
	s_and_b32 s0, 0xffff, s0
	s_delay_alu instid0(SALU_CYCLE_1)
	s_cmp_lt_i32 s0, 5
	s_cbranch_scc1 .LBB7_342
; %bb.338:
	s_cmp_lt_i32 s0, 8
	s_cbranch_scc1 .LBB7_343
; %bb.339:
	;; [unrolled: 3-line block ×3, first 2 shown]
	s_cmp_gt_i32 s0, 9
	s_cbranch_scc0 .LBB7_345
; %bb.341:
	s_wait_loadcnt 0x0
	global_load_b64 v[6:7], v[8:9], off
	s_mov_b32 s38, 0
	s_wait_loadcnt 0x0
	v_trunc_f64_e32 v[6:7], v[6:7]
	s_delay_alu instid0(VALU_DEP_1) | instskip(NEXT) | instid1(VALU_DEP_1)
	v_ldexp_f64 v[10:11], v[6:7], 0xffffffe0
	v_floor_f64_e32 v[10:11], v[10:11]
	s_delay_alu instid0(VALU_DEP_1) | instskip(NEXT) | instid1(VALU_DEP_1)
	v_fmamk_f64 v[6:7], v[10:11], 0xc1f00000, v[6:7]
	v_cvt_u32_f64_e32 v6, v[6:7]
	s_branch .LBB7_346
.LBB7_342:
	s_mov_b32 s38, -1
                                        ; implicit-def: $vgpr6
	s_branch .LBB7_364
.LBB7_343:
	s_mov_b32 s38, -1
                                        ; implicit-def: $vgpr6
	s_branch .LBB7_352
.LBB7_344:
	s_mov_b32 s38, -1
                                        ; implicit-def: $vgpr6
	s_branch .LBB7_349
.LBB7_345:
	s_mov_b32 s38, -1
                                        ; implicit-def: $vgpr6
.LBB7_346:
	s_delay_alu instid0(SALU_CYCLE_1)
	s_and_not1_b32 vcc_lo, exec_lo, s38
	s_cbranch_vccnz .LBB7_348
; %bb.347:
	global_load_b32 v1, v[8:9], off
	s_wait_loadcnt 0x0
	v_trunc_f32_e32 v1, v1
	s_delay_alu instid0(VALU_DEP_1) | instskip(NEXT) | instid1(VALU_DEP_1)
	v_mul_f32_e64 v3, 0x2f800000, |v1|
	v_floor_f32_e32 v3, v3
	s_delay_alu instid0(VALU_DEP_1) | instskip(SKIP_1) | instid1(VALU_DEP_2)
	v_fma_f32 v3, 0xcf800000, v3, |v1|
	v_ashrrev_i32_e32 v1, 31, v1
	v_cvt_u32_f32_e32 v3, v3
	s_delay_alu instid0(VALU_DEP_1) | instskip(NEXT) | instid1(VALU_DEP_1)
	v_xor_b32_e32 v3, v3, v1
	v_sub_nc_u32_e32 v6, v3, v1
.LBB7_348:
	s_mov_b32 s38, 0
.LBB7_349:
	s_delay_alu instid0(SALU_CYCLE_1)
	s_and_not1_b32 vcc_lo, exec_lo, s38
	s_cbranch_vccnz .LBB7_351
; %bb.350:
	global_load_b32 v1, v[8:9], off
	s_wait_loadcnt 0x0
	v_cvt_f32_f16_e32 v1, v1
	s_delay_alu instid0(VALU_DEP_1)
	v_cvt_i32_f32_e32 v6, v1
.LBB7_351:
	s_mov_b32 s38, 0
.LBB7_352:
	s_delay_alu instid0(SALU_CYCLE_1)
	s_and_not1_b32 vcc_lo, exec_lo, s38
	s_cbranch_vccnz .LBB7_363
; %bb.353:
	s_cmp_lt_i32 s0, 6
	s_cbranch_scc1 .LBB7_356
; %bb.354:
	s_cmp_gt_i32 s0, 6
	s_cbranch_scc0 .LBB7_357
; %bb.355:
	s_wait_loadcnt 0x0
	global_load_b64 v[6:7], v[8:9], off
	s_mov_b32 s38, 0
	s_wait_loadcnt 0x0
	v_trunc_f64_e32 v[6:7], v[6:7]
	s_delay_alu instid0(VALU_DEP_1) | instskip(NEXT) | instid1(VALU_DEP_1)
	v_ldexp_f64 v[10:11], v[6:7], 0xffffffe0
	v_floor_f64_e32 v[10:11], v[10:11]
	s_delay_alu instid0(VALU_DEP_1) | instskip(NEXT) | instid1(VALU_DEP_1)
	v_fmamk_f64 v[6:7], v[10:11], 0xc1f00000, v[6:7]
	v_cvt_u32_f64_e32 v6, v[6:7]
	s_branch .LBB7_358
.LBB7_356:
	s_mov_b32 s38, -1
                                        ; implicit-def: $vgpr6
	s_branch .LBB7_361
.LBB7_357:
	s_mov_b32 s38, -1
                                        ; implicit-def: $vgpr6
.LBB7_358:
	s_delay_alu instid0(SALU_CYCLE_1)
	s_and_not1_b32 vcc_lo, exec_lo, s38
	s_cbranch_vccnz .LBB7_360
; %bb.359:
	global_load_b32 v1, v[8:9], off
	s_wait_loadcnt 0x0
	v_trunc_f32_e32 v1, v1
	s_delay_alu instid0(VALU_DEP_1) | instskip(NEXT) | instid1(VALU_DEP_1)
	v_mul_f32_e64 v3, 0x2f800000, |v1|
	v_floor_f32_e32 v3, v3
	s_delay_alu instid0(VALU_DEP_1) | instskip(SKIP_1) | instid1(VALU_DEP_2)
	v_fma_f32 v3, 0xcf800000, v3, |v1|
	v_ashrrev_i32_e32 v1, 31, v1
	v_cvt_u32_f32_e32 v3, v3
	s_delay_alu instid0(VALU_DEP_1) | instskip(NEXT) | instid1(VALU_DEP_1)
	v_xor_b32_e32 v3, v3, v1
	v_sub_nc_u32_e32 v6, v3, v1
.LBB7_360:
	s_mov_b32 s38, 0
.LBB7_361:
	s_delay_alu instid0(SALU_CYCLE_1)
	s_and_not1_b32 vcc_lo, exec_lo, s38
	s_cbranch_vccnz .LBB7_363
; %bb.362:
	global_load_u16 v1, v[8:9], off
	s_wait_loadcnt 0x0
	v_cvt_f32_f16_e32 v1, v1
	s_delay_alu instid0(VALU_DEP_1)
	v_cvt_i32_f32_e32 v6, v1
.LBB7_363:
	s_mov_b32 s38, 0
.LBB7_364:
	s_delay_alu instid0(SALU_CYCLE_1)
	s_and_not1_b32 vcc_lo, exec_lo, s38
	s_cbranch_vccnz .LBB7_384
; %bb.365:
	s_cmp_lt_i32 s0, 2
	s_cbranch_scc1 .LBB7_369
; %bb.366:
	s_cmp_lt_i32 s0, 3
	s_cbranch_scc1 .LBB7_370
; %bb.367:
	s_cmp_gt_i32 s0, 3
	s_cbranch_scc0 .LBB7_371
; %bb.368:
	s_wait_loadcnt 0x0
	global_load_b64 v[6:7], v[8:9], off
	s_mov_b32 s38, 0
	s_branch .LBB7_372
.LBB7_369:
	s_mov_b32 s38, -1
                                        ; implicit-def: $vgpr6
	s_branch .LBB7_378
.LBB7_370:
	s_mov_b32 s38, -1
                                        ; implicit-def: $vgpr6
	s_branch .LBB7_375
.LBB7_371:
	s_mov_b32 s38, -1
                                        ; implicit-def: $vgpr6
.LBB7_372:
	s_delay_alu instid0(SALU_CYCLE_1)
	s_and_not1_b32 vcc_lo, exec_lo, s38
	s_cbranch_vccnz .LBB7_374
; %bb.373:
	s_wait_loadcnt 0x0
	global_load_b32 v6, v[8:9], off
.LBB7_374:
	s_mov_b32 s38, 0
.LBB7_375:
	s_delay_alu instid0(SALU_CYCLE_1)
	s_and_not1_b32 vcc_lo, exec_lo, s38
	s_cbranch_vccnz .LBB7_377
; %bb.376:
	s_wait_loadcnt 0x0
	global_load_u16 v6, v[8:9], off
.LBB7_377:
	s_mov_b32 s38, 0
.LBB7_378:
	s_delay_alu instid0(SALU_CYCLE_1)
	s_and_not1_b32 vcc_lo, exec_lo, s38
	s_cbranch_vccnz .LBB7_384
; %bb.379:
	s_cmp_gt_i32 s0, 0
	s_mov_b32 s0, 0
	s_cbranch_scc0 .LBB7_381
; %bb.380:
	s_wait_loadcnt 0x0
	global_load_u8 v6, v[8:9], off
	s_branch .LBB7_382
.LBB7_381:
	s_mov_b32 s0, -1
                                        ; implicit-def: $vgpr6
.LBB7_382:
	s_delay_alu instid0(SALU_CYCLE_1)
	s_and_not1_b32 vcc_lo, exec_lo, s0
	s_cbranch_vccnz .LBB7_384
; %bb.383:
	s_wait_loadcnt 0x0
	global_load_u8 v6, v[8:9], off
.LBB7_384:
	s_branch .LBB7_32
.LBB7_385:
	s_mov_b32 s0, 0
.LBB7_386:
	s_mov_b32 s42, 0
                                        ; implicit-def: $vgpr0
.LBB7_387:
	s_and_b32 s38, s0, exec_lo
	s_and_b32 s39, s25, exec_lo
	;; [unrolled: 1-line block ×3, first 2 shown]
	s_or_not1_b32 s25, s42, exec_lo
.LBB7_388:
	s_wait_xcnt 0x0
	s_or_b32 exec_lo, exec_lo, s41
	s_mov_b32 s43, 0
	s_mov_b32 s24, 0
                                        ; implicit-def: $sgpr0
                                        ; implicit-def: $vgpr8_vgpr9
                                        ; implicit-def: $vgpr6
                                        ; implicit-def: $vgpr2
                                        ; implicit-def: $vgpr4
	s_and_saveexec_b32 s41, s25
	s_cbranch_execz .LBB7_396
; %bb.389:
	s_mov_b32 s47, -1
	s_mov_b32 s42, s40
	s_mov_b32 s44, s39
	;; [unrolled: 1-line block ×3, first 2 shown]
	s_mov_b32 s45, exec_lo
	v_cmpx_gt_i32_e64 s36, v0
	s_cbranch_execz .LBB7_787
; %bb.390:
	s_and_not1_b32 vcc_lo, exec_lo, s29
	s_cbranch_vccnz .LBB7_399
; %bb.391:
	s_and_not1_b32 vcc_lo, exec_lo, s37
	s_cbranch_vccnz .LBB7_400
; %bb.392:
	v_dual_mov_b32 v2, 0 :: v_dual_mov_b32 v1, v0
	s_wait_loadcnt 0x0
	v_dual_mov_b32 v4, 0 :: v_dual_mov_b32 v6, 0
	s_add_co_i32 s0, s35, 1
	s_mov_b64 s[24:25], 0xffffffffffffffe8
	s_and_b32 s0, s0, 30
	s_add_nc_u64 s[24:25], s[2:3], s[24:25]
.LBB7_393:                              ; =>This Inner Loop Header: Depth=1
	s_clause 0x3
	s_load_b128 s[48:51], s[24:25], 0x1c
	s_load_b64 s[42:43], s[24:25], 0x2c
	s_load_b128 s[52:55], s[24:25], 0xdc
	s_load_b64 s[46:47], s[24:25], 0xec
	s_add_co_i32 s0, s0, -2
	s_wait_xcnt 0x0
	s_add_nc_u64 s[24:25], s[24:25], 24
	s_cmp_eq_u32 s0, 0
	s_wait_kmcnt 0x0
	v_mul_hi_u32 v3, s49, v1
	s_delay_alu instid0(VALU_DEP_1) | instskip(NEXT) | instid1(VALU_DEP_1)
	v_add_nc_u32_e32 v3, v1, v3
	v_lshrrev_b32_e32 v3, s50, v3
	s_delay_alu instid0(VALU_DEP_1) | instskip(SKIP_1) | instid1(VALU_DEP_1)
	v_mul_hi_u32 v5, s42, v3
	v_mul_lo_u32 v7, v3, s48
	v_dual_add_nc_u32 v5, v3, v5 :: v_dual_sub_nc_u32 v7, v1, v7
	s_delay_alu instid0(VALU_DEP_1) | instskip(NEXT) | instid1(VALU_DEP_2)
	v_lshrrev_b32_e32 v1, s43, v5
	v_mad_u32 v2, v7, s52, v2
	v_mad_u32 v6, v7, s54, v6
	;; [unrolled: 1-line block ×3, first 2 shown]
	s_delay_alu instid0(VALU_DEP_4) | instskip(NEXT) | instid1(VALU_DEP_1)
	v_mul_lo_u32 v5, v1, s51
	v_sub_nc_u32_e32 v3, v3, v5
	s_delay_alu instid0(VALU_DEP_1)
	v_mad_u32 v2, v3, s55, v2
	v_mad_u32 v6, v3, s47, v6
	;; [unrolled: 1-line block ×3, first 2 shown]
	s_cbranch_scc0 .LBB7_393
; %bb.394:
	s_bitcmp1_b32 s35, 0
	s_cselect_b32 s0, -1, 0
	s_delay_alu instid0(SALU_CYCLE_1)
	s_and_b32 vcc_lo, exec_lo, s0
	s_cbranch_vccnz .LBB7_401
; %bb.395:
	s_clause 0x1
	s_load_b96 s[48:50], s[24:25], 0x1c
	s_load_b96 s[52:54], s[24:25], 0xdc
	s_wait_kmcnt 0x0
	v_mul_hi_u32 v3, s49, v1
	s_delay_alu instid0(VALU_DEP_1) | instskip(NEXT) | instid1(VALU_DEP_1)
	v_add_nc_u32_e32 v3, v1, v3
	v_lshrrev_b32_e32 v3, s50, v3
	s_delay_alu instid0(VALU_DEP_1) | instskip(NEXT) | instid1(VALU_DEP_1)
	v_mul_lo_u32 v3, v3, s48
	v_sub_nc_u32_e32 v1, v1, v3
	s_delay_alu instid0(VALU_DEP_1)
	v_mad_u32 v2, v1, s52, v2
	v_mad_u32 v4, v1, s53, v4
	;; [unrolled: 1-line block ×3, first 2 shown]
	s_branch .LBB7_401
.LBB7_396:
	s_or_b32 exec_lo, exec_lo, s41
	s_mov_b32 s1, 0
	s_and_saveexec_b32 s6, s40
	s_cbranch_execnz .LBB7_1278
.LBB7_397:
	s_or_b32 exec_lo, exec_lo, s6
	s_and_saveexec_b32 s6, s19
	s_delay_alu instid0(SALU_CYCLE_1)
	s_xor_b32 s6, exec_lo, s6
	s_cbranch_execz .LBB7_1279
.LBB7_398:
	global_load_u8 v0, v[8:9], off
	s_or_b32 s24, s24, exec_lo
	s_wait_loadcnt 0x0
	v_cmp_ne_u16_e32 vcc_lo, 0, v0
	v_cndmask_b32_e64 v4, 0, 1, vcc_lo
	s_wait_xcnt 0x0
	s_or_b32 exec_lo, exec_lo, s6
	s_and_saveexec_b32 s6, s43
	s_cbranch_execz .LBB7_1325
	s_branch .LBB7_1280
.LBB7_399:
                                        ; implicit-def: $vgpr6
                                        ; implicit-def: $vgpr4
                                        ; implicit-def: $vgpr2
	s_branch .LBB7_402
.LBB7_400:
	s_wait_loadcnt 0x0
	v_dual_mov_b32 v6, 0 :: v_dual_mov_b32 v4, 0
	v_mov_b32_e32 v2, 0
.LBB7_401:
	s_cbranch_execnz .LBB7_404
.LBB7_402:
	v_mov_b32_e32 v1, 0
	s_and_not1_b32 vcc_lo, exec_lo, s34
	s_delay_alu instid0(VALU_DEP_1) | instskip(NEXT) | instid1(VALU_DEP_1)
	v_mul_u64_e32 v[2:3], s[18:19], v[0:1]
	v_add_nc_u32_e32 v2, v0, v3
	s_delay_alu instid0(VALU_DEP_1) | instskip(NEXT) | instid1(VALU_DEP_1)
	v_lshrrev_b32_e32 v8, s10, v2
	v_mul_lo_u32 v2, v8, s8
	s_delay_alu instid0(VALU_DEP_1) | instskip(NEXT) | instid1(VALU_DEP_1)
	v_sub_nc_u32_e32 v3, v0, v2
	v_mul_lo_u32 v2, v3, s12
	s_wait_loadcnt 0x0
	v_mul_lo_u32 v6, v3, s14
	v_mul_lo_u32 v4, v3, s13
	s_cbranch_vccnz .LBB7_404
; %bb.403:
	v_mov_b32_e32 v9, v1
	s_delay_alu instid0(VALU_DEP_1) | instskip(NEXT) | instid1(VALU_DEP_1)
	v_mul_u64_e32 v[10:11], s[22:23], v[8:9]
	v_add_nc_u32_e32 v1, v8, v11
	s_delay_alu instid0(VALU_DEP_1) | instskip(NEXT) | instid1(VALU_DEP_1)
	v_lshrrev_b32_e32 v1, s1, v1
	v_mul_lo_u32 v1, v1, s11
	s_delay_alu instid0(VALU_DEP_1) | instskip(NEXT) | instid1(VALU_DEP_1)
	v_sub_nc_u32_e32 v1, v8, v1
	v_mad_u32 v2, v1, s15, v2
	v_mad_u32 v4, v1, s20, v4
	;; [unrolled: 1-line block ×3, first 2 shown]
.LBB7_404:
	s_wait_loadcnt 0x0
	v_mov_b32_e32 v5, 0
	s_and_b32 s0, s33, 0xff
	s_delay_alu instid0(SALU_CYCLE_1) | instskip(NEXT) | instid1(VALU_DEP_1)
	s_cmp_lt_i32 s0, 11
	v_add_nc_u64_e32 v[8:9], s[6:7], v[4:5]
	s_cbranch_scc1 .LBB7_411
; %bb.405:
	s_and_b32 s25, 0xffff, s0
	s_delay_alu instid0(SALU_CYCLE_1)
	s_cmp_gt_i32 s25, 25
	s_cbranch_scc0 .LBB7_420
; %bb.406:
	s_cmp_gt_i32 s25, 28
	s_cbranch_scc0 .LBB7_422
; %bb.407:
	;; [unrolled: 3-line block ×4, first 2 shown]
	s_cmp_eq_u32 s25, 46
	s_mov_b32 s43, 0
	s_cbranch_scc0 .LBB7_430
; %bb.410:
	global_load_b32 v1, v[8:9], off
	s_mov_b32 s42, -1
	s_mov_b32 s24, 0
	s_wait_loadcnt 0x0
	v_lshlrev_b32_e32 v1, 16, v1
	s_delay_alu instid0(VALU_DEP_1) | instskip(NEXT) | instid1(VALU_DEP_1)
	v_trunc_f32_e32 v1, v1
	v_mul_f32_e64 v3, 0x2f800000, |v1|
	s_delay_alu instid0(VALU_DEP_1) | instskip(NEXT) | instid1(VALU_DEP_1)
	v_floor_f32_e32 v3, v3
	v_fma_f32 v3, 0xcf800000, v3, |v1|
	v_ashrrev_i32_e32 v1, 31, v1
	s_delay_alu instid0(VALU_DEP_2) | instskip(NEXT) | instid1(VALU_DEP_1)
	v_cvt_u32_f32_e32 v3, v3
	v_xor_b32_e32 v3, v3, v1
	s_delay_alu instid0(VALU_DEP_1)
	v_sub_nc_u32_e32 v4, v3, v1
	s_branch .LBB7_432
.LBB7_411:
	s_mov_b32 s42, 0
	s_mov_b32 s24, s40
                                        ; implicit-def: $vgpr4
	s_cbranch_execnz .LBB7_494
.LBB7_412:
	s_and_not1_b32 vcc_lo, exec_lo, s42
	s_cbranch_vccnz .LBB7_542
.LBB7_413:
	v_mov_b32_e32 v7, 0
	s_and_b32 s0, s9, 0xff
	s_delay_alu instid0(SALU_CYCLE_1) | instskip(SKIP_1) | instid1(VALU_DEP_1)
	s_cmp_lt_i32 s0, 11
	s_wait_xcnt 0x0
	v_add_nc_u64_e32 v[8:9], s[16:17], v[6:7]
	s_cbranch_scc1 .LBB7_421
; %bb.414:
	s_and_b32 s42, 0xffff, s0
	s_delay_alu instid0(SALU_CYCLE_1)
	s_cmp_gt_i32 s42, 25
	s_cbranch_scc0 .LBB7_423
; %bb.415:
	s_cmp_gt_i32 s42, 28
	s_cbranch_scc0 .LBB7_425
; %bb.416:
	;; [unrolled: 3-line block ×4, first 2 shown]
	s_cmp_eq_u32 s42, 46
	s_mov_b32 s44, 0
	s_cbranch_scc0 .LBB7_545
; %bb.419:
	global_load_b32 v1, v[8:9], off
	s_mov_b32 s43, -1
	s_mov_b32 s25, 0
	s_wait_loadcnt 0x0
	v_lshlrev_b32_e32 v1, 16, v1
	s_delay_alu instid0(VALU_DEP_1) | instskip(NEXT) | instid1(VALU_DEP_1)
	v_trunc_f32_e32 v1, v1
	v_mul_f32_e64 v3, 0x2f800000, |v1|
	s_delay_alu instid0(VALU_DEP_1) | instskip(NEXT) | instid1(VALU_DEP_1)
	v_floor_f32_e32 v3, v3
	v_fma_f32 v3, 0xcf800000, v3, |v1|
	v_ashrrev_i32_e32 v1, 31, v1
	s_delay_alu instid0(VALU_DEP_2) | instskip(NEXT) | instid1(VALU_DEP_1)
	v_cvt_u32_f32_e32 v3, v3
	v_xor_b32_e32 v3, v3, v1
	s_delay_alu instid0(VALU_DEP_1)
	v_sub_nc_u32_e32 v6, v3, v1
	s_branch .LBB7_547
.LBB7_420:
	s_mov_b32 s43, -1
	s_mov_b32 s42, 0
	s_mov_b32 s24, s40
                                        ; implicit-def: $vgpr4
	s_branch .LBB7_460
.LBB7_421:
	s_mov_b32 s42, -1
	s_mov_b32 s43, 0
	s_mov_b32 s25, s39
                                        ; implicit-def: $vgpr6
	s_branch .LBB7_608
.LBB7_422:
	s_mov_b32 s43, -1
	s_mov_b32 s42, 0
	s_mov_b32 s24, s40
                                        ; implicit-def: $vgpr4
	s_branch .LBB7_443
.LBB7_423:
	s_mov_b32 s44, -1
	s_mov_b32 s43, 0
	s_mov_b32 s25, s39
                                        ; implicit-def: $vgpr6
	s_branch .LBB7_574
.LBB7_424:
	s_mov_b32 s43, -1
	s_mov_b32 s42, 0
	s_mov_b32 s24, s40
                                        ; implicit-def: $vgpr4
	s_branch .LBB7_438
.LBB7_425:
	s_mov_b32 s44, -1
	s_mov_b32 s43, 0
	s_mov_b32 s25, s39
                                        ; implicit-def: $vgpr6
	s_branch .LBB7_557
.LBB7_426:
	s_mov_b32 s43, -1
	s_mov_b32 s42, 0
	s_mov_b32 s24, s40
	s_branch .LBB7_431
.LBB7_427:
	s_mov_b32 s44, -1
	s_mov_b32 s43, 0
	s_mov_b32 s25, s39
                                        ; implicit-def: $vgpr6
	s_branch .LBB7_552
.LBB7_428:
	s_and_not1_saveexec_b32 s43, s43
	s_cbranch_execz .LBB7_190
.LBB7_429:
	v_add_f32_e32 v1, 0x46000000, v4
	s_and_not1_b32 s42, s42, exec_lo
	s_delay_alu instid0(VALU_DEP_1) | instskip(NEXT) | instid1(VALU_DEP_1)
	v_and_b32_e32 v1, 0xff, v1
	v_cmp_ne_u32_e32 vcc_lo, 0, v1
	s_and_b32 s44, vcc_lo, exec_lo
	s_delay_alu instid0(SALU_CYCLE_1)
	s_or_b32 s42, s42, s44
	s_or_b32 exec_lo, exec_lo, s43
	v_mov_b32_e32 v5, 0
	s_and_saveexec_b32 s43, s42
	s_cbranch_execnz .LBB7_191
	s_branch .LBB7_192
.LBB7_430:
	s_mov_b32 s24, -1
	s_mov_b32 s42, 0
.LBB7_431:
                                        ; implicit-def: $vgpr4
.LBB7_432:
	s_and_b32 vcc_lo, exec_lo, s43
	s_cbranch_vccz .LBB7_437
; %bb.433:
	s_cmp_eq_u32 s25, 44
	s_cbranch_scc0 .LBB7_436
; %bb.434:
	global_load_u8 v1, v[8:9], off
	s_mov_b32 s24, 0
	s_mov_b32 s42, -1
	s_wait_loadcnt 0x0
	v_lshlrev_b32_e32 v3, 23, v1
	v_cmp_ne_u32_e32 vcc_lo, 0, v1
	s_delay_alu instid0(VALU_DEP_2) | instskip(NEXT) | instid1(VALU_DEP_1)
	v_trunc_f32_e32 v3, v3
	v_mul_f32_e64 v4, 0x2f800000, |v3|
	s_delay_alu instid0(VALU_DEP_1) | instskip(NEXT) | instid1(VALU_DEP_1)
	v_floor_f32_e32 v4, v4
	v_fma_f32 v4, 0xcf800000, v4, |v3|
	v_ashrrev_i32_e32 v3, 31, v3
	s_delay_alu instid0(VALU_DEP_2) | instskip(NEXT) | instid1(VALU_DEP_1)
	v_cvt_u32_f32_e32 v4, v4
	v_xor_b32_e32 v4, v4, v3
	s_delay_alu instid0(VALU_DEP_1) | instskip(NEXT) | instid1(VALU_DEP_1)
	v_sub_nc_u32_e32 v3, v4, v3
	v_cndmask_b32_e32 v4, 0, v3, vcc_lo
	s_branch .LBB7_437
.LBB7_435:
	s_mov_b32 s44, -1
	s_mov_b32 s43, 0
	s_mov_b32 s25, s39
	s_branch .LBB7_546
.LBB7_436:
	s_mov_b32 s24, -1
                                        ; implicit-def: $vgpr4
.LBB7_437:
	s_mov_b32 s43, 0
.LBB7_438:
	s_delay_alu instid0(SALU_CYCLE_1)
	s_and_b32 vcc_lo, exec_lo, s43
	s_cbranch_vccz .LBB7_442
; %bb.439:
	s_cmp_eq_u32 s25, 29
	s_cbranch_scc0 .LBB7_441
; %bb.440:
	global_load_b64 v[4:5], v[8:9], off
	s_mov_b32 s42, -1
	s_mov_b32 s24, 0
	s_branch .LBB7_442
.LBB7_441:
	s_mov_b32 s24, -1
                                        ; implicit-def: $vgpr4
.LBB7_442:
	s_mov_b32 s43, 0
.LBB7_443:
	s_delay_alu instid0(SALU_CYCLE_1)
	s_and_b32 vcc_lo, exec_lo, s43
	s_cbranch_vccz .LBB7_459
; %bb.444:
	s_cmp_lt_i32 s25, 27
	s_cbranch_scc1 .LBB7_447
; %bb.445:
	s_cmp_gt_i32 s25, 27
	s_cbranch_scc0 .LBB7_448
; %bb.446:
	s_wait_loadcnt 0x0
	global_load_b32 v4, v[8:9], off
	s_mov_b32 s42, 0
	s_branch .LBB7_449
.LBB7_447:
	s_mov_b32 s42, -1
                                        ; implicit-def: $vgpr4
	s_branch .LBB7_452
.LBB7_448:
	s_mov_b32 s42, -1
                                        ; implicit-def: $vgpr4
.LBB7_449:
	s_delay_alu instid0(SALU_CYCLE_1)
	s_and_not1_b32 vcc_lo, exec_lo, s42
	s_cbranch_vccnz .LBB7_451
; %bb.450:
	s_wait_loadcnt 0x0
	global_load_u16 v4, v[8:9], off
.LBB7_451:
	s_mov_b32 s42, 0
.LBB7_452:
	s_delay_alu instid0(SALU_CYCLE_1)
	s_and_not1_b32 vcc_lo, exec_lo, s42
	s_cbranch_vccnz .LBB7_458
; %bb.453:
	global_load_u8 v1, v[8:9], off
	s_mov_b32 s43, 0
	s_mov_b32 s42, exec_lo
	s_wait_loadcnt 0x0
	v_cmpx_lt_i16_e32 0x7f, v1
	s_xor_b32 s42, exec_lo, s42
	s_cbranch_execz .LBB7_470
; %bb.454:
	v_cmp_ne_u16_e32 vcc_lo, 0x80, v1
	s_and_b32 s43, vcc_lo, exec_lo
	s_and_not1_saveexec_b32 s42, s42
	s_cbranch_execnz .LBB7_471
.LBB7_455:
	s_or_b32 exec_lo, exec_lo, s42
	v_mov_b32_e32 v4, 0
	s_and_saveexec_b32 s42, s43
	s_cbranch_execz .LBB7_457
.LBB7_456:
	v_and_b32_e32 v3, 0xffff, v1
	s_delay_alu instid0(VALU_DEP_1) | instskip(SKIP_1) | instid1(VALU_DEP_2)
	v_and_b32_e32 v4, 7, v3
	v_bfe_u32 v10, v3, 3, 4
	v_clz_i32_u32_e32 v5, v4
	s_delay_alu instid0(VALU_DEP_2) | instskip(NEXT) | instid1(VALU_DEP_2)
	v_cmp_eq_u32_e32 vcc_lo, 0, v10
	v_min_u32_e32 v5, 32, v5
	s_delay_alu instid0(VALU_DEP_1) | instskip(NEXT) | instid1(VALU_DEP_1)
	v_subrev_nc_u32_e32 v7, 28, v5
	v_dual_lshlrev_b32 v3, v7, v3 :: v_dual_sub_nc_u32 v5, 29, v5
	s_delay_alu instid0(VALU_DEP_1) | instskip(NEXT) | instid1(VALU_DEP_1)
	v_dual_lshlrev_b32 v1, 24, v1 :: v_dual_bitop2_b32 v3, 7, v3 bitop3:0x40
	v_dual_cndmask_b32 v3, v4, v3, vcc_lo :: v_dual_cndmask_b32 v5, v10, v5, vcc_lo
	s_delay_alu instid0(VALU_DEP_2) | instskip(NEXT) | instid1(VALU_DEP_2)
	v_and_b32_e32 v1, 0x80000000, v1
	v_lshlrev_b32_e32 v3, 20, v3
	s_delay_alu instid0(VALU_DEP_3) | instskip(NEXT) | instid1(VALU_DEP_1)
	v_lshl_add_u32 v4, v5, 23, 0x3b800000
	v_or3_b32 v1, v1, v4, v3
	s_delay_alu instid0(VALU_DEP_1) | instskip(NEXT) | instid1(VALU_DEP_1)
	v_trunc_f32_e32 v1, v1
	v_mul_f32_e64 v3, 0x2f800000, |v1|
	s_delay_alu instid0(VALU_DEP_1) | instskip(NEXT) | instid1(VALU_DEP_1)
	v_floor_f32_e32 v3, v3
	v_fma_f32 v3, 0xcf800000, v3, |v1|
	v_ashrrev_i32_e32 v1, 31, v1
	s_delay_alu instid0(VALU_DEP_2) | instskip(NEXT) | instid1(VALU_DEP_1)
	v_cvt_u32_f32_e32 v3, v3
	v_xor_b32_e32 v3, v3, v1
	s_delay_alu instid0(VALU_DEP_1)
	v_sub_nc_u32_e32 v4, v3, v1
.LBB7_457:
	s_or_b32 exec_lo, exec_lo, s42
.LBB7_458:
	s_mov_b32 s42, -1
.LBB7_459:
	s_mov_b32 s43, 0
.LBB7_460:
	s_delay_alu instid0(SALU_CYCLE_1)
	s_and_b32 vcc_lo, exec_lo, s43
	s_cbranch_vccz .LBB7_493
; %bb.461:
	s_cmp_gt_i32 s25, 22
	s_cbranch_scc0 .LBB7_469
; %bb.462:
	s_cmp_lt_i32 s25, 24
	s_cbranch_scc1 .LBB7_472
; %bb.463:
	s_cmp_gt_i32 s25, 24
	s_cbranch_scc0 .LBB7_473
; %bb.464:
	global_load_u8 v1, v[8:9], off
	s_mov_b32 s43, 0
	s_mov_b32 s42, exec_lo
	s_wait_loadcnt 0x0
	v_cmpx_lt_i16_e32 0x7f, v1
	s_xor_b32 s42, exec_lo, s42
	s_cbranch_execz .LBB7_485
; %bb.465:
	v_cmp_ne_u16_e32 vcc_lo, 0x80, v1
	s_and_b32 s43, vcc_lo, exec_lo
	s_and_not1_saveexec_b32 s42, s42
	s_cbranch_execnz .LBB7_486
.LBB7_466:
	s_or_b32 exec_lo, exec_lo, s42
	v_mov_b32_e32 v4, 0
	s_and_saveexec_b32 s42, s43
	s_cbranch_execz .LBB7_468
.LBB7_467:
	v_and_b32_e32 v3, 0xffff, v1
	s_delay_alu instid0(VALU_DEP_1) | instskip(SKIP_1) | instid1(VALU_DEP_2)
	v_and_b32_e32 v4, 3, v3
	v_bfe_u32 v10, v3, 2, 5
	v_clz_i32_u32_e32 v5, v4
	s_delay_alu instid0(VALU_DEP_2) | instskip(NEXT) | instid1(VALU_DEP_2)
	v_cmp_eq_u32_e32 vcc_lo, 0, v10
	v_min_u32_e32 v5, 32, v5
	s_delay_alu instid0(VALU_DEP_1) | instskip(NEXT) | instid1(VALU_DEP_1)
	v_subrev_nc_u32_e32 v7, 29, v5
	v_dual_lshlrev_b32 v3, v7, v3 :: v_dual_sub_nc_u32 v5, 30, v5
	s_delay_alu instid0(VALU_DEP_1) | instskip(NEXT) | instid1(VALU_DEP_1)
	v_dual_lshlrev_b32 v1, 24, v1 :: v_dual_bitop2_b32 v3, 3, v3 bitop3:0x40
	v_dual_cndmask_b32 v3, v4, v3, vcc_lo :: v_dual_cndmask_b32 v5, v10, v5, vcc_lo
	s_delay_alu instid0(VALU_DEP_2) | instskip(NEXT) | instid1(VALU_DEP_2)
	v_and_b32_e32 v1, 0x80000000, v1
	v_lshlrev_b32_e32 v3, 21, v3
	s_delay_alu instid0(VALU_DEP_3) | instskip(NEXT) | instid1(VALU_DEP_1)
	v_lshl_add_u32 v4, v5, 23, 0x37800000
	v_or3_b32 v1, v1, v4, v3
	s_delay_alu instid0(VALU_DEP_1) | instskip(NEXT) | instid1(VALU_DEP_1)
	v_trunc_f32_e32 v1, v1
	v_mul_f32_e64 v3, 0x2f800000, |v1|
	s_delay_alu instid0(VALU_DEP_1) | instskip(NEXT) | instid1(VALU_DEP_1)
	v_floor_f32_e32 v3, v3
	v_fma_f32 v3, 0xcf800000, v3, |v1|
	v_ashrrev_i32_e32 v1, 31, v1
	s_delay_alu instid0(VALU_DEP_2) | instskip(NEXT) | instid1(VALU_DEP_1)
	v_cvt_u32_f32_e32 v3, v3
	v_xor_b32_e32 v3, v3, v1
	s_delay_alu instid0(VALU_DEP_1)
	v_sub_nc_u32_e32 v4, v3, v1
.LBB7_468:
	s_or_b32 exec_lo, exec_lo, s42
	s_mov_b32 s42, 0
	s_branch .LBB7_474
.LBB7_469:
	s_mov_b32 s43, -1
                                        ; implicit-def: $vgpr4
	s_branch .LBB7_480
.LBB7_470:
	s_and_not1_saveexec_b32 s42, s42
	s_cbranch_execz .LBB7_455
.LBB7_471:
	v_cmp_ne_u16_e32 vcc_lo, 0, v1
	s_and_not1_b32 s43, s43, exec_lo
	s_and_b32 s44, vcc_lo, exec_lo
	s_delay_alu instid0(SALU_CYCLE_1)
	s_or_b32 s43, s43, s44
	s_or_b32 exec_lo, exec_lo, s42
	v_mov_b32_e32 v4, 0
	s_and_saveexec_b32 s42, s43
	s_cbranch_execnz .LBB7_456
	s_branch .LBB7_457
.LBB7_472:
	s_mov_b32 s42, -1
                                        ; implicit-def: $vgpr4
	s_branch .LBB7_477
.LBB7_473:
	s_mov_b32 s42, -1
                                        ; implicit-def: $vgpr4
.LBB7_474:
	s_delay_alu instid0(SALU_CYCLE_1)
	s_and_b32 vcc_lo, exec_lo, s42
	s_cbranch_vccz .LBB7_476
; %bb.475:
	global_load_u8 v1, v[8:9], off
	s_wait_loadcnt 0x0
	v_lshlrev_b32_e32 v1, 24, v1
	s_delay_alu instid0(VALU_DEP_1) | instskip(NEXT) | instid1(VALU_DEP_1)
	v_and_b32_e32 v3, 0x7f000000, v1
	v_clz_i32_u32_e32 v4, v3
	v_add_nc_u32_e32 v7, 0x1000000, v3
	v_cmp_ne_u32_e32 vcc_lo, 0, v3
	s_delay_alu instid0(VALU_DEP_3) | instskip(NEXT) | instid1(VALU_DEP_1)
	v_min_u32_e32 v4, 32, v4
	v_sub_nc_u32_e64 v4, v4, 4 clamp
	s_delay_alu instid0(VALU_DEP_1) | instskip(NEXT) | instid1(VALU_DEP_1)
	v_dual_lshlrev_b32 v5, v4, v3 :: v_dual_lshlrev_b32 v4, 23, v4
	v_lshrrev_b32_e32 v5, 4, v5
	s_delay_alu instid0(VALU_DEP_1) | instskip(NEXT) | instid1(VALU_DEP_1)
	v_dual_sub_nc_u32 v4, v5, v4 :: v_dual_ashrrev_i32 v5, 8, v7
	v_add_nc_u32_e32 v4, 0x3c000000, v4
	s_delay_alu instid0(VALU_DEP_1) | instskip(NEXT) | instid1(VALU_DEP_1)
	v_and_or_b32 v4, 0x7f800000, v5, v4
	v_cndmask_b32_e32 v3, 0, v4, vcc_lo
	s_delay_alu instid0(VALU_DEP_1) | instskip(NEXT) | instid1(VALU_DEP_1)
	v_and_or_b32 v1, 0x80000000, v1, v3
	v_trunc_f32_e32 v1, v1
	s_delay_alu instid0(VALU_DEP_1) | instskip(NEXT) | instid1(VALU_DEP_1)
	v_mul_f32_e64 v3, 0x2f800000, |v1|
	v_floor_f32_e32 v3, v3
	s_delay_alu instid0(VALU_DEP_1) | instskip(SKIP_1) | instid1(VALU_DEP_2)
	v_fma_f32 v3, 0xcf800000, v3, |v1|
	v_ashrrev_i32_e32 v1, 31, v1
	v_cvt_u32_f32_e32 v3, v3
	s_delay_alu instid0(VALU_DEP_1) | instskip(NEXT) | instid1(VALU_DEP_1)
	v_xor_b32_e32 v3, v3, v1
	v_sub_nc_u32_e32 v4, v3, v1
.LBB7_476:
	s_mov_b32 s42, 0
.LBB7_477:
	s_delay_alu instid0(SALU_CYCLE_1)
	s_and_not1_b32 vcc_lo, exec_lo, s42
	s_cbranch_vccnz .LBB7_479
; %bb.478:
	global_load_u8 v1, v[8:9], off
	s_wait_loadcnt 0x0
	v_lshlrev_b32_e32 v3, 25, v1
	v_lshlrev_b16 v1, 8, v1
	s_delay_alu instid0(VALU_DEP_1) | instskip(NEXT) | instid1(VALU_DEP_3)
	v_and_or_b32 v5, 0x7f00, v1, 0.5
	v_lshrrev_b32_e32 v4, 4, v3
	v_bfe_i32 v1, v1, 0, 16
	s_delay_alu instid0(VALU_DEP_3) | instskip(NEXT) | instid1(VALU_DEP_3)
	v_add_f32_e32 v5, -0.5, v5
	v_or_b32_e32 v4, 0x70000000, v4
	s_delay_alu instid0(VALU_DEP_1) | instskip(SKIP_1) | instid1(VALU_DEP_2)
	v_mul_f32_e32 v4, 0x7800000, v4
	v_cmp_gt_u32_e32 vcc_lo, 0x8000000, v3
	v_cndmask_b32_e32 v3, v4, v5, vcc_lo
	s_delay_alu instid0(VALU_DEP_1) | instskip(NEXT) | instid1(VALU_DEP_1)
	v_and_or_b32 v1, 0x80000000, v1, v3
	v_trunc_f32_e32 v1, v1
	s_delay_alu instid0(VALU_DEP_1) | instskip(NEXT) | instid1(VALU_DEP_1)
	v_mul_f32_e64 v3, 0x2f800000, |v1|
	v_floor_f32_e32 v3, v3
	s_delay_alu instid0(VALU_DEP_1) | instskip(SKIP_1) | instid1(VALU_DEP_2)
	v_fma_f32 v3, 0xcf800000, v3, |v1|
	v_ashrrev_i32_e32 v1, 31, v1
	v_cvt_u32_f32_e32 v3, v3
	s_delay_alu instid0(VALU_DEP_1) | instskip(NEXT) | instid1(VALU_DEP_1)
	v_xor_b32_e32 v3, v3, v1
	v_sub_nc_u32_e32 v4, v3, v1
.LBB7_479:
	s_mov_b32 s43, 0
	s_mov_b32 s42, -1
.LBB7_480:
	s_and_not1_b32 vcc_lo, exec_lo, s43
	s_cbranch_vccnz .LBB7_493
; %bb.481:
	s_cmp_gt_i32 s25, 14
	s_cbranch_scc0 .LBB7_484
; %bb.482:
	s_cmp_eq_u32 s25, 15
	s_cbranch_scc0 .LBB7_487
; %bb.483:
	global_load_u16 v1, v[8:9], off
	s_mov_b32 s42, -1
	s_mov_b32 s24, 0
	s_wait_loadcnt 0x0
	v_lshlrev_b32_e32 v1, 16, v1
	s_delay_alu instid0(VALU_DEP_1) | instskip(NEXT) | instid1(VALU_DEP_1)
	v_trunc_f32_e32 v1, v1
	v_mul_f32_e64 v3, 0x2f800000, |v1|
	s_delay_alu instid0(VALU_DEP_1) | instskip(NEXT) | instid1(VALU_DEP_1)
	v_floor_f32_e32 v3, v3
	v_fma_f32 v3, 0xcf800000, v3, |v1|
	v_ashrrev_i32_e32 v1, 31, v1
	s_delay_alu instid0(VALU_DEP_2) | instskip(NEXT) | instid1(VALU_DEP_1)
	v_cvt_u32_f32_e32 v3, v3
	v_xor_b32_e32 v3, v3, v1
	s_delay_alu instid0(VALU_DEP_1)
	v_sub_nc_u32_e32 v4, v3, v1
	s_branch .LBB7_488
.LBB7_484:
	s_mov_b32 s43, -1
                                        ; implicit-def: $vgpr4
	s_branch .LBB7_489
.LBB7_485:
	s_and_not1_saveexec_b32 s42, s42
	s_cbranch_execz .LBB7_466
.LBB7_486:
	v_cmp_ne_u16_e32 vcc_lo, 0, v1
	s_and_not1_b32 s43, s43, exec_lo
	s_and_b32 s44, vcc_lo, exec_lo
	s_delay_alu instid0(SALU_CYCLE_1)
	s_or_b32 s43, s43, s44
	s_or_b32 exec_lo, exec_lo, s42
	v_mov_b32_e32 v4, 0
	s_and_saveexec_b32 s42, s43
	s_cbranch_execnz .LBB7_467
	s_branch .LBB7_468
.LBB7_487:
	s_mov_b32 s24, -1
                                        ; implicit-def: $vgpr4
.LBB7_488:
	s_mov_b32 s43, 0
.LBB7_489:
	s_delay_alu instid0(SALU_CYCLE_1)
	s_and_b32 vcc_lo, exec_lo, s43
	s_cbranch_vccz .LBB7_493
; %bb.490:
	s_cmp_eq_u32 s25, 11
	s_cbranch_scc0 .LBB7_492
; %bb.491:
	global_load_u8 v1, v[8:9], off
	s_mov_b32 s24, 0
	s_mov_b32 s42, -1
	s_wait_loadcnt 0x0
	v_cmp_ne_u16_e32 vcc_lo, 0, v1
	v_cndmask_b32_e64 v4, 0, 1, vcc_lo
	s_branch .LBB7_493
.LBB7_492:
	s_mov_b32 s24, -1
                                        ; implicit-def: $vgpr4
.LBB7_493:
	s_branch .LBB7_412
.LBB7_494:
	s_and_b32 s0, 0xffff, s0
	s_delay_alu instid0(SALU_CYCLE_1)
	s_cmp_lt_i32 s0, 5
	s_cbranch_scc1 .LBB7_499
; %bb.495:
	s_cmp_lt_i32 s0, 8
	s_cbranch_scc1 .LBB7_500
; %bb.496:
	;; [unrolled: 3-line block ×3, first 2 shown]
	s_cmp_gt_i32 s0, 9
	s_cbranch_scc0 .LBB7_502
; %bb.498:
	s_wait_loadcnt 0x0
	global_load_b64 v[4:5], v[8:9], off
	s_mov_b32 s25, 0
	s_wait_loadcnt 0x0
	v_trunc_f64_e32 v[4:5], v[4:5]
	s_delay_alu instid0(VALU_DEP_1) | instskip(NEXT) | instid1(VALU_DEP_1)
	v_ldexp_f64 v[10:11], v[4:5], 0xffffffe0
	v_floor_f64_e32 v[10:11], v[10:11]
	s_delay_alu instid0(VALU_DEP_1) | instskip(NEXT) | instid1(VALU_DEP_1)
	v_fmamk_f64 v[4:5], v[10:11], 0xc1f00000, v[4:5]
	v_cvt_u32_f64_e32 v4, v[4:5]
	s_branch .LBB7_503
.LBB7_499:
	s_mov_b32 s25, -1
                                        ; implicit-def: $vgpr4
	s_branch .LBB7_521
.LBB7_500:
	s_mov_b32 s25, -1
                                        ; implicit-def: $vgpr4
	s_branch .LBB7_509
.LBB7_501:
	s_mov_b32 s25, -1
                                        ; implicit-def: $vgpr4
	s_branch .LBB7_506
.LBB7_502:
	s_mov_b32 s25, -1
                                        ; implicit-def: $vgpr4
.LBB7_503:
	s_delay_alu instid0(SALU_CYCLE_1)
	s_and_not1_b32 vcc_lo, exec_lo, s25
	s_cbranch_vccnz .LBB7_505
; %bb.504:
	global_load_b32 v1, v[8:9], off
	s_wait_loadcnt 0x0
	v_trunc_f32_e32 v1, v1
	s_delay_alu instid0(VALU_DEP_1) | instskip(NEXT) | instid1(VALU_DEP_1)
	v_mul_f32_e64 v3, 0x2f800000, |v1|
	v_floor_f32_e32 v3, v3
	s_delay_alu instid0(VALU_DEP_1) | instskip(SKIP_1) | instid1(VALU_DEP_2)
	v_fma_f32 v3, 0xcf800000, v3, |v1|
	v_ashrrev_i32_e32 v1, 31, v1
	v_cvt_u32_f32_e32 v3, v3
	s_delay_alu instid0(VALU_DEP_1) | instskip(NEXT) | instid1(VALU_DEP_1)
	v_xor_b32_e32 v3, v3, v1
	v_sub_nc_u32_e32 v4, v3, v1
.LBB7_505:
	s_mov_b32 s25, 0
.LBB7_506:
	s_delay_alu instid0(SALU_CYCLE_1)
	s_and_not1_b32 vcc_lo, exec_lo, s25
	s_cbranch_vccnz .LBB7_508
; %bb.507:
	global_load_b32 v1, v[8:9], off
	s_wait_loadcnt 0x0
	v_cvt_f32_f16_e32 v1, v1
	s_delay_alu instid0(VALU_DEP_1)
	v_cvt_i32_f32_e32 v4, v1
.LBB7_508:
	s_mov_b32 s25, 0
.LBB7_509:
	s_delay_alu instid0(SALU_CYCLE_1)
	s_and_not1_b32 vcc_lo, exec_lo, s25
	s_cbranch_vccnz .LBB7_520
; %bb.510:
	s_cmp_lt_i32 s0, 6
	s_cbranch_scc1 .LBB7_513
; %bb.511:
	s_cmp_gt_i32 s0, 6
	s_cbranch_scc0 .LBB7_514
; %bb.512:
	s_wait_loadcnt 0x0
	global_load_b64 v[4:5], v[8:9], off
	s_mov_b32 s25, 0
	s_wait_loadcnt 0x0
	v_trunc_f64_e32 v[4:5], v[4:5]
	s_delay_alu instid0(VALU_DEP_1) | instskip(NEXT) | instid1(VALU_DEP_1)
	v_ldexp_f64 v[10:11], v[4:5], 0xffffffe0
	v_floor_f64_e32 v[10:11], v[10:11]
	s_delay_alu instid0(VALU_DEP_1) | instskip(NEXT) | instid1(VALU_DEP_1)
	v_fmamk_f64 v[4:5], v[10:11], 0xc1f00000, v[4:5]
	v_cvt_u32_f64_e32 v4, v[4:5]
	s_branch .LBB7_515
.LBB7_513:
	s_mov_b32 s25, -1
                                        ; implicit-def: $vgpr4
	s_branch .LBB7_518
.LBB7_514:
	s_mov_b32 s25, -1
                                        ; implicit-def: $vgpr4
.LBB7_515:
	s_delay_alu instid0(SALU_CYCLE_1)
	s_and_not1_b32 vcc_lo, exec_lo, s25
	s_cbranch_vccnz .LBB7_517
; %bb.516:
	global_load_b32 v1, v[8:9], off
	s_wait_loadcnt 0x0
	v_trunc_f32_e32 v1, v1
	s_delay_alu instid0(VALU_DEP_1) | instskip(NEXT) | instid1(VALU_DEP_1)
	v_mul_f32_e64 v3, 0x2f800000, |v1|
	v_floor_f32_e32 v3, v3
	s_delay_alu instid0(VALU_DEP_1) | instskip(SKIP_1) | instid1(VALU_DEP_2)
	v_fma_f32 v3, 0xcf800000, v3, |v1|
	v_ashrrev_i32_e32 v1, 31, v1
	v_cvt_u32_f32_e32 v3, v3
	s_delay_alu instid0(VALU_DEP_1) | instskip(NEXT) | instid1(VALU_DEP_1)
	v_xor_b32_e32 v3, v3, v1
	v_sub_nc_u32_e32 v4, v3, v1
.LBB7_517:
	s_mov_b32 s25, 0
.LBB7_518:
	s_delay_alu instid0(SALU_CYCLE_1)
	s_and_not1_b32 vcc_lo, exec_lo, s25
	s_cbranch_vccnz .LBB7_520
; %bb.519:
	global_load_u16 v1, v[8:9], off
	s_wait_loadcnt 0x0
	v_cvt_f32_f16_e32 v1, v1
	s_delay_alu instid0(VALU_DEP_1)
	v_cvt_i32_f32_e32 v4, v1
.LBB7_520:
	s_mov_b32 s25, 0
.LBB7_521:
	s_delay_alu instid0(SALU_CYCLE_1)
	s_and_not1_b32 vcc_lo, exec_lo, s25
	s_cbranch_vccnz .LBB7_541
; %bb.522:
	s_cmp_lt_i32 s0, 2
	s_cbranch_scc1 .LBB7_526
; %bb.523:
	s_cmp_lt_i32 s0, 3
	s_cbranch_scc1 .LBB7_527
; %bb.524:
	s_cmp_gt_i32 s0, 3
	s_cbranch_scc0 .LBB7_528
; %bb.525:
	s_wait_loadcnt 0x0
	global_load_b64 v[4:5], v[8:9], off
	s_mov_b32 s25, 0
	s_branch .LBB7_529
.LBB7_526:
	s_mov_b32 s25, -1
                                        ; implicit-def: $vgpr4
	s_branch .LBB7_535
.LBB7_527:
	s_mov_b32 s25, -1
                                        ; implicit-def: $vgpr4
	s_branch .LBB7_532
.LBB7_528:
	s_mov_b32 s25, -1
                                        ; implicit-def: $vgpr4
.LBB7_529:
	s_delay_alu instid0(SALU_CYCLE_1)
	s_and_not1_b32 vcc_lo, exec_lo, s25
	s_cbranch_vccnz .LBB7_531
; %bb.530:
	s_wait_loadcnt 0x0
	global_load_b32 v4, v[8:9], off
.LBB7_531:
	s_mov_b32 s25, 0
.LBB7_532:
	s_delay_alu instid0(SALU_CYCLE_1)
	s_and_not1_b32 vcc_lo, exec_lo, s25
	s_cbranch_vccnz .LBB7_534
; %bb.533:
	s_wait_loadcnt 0x0
	global_load_u16 v4, v[8:9], off
.LBB7_534:
	s_mov_b32 s25, 0
.LBB7_535:
	s_delay_alu instid0(SALU_CYCLE_1)
	s_and_not1_b32 vcc_lo, exec_lo, s25
	s_cbranch_vccnz .LBB7_541
; %bb.536:
	s_cmp_gt_i32 s0, 0
	s_mov_b32 s0, 0
	s_cbranch_scc0 .LBB7_538
; %bb.537:
	s_wait_loadcnt 0x0
	global_load_u8 v4, v[8:9], off
	s_branch .LBB7_539
.LBB7_538:
	s_mov_b32 s0, -1
                                        ; implicit-def: $vgpr4
.LBB7_539:
	s_delay_alu instid0(SALU_CYCLE_1)
	s_and_not1_b32 vcc_lo, exec_lo, s0
	s_cbranch_vccnz .LBB7_541
; %bb.540:
	s_wait_loadcnt 0x0
	global_load_u8 v4, v[8:9], off
.LBB7_541:
	s_branch .LBB7_413
.LBB7_542:
	s_mov_b32 s46, 0
	s_mov_b32 s0, s38
	;; [unrolled: 1-line block ×3, first 2 shown]
	s_branch .LBB7_785
.LBB7_543:
	s_and_not1_saveexec_b32 s43, s43
	s_cbranch_execz .LBB7_203
.LBB7_544:
	v_add_f32_e32 v1, 0x42800000, v4
	s_and_not1_b32 s42, s42, exec_lo
	s_delay_alu instid0(VALU_DEP_1) | instskip(NEXT) | instid1(VALU_DEP_1)
	v_and_b32_e32 v1, 0xff, v1
	v_cmp_ne_u32_e32 vcc_lo, 0, v1
	s_and_b32 s44, vcc_lo, exec_lo
	s_delay_alu instid0(SALU_CYCLE_1)
	s_or_b32 s42, s42, s44
	s_or_b32 exec_lo, exec_lo, s43
	v_mov_b32_e32 v5, 0
	s_and_saveexec_b32 s43, s42
	s_cbranch_execnz .LBB7_204
	s_branch .LBB7_205
.LBB7_545:
	s_mov_b32 s25, -1
	s_mov_b32 s43, 0
.LBB7_546:
                                        ; implicit-def: $vgpr6
.LBB7_547:
	s_and_b32 vcc_lo, exec_lo, s44
	s_cbranch_vccz .LBB7_551
; %bb.548:
	s_cmp_eq_u32 s42, 44
	s_cbranch_scc0 .LBB7_550
; %bb.549:
	global_load_u8 v1, v[8:9], off
	s_mov_b32 s25, 0
	s_mov_b32 s43, -1
	s_wait_loadcnt 0x0
	v_lshlrev_b32_e32 v3, 23, v1
	v_cmp_ne_u32_e32 vcc_lo, 0, v1
	s_delay_alu instid0(VALU_DEP_2) | instskip(NEXT) | instid1(VALU_DEP_1)
	v_trunc_f32_e32 v3, v3
	v_mul_f32_e64 v5, 0x2f800000, |v3|
	s_delay_alu instid0(VALU_DEP_1) | instskip(NEXT) | instid1(VALU_DEP_1)
	v_floor_f32_e32 v5, v5
	v_fma_f32 v5, 0xcf800000, v5, |v3|
	v_ashrrev_i32_e32 v3, 31, v3
	s_delay_alu instid0(VALU_DEP_2) | instskip(NEXT) | instid1(VALU_DEP_1)
	v_cvt_u32_f32_e32 v5, v5
	v_xor_b32_e32 v5, v5, v3
	s_delay_alu instid0(VALU_DEP_1) | instskip(NEXT) | instid1(VALU_DEP_1)
	v_sub_nc_u32_e32 v3, v5, v3
	v_cndmask_b32_e32 v6, 0, v3, vcc_lo
	s_branch .LBB7_551
.LBB7_550:
	s_mov_b32 s25, -1
                                        ; implicit-def: $vgpr6
.LBB7_551:
	s_mov_b32 s44, 0
.LBB7_552:
	s_delay_alu instid0(SALU_CYCLE_1)
	s_and_b32 vcc_lo, exec_lo, s44
	s_cbranch_vccz .LBB7_556
; %bb.553:
	s_cmp_eq_u32 s42, 29
	s_cbranch_scc0 .LBB7_555
; %bb.554:
	global_load_b64 v[6:7], v[8:9], off
	s_mov_b32 s43, -1
	s_mov_b32 s25, 0
	s_branch .LBB7_556
.LBB7_555:
	s_mov_b32 s25, -1
                                        ; implicit-def: $vgpr6
.LBB7_556:
	s_mov_b32 s44, 0
.LBB7_557:
	s_delay_alu instid0(SALU_CYCLE_1)
	s_and_b32 vcc_lo, exec_lo, s44
	s_cbranch_vccz .LBB7_573
; %bb.558:
	s_cmp_lt_i32 s42, 27
	s_cbranch_scc1 .LBB7_561
; %bb.559:
	s_cmp_gt_i32 s42, 27
	s_cbranch_scc0 .LBB7_562
; %bb.560:
	s_wait_loadcnt 0x0
	global_load_b32 v6, v[8:9], off
	s_mov_b32 s43, 0
	s_branch .LBB7_563
.LBB7_561:
	s_mov_b32 s43, -1
                                        ; implicit-def: $vgpr6
	s_branch .LBB7_566
.LBB7_562:
	s_mov_b32 s43, -1
                                        ; implicit-def: $vgpr6
.LBB7_563:
	s_delay_alu instid0(SALU_CYCLE_1)
	s_and_not1_b32 vcc_lo, exec_lo, s43
	s_cbranch_vccnz .LBB7_565
; %bb.564:
	s_wait_loadcnt 0x0
	global_load_u16 v6, v[8:9], off
.LBB7_565:
	s_mov_b32 s43, 0
.LBB7_566:
	s_delay_alu instid0(SALU_CYCLE_1)
	s_and_not1_b32 vcc_lo, exec_lo, s43
	s_cbranch_vccnz .LBB7_572
; %bb.567:
	global_load_u8 v1, v[8:9], off
	s_mov_b32 s44, 0
	s_mov_b32 s43, exec_lo
	s_wait_loadcnt 0x0
	v_cmpx_lt_i16_e32 0x7f, v1
	s_xor_b32 s43, exec_lo, s43
	s_cbranch_execz .LBB7_584
; %bb.568:
	v_cmp_ne_u16_e32 vcc_lo, 0x80, v1
	s_and_b32 s44, vcc_lo, exec_lo
	s_and_not1_saveexec_b32 s43, s43
	s_cbranch_execnz .LBB7_585
.LBB7_569:
	s_or_b32 exec_lo, exec_lo, s43
	v_mov_b32_e32 v6, 0
	s_and_saveexec_b32 s43, s44
	s_cbranch_execz .LBB7_571
.LBB7_570:
	v_and_b32_e32 v3, 0xffff, v1
	s_delay_alu instid0(VALU_DEP_1) | instskip(SKIP_1) | instid1(VALU_DEP_2)
	v_and_b32_e32 v5, 7, v3
	v_bfe_u32 v10, v3, 3, 4
	v_clz_i32_u32_e32 v6, v5
	s_delay_alu instid0(VALU_DEP_2) | instskip(NEXT) | instid1(VALU_DEP_2)
	v_cmp_eq_u32_e32 vcc_lo, 0, v10
	v_min_u32_e32 v6, 32, v6
	s_delay_alu instid0(VALU_DEP_1) | instskip(NEXT) | instid1(VALU_DEP_1)
	v_subrev_nc_u32_e32 v7, 28, v6
	v_dual_lshlrev_b32 v3, v7, v3 :: v_dual_sub_nc_u32 v6, 29, v6
	s_delay_alu instid0(VALU_DEP_1) | instskip(NEXT) | instid1(VALU_DEP_1)
	v_dual_lshlrev_b32 v1, 24, v1 :: v_dual_bitop2_b32 v3, 7, v3 bitop3:0x40
	v_dual_cndmask_b32 v6, v10, v6 :: v_dual_cndmask_b32 v3, v5, v3
	s_delay_alu instid0(VALU_DEP_2) | instskip(NEXT) | instid1(VALU_DEP_2)
	v_and_b32_e32 v1, 0x80000000, v1
	v_lshl_add_u32 v5, v6, 23, 0x3b800000
	s_delay_alu instid0(VALU_DEP_3) | instskip(NEXT) | instid1(VALU_DEP_1)
	v_lshlrev_b32_e32 v3, 20, v3
	v_or3_b32 v1, v1, v5, v3
	s_delay_alu instid0(VALU_DEP_1) | instskip(NEXT) | instid1(VALU_DEP_1)
	v_trunc_f32_e32 v1, v1
	v_mul_f32_e64 v3, 0x2f800000, |v1|
	s_delay_alu instid0(VALU_DEP_1) | instskip(NEXT) | instid1(VALU_DEP_1)
	v_floor_f32_e32 v3, v3
	v_fma_f32 v3, 0xcf800000, v3, |v1|
	v_ashrrev_i32_e32 v1, 31, v1
	s_delay_alu instid0(VALU_DEP_2) | instskip(NEXT) | instid1(VALU_DEP_1)
	v_cvt_u32_f32_e32 v3, v3
	v_xor_b32_e32 v3, v3, v1
	s_delay_alu instid0(VALU_DEP_1)
	v_sub_nc_u32_e32 v6, v3, v1
.LBB7_571:
	s_or_b32 exec_lo, exec_lo, s43
.LBB7_572:
	s_mov_b32 s43, -1
.LBB7_573:
	s_mov_b32 s44, 0
.LBB7_574:
	s_delay_alu instid0(SALU_CYCLE_1)
	s_and_b32 vcc_lo, exec_lo, s44
	s_cbranch_vccz .LBB7_607
; %bb.575:
	s_cmp_gt_i32 s42, 22
	s_cbranch_scc0 .LBB7_583
; %bb.576:
	s_cmp_lt_i32 s42, 24
	s_cbranch_scc1 .LBB7_586
; %bb.577:
	s_cmp_gt_i32 s42, 24
	s_cbranch_scc0 .LBB7_587
; %bb.578:
	global_load_u8 v1, v[8:9], off
	s_mov_b32 s44, 0
	s_mov_b32 s43, exec_lo
	s_wait_loadcnt 0x0
	v_cmpx_lt_i16_e32 0x7f, v1
	s_xor_b32 s43, exec_lo, s43
	s_cbranch_execz .LBB7_599
; %bb.579:
	v_cmp_ne_u16_e32 vcc_lo, 0x80, v1
	s_and_b32 s44, vcc_lo, exec_lo
	s_and_not1_saveexec_b32 s43, s43
	s_cbranch_execnz .LBB7_600
.LBB7_580:
	s_or_b32 exec_lo, exec_lo, s43
	v_mov_b32_e32 v6, 0
	s_and_saveexec_b32 s43, s44
	s_cbranch_execz .LBB7_582
.LBB7_581:
	v_and_b32_e32 v3, 0xffff, v1
	s_delay_alu instid0(VALU_DEP_1) | instskip(SKIP_1) | instid1(VALU_DEP_2)
	v_and_b32_e32 v5, 3, v3
	v_bfe_u32 v10, v3, 2, 5
	v_clz_i32_u32_e32 v6, v5
	s_delay_alu instid0(VALU_DEP_2) | instskip(NEXT) | instid1(VALU_DEP_2)
	v_cmp_eq_u32_e32 vcc_lo, 0, v10
	v_min_u32_e32 v6, 32, v6
	s_delay_alu instid0(VALU_DEP_1) | instskip(NEXT) | instid1(VALU_DEP_1)
	v_subrev_nc_u32_e32 v7, 29, v6
	v_dual_lshlrev_b32 v3, v7, v3 :: v_dual_sub_nc_u32 v6, 30, v6
	s_delay_alu instid0(VALU_DEP_1) | instskip(NEXT) | instid1(VALU_DEP_1)
	v_dual_lshlrev_b32 v1, 24, v1 :: v_dual_bitop2_b32 v3, 3, v3 bitop3:0x40
	v_dual_cndmask_b32 v6, v10, v6 :: v_dual_cndmask_b32 v3, v5, v3
	s_delay_alu instid0(VALU_DEP_2) | instskip(NEXT) | instid1(VALU_DEP_2)
	v_and_b32_e32 v1, 0x80000000, v1
	v_lshl_add_u32 v5, v6, 23, 0x37800000
	s_delay_alu instid0(VALU_DEP_3) | instskip(NEXT) | instid1(VALU_DEP_1)
	v_lshlrev_b32_e32 v3, 21, v3
	v_or3_b32 v1, v1, v5, v3
	s_delay_alu instid0(VALU_DEP_1) | instskip(NEXT) | instid1(VALU_DEP_1)
	v_trunc_f32_e32 v1, v1
	v_mul_f32_e64 v3, 0x2f800000, |v1|
	s_delay_alu instid0(VALU_DEP_1) | instskip(NEXT) | instid1(VALU_DEP_1)
	v_floor_f32_e32 v3, v3
	v_fma_f32 v3, 0xcf800000, v3, |v1|
	v_ashrrev_i32_e32 v1, 31, v1
	s_delay_alu instid0(VALU_DEP_2) | instskip(NEXT) | instid1(VALU_DEP_1)
	v_cvt_u32_f32_e32 v3, v3
	v_xor_b32_e32 v3, v3, v1
	s_delay_alu instid0(VALU_DEP_1)
	v_sub_nc_u32_e32 v6, v3, v1
.LBB7_582:
	s_or_b32 exec_lo, exec_lo, s43
	s_mov_b32 s43, 0
	s_branch .LBB7_588
.LBB7_583:
	s_mov_b32 s44, -1
                                        ; implicit-def: $vgpr6
	s_branch .LBB7_594
.LBB7_584:
	s_and_not1_saveexec_b32 s43, s43
	s_cbranch_execz .LBB7_569
.LBB7_585:
	v_cmp_ne_u16_e32 vcc_lo, 0, v1
	s_and_not1_b32 s44, s44, exec_lo
	s_and_b32 s46, vcc_lo, exec_lo
	s_delay_alu instid0(SALU_CYCLE_1)
	s_or_b32 s44, s44, s46
	s_or_b32 exec_lo, exec_lo, s43
	v_mov_b32_e32 v6, 0
	s_and_saveexec_b32 s43, s44
	s_cbranch_execnz .LBB7_570
	s_branch .LBB7_571
.LBB7_586:
	s_mov_b32 s43, -1
                                        ; implicit-def: $vgpr6
	s_branch .LBB7_591
.LBB7_587:
	s_mov_b32 s43, -1
                                        ; implicit-def: $vgpr6
.LBB7_588:
	s_delay_alu instid0(SALU_CYCLE_1)
	s_and_b32 vcc_lo, exec_lo, s43
	s_cbranch_vccz .LBB7_590
; %bb.589:
	global_load_u8 v1, v[8:9], off
	s_wait_loadcnt 0x0
	v_lshlrev_b32_e32 v1, 24, v1
	s_delay_alu instid0(VALU_DEP_1) | instskip(NEXT) | instid1(VALU_DEP_1)
	v_and_b32_e32 v3, 0x7f000000, v1
	v_clz_i32_u32_e32 v5, v3
	v_add_nc_u32_e32 v7, 0x1000000, v3
	v_cmp_ne_u32_e32 vcc_lo, 0, v3
	s_delay_alu instid0(VALU_DEP_3) | instskip(NEXT) | instid1(VALU_DEP_1)
	v_min_u32_e32 v5, 32, v5
	v_sub_nc_u32_e64 v5, v5, 4 clamp
	s_delay_alu instid0(VALU_DEP_1) | instskip(NEXT) | instid1(VALU_DEP_1)
	v_dual_lshlrev_b32 v6, v5, v3 :: v_dual_lshlrev_b32 v5, 23, v5
	v_lshrrev_b32_e32 v6, 4, v6
	s_delay_alu instid0(VALU_DEP_1) | instskip(NEXT) | instid1(VALU_DEP_1)
	v_dual_sub_nc_u32 v5, v6, v5 :: v_dual_ashrrev_i32 v6, 8, v7
	v_add_nc_u32_e32 v5, 0x3c000000, v5
	s_delay_alu instid0(VALU_DEP_1) | instskip(NEXT) | instid1(VALU_DEP_1)
	v_and_or_b32 v5, 0x7f800000, v6, v5
	v_cndmask_b32_e32 v3, 0, v5, vcc_lo
	s_delay_alu instid0(VALU_DEP_1) | instskip(NEXT) | instid1(VALU_DEP_1)
	v_and_or_b32 v1, 0x80000000, v1, v3
	v_trunc_f32_e32 v1, v1
	s_delay_alu instid0(VALU_DEP_1) | instskip(NEXT) | instid1(VALU_DEP_1)
	v_mul_f32_e64 v3, 0x2f800000, |v1|
	v_floor_f32_e32 v3, v3
	s_delay_alu instid0(VALU_DEP_1) | instskip(SKIP_1) | instid1(VALU_DEP_2)
	v_fma_f32 v3, 0xcf800000, v3, |v1|
	v_ashrrev_i32_e32 v1, 31, v1
	v_cvt_u32_f32_e32 v3, v3
	s_delay_alu instid0(VALU_DEP_1) | instskip(NEXT) | instid1(VALU_DEP_1)
	v_xor_b32_e32 v3, v3, v1
	v_sub_nc_u32_e32 v6, v3, v1
.LBB7_590:
	s_mov_b32 s43, 0
.LBB7_591:
	s_delay_alu instid0(SALU_CYCLE_1)
	s_and_not1_b32 vcc_lo, exec_lo, s43
	s_cbranch_vccnz .LBB7_593
; %bb.592:
	global_load_u8 v1, v[8:9], off
	s_wait_loadcnt 0x0
	v_lshlrev_b32_e32 v3, 25, v1
	v_lshlrev_b16 v1, 8, v1
	s_delay_alu instid0(VALU_DEP_1) | instskip(SKIP_1) | instid1(VALU_DEP_2)
	v_and_or_b32 v6, 0x7f00, v1, 0.5
	v_bfe_i32 v1, v1, 0, 16
	v_dual_add_f32 v6, -0.5, v6 :: v_dual_lshrrev_b32 v5, 4, v3
	v_cmp_gt_u32_e32 vcc_lo, 0x8000000, v3
	s_delay_alu instid0(VALU_DEP_2) | instskip(NEXT) | instid1(VALU_DEP_1)
	v_or_b32_e32 v5, 0x70000000, v5
	v_mul_f32_e32 v5, 0x7800000, v5
	s_delay_alu instid0(VALU_DEP_1) | instskip(NEXT) | instid1(VALU_DEP_1)
	v_cndmask_b32_e32 v3, v5, v6, vcc_lo
	v_and_or_b32 v1, 0x80000000, v1, v3
	s_delay_alu instid0(VALU_DEP_1) | instskip(NEXT) | instid1(VALU_DEP_1)
	v_trunc_f32_e32 v1, v1
	v_mul_f32_e64 v3, 0x2f800000, |v1|
	s_delay_alu instid0(VALU_DEP_1) | instskip(NEXT) | instid1(VALU_DEP_1)
	v_floor_f32_e32 v3, v3
	v_fma_f32 v3, 0xcf800000, v3, |v1|
	v_ashrrev_i32_e32 v1, 31, v1
	s_delay_alu instid0(VALU_DEP_2) | instskip(NEXT) | instid1(VALU_DEP_1)
	v_cvt_u32_f32_e32 v3, v3
	v_xor_b32_e32 v3, v3, v1
	s_delay_alu instid0(VALU_DEP_1)
	v_sub_nc_u32_e32 v6, v3, v1
.LBB7_593:
	s_mov_b32 s44, 0
	s_mov_b32 s43, -1
.LBB7_594:
	s_and_not1_b32 vcc_lo, exec_lo, s44
	s_cbranch_vccnz .LBB7_607
; %bb.595:
	s_cmp_gt_i32 s42, 14
	s_cbranch_scc0 .LBB7_598
; %bb.596:
	s_cmp_eq_u32 s42, 15
	s_cbranch_scc0 .LBB7_601
; %bb.597:
	global_load_u16 v1, v[8:9], off
	s_mov_b32 s43, -1
	s_mov_b32 s25, 0
	s_wait_loadcnt 0x0
	v_lshlrev_b32_e32 v1, 16, v1
	s_delay_alu instid0(VALU_DEP_1) | instskip(NEXT) | instid1(VALU_DEP_1)
	v_trunc_f32_e32 v1, v1
	v_mul_f32_e64 v3, 0x2f800000, |v1|
	s_delay_alu instid0(VALU_DEP_1) | instskip(NEXT) | instid1(VALU_DEP_1)
	v_floor_f32_e32 v3, v3
	v_fma_f32 v3, 0xcf800000, v3, |v1|
	v_ashrrev_i32_e32 v1, 31, v1
	s_delay_alu instid0(VALU_DEP_2) | instskip(NEXT) | instid1(VALU_DEP_1)
	v_cvt_u32_f32_e32 v3, v3
	v_xor_b32_e32 v3, v3, v1
	s_delay_alu instid0(VALU_DEP_1)
	v_sub_nc_u32_e32 v6, v3, v1
	s_branch .LBB7_602
.LBB7_598:
	s_mov_b32 s44, -1
                                        ; implicit-def: $vgpr6
	s_branch .LBB7_603
.LBB7_599:
	s_and_not1_saveexec_b32 s43, s43
	s_cbranch_execz .LBB7_580
.LBB7_600:
	v_cmp_ne_u16_e32 vcc_lo, 0, v1
	s_and_not1_b32 s44, s44, exec_lo
	s_and_b32 s46, vcc_lo, exec_lo
	s_delay_alu instid0(SALU_CYCLE_1)
	s_or_b32 s44, s44, s46
	s_or_b32 exec_lo, exec_lo, s43
	v_mov_b32_e32 v6, 0
	s_and_saveexec_b32 s43, s44
	s_cbranch_execnz .LBB7_581
	s_branch .LBB7_582
.LBB7_601:
	s_mov_b32 s25, -1
                                        ; implicit-def: $vgpr6
.LBB7_602:
	s_mov_b32 s44, 0
.LBB7_603:
	s_delay_alu instid0(SALU_CYCLE_1)
	s_and_b32 vcc_lo, exec_lo, s44
	s_cbranch_vccz .LBB7_607
; %bb.604:
	s_cmp_eq_u32 s42, 11
	s_cbranch_scc0 .LBB7_606
; %bb.605:
	global_load_u8 v1, v[8:9], off
	s_mov_b32 s25, 0
	s_mov_b32 s43, -1
	s_wait_loadcnt 0x0
	v_cmp_ne_u16_e32 vcc_lo, 0, v1
	v_cndmask_b32_e64 v6, 0, 1, vcc_lo
	s_branch .LBB7_607
.LBB7_606:
	s_mov_b32 s25, -1
                                        ; implicit-def: $vgpr6
.LBB7_607:
	s_mov_b32 s42, 0
.LBB7_608:
	s_delay_alu instid0(SALU_CYCLE_1)
	s_and_b32 vcc_lo, exec_lo, s42
	s_cbranch_vccz .LBB7_657
; %bb.609:
	s_and_b32 s0, 0xffff, s0
	s_delay_alu instid0(SALU_CYCLE_1)
	s_cmp_lt_i32 s0, 5
	s_cbranch_scc1 .LBB7_614
; %bb.610:
	s_cmp_lt_i32 s0, 8
	s_cbranch_scc1 .LBB7_615
; %bb.611:
	;; [unrolled: 3-line block ×3, first 2 shown]
	s_cmp_gt_i32 s0, 9
	s_cbranch_scc0 .LBB7_617
; %bb.613:
	s_wait_loadcnt 0x0
	global_load_b64 v[6:7], v[8:9], off
	s_mov_b32 s42, 0
	s_wait_loadcnt 0x0
	v_trunc_f64_e32 v[6:7], v[6:7]
	s_delay_alu instid0(VALU_DEP_1) | instskip(NEXT) | instid1(VALU_DEP_1)
	v_ldexp_f64 v[10:11], v[6:7], 0xffffffe0
	v_floor_f64_e32 v[10:11], v[10:11]
	s_delay_alu instid0(VALU_DEP_1) | instskip(NEXT) | instid1(VALU_DEP_1)
	v_fmamk_f64 v[6:7], v[10:11], 0xc1f00000, v[6:7]
	v_cvt_u32_f64_e32 v6, v[6:7]
	s_branch .LBB7_618
.LBB7_614:
	s_mov_b32 s42, -1
                                        ; implicit-def: $vgpr6
	s_branch .LBB7_636
.LBB7_615:
	s_mov_b32 s42, -1
                                        ; implicit-def: $vgpr6
	s_branch .LBB7_624
.LBB7_616:
	s_mov_b32 s42, -1
                                        ; implicit-def: $vgpr6
	s_branch .LBB7_621
.LBB7_617:
	s_mov_b32 s42, -1
                                        ; implicit-def: $vgpr6
.LBB7_618:
	s_delay_alu instid0(SALU_CYCLE_1)
	s_and_not1_b32 vcc_lo, exec_lo, s42
	s_cbranch_vccnz .LBB7_620
; %bb.619:
	global_load_b32 v1, v[8:9], off
	s_wait_loadcnt 0x0
	v_trunc_f32_e32 v1, v1
	s_delay_alu instid0(VALU_DEP_1) | instskip(NEXT) | instid1(VALU_DEP_1)
	v_mul_f32_e64 v3, 0x2f800000, |v1|
	v_floor_f32_e32 v3, v3
	s_delay_alu instid0(VALU_DEP_1) | instskip(SKIP_1) | instid1(VALU_DEP_2)
	v_fma_f32 v3, 0xcf800000, v3, |v1|
	v_ashrrev_i32_e32 v1, 31, v1
	v_cvt_u32_f32_e32 v3, v3
	s_delay_alu instid0(VALU_DEP_1) | instskip(NEXT) | instid1(VALU_DEP_1)
	v_xor_b32_e32 v3, v3, v1
	v_sub_nc_u32_e32 v6, v3, v1
.LBB7_620:
	s_mov_b32 s42, 0
.LBB7_621:
	s_delay_alu instid0(SALU_CYCLE_1)
	s_and_not1_b32 vcc_lo, exec_lo, s42
	s_cbranch_vccnz .LBB7_623
; %bb.622:
	global_load_b32 v1, v[8:9], off
	s_wait_loadcnt 0x0
	v_cvt_f32_f16_e32 v1, v1
	s_delay_alu instid0(VALU_DEP_1)
	v_cvt_i32_f32_e32 v6, v1
.LBB7_623:
	s_mov_b32 s42, 0
.LBB7_624:
	s_delay_alu instid0(SALU_CYCLE_1)
	s_and_not1_b32 vcc_lo, exec_lo, s42
	s_cbranch_vccnz .LBB7_635
; %bb.625:
	s_cmp_lt_i32 s0, 6
	s_cbranch_scc1 .LBB7_628
; %bb.626:
	s_cmp_gt_i32 s0, 6
	s_cbranch_scc0 .LBB7_629
; %bb.627:
	s_wait_loadcnt 0x0
	global_load_b64 v[6:7], v[8:9], off
	s_mov_b32 s42, 0
	s_wait_loadcnt 0x0
	v_trunc_f64_e32 v[6:7], v[6:7]
	s_delay_alu instid0(VALU_DEP_1) | instskip(NEXT) | instid1(VALU_DEP_1)
	v_ldexp_f64 v[10:11], v[6:7], 0xffffffe0
	v_floor_f64_e32 v[10:11], v[10:11]
	s_delay_alu instid0(VALU_DEP_1) | instskip(NEXT) | instid1(VALU_DEP_1)
	v_fmamk_f64 v[6:7], v[10:11], 0xc1f00000, v[6:7]
	v_cvt_u32_f64_e32 v6, v[6:7]
	s_branch .LBB7_630
.LBB7_628:
	s_mov_b32 s42, -1
                                        ; implicit-def: $vgpr6
	s_branch .LBB7_633
.LBB7_629:
	s_mov_b32 s42, -1
                                        ; implicit-def: $vgpr6
.LBB7_630:
	s_delay_alu instid0(SALU_CYCLE_1)
	s_and_not1_b32 vcc_lo, exec_lo, s42
	s_cbranch_vccnz .LBB7_632
; %bb.631:
	global_load_b32 v1, v[8:9], off
	s_wait_loadcnt 0x0
	v_trunc_f32_e32 v1, v1
	s_delay_alu instid0(VALU_DEP_1) | instskip(NEXT) | instid1(VALU_DEP_1)
	v_mul_f32_e64 v3, 0x2f800000, |v1|
	v_floor_f32_e32 v3, v3
	s_delay_alu instid0(VALU_DEP_1) | instskip(SKIP_1) | instid1(VALU_DEP_2)
	v_fma_f32 v3, 0xcf800000, v3, |v1|
	v_ashrrev_i32_e32 v1, 31, v1
	v_cvt_u32_f32_e32 v3, v3
	s_delay_alu instid0(VALU_DEP_1) | instskip(NEXT) | instid1(VALU_DEP_1)
	v_xor_b32_e32 v3, v3, v1
	v_sub_nc_u32_e32 v6, v3, v1
.LBB7_632:
	s_mov_b32 s42, 0
.LBB7_633:
	s_delay_alu instid0(SALU_CYCLE_1)
	s_and_not1_b32 vcc_lo, exec_lo, s42
	s_cbranch_vccnz .LBB7_635
; %bb.634:
	global_load_u16 v1, v[8:9], off
	s_wait_loadcnt 0x0
	v_cvt_f32_f16_e32 v1, v1
	s_delay_alu instid0(VALU_DEP_1)
	v_cvt_i32_f32_e32 v6, v1
.LBB7_635:
	s_mov_b32 s42, 0
.LBB7_636:
	s_delay_alu instid0(SALU_CYCLE_1)
	s_and_not1_b32 vcc_lo, exec_lo, s42
	s_cbranch_vccnz .LBB7_656
; %bb.637:
	s_cmp_lt_i32 s0, 2
	s_cbranch_scc1 .LBB7_641
; %bb.638:
	s_cmp_lt_i32 s0, 3
	s_cbranch_scc1 .LBB7_642
; %bb.639:
	s_cmp_gt_i32 s0, 3
	s_cbranch_scc0 .LBB7_643
; %bb.640:
	s_wait_loadcnt 0x0
	global_load_b64 v[6:7], v[8:9], off
	s_mov_b32 s42, 0
	s_branch .LBB7_644
.LBB7_641:
	s_mov_b32 s42, -1
                                        ; implicit-def: $vgpr6
	s_branch .LBB7_650
.LBB7_642:
	s_mov_b32 s42, -1
                                        ; implicit-def: $vgpr6
	s_branch .LBB7_647
.LBB7_643:
	s_mov_b32 s42, -1
                                        ; implicit-def: $vgpr6
.LBB7_644:
	s_delay_alu instid0(SALU_CYCLE_1)
	s_and_not1_b32 vcc_lo, exec_lo, s42
	s_cbranch_vccnz .LBB7_646
; %bb.645:
	s_wait_loadcnt 0x0
	global_load_b32 v6, v[8:9], off
.LBB7_646:
	s_mov_b32 s42, 0
.LBB7_647:
	s_delay_alu instid0(SALU_CYCLE_1)
	s_and_not1_b32 vcc_lo, exec_lo, s42
	s_cbranch_vccnz .LBB7_649
; %bb.648:
	s_wait_loadcnt 0x0
	global_load_u16 v6, v[8:9], off
.LBB7_649:
	s_mov_b32 s42, 0
.LBB7_650:
	s_delay_alu instid0(SALU_CYCLE_1)
	s_and_not1_b32 vcc_lo, exec_lo, s42
	s_cbranch_vccnz .LBB7_656
; %bb.651:
	s_cmp_gt_i32 s0, 0
	s_mov_b32 s0, 0
	s_cbranch_scc0 .LBB7_653
; %bb.652:
	s_wait_loadcnt 0x0
	global_load_u8 v6, v[8:9], off
	s_branch .LBB7_654
.LBB7_653:
	s_mov_b32 s0, -1
                                        ; implicit-def: $vgpr6
.LBB7_654:
	s_delay_alu instid0(SALU_CYCLE_1)
	s_and_not1_b32 vcc_lo, exec_lo, s0
	s_cbranch_vccnz .LBB7_656
; %bb.655:
	s_wait_loadcnt 0x0
	global_load_u8 v6, v[8:9], off
.LBB7_656:
	s_mov_b32 s43, -1
.LBB7_657:
	s_delay_alu instid0(SALU_CYCLE_1)
	s_and_not1_b32 vcc_lo, exec_lo, s43
	s_cbranch_vccnz .LBB7_668
; %bb.658:
	s_wait_loadcnt 0x0
	s_delay_alu instid0(VALU_DEP_3) | instskip(SKIP_3) | instid1(VALU_DEP_1)
	v_and_b32_e32 v1, 0xff, v4
	s_mov_b32 s42, 0
	s_mov_b32 s0, exec_lo
	s_wait_xcnt 0x0
	v_cmpx_ne_u16_e32 0, v1
	s_cbranch_execz .LBB7_661
.LBB7_659:                              ; =>This Inner Loop Header: Depth=1
	s_delay_alu instid0(VALU_DEP_3) | instskip(SKIP_1) | instid1(VALU_DEP_1)
	v_cvt_f32_ubyte0_e32 v5, v6
	v_mov_b32_e32 v1, v4
	v_cvt_f32_ubyte0_e32 v3, v1
	s_delay_alu instid0(VALU_DEP_1) | instskip(SKIP_1) | instid1(TRANS32_DEP_1)
	v_rcp_iflag_f32_e32 v4, v3
	v_nop
	v_mul_f32_e32 v4, v5, v4
	s_delay_alu instid0(VALU_DEP_1) | instskip(NEXT) | instid1(VALU_DEP_1)
	v_trunc_f32_e32 v4, v4
	v_fma_f32 v5, -v4, v3, v5
	v_cvt_u32_f32_e32 v4, v4
	s_delay_alu instid0(VALU_DEP_2) | instskip(NEXT) | instid1(VALU_DEP_1)
	v_cmp_ge_f32_e64 vcc_lo, |v5|, v3
	v_add_co_ci_u32_e64 v3, null, 0, v4, vcc_lo
	s_delay_alu instid0(VALU_DEP_1) | instskip(NEXT) | instid1(VALU_DEP_1)
	v_mul_lo_u32 v3, v3, v1
	v_dual_mov_b32 v6, v1 :: v_dual_sub_nc_u32 v3, v6, v3
	s_delay_alu instid0(VALU_DEP_1) | instskip(NEXT) | instid1(VALU_DEP_1)
	v_and_b32_e32 v4, 0xff, v3
	v_cmp_eq_u16_e32 vcc_lo, 0, v4
	s_or_b32 s42, vcc_lo, s42
	s_delay_alu instid0(SALU_CYCLE_1)
	s_and_not1_b32 exec_lo, exec_lo, s42
	s_cbranch_execnz .LBB7_659
; %bb.660:
	s_or_b32 exec_lo, exec_lo, s42
	v_mov_b32_e32 v6, v1
.LBB7_661:
	s_or_b32 exec_lo, exec_lo, s0
	v_mov_b32_e32 v3, 0
	s_and_b32 s42, s31, 0xff
	s_delay_alu instid0(SALU_CYCLE_1) | instskip(NEXT) | instid1(VALU_DEP_1)
	s_cmp_lt_i32 s42, 11
	v_add_nc_u64_e32 v[2:3], s[4:5], v[2:3]
	s_cbranch_scc1 .LBB7_669
; %bb.662:
	s_and_b32 s43, 0xffff, s42
	s_delay_alu instid0(SALU_CYCLE_1)
	s_cmp_gt_i32 s43, 25
	s_cbranch_scc0 .LBB7_670
; %bb.663:
	s_cmp_gt_i32 s43, 28
	s_cbranch_scc0 .LBB7_671
; %bb.664:
	;; [unrolled: 3-line block ×4, first 2 shown]
	s_mov_b32 s46, 0
	s_mov_b32 s0, -1
	s_cmp_eq_u32 s43, 46
	s_mov_b32 s44, 0
	s_cbranch_scc0 .LBB7_674
; %bb.667:
	v_cvt_f32_ubyte0_e32 v1, v6
	s_mov_b32 s44, -1
	s_mov_b32 s0, 0
	s_delay_alu instid0(VALU_DEP_1) | instskip(NEXT) | instid1(VALU_DEP_1)
	v_bfe_u32 v4, v1, 16, 1
	v_add3_u32 v1, v1, v4, 0x7fff
	s_delay_alu instid0(VALU_DEP_1)
	v_lshrrev_b32_e32 v1, 16, v1
	global_store_b32 v[2:3], v1, off
	s_branch .LBB7_674
.LBB7_668:
	s_mov_b32 s46, 0
	s_mov_b32 s0, s38
	s_branch .LBB7_785
.LBB7_669:
	s_mov_b32 s43, -1
	s_mov_b32 s44, 0
	s_mov_b32 s0, s38
	s_branch .LBB7_743
.LBB7_670:
	s_mov_b32 s46, -1
	s_mov_b32 s44, 0
	s_mov_b32 s0, s38
	s_branch .LBB7_701
.LBB7_671:
	s_mov_b32 s46, -1
	s_mov_b32 s44, 0
	s_mov_b32 s0, s38
	s_branch .LBB7_684
.LBB7_672:
	s_mov_b32 s46, -1
	s_mov_b32 s44, 0
	s_mov_b32 s0, s38
	s_branch .LBB7_680
.LBB7_673:
	s_mov_b32 s46, -1
	s_mov_b32 s44, 0
	s_mov_b32 s0, s38
.LBB7_674:
	s_and_b32 vcc_lo, exec_lo, s46
	s_cbranch_vccz .LBB7_679
; %bb.675:
	s_cmp_eq_u32 s43, 44
	s_mov_b32 s0, -1
	s_cbranch_scc0 .LBB7_679
; %bb.676:
	v_cvt_f32_ubyte0_e32 v5, v6
	s_mov_b32 s44, exec_lo
	s_wait_xcnt 0x0
	s_delay_alu instid0(VALU_DEP_1) | instskip(NEXT) | instid1(VALU_DEP_1)
	v_dual_mov_b32 v4, 0xff :: v_dual_lshrrev_b32 v1, 23, v5
	v_cmpx_ne_u32_e32 0xff, v1
; %bb.677:
	v_and_b32_e32 v4, 0x400000, v5
	v_and_or_b32 v5, 0x3fffff, v5, v1
	s_delay_alu instid0(VALU_DEP_2) | instskip(NEXT) | instid1(VALU_DEP_2)
	v_cmp_ne_u32_e32 vcc_lo, 0, v4
	v_cmp_ne_u32_e64 s0, 0, v5
	s_and_b32 s0, vcc_lo, s0
	s_delay_alu instid0(SALU_CYCLE_1) | instskip(NEXT) | instid1(VALU_DEP_1)
	v_cndmask_b32_e64 v4, 0, 1, s0
	v_add_nc_u32_e32 v4, v1, v4
; %bb.678:
	s_or_b32 exec_lo, exec_lo, s44
	s_mov_b32 s44, -1
	s_mov_b32 s0, 0
	global_store_b8 v[2:3], v4, off
.LBB7_679:
	s_mov_b32 s46, 0
.LBB7_680:
	s_delay_alu instid0(SALU_CYCLE_1)
	s_and_b32 vcc_lo, exec_lo, s46
	s_cbranch_vccz .LBB7_683
; %bb.681:
	s_cmp_eq_u32 s43, 29
	s_mov_b32 s0, -1
	s_cbranch_scc0 .LBB7_683
; %bb.682:
	s_wait_xcnt 0x0
	v_and_b32_e32 v4, 0xff, v6
	v_mov_b32_e32 v5, 0
	s_mov_b32 s44, -1
	s_mov_b32 s0, 0
	s_mov_b32 s46, 0
	global_store_b64 v[2:3], v[4:5], off
	s_branch .LBB7_684
.LBB7_683:
	s_mov_b32 s46, 0
.LBB7_684:
	s_delay_alu instid0(SALU_CYCLE_1)
	s_and_b32 vcc_lo, exec_lo, s46
	s_cbranch_vccz .LBB7_700
; %bb.685:
	s_cmp_lt_i32 s43, 27
	s_mov_b32 s44, -1
	s_cbranch_scc1 .LBB7_691
; %bb.686:
	s_cmp_gt_i32 s43, 27
	s_cbranch_scc0 .LBB7_688
; %bb.687:
	s_wait_xcnt 0x0
	v_and_b32_e32 v1, 0xff, v6
	s_mov_b32 s44, 0
	global_store_b32 v[2:3], v1, off
.LBB7_688:
	s_and_not1_b32 vcc_lo, exec_lo, s44
	s_cbranch_vccnz .LBB7_690
; %bb.689:
	s_wait_xcnt 0x0
	v_and_b32_e32 v1, 0xff, v6
	global_store_b16 v[2:3], v1, off
.LBB7_690:
	s_mov_b32 s44, 0
.LBB7_691:
	s_delay_alu instid0(SALU_CYCLE_1)
	s_and_not1_b32 vcc_lo, exec_lo, s44
	s_cbranch_vccnz .LBB7_699
; %bb.692:
	s_wait_xcnt 0x0
	v_cvt_f32_ubyte0_e32 v4, v6
	v_mov_b32_e32 v5, 0x80
	s_mov_b32 s44, exec_lo
	s_delay_alu instid0(VALU_DEP_2)
	v_cmpx_gt_u32_e32 0x43800000, v4
	s_cbranch_execz .LBB7_698
; %bb.693:
	s_mov_b32 s46, 0
	s_mov_b32 s47, exec_lo
                                        ; implicit-def: $vgpr1
	v_cmpx_lt_u32_e32 0x3bffffff, v4
	s_xor_b32 s47, exec_lo, s47
	s_cbranch_execz .LBB7_813
; %bb.694:
	v_bfe_u32 v1, v4, 20, 1
	s_mov_b32 s46, exec_lo
	s_delay_alu instid0(VALU_DEP_1) | instskip(NEXT) | instid1(VALU_DEP_1)
	v_add3_u32 v1, v4, v1, 0x487ffff
                                        ; implicit-def: $vgpr4
	v_lshrrev_b32_e32 v1, 20, v1
	s_and_not1_saveexec_b32 s47, s47
	s_cbranch_execnz .LBB7_814
.LBB7_695:
	s_or_b32 exec_lo, exec_lo, s47
	v_mov_b32_e32 v5, 0
	s_and_saveexec_b32 s47, s46
.LBB7_696:
	v_mov_b32_e32 v5, v1
.LBB7_697:
	s_or_b32 exec_lo, exec_lo, s47
.LBB7_698:
	s_delay_alu instid0(SALU_CYCLE_1)
	s_or_b32 exec_lo, exec_lo, s44
	global_store_b8 v[2:3], v5, off
.LBB7_699:
	s_mov_b32 s44, -1
.LBB7_700:
	s_mov_b32 s46, 0
.LBB7_701:
	s_delay_alu instid0(SALU_CYCLE_1)
	s_and_b32 vcc_lo, exec_lo, s46
	s_cbranch_vccz .LBB7_742
; %bb.702:
	s_cmp_gt_i32 s43, 22
	s_mov_b32 s46, -1
	s_cbranch_scc0 .LBB7_734
; %bb.703:
	s_cmp_lt_i32 s43, 24
	s_mov_b32 s44, -1
	s_cbranch_scc1 .LBB7_723
; %bb.704:
	s_cmp_gt_i32 s43, 24
	s_cbranch_scc0 .LBB7_712
; %bb.705:
	s_wait_xcnt 0x0
	v_cvt_f32_ubyte0_e32 v4, v6
	v_mov_b32_e32 v5, 0x80
	s_mov_b32 s44, exec_lo
	s_delay_alu instid0(VALU_DEP_2)
	v_cmpx_gt_u32_e32 0x47800000, v4
	s_cbranch_execz .LBB7_711
; %bb.706:
	s_mov_b32 s46, 0
	s_mov_b32 s47, exec_lo
                                        ; implicit-def: $vgpr1
	v_cmpx_lt_u32_e32 0x37ffffff, v4
	s_xor_b32 s47, exec_lo, s47
	s_cbranch_execz .LBB7_941
; %bb.707:
	v_bfe_u32 v1, v4, 21, 1
	s_mov_b32 s46, exec_lo
	s_delay_alu instid0(VALU_DEP_1) | instskip(NEXT) | instid1(VALU_DEP_1)
	v_add3_u32 v1, v4, v1, 0x88fffff
                                        ; implicit-def: $vgpr4
	v_lshrrev_b32_e32 v1, 21, v1
	s_and_not1_saveexec_b32 s47, s47
	s_cbranch_execnz .LBB7_942
.LBB7_708:
	s_or_b32 exec_lo, exec_lo, s47
	v_mov_b32_e32 v5, 0
	s_and_saveexec_b32 s47, s46
.LBB7_709:
	v_mov_b32_e32 v5, v1
.LBB7_710:
	s_or_b32 exec_lo, exec_lo, s47
.LBB7_711:
	s_delay_alu instid0(SALU_CYCLE_1)
	s_or_b32 exec_lo, exec_lo, s44
	s_mov_b32 s44, 0
	global_store_b8 v[2:3], v5, off
.LBB7_712:
	s_and_b32 vcc_lo, exec_lo, s44
	s_cbranch_vccz .LBB7_722
; %bb.713:
	s_wait_xcnt 0x0
	v_cvt_f32_ubyte0_e32 v4, v6
	s_mov_b32 s44, exec_lo
                                        ; implicit-def: $vgpr1
	s_delay_alu instid0(VALU_DEP_1)
	v_cmpx_gt_u32_e32 0x43f00000, v4
	s_xor_b32 s44, exec_lo, s44
	s_cbranch_execz .LBB7_719
; %bb.714:
	s_mov_b32 s46, exec_lo
                                        ; implicit-def: $vgpr1
	v_cmpx_lt_u32_e32 0x3c7fffff, v4
	s_xor_b32 s46, exec_lo, s46
; %bb.715:
	v_bfe_u32 v1, v4, 20, 1
	s_delay_alu instid0(VALU_DEP_1) | instskip(NEXT) | instid1(VALU_DEP_1)
	v_add3_u32 v1, v4, v1, 0x407ffff
	v_and_b32_e32 v4, 0xff00000, v1
	v_lshrrev_b32_e32 v1, 20, v1
	s_delay_alu instid0(VALU_DEP_2) | instskip(NEXT) | instid1(VALU_DEP_2)
	v_cmp_ne_u32_e32 vcc_lo, 0x7f00000, v4
                                        ; implicit-def: $vgpr4
	v_cndmask_b32_e32 v1, 0x7e, v1, vcc_lo
; %bb.716:
	s_and_not1_saveexec_b32 s46, s46
; %bb.717:
	v_add_f32_e32 v1, 0x46800000, v4
; %bb.718:
	s_or_b32 exec_lo, exec_lo, s46
                                        ; implicit-def: $vgpr4
.LBB7_719:
	s_and_not1_saveexec_b32 s44, s44
; %bb.720:
	v_mov_b32_e32 v1, 0x7f
	v_cmp_lt_u32_e32 vcc_lo, 0x7f800000, v4
	s_delay_alu instid0(VALU_DEP_2)
	v_cndmask_b32_e32 v1, 0x7e, v1, vcc_lo
; %bb.721:
	s_or_b32 exec_lo, exec_lo, s44
	global_store_b8 v[2:3], v1, off
.LBB7_722:
	s_mov_b32 s44, 0
.LBB7_723:
	s_delay_alu instid0(SALU_CYCLE_1)
	s_and_not1_b32 vcc_lo, exec_lo, s44
	s_cbranch_vccnz .LBB7_733
; %bb.724:
	s_wait_xcnt 0x0
	v_cvt_f32_ubyte0_e32 v4, v6
	s_mov_b32 s44, exec_lo
                                        ; implicit-def: $vgpr1
	s_delay_alu instid0(VALU_DEP_1)
	v_cmpx_gt_u32_e32 0x47800000, v4
	s_xor_b32 s44, exec_lo, s44
	s_cbranch_execz .LBB7_730
; %bb.725:
	s_mov_b32 s46, exec_lo
                                        ; implicit-def: $vgpr1
	v_cmpx_lt_u32_e32 0x387fffff, v4
	s_xor_b32 s46, exec_lo, s46
; %bb.726:
	v_bfe_u32 v1, v4, 21, 1
	s_delay_alu instid0(VALU_DEP_1) | instskip(NEXT) | instid1(VALU_DEP_1)
	v_add3_u32 v1, v4, v1, 0x80fffff
                                        ; implicit-def: $vgpr4
	v_lshrrev_b32_e32 v1, 21, v1
; %bb.727:
	s_and_not1_saveexec_b32 s46, s46
; %bb.728:
	v_add_f32_e32 v1, 0x43000000, v4
; %bb.729:
	s_or_b32 exec_lo, exec_lo, s46
                                        ; implicit-def: $vgpr4
.LBB7_730:
	s_and_not1_saveexec_b32 s44, s44
; %bb.731:
	v_mov_b32_e32 v1, 0x7f
	v_cmp_lt_u32_e32 vcc_lo, 0x7f800000, v4
	s_delay_alu instid0(VALU_DEP_2)
	v_cndmask_b32_e32 v1, 0x7c, v1, vcc_lo
; %bb.732:
	s_or_b32 exec_lo, exec_lo, s44
	global_store_b8 v[2:3], v1, off
.LBB7_733:
	s_mov_b32 s46, 0
	s_mov_b32 s44, -1
.LBB7_734:
	s_and_not1_b32 vcc_lo, exec_lo, s46
	s_cbranch_vccnz .LBB7_742
; %bb.735:
	s_cmp_gt_i32 s43, 14
	s_mov_b32 s46, -1
	s_cbranch_scc0 .LBB7_739
; %bb.736:
	s_cmp_eq_u32 s43, 15
	s_mov_b32 s0, -1
	s_cbranch_scc0 .LBB7_738
; %bb.737:
	s_wait_xcnt 0x0
	v_cvt_f32_ubyte0_e32 v1, v6
	s_mov_b32 s44, -1
	s_mov_b32 s0, 0
	s_delay_alu instid0(VALU_DEP_1) | instskip(NEXT) | instid1(VALU_DEP_1)
	v_bfe_u32 v4, v1, 16, 1
	v_add3_u32 v1, v1, v4, 0x7fff
	global_store_d16_hi_b16 v[2:3], v1, off
.LBB7_738:
	s_mov_b32 s46, 0
.LBB7_739:
	s_delay_alu instid0(SALU_CYCLE_1)
	s_and_b32 vcc_lo, exec_lo, s46
	s_cbranch_vccz .LBB7_742
; %bb.740:
	s_cmp_eq_u32 s43, 11
	s_mov_b32 s0, -1
	s_cbranch_scc0 .LBB7_742
; %bb.741:
	s_wait_xcnt 0x0
	v_and_b32_e32 v1, 0xff, v6
	s_mov_b32 s0, 0
	s_mov_b32 s44, -1
	s_delay_alu instid0(VALU_DEP_1)
	v_cmp_ne_u16_e32 vcc_lo, 0, v1
	v_cndmask_b32_e64 v1, 0, 1, vcc_lo
	global_store_b8 v[2:3], v1, off
.LBB7_742:
	s_mov_b32 s43, 0
.LBB7_743:
	s_delay_alu instid0(SALU_CYCLE_1)
	s_and_b32 vcc_lo, exec_lo, s43
	s_cbranch_vccz .LBB7_782
; %bb.744:
	s_and_b32 s42, 0xffff, s42
	s_mov_b32 s43, -1
	s_cmp_lt_i32 s42, 5
	s_cbranch_scc1 .LBB7_765
; %bb.745:
	s_cmp_lt_i32 s42, 8
	s_cbranch_scc1 .LBB7_755
; %bb.746:
	;; [unrolled: 3-line block ×3, first 2 shown]
	s_cmp_gt_i32 s42, 9
	s_cbranch_scc0 .LBB7_749
; %bb.748:
	s_wait_xcnt 0x0
	v_and_b32_e32 v1, 0xff, v6
	v_mov_b32_e32 v10, 0
	s_mov_b32 s43, 0
	s_delay_alu instid0(VALU_DEP_2) | instskip(NEXT) | instid1(VALU_DEP_2)
	v_and_b32_e32 v1, 0xffff, v1
	v_mov_b32_e32 v11, v10
	s_delay_alu instid0(VALU_DEP_2)
	v_cvt_f64_u32_e32 v[8:9], v1
	global_store_b128 v[2:3], v[8:11], off
.LBB7_749:
	s_and_not1_b32 vcc_lo, exec_lo, s43
	s_cbranch_vccnz .LBB7_751
; %bb.750:
	s_wait_xcnt 0x0
	v_cvt_f32_ubyte0_e32 v4, v6
	v_mov_b32_e32 v5, 0
	global_store_b64 v[2:3], v[4:5], off
.LBB7_751:
	s_mov_b32 s43, 0
.LBB7_752:
	s_delay_alu instid0(SALU_CYCLE_1)
	s_and_not1_b32 vcc_lo, exec_lo, s43
	s_cbranch_vccnz .LBB7_754
; %bb.753:
	s_wait_xcnt 0x0
	v_and_b32_e32 v1, 0xff, v6
	s_delay_alu instid0(VALU_DEP_1) | instskip(NEXT) | instid1(VALU_DEP_1)
	v_cvt_f16_u16_e32 v1, v1
	v_and_b32_e32 v1, 0xffff, v1
	global_store_b32 v[2:3], v1, off
.LBB7_754:
	s_mov_b32 s43, 0
.LBB7_755:
	s_delay_alu instid0(SALU_CYCLE_1)
	s_and_not1_b32 vcc_lo, exec_lo, s43
	s_cbranch_vccnz .LBB7_764
; %bb.756:
	s_cmp_lt_i32 s42, 6
	s_mov_b32 s43, -1
	s_cbranch_scc1 .LBB7_762
; %bb.757:
	s_cmp_gt_i32 s42, 6
	s_cbranch_scc0 .LBB7_759
; %bb.758:
	s_wait_xcnt 0x0
	v_and_b32_e32 v1, 0xff, v6
	s_mov_b32 s43, 0
	s_delay_alu instid0(VALU_DEP_1) | instskip(NEXT) | instid1(VALU_DEP_1)
	v_and_b32_e32 v1, 0xffff, v1
	v_cvt_f64_u32_e32 v[4:5], v1
	global_store_b64 v[2:3], v[4:5], off
.LBB7_759:
	s_and_not1_b32 vcc_lo, exec_lo, s43
	s_cbranch_vccnz .LBB7_761
; %bb.760:
	s_wait_xcnt 0x0
	v_cvt_f32_ubyte0_e32 v1, v6
	global_store_b32 v[2:3], v1, off
.LBB7_761:
	s_mov_b32 s43, 0
.LBB7_762:
	s_delay_alu instid0(SALU_CYCLE_1)
	s_and_not1_b32 vcc_lo, exec_lo, s43
	s_cbranch_vccnz .LBB7_764
; %bb.763:
	s_wait_xcnt 0x0
	v_and_b32_e32 v1, 0xff, v6
	s_delay_alu instid0(VALU_DEP_1)
	v_cvt_f16_u16_e32 v1, v1
	global_store_b16 v[2:3], v1, off
.LBB7_764:
	s_mov_b32 s43, 0
.LBB7_765:
	s_delay_alu instid0(SALU_CYCLE_1)
	s_and_not1_b32 vcc_lo, exec_lo, s43
	s_cbranch_vccnz .LBB7_781
; %bb.766:
	s_cmp_lt_i32 s42, 2
	s_mov_b32 s43, -1
	s_cbranch_scc1 .LBB7_776
; %bb.767:
	s_cmp_lt_i32 s42, 3
	s_cbranch_scc1 .LBB7_773
; %bb.768:
	s_cmp_gt_i32 s42, 3
	s_cbranch_scc0 .LBB7_770
; %bb.769:
	s_wait_xcnt 0x0
	v_and_b32_e32 v4, 0xff, v6
	v_mov_b32_e32 v5, 0
	s_mov_b32 s43, 0
	global_store_b64 v[2:3], v[4:5], off
.LBB7_770:
	s_and_not1_b32 vcc_lo, exec_lo, s43
	s_cbranch_vccnz .LBB7_772
; %bb.771:
	s_wait_xcnt 0x0
	v_and_b32_e32 v1, 0xff, v6
	global_store_b32 v[2:3], v1, off
.LBB7_772:
	s_mov_b32 s43, 0
.LBB7_773:
	s_delay_alu instid0(SALU_CYCLE_1)
	s_and_not1_b32 vcc_lo, exec_lo, s43
	s_cbranch_vccnz .LBB7_775
; %bb.774:
	s_wait_xcnt 0x0
	v_and_b32_e32 v1, 0xff, v6
	global_store_b16 v[2:3], v1, off
.LBB7_775:
	s_mov_b32 s43, 0
.LBB7_776:
	s_delay_alu instid0(SALU_CYCLE_1)
	s_and_not1_b32 vcc_lo, exec_lo, s43
	s_cbranch_vccnz .LBB7_781
; %bb.777:
	s_cmp_gt_i32 s42, 0
	s_mov_b32 s42, -1
	s_cbranch_scc0 .LBB7_779
; %bb.778:
	s_mov_b32 s42, 0
	global_store_b8 v[2:3], v6, off
.LBB7_779:
	s_and_not1_b32 vcc_lo, exec_lo, s42
	s_cbranch_vccnz .LBB7_781
; %bb.780:
	global_store_b8 v[2:3], v6, off
.LBB7_781:
	s_mov_b32 s44, -1
.LBB7_782:
	s_delay_alu instid0(SALU_CYCLE_1)
	s_and_not1_b32 vcc_lo, exec_lo, s44
	s_cbranch_vccnz .LBB7_784
; %bb.783:
	v_add_nc_u32_e32 v0, 0x80, v0
	s_mov_b32 s46, -1
	s_branch .LBB7_786
.LBB7_784:
	s_mov_b32 s46, 0
.LBB7_785:
                                        ; implicit-def: $vgpr0
.LBB7_786:
	s_and_not1_b32 s42, s38, exec_lo
	s_and_b32 s0, s0, exec_lo
	s_and_b32 s25, s25, exec_lo
	s_or_b32 s43, s42, s0
	s_and_not1_b32 s0, s39, exec_lo
	s_and_not1_b32 s42, s40, exec_lo
	s_and_b32 s24, s24, exec_lo
	s_or_b32 s44, s0, s25
	s_or_b32 s42, s42, s24
	s_or_not1_b32 s47, s46, exec_lo
.LBB7_787:
	s_wait_xcnt 0x0
	s_or_b32 exec_lo, exec_lo, s45
	s_mov_b32 s25, 0
	s_mov_b32 s46, 0
	;; [unrolled: 1-line block ×3, first 2 shown]
                                        ; implicit-def: $sgpr0
                                        ; implicit-def: $vgpr8_vgpr9
                                        ; implicit-def: $vgpr6
                                        ; implicit-def: $vgpr2
                                        ; implicit-def: $vgpr4
	s_and_saveexec_b32 s45, s47
	s_cbranch_execz .LBB7_1277
; %bb.788:
	s_mov_b32 s51, -1
	s_mov_b32 s47, s42
	s_mov_b32 s49, s44
	;; [unrolled: 1-line block ×3, first 2 shown]
	s_mov_b32 s46, exec_lo
	v_cmpx_gt_i32_e64 s36, v0
	s_cbranch_execz .LBB7_1185
; %bb.789:
	s_and_not1_b32 vcc_lo, exec_lo, s29
	s_cbranch_vccnz .LBB7_795
; %bb.790:
	s_and_not1_b32 vcc_lo, exec_lo, s37
	s_cbranch_vccnz .LBB7_796
; %bb.791:
	v_dual_mov_b32 v2, 0 :: v_dual_mov_b32 v1, v0
	s_wait_loadcnt 0x0
	v_dual_mov_b32 v4, 0 :: v_dual_mov_b32 v6, 0
	s_add_co_i32 s0, s35, 1
	s_mov_b64 s[24:25], 0xffffffffffffffe8
	s_and_b32 s0, s0, 30
	s_add_nc_u64 s[24:25], s[2:3], s[24:25]
.LBB7_792:                              ; =>This Inner Loop Header: Depth=1
	s_clause 0x1
	s_load_b128 s[48:51], s[24:25], 0x1c
	s_load_b64 s[56:57], s[24:25], 0x2c
	s_add_co_i32 s0, s0, -2
	s_delay_alu instid0(SALU_CYCLE_1) | instskip(SKIP_2) | instid1(VALU_DEP_1)
	s_cmp_eq_u32 s0, 0
	s_wait_kmcnt 0x0
	v_mul_hi_u32 v3, s49, v1
	v_add_nc_u32_e32 v3, v1, v3
	s_delay_alu instid0(VALU_DEP_1) | instskip(NEXT) | instid1(VALU_DEP_1)
	v_lshrrev_b32_e32 v3, s50, v3
	v_mul_hi_u32 v5, s56, v3
	v_mul_lo_u32 v7, v3, s48
	s_clause 0x1
	s_load_b128 s[52:55], s[24:25], 0xdc
	s_load_b64 s[48:49], s[24:25], 0xec
	s_wait_xcnt 0x0
	s_add_nc_u64 s[24:25], s[24:25], 24
	s_delay_alu instid0(VALU_DEP_1) | instskip(NEXT) | instid1(VALU_DEP_1)
	v_dual_add_nc_u32 v5, v3, v5 :: v_dual_sub_nc_u32 v7, v1, v7
	v_lshrrev_b32_e32 v1, s57, v5
	s_wait_kmcnt 0x0
	s_delay_alu instid0(VALU_DEP_2) | instskip(NEXT) | instid1(VALU_DEP_2)
	v_mad_u32 v2, v7, s52, v2
	v_mul_lo_u32 v5, v1, s51
	v_mad_u32 v6, v7, s54, v6
	v_mad_u32 v4, v7, s53, v4
	s_delay_alu instid0(VALU_DEP_3) | instskip(NEXT) | instid1(VALU_DEP_1)
	v_sub_nc_u32_e32 v3, v3, v5
	v_mad_u32 v2, v3, s55, v2
	s_delay_alu instid0(VALU_DEP_4) | instskip(NEXT) | instid1(VALU_DEP_4)
	v_mad_u32 v6, v3, s49, v6
	v_mad_u32 v4, v3, s48, v4
	s_cbranch_scc0 .LBB7_792
; %bb.793:
	s_bitcmp1_b32 s35, 0
	s_cselect_b32 s0, -1, 0
	s_delay_alu instid0(SALU_CYCLE_1)
	s_and_b32 vcc_lo, exec_lo, s0
	s_cbranch_vccnz .LBB7_797
; %bb.794:
	s_clause 0x1
	s_load_b96 s[48:50], s[24:25], 0x1c
	s_load_b96 s[52:54], s[24:25], 0xdc
	s_wait_kmcnt 0x0
	v_mul_hi_u32 v3, s49, v1
	s_delay_alu instid0(VALU_DEP_1) | instskip(NEXT) | instid1(VALU_DEP_1)
	v_add_nc_u32_e32 v3, v1, v3
	v_lshrrev_b32_e32 v3, s50, v3
	s_delay_alu instid0(VALU_DEP_1) | instskip(NEXT) | instid1(VALU_DEP_1)
	v_mul_lo_u32 v3, v3, s48
	v_sub_nc_u32_e32 v1, v1, v3
	s_delay_alu instid0(VALU_DEP_1)
	v_mad_u32 v2, v1, s52, v2
	v_mad_u32 v4, v1, s53, v4
	;; [unrolled: 1-line block ×3, first 2 shown]
	s_branch .LBB7_797
.LBB7_795:
	s_mov_b32 s0, -1
                                        ; implicit-def: $vgpr6
                                        ; implicit-def: $vgpr4
                                        ; implicit-def: $vgpr2
	s_branch .LBB7_798
.LBB7_796:
	s_wait_loadcnt 0x0
	v_dual_mov_b32 v6, 0 :: v_dual_mov_b32 v4, 0
	v_mov_b32_e32 v2, 0
.LBB7_797:
	s_mov_b32 s0, 0
.LBB7_798:
	s_delay_alu instid0(SALU_CYCLE_1)
	s_and_not1_b32 vcc_lo, exec_lo, s0
	s_cbranch_vccnz .LBB7_801
; %bb.799:
	v_mov_b32_e32 v1, 0
	s_and_not1_b32 vcc_lo, exec_lo, s34
	s_delay_alu instid0(VALU_DEP_1) | instskip(NEXT) | instid1(VALU_DEP_1)
	v_mul_u64_e32 v[2:3], s[18:19], v[0:1]
	v_add_nc_u32_e32 v2, v0, v3
	s_delay_alu instid0(VALU_DEP_1) | instskip(NEXT) | instid1(VALU_DEP_1)
	v_lshrrev_b32_e32 v8, s10, v2
	v_mul_lo_u32 v2, v8, s8
	s_delay_alu instid0(VALU_DEP_1) | instskip(NEXT) | instid1(VALU_DEP_1)
	v_sub_nc_u32_e32 v3, v0, v2
	v_mul_lo_u32 v2, v3, s12
	s_wait_loadcnt 0x0
	v_mul_lo_u32 v6, v3, s14
	v_mul_lo_u32 v4, v3, s13
	s_cbranch_vccnz .LBB7_801
; %bb.800:
	v_mov_b32_e32 v9, v1
	s_delay_alu instid0(VALU_DEP_1) | instskip(NEXT) | instid1(VALU_DEP_1)
	v_mul_u64_e32 v[10:11], s[22:23], v[8:9]
	v_add_nc_u32_e32 v1, v8, v11
	s_delay_alu instid0(VALU_DEP_1) | instskip(NEXT) | instid1(VALU_DEP_1)
	v_lshrrev_b32_e32 v1, s1, v1
	v_mul_lo_u32 v1, v1, s11
	s_delay_alu instid0(VALU_DEP_1) | instskip(NEXT) | instid1(VALU_DEP_1)
	v_sub_nc_u32_e32 v1, v8, v1
	v_mad_u32 v2, v1, s15, v2
	v_mad_u32 v4, v1, s20, v4
	;; [unrolled: 1-line block ×3, first 2 shown]
.LBB7_801:
	s_wait_loadcnt 0x0
	v_mov_b32_e32 v5, 0
	s_and_b32 s0, s33, 0xff
	s_delay_alu instid0(SALU_CYCLE_1) | instskip(NEXT) | instid1(VALU_DEP_1)
	s_cmp_lt_i32 s0, 11
	v_add_nc_u64_e32 v[8:9], s[6:7], v[4:5]
	s_cbranch_scc1 .LBB7_808
; %bb.802:
	s_and_b32 s25, 0xffff, s0
	s_delay_alu instid0(SALU_CYCLE_1)
	s_cmp_gt_i32 s25, 25
	s_cbranch_scc0 .LBB7_809
; %bb.803:
	s_cmp_gt_i32 s25, 28
	s_cbranch_scc0 .LBB7_810
; %bb.804:
	;; [unrolled: 3-line block ×4, first 2 shown]
	s_cmp_eq_u32 s25, 46
	s_mov_b32 s48, 0
	s_cbranch_scc0 .LBB7_815
; %bb.807:
	global_load_b32 v1, v[8:9], off
	s_mov_b32 s47, -1
	s_mov_b32 s24, 0
	s_wait_loadcnt 0x0
	v_lshlrev_b32_e32 v1, 16, v1
	s_delay_alu instid0(VALU_DEP_1) | instskip(NEXT) | instid1(VALU_DEP_1)
	v_trunc_f32_e32 v1, v1
	v_mul_f32_e64 v3, 0x2f800000, |v1|
	s_delay_alu instid0(VALU_DEP_1) | instskip(NEXT) | instid1(VALU_DEP_1)
	v_floor_f32_e32 v3, v3
	v_fma_f32 v3, 0xcf800000, v3, |v1|
	v_ashrrev_i32_e32 v1, 31, v1
	s_delay_alu instid0(VALU_DEP_2) | instskip(NEXT) | instid1(VALU_DEP_1)
	v_cvt_u32_f32_e32 v3, v3
	v_xor_b32_e32 v3, v3, v1
	s_delay_alu instid0(VALU_DEP_1)
	v_sub_nc_u32_e32 v4, v3, v1
	s_branch .LBB7_817
.LBB7_808:
	s_mov_b32 s25, -1
	s_mov_b32 s47, 0
	s_mov_b32 s24, s42
                                        ; implicit-def: $vgpr4
	s_branch .LBB7_878
.LBB7_809:
	s_mov_b32 s48, -1
	s_mov_b32 s47, 0
	s_mov_b32 s24, s42
                                        ; implicit-def: $vgpr4
	s_branch .LBB7_844
.LBB7_810:
	s_mov_b32 s48, -1
	s_mov_b32 s47, 0
	s_mov_b32 s24, s42
                                        ; implicit-def: $vgpr4
	s_branch .LBB7_827
.LBB7_811:
	s_mov_b32 s48, -1
	s_mov_b32 s47, 0
	s_mov_b32 s24, s42
                                        ; implicit-def: $vgpr4
	s_branch .LBB7_822
.LBB7_812:
	s_mov_b32 s48, -1
	s_mov_b32 s47, 0
	s_mov_b32 s24, s42
	s_branch .LBB7_816
.LBB7_813:
	s_and_not1_saveexec_b32 s47, s47
	s_cbranch_execz .LBB7_695
.LBB7_814:
	v_add_f32_e32 v1, 0x46000000, v4
	s_and_not1_b32 s46, s46, exec_lo
	s_delay_alu instid0(VALU_DEP_1) | instskip(NEXT) | instid1(VALU_DEP_1)
	v_and_b32_e32 v1, 0xff, v1
	v_cmp_ne_u32_e32 vcc_lo, 0, v1
	s_and_b32 s48, vcc_lo, exec_lo
	s_delay_alu instid0(SALU_CYCLE_1)
	s_or_b32 s46, s46, s48
	s_or_b32 exec_lo, exec_lo, s47
	v_mov_b32_e32 v5, 0
	s_and_saveexec_b32 s47, s46
	s_cbranch_execnz .LBB7_696
	s_branch .LBB7_697
.LBB7_815:
	s_mov_b32 s24, -1
	s_mov_b32 s47, 0
.LBB7_816:
                                        ; implicit-def: $vgpr4
.LBB7_817:
	s_and_b32 vcc_lo, exec_lo, s48
	s_cbranch_vccz .LBB7_821
; %bb.818:
	s_cmp_eq_u32 s25, 44
	s_cbranch_scc0 .LBB7_820
; %bb.819:
	global_load_u8 v1, v[8:9], off
	s_mov_b32 s24, 0
	s_mov_b32 s47, -1
	s_wait_loadcnt 0x0
	v_lshlrev_b32_e32 v3, 23, v1
	v_cmp_ne_u32_e32 vcc_lo, 0, v1
	s_delay_alu instid0(VALU_DEP_2) | instskip(NEXT) | instid1(VALU_DEP_1)
	v_trunc_f32_e32 v3, v3
	v_mul_f32_e64 v4, 0x2f800000, |v3|
	s_delay_alu instid0(VALU_DEP_1) | instskip(NEXT) | instid1(VALU_DEP_1)
	v_floor_f32_e32 v4, v4
	v_fma_f32 v4, 0xcf800000, v4, |v3|
	v_ashrrev_i32_e32 v3, 31, v3
	s_delay_alu instid0(VALU_DEP_2) | instskip(NEXT) | instid1(VALU_DEP_1)
	v_cvt_u32_f32_e32 v4, v4
	v_xor_b32_e32 v4, v4, v3
	s_delay_alu instid0(VALU_DEP_1) | instskip(NEXT) | instid1(VALU_DEP_1)
	v_sub_nc_u32_e32 v3, v4, v3
	v_cndmask_b32_e32 v4, 0, v3, vcc_lo
	s_branch .LBB7_821
.LBB7_820:
	s_mov_b32 s24, -1
                                        ; implicit-def: $vgpr4
.LBB7_821:
	s_mov_b32 s48, 0
.LBB7_822:
	s_delay_alu instid0(SALU_CYCLE_1)
	s_and_b32 vcc_lo, exec_lo, s48
	s_cbranch_vccz .LBB7_826
; %bb.823:
	s_cmp_eq_u32 s25, 29
	s_cbranch_scc0 .LBB7_825
; %bb.824:
	global_load_b64 v[4:5], v[8:9], off
	s_mov_b32 s47, -1
	s_mov_b32 s24, 0
	s_branch .LBB7_826
.LBB7_825:
	s_mov_b32 s24, -1
                                        ; implicit-def: $vgpr4
.LBB7_826:
	s_mov_b32 s48, 0
.LBB7_827:
	s_delay_alu instid0(SALU_CYCLE_1)
	s_and_b32 vcc_lo, exec_lo, s48
	s_cbranch_vccz .LBB7_843
; %bb.828:
	s_cmp_lt_i32 s25, 27
	s_cbranch_scc1 .LBB7_831
; %bb.829:
	s_cmp_gt_i32 s25, 27
	s_cbranch_scc0 .LBB7_832
; %bb.830:
	s_wait_loadcnt 0x0
	global_load_b32 v4, v[8:9], off
	s_mov_b32 s47, 0
	s_branch .LBB7_833
.LBB7_831:
	s_mov_b32 s47, -1
                                        ; implicit-def: $vgpr4
	s_branch .LBB7_836
.LBB7_832:
	s_mov_b32 s47, -1
                                        ; implicit-def: $vgpr4
.LBB7_833:
	s_delay_alu instid0(SALU_CYCLE_1)
	s_and_not1_b32 vcc_lo, exec_lo, s47
	s_cbranch_vccnz .LBB7_835
; %bb.834:
	s_wait_loadcnt 0x0
	global_load_u16 v4, v[8:9], off
.LBB7_835:
	s_mov_b32 s47, 0
.LBB7_836:
	s_delay_alu instid0(SALU_CYCLE_1)
	s_and_not1_b32 vcc_lo, exec_lo, s47
	s_cbranch_vccnz .LBB7_842
; %bb.837:
	global_load_u8 v1, v[8:9], off
	s_mov_b32 s48, 0
	s_mov_b32 s47, exec_lo
	s_wait_loadcnt 0x0
	v_cmpx_lt_i16_e32 0x7f, v1
	s_xor_b32 s47, exec_lo, s47
	s_cbranch_execz .LBB7_854
; %bb.838:
	v_cmp_ne_u16_e32 vcc_lo, 0x80, v1
	s_and_b32 s48, vcc_lo, exec_lo
	s_and_not1_saveexec_b32 s47, s47
	s_cbranch_execnz .LBB7_855
.LBB7_839:
	s_or_b32 exec_lo, exec_lo, s47
	v_mov_b32_e32 v4, 0
	s_and_saveexec_b32 s47, s48
	s_cbranch_execz .LBB7_841
.LBB7_840:
	v_and_b32_e32 v3, 0xffff, v1
	s_delay_alu instid0(VALU_DEP_1) | instskip(SKIP_1) | instid1(VALU_DEP_2)
	v_and_b32_e32 v4, 7, v3
	v_bfe_u32 v10, v3, 3, 4
	v_clz_i32_u32_e32 v5, v4
	s_delay_alu instid0(VALU_DEP_2) | instskip(NEXT) | instid1(VALU_DEP_2)
	v_cmp_eq_u32_e32 vcc_lo, 0, v10
	v_min_u32_e32 v5, 32, v5
	s_delay_alu instid0(VALU_DEP_1) | instskip(NEXT) | instid1(VALU_DEP_1)
	v_subrev_nc_u32_e32 v7, 28, v5
	v_dual_lshlrev_b32 v3, v7, v3 :: v_dual_sub_nc_u32 v5, 29, v5
	s_delay_alu instid0(VALU_DEP_1) | instskip(NEXT) | instid1(VALU_DEP_1)
	v_dual_lshlrev_b32 v1, 24, v1 :: v_dual_bitop2_b32 v3, 7, v3 bitop3:0x40
	v_dual_cndmask_b32 v3, v4, v3, vcc_lo :: v_dual_cndmask_b32 v5, v10, v5, vcc_lo
	s_delay_alu instid0(VALU_DEP_2) | instskip(NEXT) | instid1(VALU_DEP_2)
	v_and_b32_e32 v1, 0x80000000, v1
	v_lshlrev_b32_e32 v3, 20, v3
	s_delay_alu instid0(VALU_DEP_3) | instskip(NEXT) | instid1(VALU_DEP_1)
	v_lshl_add_u32 v4, v5, 23, 0x3b800000
	v_or3_b32 v1, v1, v4, v3
	s_delay_alu instid0(VALU_DEP_1) | instskip(NEXT) | instid1(VALU_DEP_1)
	v_trunc_f32_e32 v1, v1
	v_mul_f32_e64 v3, 0x2f800000, |v1|
	s_delay_alu instid0(VALU_DEP_1) | instskip(NEXT) | instid1(VALU_DEP_1)
	v_floor_f32_e32 v3, v3
	v_fma_f32 v3, 0xcf800000, v3, |v1|
	v_ashrrev_i32_e32 v1, 31, v1
	s_delay_alu instid0(VALU_DEP_2) | instskip(NEXT) | instid1(VALU_DEP_1)
	v_cvt_u32_f32_e32 v3, v3
	v_xor_b32_e32 v3, v3, v1
	s_delay_alu instid0(VALU_DEP_1)
	v_sub_nc_u32_e32 v4, v3, v1
.LBB7_841:
	s_or_b32 exec_lo, exec_lo, s47
.LBB7_842:
	s_mov_b32 s47, -1
.LBB7_843:
	s_mov_b32 s48, 0
.LBB7_844:
	s_delay_alu instid0(SALU_CYCLE_1)
	s_and_b32 vcc_lo, exec_lo, s48
	s_cbranch_vccz .LBB7_877
; %bb.845:
	s_cmp_gt_i32 s25, 22
	s_cbranch_scc0 .LBB7_853
; %bb.846:
	s_cmp_lt_i32 s25, 24
	s_cbranch_scc1 .LBB7_856
; %bb.847:
	s_cmp_gt_i32 s25, 24
	s_cbranch_scc0 .LBB7_857
; %bb.848:
	global_load_u8 v1, v[8:9], off
	s_mov_b32 s48, 0
	s_mov_b32 s47, exec_lo
	s_wait_loadcnt 0x0
	v_cmpx_lt_i16_e32 0x7f, v1
	s_xor_b32 s47, exec_lo, s47
	s_cbranch_execz .LBB7_869
; %bb.849:
	v_cmp_ne_u16_e32 vcc_lo, 0x80, v1
	s_and_b32 s48, vcc_lo, exec_lo
	s_and_not1_saveexec_b32 s47, s47
	s_cbranch_execnz .LBB7_870
.LBB7_850:
	s_or_b32 exec_lo, exec_lo, s47
	v_mov_b32_e32 v4, 0
	s_and_saveexec_b32 s47, s48
	s_cbranch_execz .LBB7_852
.LBB7_851:
	v_and_b32_e32 v3, 0xffff, v1
	s_delay_alu instid0(VALU_DEP_1) | instskip(SKIP_1) | instid1(VALU_DEP_2)
	v_and_b32_e32 v4, 3, v3
	v_bfe_u32 v10, v3, 2, 5
	v_clz_i32_u32_e32 v5, v4
	s_delay_alu instid0(VALU_DEP_2) | instskip(NEXT) | instid1(VALU_DEP_2)
	v_cmp_eq_u32_e32 vcc_lo, 0, v10
	v_min_u32_e32 v5, 32, v5
	s_delay_alu instid0(VALU_DEP_1) | instskip(NEXT) | instid1(VALU_DEP_1)
	v_subrev_nc_u32_e32 v7, 29, v5
	v_dual_lshlrev_b32 v3, v7, v3 :: v_dual_sub_nc_u32 v5, 30, v5
	s_delay_alu instid0(VALU_DEP_1) | instskip(NEXT) | instid1(VALU_DEP_1)
	v_dual_lshlrev_b32 v1, 24, v1 :: v_dual_bitop2_b32 v3, 3, v3 bitop3:0x40
	v_dual_cndmask_b32 v3, v4, v3, vcc_lo :: v_dual_cndmask_b32 v5, v10, v5, vcc_lo
	s_delay_alu instid0(VALU_DEP_2) | instskip(NEXT) | instid1(VALU_DEP_2)
	v_and_b32_e32 v1, 0x80000000, v1
	v_lshlrev_b32_e32 v3, 21, v3
	s_delay_alu instid0(VALU_DEP_3) | instskip(NEXT) | instid1(VALU_DEP_1)
	v_lshl_add_u32 v4, v5, 23, 0x37800000
	v_or3_b32 v1, v1, v4, v3
	s_delay_alu instid0(VALU_DEP_1) | instskip(NEXT) | instid1(VALU_DEP_1)
	v_trunc_f32_e32 v1, v1
	v_mul_f32_e64 v3, 0x2f800000, |v1|
	s_delay_alu instid0(VALU_DEP_1) | instskip(NEXT) | instid1(VALU_DEP_1)
	v_floor_f32_e32 v3, v3
	v_fma_f32 v3, 0xcf800000, v3, |v1|
	v_ashrrev_i32_e32 v1, 31, v1
	s_delay_alu instid0(VALU_DEP_2) | instskip(NEXT) | instid1(VALU_DEP_1)
	v_cvt_u32_f32_e32 v3, v3
	v_xor_b32_e32 v3, v3, v1
	s_delay_alu instid0(VALU_DEP_1)
	v_sub_nc_u32_e32 v4, v3, v1
.LBB7_852:
	s_or_b32 exec_lo, exec_lo, s47
	s_mov_b32 s47, 0
	s_branch .LBB7_858
.LBB7_853:
	s_mov_b32 s48, -1
                                        ; implicit-def: $vgpr4
	s_branch .LBB7_864
.LBB7_854:
	s_and_not1_saveexec_b32 s47, s47
	s_cbranch_execz .LBB7_839
.LBB7_855:
	v_cmp_ne_u16_e32 vcc_lo, 0, v1
	s_and_not1_b32 s48, s48, exec_lo
	s_and_b32 s49, vcc_lo, exec_lo
	s_delay_alu instid0(SALU_CYCLE_1)
	s_or_b32 s48, s48, s49
	s_or_b32 exec_lo, exec_lo, s47
	v_mov_b32_e32 v4, 0
	s_and_saveexec_b32 s47, s48
	s_cbranch_execnz .LBB7_840
	s_branch .LBB7_841
.LBB7_856:
	s_mov_b32 s47, -1
                                        ; implicit-def: $vgpr4
	s_branch .LBB7_861
.LBB7_857:
	s_mov_b32 s47, -1
                                        ; implicit-def: $vgpr4
.LBB7_858:
	s_delay_alu instid0(SALU_CYCLE_1)
	s_and_b32 vcc_lo, exec_lo, s47
	s_cbranch_vccz .LBB7_860
; %bb.859:
	global_load_u8 v1, v[8:9], off
	s_wait_loadcnt 0x0
	v_lshlrev_b32_e32 v1, 24, v1
	s_delay_alu instid0(VALU_DEP_1) | instskip(NEXT) | instid1(VALU_DEP_1)
	v_and_b32_e32 v3, 0x7f000000, v1
	v_clz_i32_u32_e32 v4, v3
	v_add_nc_u32_e32 v7, 0x1000000, v3
	v_cmp_ne_u32_e32 vcc_lo, 0, v3
	s_delay_alu instid0(VALU_DEP_3) | instskip(NEXT) | instid1(VALU_DEP_1)
	v_min_u32_e32 v4, 32, v4
	v_sub_nc_u32_e64 v4, v4, 4 clamp
	s_delay_alu instid0(VALU_DEP_1) | instskip(NEXT) | instid1(VALU_DEP_1)
	v_dual_lshlrev_b32 v5, v4, v3 :: v_dual_lshlrev_b32 v4, 23, v4
	v_lshrrev_b32_e32 v5, 4, v5
	s_delay_alu instid0(VALU_DEP_1) | instskip(NEXT) | instid1(VALU_DEP_1)
	v_dual_sub_nc_u32 v4, v5, v4 :: v_dual_ashrrev_i32 v5, 8, v7
	v_add_nc_u32_e32 v4, 0x3c000000, v4
	s_delay_alu instid0(VALU_DEP_1) | instskip(NEXT) | instid1(VALU_DEP_1)
	v_and_or_b32 v4, 0x7f800000, v5, v4
	v_cndmask_b32_e32 v3, 0, v4, vcc_lo
	s_delay_alu instid0(VALU_DEP_1) | instskip(NEXT) | instid1(VALU_DEP_1)
	v_and_or_b32 v1, 0x80000000, v1, v3
	v_trunc_f32_e32 v1, v1
	s_delay_alu instid0(VALU_DEP_1) | instskip(NEXT) | instid1(VALU_DEP_1)
	v_mul_f32_e64 v3, 0x2f800000, |v1|
	v_floor_f32_e32 v3, v3
	s_delay_alu instid0(VALU_DEP_1) | instskip(SKIP_1) | instid1(VALU_DEP_2)
	v_fma_f32 v3, 0xcf800000, v3, |v1|
	v_ashrrev_i32_e32 v1, 31, v1
	v_cvt_u32_f32_e32 v3, v3
	s_delay_alu instid0(VALU_DEP_1) | instskip(NEXT) | instid1(VALU_DEP_1)
	v_xor_b32_e32 v3, v3, v1
	v_sub_nc_u32_e32 v4, v3, v1
.LBB7_860:
	s_mov_b32 s47, 0
.LBB7_861:
	s_delay_alu instid0(SALU_CYCLE_1)
	s_and_not1_b32 vcc_lo, exec_lo, s47
	s_cbranch_vccnz .LBB7_863
; %bb.862:
	global_load_u8 v1, v[8:9], off
	s_wait_loadcnt 0x0
	v_lshlrev_b32_e32 v3, 25, v1
	v_lshlrev_b16 v1, 8, v1
	s_delay_alu instid0(VALU_DEP_1) | instskip(NEXT) | instid1(VALU_DEP_3)
	v_and_or_b32 v5, 0x7f00, v1, 0.5
	v_lshrrev_b32_e32 v4, 4, v3
	v_bfe_i32 v1, v1, 0, 16
	s_delay_alu instid0(VALU_DEP_3) | instskip(NEXT) | instid1(VALU_DEP_3)
	v_add_f32_e32 v5, -0.5, v5
	v_or_b32_e32 v4, 0x70000000, v4
	s_delay_alu instid0(VALU_DEP_1) | instskip(SKIP_1) | instid1(VALU_DEP_2)
	v_mul_f32_e32 v4, 0x7800000, v4
	v_cmp_gt_u32_e32 vcc_lo, 0x8000000, v3
	v_cndmask_b32_e32 v3, v4, v5, vcc_lo
	s_delay_alu instid0(VALU_DEP_1) | instskip(NEXT) | instid1(VALU_DEP_1)
	v_and_or_b32 v1, 0x80000000, v1, v3
	v_trunc_f32_e32 v1, v1
	s_delay_alu instid0(VALU_DEP_1) | instskip(NEXT) | instid1(VALU_DEP_1)
	v_mul_f32_e64 v3, 0x2f800000, |v1|
	v_floor_f32_e32 v3, v3
	s_delay_alu instid0(VALU_DEP_1) | instskip(SKIP_1) | instid1(VALU_DEP_2)
	v_fma_f32 v3, 0xcf800000, v3, |v1|
	v_ashrrev_i32_e32 v1, 31, v1
	v_cvt_u32_f32_e32 v3, v3
	s_delay_alu instid0(VALU_DEP_1) | instskip(NEXT) | instid1(VALU_DEP_1)
	v_xor_b32_e32 v3, v3, v1
	v_sub_nc_u32_e32 v4, v3, v1
.LBB7_863:
	s_mov_b32 s48, 0
	s_mov_b32 s47, -1
.LBB7_864:
	s_and_not1_b32 vcc_lo, exec_lo, s48
	s_cbranch_vccnz .LBB7_877
; %bb.865:
	s_cmp_gt_i32 s25, 14
	s_cbranch_scc0 .LBB7_868
; %bb.866:
	s_cmp_eq_u32 s25, 15
	s_cbranch_scc0 .LBB7_871
; %bb.867:
	global_load_u16 v1, v[8:9], off
	s_mov_b32 s47, -1
	s_mov_b32 s24, 0
	s_wait_loadcnt 0x0
	v_lshlrev_b32_e32 v1, 16, v1
	s_delay_alu instid0(VALU_DEP_1) | instskip(NEXT) | instid1(VALU_DEP_1)
	v_trunc_f32_e32 v1, v1
	v_mul_f32_e64 v3, 0x2f800000, |v1|
	s_delay_alu instid0(VALU_DEP_1) | instskip(NEXT) | instid1(VALU_DEP_1)
	v_floor_f32_e32 v3, v3
	v_fma_f32 v3, 0xcf800000, v3, |v1|
	v_ashrrev_i32_e32 v1, 31, v1
	s_delay_alu instid0(VALU_DEP_2) | instskip(NEXT) | instid1(VALU_DEP_1)
	v_cvt_u32_f32_e32 v3, v3
	v_xor_b32_e32 v3, v3, v1
	s_delay_alu instid0(VALU_DEP_1)
	v_sub_nc_u32_e32 v4, v3, v1
	s_branch .LBB7_872
.LBB7_868:
	s_mov_b32 s48, -1
                                        ; implicit-def: $vgpr4
	s_branch .LBB7_873
.LBB7_869:
	s_and_not1_saveexec_b32 s47, s47
	s_cbranch_execz .LBB7_850
.LBB7_870:
	v_cmp_ne_u16_e32 vcc_lo, 0, v1
	s_and_not1_b32 s48, s48, exec_lo
	s_and_b32 s49, vcc_lo, exec_lo
	s_delay_alu instid0(SALU_CYCLE_1)
	s_or_b32 s48, s48, s49
	s_or_b32 exec_lo, exec_lo, s47
	v_mov_b32_e32 v4, 0
	s_and_saveexec_b32 s47, s48
	s_cbranch_execnz .LBB7_851
	s_branch .LBB7_852
.LBB7_871:
	s_mov_b32 s24, -1
                                        ; implicit-def: $vgpr4
.LBB7_872:
	s_mov_b32 s48, 0
.LBB7_873:
	s_delay_alu instid0(SALU_CYCLE_1)
	s_and_b32 vcc_lo, exec_lo, s48
	s_cbranch_vccz .LBB7_877
; %bb.874:
	s_cmp_eq_u32 s25, 11
	s_cbranch_scc0 .LBB7_876
; %bb.875:
	global_load_u8 v1, v[8:9], off
	s_mov_b32 s24, 0
	s_mov_b32 s47, -1
	s_wait_loadcnt 0x0
	v_cmp_ne_u16_e32 vcc_lo, 0, v1
	v_cndmask_b32_e64 v4, 0, 1, vcc_lo
	s_branch .LBB7_877
.LBB7_876:
	s_mov_b32 s24, -1
                                        ; implicit-def: $vgpr4
.LBB7_877:
	s_mov_b32 s25, 0
.LBB7_878:
	s_delay_alu instid0(SALU_CYCLE_1)
	s_and_b32 vcc_lo, exec_lo, s25
	s_cbranch_vccz .LBB7_927
; %bb.879:
	s_and_b32 s0, 0xffff, s0
	s_delay_alu instid0(SALU_CYCLE_1)
	s_cmp_lt_i32 s0, 5
	s_cbranch_scc1 .LBB7_884
; %bb.880:
	s_cmp_lt_i32 s0, 8
	s_cbranch_scc1 .LBB7_885
; %bb.881:
	;; [unrolled: 3-line block ×3, first 2 shown]
	s_cmp_gt_i32 s0, 9
	s_cbranch_scc0 .LBB7_887
; %bb.883:
	s_wait_loadcnt 0x0
	global_load_b64 v[4:5], v[8:9], off
	s_mov_b32 s25, 0
	s_wait_loadcnt 0x0
	v_trunc_f64_e32 v[4:5], v[4:5]
	s_delay_alu instid0(VALU_DEP_1) | instskip(NEXT) | instid1(VALU_DEP_1)
	v_ldexp_f64 v[10:11], v[4:5], 0xffffffe0
	v_floor_f64_e32 v[10:11], v[10:11]
	s_delay_alu instid0(VALU_DEP_1) | instskip(NEXT) | instid1(VALU_DEP_1)
	v_fmamk_f64 v[4:5], v[10:11], 0xc1f00000, v[4:5]
	v_cvt_u32_f64_e32 v4, v[4:5]
	s_branch .LBB7_888
.LBB7_884:
	s_mov_b32 s25, -1
                                        ; implicit-def: $vgpr4
	s_branch .LBB7_906
.LBB7_885:
	s_mov_b32 s25, -1
                                        ; implicit-def: $vgpr4
	s_branch .LBB7_894
.LBB7_886:
	s_mov_b32 s25, -1
                                        ; implicit-def: $vgpr4
	s_branch .LBB7_891
.LBB7_887:
	s_mov_b32 s25, -1
                                        ; implicit-def: $vgpr4
.LBB7_888:
	s_delay_alu instid0(SALU_CYCLE_1)
	s_and_not1_b32 vcc_lo, exec_lo, s25
	s_cbranch_vccnz .LBB7_890
; %bb.889:
	global_load_b32 v1, v[8:9], off
	s_wait_loadcnt 0x0
	v_trunc_f32_e32 v1, v1
	s_delay_alu instid0(VALU_DEP_1) | instskip(NEXT) | instid1(VALU_DEP_1)
	v_mul_f32_e64 v3, 0x2f800000, |v1|
	v_floor_f32_e32 v3, v3
	s_delay_alu instid0(VALU_DEP_1) | instskip(SKIP_1) | instid1(VALU_DEP_2)
	v_fma_f32 v3, 0xcf800000, v3, |v1|
	v_ashrrev_i32_e32 v1, 31, v1
	v_cvt_u32_f32_e32 v3, v3
	s_delay_alu instid0(VALU_DEP_1) | instskip(NEXT) | instid1(VALU_DEP_1)
	v_xor_b32_e32 v3, v3, v1
	v_sub_nc_u32_e32 v4, v3, v1
.LBB7_890:
	s_mov_b32 s25, 0
.LBB7_891:
	s_delay_alu instid0(SALU_CYCLE_1)
	s_and_not1_b32 vcc_lo, exec_lo, s25
	s_cbranch_vccnz .LBB7_893
; %bb.892:
	global_load_b32 v1, v[8:9], off
	s_wait_loadcnt 0x0
	v_cvt_f32_f16_e32 v1, v1
	s_delay_alu instid0(VALU_DEP_1)
	v_cvt_i32_f32_e32 v4, v1
.LBB7_893:
	s_mov_b32 s25, 0
.LBB7_894:
	s_delay_alu instid0(SALU_CYCLE_1)
	s_and_not1_b32 vcc_lo, exec_lo, s25
	s_cbranch_vccnz .LBB7_905
; %bb.895:
	s_cmp_lt_i32 s0, 6
	s_cbranch_scc1 .LBB7_898
; %bb.896:
	s_cmp_gt_i32 s0, 6
	s_cbranch_scc0 .LBB7_899
; %bb.897:
	s_wait_loadcnt 0x0
	global_load_b64 v[4:5], v[8:9], off
	s_mov_b32 s25, 0
	s_wait_loadcnt 0x0
	v_trunc_f64_e32 v[4:5], v[4:5]
	s_delay_alu instid0(VALU_DEP_1) | instskip(NEXT) | instid1(VALU_DEP_1)
	v_ldexp_f64 v[10:11], v[4:5], 0xffffffe0
	v_floor_f64_e32 v[10:11], v[10:11]
	s_delay_alu instid0(VALU_DEP_1) | instskip(NEXT) | instid1(VALU_DEP_1)
	v_fmamk_f64 v[4:5], v[10:11], 0xc1f00000, v[4:5]
	v_cvt_u32_f64_e32 v4, v[4:5]
	s_branch .LBB7_900
.LBB7_898:
	s_mov_b32 s25, -1
                                        ; implicit-def: $vgpr4
	s_branch .LBB7_903
.LBB7_899:
	s_mov_b32 s25, -1
                                        ; implicit-def: $vgpr4
.LBB7_900:
	s_delay_alu instid0(SALU_CYCLE_1)
	s_and_not1_b32 vcc_lo, exec_lo, s25
	s_cbranch_vccnz .LBB7_902
; %bb.901:
	global_load_b32 v1, v[8:9], off
	s_wait_loadcnt 0x0
	v_trunc_f32_e32 v1, v1
	s_delay_alu instid0(VALU_DEP_1) | instskip(NEXT) | instid1(VALU_DEP_1)
	v_mul_f32_e64 v3, 0x2f800000, |v1|
	v_floor_f32_e32 v3, v3
	s_delay_alu instid0(VALU_DEP_1) | instskip(SKIP_1) | instid1(VALU_DEP_2)
	v_fma_f32 v3, 0xcf800000, v3, |v1|
	v_ashrrev_i32_e32 v1, 31, v1
	v_cvt_u32_f32_e32 v3, v3
	s_delay_alu instid0(VALU_DEP_1) | instskip(NEXT) | instid1(VALU_DEP_1)
	v_xor_b32_e32 v3, v3, v1
	v_sub_nc_u32_e32 v4, v3, v1
.LBB7_902:
	s_mov_b32 s25, 0
.LBB7_903:
	s_delay_alu instid0(SALU_CYCLE_1)
	s_and_not1_b32 vcc_lo, exec_lo, s25
	s_cbranch_vccnz .LBB7_905
; %bb.904:
	global_load_u16 v1, v[8:9], off
	s_wait_loadcnt 0x0
	v_cvt_f32_f16_e32 v1, v1
	s_delay_alu instid0(VALU_DEP_1)
	v_cvt_i32_f32_e32 v4, v1
.LBB7_905:
	s_mov_b32 s25, 0
.LBB7_906:
	s_delay_alu instid0(SALU_CYCLE_1)
	s_and_not1_b32 vcc_lo, exec_lo, s25
	s_cbranch_vccnz .LBB7_926
; %bb.907:
	s_cmp_lt_i32 s0, 2
	s_cbranch_scc1 .LBB7_911
; %bb.908:
	s_cmp_lt_i32 s0, 3
	s_cbranch_scc1 .LBB7_912
; %bb.909:
	s_cmp_gt_i32 s0, 3
	s_cbranch_scc0 .LBB7_913
; %bb.910:
	s_wait_loadcnt 0x0
	global_load_b64 v[4:5], v[8:9], off
	s_mov_b32 s25, 0
	s_branch .LBB7_914
.LBB7_911:
	s_mov_b32 s25, -1
                                        ; implicit-def: $vgpr4
	s_branch .LBB7_920
.LBB7_912:
	s_mov_b32 s25, -1
                                        ; implicit-def: $vgpr4
	s_branch .LBB7_917
.LBB7_913:
	s_mov_b32 s25, -1
                                        ; implicit-def: $vgpr4
.LBB7_914:
	s_delay_alu instid0(SALU_CYCLE_1)
	s_and_not1_b32 vcc_lo, exec_lo, s25
	s_cbranch_vccnz .LBB7_916
; %bb.915:
	s_wait_loadcnt 0x0
	global_load_b32 v4, v[8:9], off
.LBB7_916:
	s_mov_b32 s25, 0
.LBB7_917:
	s_delay_alu instid0(SALU_CYCLE_1)
	s_and_not1_b32 vcc_lo, exec_lo, s25
	s_cbranch_vccnz .LBB7_919
; %bb.918:
	s_wait_loadcnt 0x0
	global_load_u16 v4, v[8:9], off
.LBB7_919:
	s_mov_b32 s25, 0
.LBB7_920:
	s_delay_alu instid0(SALU_CYCLE_1)
	s_and_not1_b32 vcc_lo, exec_lo, s25
	s_cbranch_vccnz .LBB7_926
; %bb.921:
	s_cmp_gt_i32 s0, 0
	s_mov_b32 s0, 0
	s_cbranch_scc0 .LBB7_923
; %bb.922:
	s_wait_loadcnt 0x0
	global_load_u8 v4, v[8:9], off
	s_branch .LBB7_924
.LBB7_923:
	s_mov_b32 s0, -1
                                        ; implicit-def: $vgpr4
.LBB7_924:
	s_delay_alu instid0(SALU_CYCLE_1)
	s_and_not1_b32 vcc_lo, exec_lo, s0
	s_cbranch_vccnz .LBB7_926
; %bb.925:
	s_wait_loadcnt 0x0
	global_load_u8 v4, v[8:9], off
.LBB7_926:
	s_mov_b32 s47, -1
.LBB7_927:
	s_delay_alu instid0(SALU_CYCLE_1)
	s_and_not1_b32 vcc_lo, exec_lo, s47
	s_cbranch_vccnz .LBB7_935
; %bb.928:
	v_mov_b32_e32 v7, 0
	s_and_b32 s0, s9, 0xff
	s_delay_alu instid0(SALU_CYCLE_1) | instskip(SKIP_1) | instid1(VALU_DEP_1)
	s_cmp_lt_i32 s0, 11
	s_wait_xcnt 0x0
	v_add_nc_u64_e32 v[8:9], s[16:17], v[6:7]
	s_cbranch_scc1 .LBB7_936
; %bb.929:
	s_and_b32 s47, 0xffff, s0
	s_delay_alu instid0(SALU_CYCLE_1)
	s_cmp_gt_i32 s47, 25
	s_cbranch_scc0 .LBB7_937
; %bb.930:
	s_cmp_gt_i32 s47, 28
	s_cbranch_scc0 .LBB7_938
; %bb.931:
	;; [unrolled: 3-line block ×4, first 2 shown]
	s_cmp_eq_u32 s47, 46
	s_mov_b32 s49, 0
	s_cbranch_scc0 .LBB7_943
; %bb.934:
	global_load_b32 v1, v[8:9], off
	s_mov_b32 s48, -1
	s_mov_b32 s25, 0
	s_wait_loadcnt 0x0
	v_lshlrev_b32_e32 v1, 16, v1
	s_delay_alu instid0(VALU_DEP_1) | instskip(NEXT) | instid1(VALU_DEP_1)
	v_trunc_f32_e32 v1, v1
	v_mul_f32_e64 v3, 0x2f800000, |v1|
	s_delay_alu instid0(VALU_DEP_1) | instskip(NEXT) | instid1(VALU_DEP_1)
	v_floor_f32_e32 v3, v3
	v_fma_f32 v3, 0xcf800000, v3, |v1|
	v_ashrrev_i32_e32 v1, 31, v1
	s_delay_alu instid0(VALU_DEP_2) | instskip(NEXT) | instid1(VALU_DEP_1)
	v_cvt_u32_f32_e32 v3, v3
	v_xor_b32_e32 v3, v3, v1
	s_delay_alu instid0(VALU_DEP_1)
	v_sub_nc_u32_e32 v6, v3, v1
	s_branch .LBB7_945
.LBB7_935:
	s_mov_b32 s50, 0
	s_mov_b32 s0, s43
	;; [unrolled: 1-line block ×3, first 2 shown]
	s_branch .LBB7_1183
.LBB7_936:
	s_mov_b32 s47, -1
	s_mov_b32 s48, 0
	s_mov_b32 s25, s44
                                        ; implicit-def: $vgpr6
	s_branch .LBB7_1006
.LBB7_937:
	s_mov_b32 s49, -1
	s_mov_b32 s48, 0
	s_mov_b32 s25, s44
                                        ; implicit-def: $vgpr6
	s_branch .LBB7_972
.LBB7_938:
	s_mov_b32 s49, -1
	s_mov_b32 s48, 0
	s_mov_b32 s25, s44
                                        ; implicit-def: $vgpr6
	s_branch .LBB7_955
.LBB7_939:
	s_mov_b32 s49, -1
	s_mov_b32 s48, 0
	s_mov_b32 s25, s44
                                        ; implicit-def: $vgpr6
	s_branch .LBB7_950
.LBB7_940:
	s_mov_b32 s49, -1
	s_mov_b32 s48, 0
	s_mov_b32 s25, s44
	s_branch .LBB7_944
.LBB7_941:
	s_and_not1_saveexec_b32 s47, s47
	s_cbranch_execz .LBB7_708
.LBB7_942:
	v_add_f32_e32 v1, 0x42800000, v4
	s_and_not1_b32 s46, s46, exec_lo
	s_delay_alu instid0(VALU_DEP_1) | instskip(NEXT) | instid1(VALU_DEP_1)
	v_and_b32_e32 v1, 0xff, v1
	v_cmp_ne_u32_e32 vcc_lo, 0, v1
	s_and_b32 s48, vcc_lo, exec_lo
	s_delay_alu instid0(SALU_CYCLE_1)
	s_or_b32 s46, s46, s48
	s_or_b32 exec_lo, exec_lo, s47
	v_mov_b32_e32 v5, 0
	s_and_saveexec_b32 s47, s46
	s_cbranch_execnz .LBB7_709
	s_branch .LBB7_710
.LBB7_943:
	s_mov_b32 s25, -1
	s_mov_b32 s48, 0
.LBB7_944:
                                        ; implicit-def: $vgpr6
.LBB7_945:
	s_and_b32 vcc_lo, exec_lo, s49
	s_cbranch_vccz .LBB7_949
; %bb.946:
	s_cmp_eq_u32 s47, 44
	s_cbranch_scc0 .LBB7_948
; %bb.947:
	global_load_u8 v1, v[8:9], off
	s_mov_b32 s25, 0
	s_mov_b32 s48, -1
	s_wait_loadcnt 0x0
	v_lshlrev_b32_e32 v3, 23, v1
	v_cmp_ne_u32_e32 vcc_lo, 0, v1
	s_delay_alu instid0(VALU_DEP_2) | instskip(NEXT) | instid1(VALU_DEP_1)
	v_trunc_f32_e32 v3, v3
	v_mul_f32_e64 v5, 0x2f800000, |v3|
	s_delay_alu instid0(VALU_DEP_1) | instskip(NEXT) | instid1(VALU_DEP_1)
	v_floor_f32_e32 v5, v5
	v_fma_f32 v5, 0xcf800000, v5, |v3|
	v_ashrrev_i32_e32 v3, 31, v3
	s_delay_alu instid0(VALU_DEP_2) | instskip(NEXT) | instid1(VALU_DEP_1)
	v_cvt_u32_f32_e32 v5, v5
	v_xor_b32_e32 v5, v5, v3
	s_delay_alu instid0(VALU_DEP_1) | instskip(NEXT) | instid1(VALU_DEP_1)
	v_sub_nc_u32_e32 v3, v5, v3
	v_cndmask_b32_e32 v6, 0, v3, vcc_lo
	s_branch .LBB7_949
.LBB7_948:
	s_mov_b32 s25, -1
                                        ; implicit-def: $vgpr6
.LBB7_949:
	s_mov_b32 s49, 0
.LBB7_950:
	s_delay_alu instid0(SALU_CYCLE_1)
	s_and_b32 vcc_lo, exec_lo, s49
	s_cbranch_vccz .LBB7_954
; %bb.951:
	s_cmp_eq_u32 s47, 29
	s_cbranch_scc0 .LBB7_953
; %bb.952:
	global_load_b64 v[6:7], v[8:9], off
	s_mov_b32 s48, -1
	s_mov_b32 s25, 0
	s_branch .LBB7_954
.LBB7_953:
	s_mov_b32 s25, -1
                                        ; implicit-def: $vgpr6
.LBB7_954:
	s_mov_b32 s49, 0
.LBB7_955:
	s_delay_alu instid0(SALU_CYCLE_1)
	s_and_b32 vcc_lo, exec_lo, s49
	s_cbranch_vccz .LBB7_971
; %bb.956:
	s_cmp_lt_i32 s47, 27
	s_cbranch_scc1 .LBB7_959
; %bb.957:
	s_cmp_gt_i32 s47, 27
	s_cbranch_scc0 .LBB7_960
; %bb.958:
	s_wait_loadcnt 0x0
	global_load_b32 v6, v[8:9], off
	s_mov_b32 s48, 0
	s_branch .LBB7_961
.LBB7_959:
	s_mov_b32 s48, -1
                                        ; implicit-def: $vgpr6
	s_branch .LBB7_964
.LBB7_960:
	s_mov_b32 s48, -1
                                        ; implicit-def: $vgpr6
.LBB7_961:
	s_delay_alu instid0(SALU_CYCLE_1)
	s_and_not1_b32 vcc_lo, exec_lo, s48
	s_cbranch_vccnz .LBB7_963
; %bb.962:
	s_wait_loadcnt 0x0
	global_load_u16 v6, v[8:9], off
.LBB7_963:
	s_mov_b32 s48, 0
.LBB7_964:
	s_delay_alu instid0(SALU_CYCLE_1)
	s_and_not1_b32 vcc_lo, exec_lo, s48
	s_cbranch_vccnz .LBB7_970
; %bb.965:
	global_load_u8 v1, v[8:9], off
	s_mov_b32 s49, 0
	s_mov_b32 s48, exec_lo
	s_wait_loadcnt 0x0
	v_cmpx_lt_i16_e32 0x7f, v1
	s_xor_b32 s48, exec_lo, s48
	s_cbranch_execz .LBB7_982
; %bb.966:
	v_cmp_ne_u16_e32 vcc_lo, 0x80, v1
	s_and_b32 s49, vcc_lo, exec_lo
	s_and_not1_saveexec_b32 s48, s48
	s_cbranch_execnz .LBB7_983
.LBB7_967:
	s_or_b32 exec_lo, exec_lo, s48
	v_mov_b32_e32 v6, 0
	s_and_saveexec_b32 s48, s49
	s_cbranch_execz .LBB7_969
.LBB7_968:
	v_and_b32_e32 v3, 0xffff, v1
	s_delay_alu instid0(VALU_DEP_1) | instskip(SKIP_1) | instid1(VALU_DEP_2)
	v_and_b32_e32 v5, 7, v3
	v_bfe_u32 v10, v3, 3, 4
	v_clz_i32_u32_e32 v6, v5
	s_delay_alu instid0(VALU_DEP_2) | instskip(NEXT) | instid1(VALU_DEP_2)
	v_cmp_eq_u32_e32 vcc_lo, 0, v10
	v_min_u32_e32 v6, 32, v6
	s_delay_alu instid0(VALU_DEP_1) | instskip(NEXT) | instid1(VALU_DEP_1)
	v_subrev_nc_u32_e32 v7, 28, v6
	v_dual_lshlrev_b32 v3, v7, v3 :: v_dual_sub_nc_u32 v6, 29, v6
	s_delay_alu instid0(VALU_DEP_1) | instskip(NEXT) | instid1(VALU_DEP_1)
	v_dual_lshlrev_b32 v1, 24, v1 :: v_dual_bitop2_b32 v3, 7, v3 bitop3:0x40
	v_dual_cndmask_b32 v6, v10, v6 :: v_dual_cndmask_b32 v3, v5, v3
	s_delay_alu instid0(VALU_DEP_2) | instskip(NEXT) | instid1(VALU_DEP_2)
	v_and_b32_e32 v1, 0x80000000, v1
	v_lshl_add_u32 v5, v6, 23, 0x3b800000
	s_delay_alu instid0(VALU_DEP_3) | instskip(NEXT) | instid1(VALU_DEP_1)
	v_lshlrev_b32_e32 v3, 20, v3
	v_or3_b32 v1, v1, v5, v3
	s_delay_alu instid0(VALU_DEP_1) | instskip(NEXT) | instid1(VALU_DEP_1)
	v_trunc_f32_e32 v1, v1
	v_mul_f32_e64 v3, 0x2f800000, |v1|
	s_delay_alu instid0(VALU_DEP_1) | instskip(NEXT) | instid1(VALU_DEP_1)
	v_floor_f32_e32 v3, v3
	v_fma_f32 v3, 0xcf800000, v3, |v1|
	v_ashrrev_i32_e32 v1, 31, v1
	s_delay_alu instid0(VALU_DEP_2) | instskip(NEXT) | instid1(VALU_DEP_1)
	v_cvt_u32_f32_e32 v3, v3
	v_xor_b32_e32 v3, v3, v1
	s_delay_alu instid0(VALU_DEP_1)
	v_sub_nc_u32_e32 v6, v3, v1
.LBB7_969:
	s_or_b32 exec_lo, exec_lo, s48
.LBB7_970:
	s_mov_b32 s48, -1
.LBB7_971:
	s_mov_b32 s49, 0
.LBB7_972:
	s_delay_alu instid0(SALU_CYCLE_1)
	s_and_b32 vcc_lo, exec_lo, s49
	s_cbranch_vccz .LBB7_1005
; %bb.973:
	s_cmp_gt_i32 s47, 22
	s_cbranch_scc0 .LBB7_981
; %bb.974:
	s_cmp_lt_i32 s47, 24
	s_cbranch_scc1 .LBB7_984
; %bb.975:
	s_cmp_gt_i32 s47, 24
	s_cbranch_scc0 .LBB7_985
; %bb.976:
	global_load_u8 v1, v[8:9], off
	s_mov_b32 s49, 0
	s_mov_b32 s48, exec_lo
	s_wait_loadcnt 0x0
	v_cmpx_lt_i16_e32 0x7f, v1
	s_xor_b32 s48, exec_lo, s48
	s_cbranch_execz .LBB7_997
; %bb.977:
	v_cmp_ne_u16_e32 vcc_lo, 0x80, v1
	s_and_b32 s49, vcc_lo, exec_lo
	s_and_not1_saveexec_b32 s48, s48
	s_cbranch_execnz .LBB7_998
.LBB7_978:
	s_or_b32 exec_lo, exec_lo, s48
	v_mov_b32_e32 v6, 0
	s_and_saveexec_b32 s48, s49
	s_cbranch_execz .LBB7_980
.LBB7_979:
	v_and_b32_e32 v3, 0xffff, v1
	s_delay_alu instid0(VALU_DEP_1) | instskip(SKIP_1) | instid1(VALU_DEP_2)
	v_and_b32_e32 v5, 3, v3
	v_bfe_u32 v10, v3, 2, 5
	v_clz_i32_u32_e32 v6, v5
	s_delay_alu instid0(VALU_DEP_2) | instskip(NEXT) | instid1(VALU_DEP_2)
	v_cmp_eq_u32_e32 vcc_lo, 0, v10
	v_min_u32_e32 v6, 32, v6
	s_delay_alu instid0(VALU_DEP_1) | instskip(NEXT) | instid1(VALU_DEP_1)
	v_subrev_nc_u32_e32 v7, 29, v6
	v_dual_lshlrev_b32 v3, v7, v3 :: v_dual_sub_nc_u32 v6, 30, v6
	s_delay_alu instid0(VALU_DEP_1) | instskip(NEXT) | instid1(VALU_DEP_1)
	v_dual_lshlrev_b32 v1, 24, v1 :: v_dual_bitop2_b32 v3, 3, v3 bitop3:0x40
	v_dual_cndmask_b32 v6, v10, v6 :: v_dual_cndmask_b32 v3, v5, v3
	s_delay_alu instid0(VALU_DEP_2) | instskip(NEXT) | instid1(VALU_DEP_2)
	v_and_b32_e32 v1, 0x80000000, v1
	v_lshl_add_u32 v5, v6, 23, 0x37800000
	s_delay_alu instid0(VALU_DEP_3) | instskip(NEXT) | instid1(VALU_DEP_1)
	v_lshlrev_b32_e32 v3, 21, v3
	v_or3_b32 v1, v1, v5, v3
	s_delay_alu instid0(VALU_DEP_1) | instskip(NEXT) | instid1(VALU_DEP_1)
	v_trunc_f32_e32 v1, v1
	v_mul_f32_e64 v3, 0x2f800000, |v1|
	s_delay_alu instid0(VALU_DEP_1) | instskip(NEXT) | instid1(VALU_DEP_1)
	v_floor_f32_e32 v3, v3
	v_fma_f32 v3, 0xcf800000, v3, |v1|
	v_ashrrev_i32_e32 v1, 31, v1
	s_delay_alu instid0(VALU_DEP_2) | instskip(NEXT) | instid1(VALU_DEP_1)
	v_cvt_u32_f32_e32 v3, v3
	v_xor_b32_e32 v3, v3, v1
	s_delay_alu instid0(VALU_DEP_1)
	v_sub_nc_u32_e32 v6, v3, v1
.LBB7_980:
	s_or_b32 exec_lo, exec_lo, s48
	s_mov_b32 s48, 0
	s_branch .LBB7_986
.LBB7_981:
	s_mov_b32 s49, -1
                                        ; implicit-def: $vgpr6
	s_branch .LBB7_992
.LBB7_982:
	s_and_not1_saveexec_b32 s48, s48
	s_cbranch_execz .LBB7_967
.LBB7_983:
	v_cmp_ne_u16_e32 vcc_lo, 0, v1
	s_and_not1_b32 s49, s49, exec_lo
	s_and_b32 s50, vcc_lo, exec_lo
	s_delay_alu instid0(SALU_CYCLE_1)
	s_or_b32 s49, s49, s50
	s_or_b32 exec_lo, exec_lo, s48
	v_mov_b32_e32 v6, 0
	s_and_saveexec_b32 s48, s49
	s_cbranch_execnz .LBB7_968
	s_branch .LBB7_969
.LBB7_984:
	s_mov_b32 s48, -1
                                        ; implicit-def: $vgpr6
	s_branch .LBB7_989
.LBB7_985:
	s_mov_b32 s48, -1
                                        ; implicit-def: $vgpr6
.LBB7_986:
	s_delay_alu instid0(SALU_CYCLE_1)
	s_and_b32 vcc_lo, exec_lo, s48
	s_cbranch_vccz .LBB7_988
; %bb.987:
	global_load_u8 v1, v[8:9], off
	s_wait_loadcnt 0x0
	v_lshlrev_b32_e32 v1, 24, v1
	s_delay_alu instid0(VALU_DEP_1) | instskip(NEXT) | instid1(VALU_DEP_1)
	v_and_b32_e32 v3, 0x7f000000, v1
	v_clz_i32_u32_e32 v5, v3
	v_add_nc_u32_e32 v7, 0x1000000, v3
	v_cmp_ne_u32_e32 vcc_lo, 0, v3
	s_delay_alu instid0(VALU_DEP_3) | instskip(NEXT) | instid1(VALU_DEP_1)
	v_min_u32_e32 v5, 32, v5
	v_sub_nc_u32_e64 v5, v5, 4 clamp
	s_delay_alu instid0(VALU_DEP_1) | instskip(NEXT) | instid1(VALU_DEP_1)
	v_dual_lshlrev_b32 v6, v5, v3 :: v_dual_lshlrev_b32 v5, 23, v5
	v_lshrrev_b32_e32 v6, 4, v6
	s_delay_alu instid0(VALU_DEP_1) | instskip(NEXT) | instid1(VALU_DEP_1)
	v_dual_sub_nc_u32 v5, v6, v5 :: v_dual_ashrrev_i32 v6, 8, v7
	v_add_nc_u32_e32 v5, 0x3c000000, v5
	s_delay_alu instid0(VALU_DEP_1) | instskip(NEXT) | instid1(VALU_DEP_1)
	v_and_or_b32 v5, 0x7f800000, v6, v5
	v_cndmask_b32_e32 v3, 0, v5, vcc_lo
	s_delay_alu instid0(VALU_DEP_1) | instskip(NEXT) | instid1(VALU_DEP_1)
	v_and_or_b32 v1, 0x80000000, v1, v3
	v_trunc_f32_e32 v1, v1
	s_delay_alu instid0(VALU_DEP_1) | instskip(NEXT) | instid1(VALU_DEP_1)
	v_mul_f32_e64 v3, 0x2f800000, |v1|
	v_floor_f32_e32 v3, v3
	s_delay_alu instid0(VALU_DEP_1) | instskip(SKIP_1) | instid1(VALU_DEP_2)
	v_fma_f32 v3, 0xcf800000, v3, |v1|
	v_ashrrev_i32_e32 v1, 31, v1
	v_cvt_u32_f32_e32 v3, v3
	s_delay_alu instid0(VALU_DEP_1) | instskip(NEXT) | instid1(VALU_DEP_1)
	v_xor_b32_e32 v3, v3, v1
	v_sub_nc_u32_e32 v6, v3, v1
.LBB7_988:
	s_mov_b32 s48, 0
.LBB7_989:
	s_delay_alu instid0(SALU_CYCLE_1)
	s_and_not1_b32 vcc_lo, exec_lo, s48
	s_cbranch_vccnz .LBB7_991
; %bb.990:
	global_load_u8 v1, v[8:9], off
	s_wait_loadcnt 0x0
	v_lshlrev_b32_e32 v3, 25, v1
	v_lshlrev_b16 v1, 8, v1
	s_delay_alu instid0(VALU_DEP_1) | instskip(SKIP_1) | instid1(VALU_DEP_2)
	v_and_or_b32 v6, 0x7f00, v1, 0.5
	v_bfe_i32 v1, v1, 0, 16
	v_dual_add_f32 v6, -0.5, v6 :: v_dual_lshrrev_b32 v5, 4, v3
	v_cmp_gt_u32_e32 vcc_lo, 0x8000000, v3
	s_delay_alu instid0(VALU_DEP_2) | instskip(NEXT) | instid1(VALU_DEP_1)
	v_or_b32_e32 v5, 0x70000000, v5
	v_mul_f32_e32 v5, 0x7800000, v5
	s_delay_alu instid0(VALU_DEP_1) | instskip(NEXT) | instid1(VALU_DEP_1)
	v_cndmask_b32_e32 v3, v5, v6, vcc_lo
	v_and_or_b32 v1, 0x80000000, v1, v3
	s_delay_alu instid0(VALU_DEP_1) | instskip(NEXT) | instid1(VALU_DEP_1)
	v_trunc_f32_e32 v1, v1
	v_mul_f32_e64 v3, 0x2f800000, |v1|
	s_delay_alu instid0(VALU_DEP_1) | instskip(NEXT) | instid1(VALU_DEP_1)
	v_floor_f32_e32 v3, v3
	v_fma_f32 v3, 0xcf800000, v3, |v1|
	v_ashrrev_i32_e32 v1, 31, v1
	s_delay_alu instid0(VALU_DEP_2) | instskip(NEXT) | instid1(VALU_DEP_1)
	v_cvt_u32_f32_e32 v3, v3
	v_xor_b32_e32 v3, v3, v1
	s_delay_alu instid0(VALU_DEP_1)
	v_sub_nc_u32_e32 v6, v3, v1
.LBB7_991:
	s_mov_b32 s49, 0
	s_mov_b32 s48, -1
.LBB7_992:
	s_and_not1_b32 vcc_lo, exec_lo, s49
	s_cbranch_vccnz .LBB7_1005
; %bb.993:
	s_cmp_gt_i32 s47, 14
	s_cbranch_scc0 .LBB7_996
; %bb.994:
	s_cmp_eq_u32 s47, 15
	s_cbranch_scc0 .LBB7_999
; %bb.995:
	global_load_u16 v1, v[8:9], off
	s_mov_b32 s48, -1
	s_mov_b32 s25, 0
	s_wait_loadcnt 0x0
	v_lshlrev_b32_e32 v1, 16, v1
	s_delay_alu instid0(VALU_DEP_1) | instskip(NEXT) | instid1(VALU_DEP_1)
	v_trunc_f32_e32 v1, v1
	v_mul_f32_e64 v3, 0x2f800000, |v1|
	s_delay_alu instid0(VALU_DEP_1) | instskip(NEXT) | instid1(VALU_DEP_1)
	v_floor_f32_e32 v3, v3
	v_fma_f32 v3, 0xcf800000, v3, |v1|
	v_ashrrev_i32_e32 v1, 31, v1
	s_delay_alu instid0(VALU_DEP_2) | instskip(NEXT) | instid1(VALU_DEP_1)
	v_cvt_u32_f32_e32 v3, v3
	v_xor_b32_e32 v3, v3, v1
	s_delay_alu instid0(VALU_DEP_1)
	v_sub_nc_u32_e32 v6, v3, v1
	s_branch .LBB7_1000
.LBB7_996:
	s_mov_b32 s49, -1
                                        ; implicit-def: $vgpr6
	s_branch .LBB7_1001
.LBB7_997:
	s_and_not1_saveexec_b32 s48, s48
	s_cbranch_execz .LBB7_978
.LBB7_998:
	v_cmp_ne_u16_e32 vcc_lo, 0, v1
	s_and_not1_b32 s49, s49, exec_lo
	s_and_b32 s50, vcc_lo, exec_lo
	s_delay_alu instid0(SALU_CYCLE_1)
	s_or_b32 s49, s49, s50
	s_or_b32 exec_lo, exec_lo, s48
	v_mov_b32_e32 v6, 0
	s_and_saveexec_b32 s48, s49
	s_cbranch_execnz .LBB7_979
	s_branch .LBB7_980
.LBB7_999:
	s_mov_b32 s25, -1
                                        ; implicit-def: $vgpr6
.LBB7_1000:
	s_mov_b32 s49, 0
.LBB7_1001:
	s_delay_alu instid0(SALU_CYCLE_1)
	s_and_b32 vcc_lo, exec_lo, s49
	s_cbranch_vccz .LBB7_1005
; %bb.1002:
	s_cmp_eq_u32 s47, 11
	s_cbranch_scc0 .LBB7_1004
; %bb.1003:
	global_load_u8 v1, v[8:9], off
	s_mov_b32 s25, 0
	s_mov_b32 s48, -1
	s_wait_loadcnt 0x0
	v_cmp_ne_u16_e32 vcc_lo, 0, v1
	v_cndmask_b32_e64 v6, 0, 1, vcc_lo
	s_branch .LBB7_1005
.LBB7_1004:
	s_mov_b32 s25, -1
                                        ; implicit-def: $vgpr6
.LBB7_1005:
	s_mov_b32 s47, 0
.LBB7_1006:
	s_delay_alu instid0(SALU_CYCLE_1)
	s_and_b32 vcc_lo, exec_lo, s47
	s_cbranch_vccz .LBB7_1055
; %bb.1007:
	s_and_b32 s0, 0xffff, s0
	s_delay_alu instid0(SALU_CYCLE_1)
	s_cmp_lt_i32 s0, 5
	s_cbranch_scc1 .LBB7_1012
; %bb.1008:
	s_cmp_lt_i32 s0, 8
	s_cbranch_scc1 .LBB7_1013
; %bb.1009:
	;; [unrolled: 3-line block ×3, first 2 shown]
	s_cmp_gt_i32 s0, 9
	s_cbranch_scc0 .LBB7_1015
; %bb.1011:
	s_wait_loadcnt 0x0
	global_load_b64 v[6:7], v[8:9], off
	s_mov_b32 s47, 0
	s_wait_loadcnt 0x0
	v_trunc_f64_e32 v[6:7], v[6:7]
	s_delay_alu instid0(VALU_DEP_1) | instskip(NEXT) | instid1(VALU_DEP_1)
	v_ldexp_f64 v[10:11], v[6:7], 0xffffffe0
	v_floor_f64_e32 v[10:11], v[10:11]
	s_delay_alu instid0(VALU_DEP_1) | instskip(NEXT) | instid1(VALU_DEP_1)
	v_fmamk_f64 v[6:7], v[10:11], 0xc1f00000, v[6:7]
	v_cvt_u32_f64_e32 v6, v[6:7]
	s_branch .LBB7_1016
.LBB7_1012:
	s_mov_b32 s47, -1
                                        ; implicit-def: $vgpr6
	s_branch .LBB7_1034
.LBB7_1013:
	s_mov_b32 s47, -1
                                        ; implicit-def: $vgpr6
	s_branch .LBB7_1022
.LBB7_1014:
	s_mov_b32 s47, -1
                                        ; implicit-def: $vgpr6
	s_branch .LBB7_1019
.LBB7_1015:
	s_mov_b32 s47, -1
                                        ; implicit-def: $vgpr6
.LBB7_1016:
	s_delay_alu instid0(SALU_CYCLE_1)
	s_and_not1_b32 vcc_lo, exec_lo, s47
	s_cbranch_vccnz .LBB7_1018
; %bb.1017:
	global_load_b32 v1, v[8:9], off
	s_wait_loadcnt 0x0
	v_trunc_f32_e32 v1, v1
	s_delay_alu instid0(VALU_DEP_1) | instskip(NEXT) | instid1(VALU_DEP_1)
	v_mul_f32_e64 v3, 0x2f800000, |v1|
	v_floor_f32_e32 v3, v3
	s_delay_alu instid0(VALU_DEP_1) | instskip(SKIP_1) | instid1(VALU_DEP_2)
	v_fma_f32 v3, 0xcf800000, v3, |v1|
	v_ashrrev_i32_e32 v1, 31, v1
	v_cvt_u32_f32_e32 v3, v3
	s_delay_alu instid0(VALU_DEP_1) | instskip(NEXT) | instid1(VALU_DEP_1)
	v_xor_b32_e32 v3, v3, v1
	v_sub_nc_u32_e32 v6, v3, v1
.LBB7_1018:
	s_mov_b32 s47, 0
.LBB7_1019:
	s_delay_alu instid0(SALU_CYCLE_1)
	s_and_not1_b32 vcc_lo, exec_lo, s47
	s_cbranch_vccnz .LBB7_1021
; %bb.1020:
	global_load_b32 v1, v[8:9], off
	s_wait_loadcnt 0x0
	v_cvt_f32_f16_e32 v1, v1
	s_delay_alu instid0(VALU_DEP_1)
	v_cvt_i32_f32_e32 v6, v1
.LBB7_1021:
	s_mov_b32 s47, 0
.LBB7_1022:
	s_delay_alu instid0(SALU_CYCLE_1)
	s_and_not1_b32 vcc_lo, exec_lo, s47
	s_cbranch_vccnz .LBB7_1033
; %bb.1023:
	s_cmp_lt_i32 s0, 6
	s_cbranch_scc1 .LBB7_1026
; %bb.1024:
	s_cmp_gt_i32 s0, 6
	s_cbranch_scc0 .LBB7_1027
; %bb.1025:
	s_wait_loadcnt 0x0
	global_load_b64 v[6:7], v[8:9], off
	s_mov_b32 s47, 0
	s_wait_loadcnt 0x0
	v_trunc_f64_e32 v[6:7], v[6:7]
	s_delay_alu instid0(VALU_DEP_1) | instskip(NEXT) | instid1(VALU_DEP_1)
	v_ldexp_f64 v[10:11], v[6:7], 0xffffffe0
	v_floor_f64_e32 v[10:11], v[10:11]
	s_delay_alu instid0(VALU_DEP_1) | instskip(NEXT) | instid1(VALU_DEP_1)
	v_fmamk_f64 v[6:7], v[10:11], 0xc1f00000, v[6:7]
	v_cvt_u32_f64_e32 v6, v[6:7]
	s_branch .LBB7_1028
.LBB7_1026:
	s_mov_b32 s47, -1
                                        ; implicit-def: $vgpr6
	s_branch .LBB7_1031
.LBB7_1027:
	s_mov_b32 s47, -1
                                        ; implicit-def: $vgpr6
.LBB7_1028:
	s_delay_alu instid0(SALU_CYCLE_1)
	s_and_not1_b32 vcc_lo, exec_lo, s47
	s_cbranch_vccnz .LBB7_1030
; %bb.1029:
	global_load_b32 v1, v[8:9], off
	s_wait_loadcnt 0x0
	v_trunc_f32_e32 v1, v1
	s_delay_alu instid0(VALU_DEP_1) | instskip(NEXT) | instid1(VALU_DEP_1)
	v_mul_f32_e64 v3, 0x2f800000, |v1|
	v_floor_f32_e32 v3, v3
	s_delay_alu instid0(VALU_DEP_1) | instskip(SKIP_1) | instid1(VALU_DEP_2)
	v_fma_f32 v3, 0xcf800000, v3, |v1|
	v_ashrrev_i32_e32 v1, 31, v1
	v_cvt_u32_f32_e32 v3, v3
	s_delay_alu instid0(VALU_DEP_1) | instskip(NEXT) | instid1(VALU_DEP_1)
	v_xor_b32_e32 v3, v3, v1
	v_sub_nc_u32_e32 v6, v3, v1
.LBB7_1030:
	s_mov_b32 s47, 0
.LBB7_1031:
	s_delay_alu instid0(SALU_CYCLE_1)
	s_and_not1_b32 vcc_lo, exec_lo, s47
	s_cbranch_vccnz .LBB7_1033
; %bb.1032:
	global_load_u16 v1, v[8:9], off
	s_wait_loadcnt 0x0
	v_cvt_f32_f16_e32 v1, v1
	s_delay_alu instid0(VALU_DEP_1)
	v_cvt_i32_f32_e32 v6, v1
.LBB7_1033:
	s_mov_b32 s47, 0
.LBB7_1034:
	s_delay_alu instid0(SALU_CYCLE_1)
	s_and_not1_b32 vcc_lo, exec_lo, s47
	s_cbranch_vccnz .LBB7_1054
; %bb.1035:
	s_cmp_lt_i32 s0, 2
	s_cbranch_scc1 .LBB7_1039
; %bb.1036:
	s_cmp_lt_i32 s0, 3
	s_cbranch_scc1 .LBB7_1040
; %bb.1037:
	s_cmp_gt_i32 s0, 3
	s_cbranch_scc0 .LBB7_1041
; %bb.1038:
	s_wait_loadcnt 0x0
	global_load_b64 v[6:7], v[8:9], off
	s_mov_b32 s47, 0
	s_branch .LBB7_1042
.LBB7_1039:
	s_mov_b32 s47, -1
                                        ; implicit-def: $vgpr6
	s_branch .LBB7_1048
.LBB7_1040:
	s_mov_b32 s47, -1
                                        ; implicit-def: $vgpr6
	s_branch .LBB7_1045
.LBB7_1041:
	s_mov_b32 s47, -1
                                        ; implicit-def: $vgpr6
.LBB7_1042:
	s_delay_alu instid0(SALU_CYCLE_1)
	s_and_not1_b32 vcc_lo, exec_lo, s47
	s_cbranch_vccnz .LBB7_1044
; %bb.1043:
	s_wait_loadcnt 0x0
	global_load_b32 v6, v[8:9], off
.LBB7_1044:
	s_mov_b32 s47, 0
.LBB7_1045:
	s_delay_alu instid0(SALU_CYCLE_1)
	s_and_not1_b32 vcc_lo, exec_lo, s47
	s_cbranch_vccnz .LBB7_1047
; %bb.1046:
	s_wait_loadcnt 0x0
	global_load_u16 v6, v[8:9], off
.LBB7_1047:
	s_mov_b32 s47, 0
.LBB7_1048:
	s_delay_alu instid0(SALU_CYCLE_1)
	s_and_not1_b32 vcc_lo, exec_lo, s47
	s_cbranch_vccnz .LBB7_1054
; %bb.1049:
	s_cmp_gt_i32 s0, 0
	s_mov_b32 s0, 0
	s_cbranch_scc0 .LBB7_1051
; %bb.1050:
	s_wait_loadcnt 0x0
	global_load_u8 v6, v[8:9], off
	s_branch .LBB7_1052
.LBB7_1051:
	s_mov_b32 s0, -1
                                        ; implicit-def: $vgpr6
.LBB7_1052:
	s_delay_alu instid0(SALU_CYCLE_1)
	s_and_not1_b32 vcc_lo, exec_lo, s0
	s_cbranch_vccnz .LBB7_1054
; %bb.1053:
	s_wait_loadcnt 0x0
	global_load_u8 v6, v[8:9], off
.LBB7_1054:
	s_mov_b32 s48, -1
.LBB7_1055:
	s_delay_alu instid0(SALU_CYCLE_1)
	s_and_not1_b32 vcc_lo, exec_lo, s48
	s_cbranch_vccnz .LBB7_1066
; %bb.1056:
	s_wait_loadcnt 0x0
	s_delay_alu instid0(VALU_DEP_3) | instskip(SKIP_3) | instid1(VALU_DEP_1)
	v_and_b32_e32 v1, 0xff, v4
	s_mov_b32 s47, 0
	s_mov_b32 s0, exec_lo
	s_wait_xcnt 0x0
	v_cmpx_ne_u16_e32 0, v1
	s_cbranch_execz .LBB7_1059
.LBB7_1057:                             ; =>This Inner Loop Header: Depth=1
	s_delay_alu instid0(VALU_DEP_3) | instskip(SKIP_1) | instid1(VALU_DEP_1)
	v_cvt_f32_ubyte0_e32 v5, v6
	v_mov_b32_e32 v1, v4
	v_cvt_f32_ubyte0_e32 v3, v1
	s_delay_alu instid0(VALU_DEP_1) | instskip(SKIP_1) | instid1(TRANS32_DEP_1)
	v_rcp_iflag_f32_e32 v4, v3
	v_nop
	v_mul_f32_e32 v4, v5, v4
	s_delay_alu instid0(VALU_DEP_1) | instskip(NEXT) | instid1(VALU_DEP_1)
	v_trunc_f32_e32 v4, v4
	v_fma_f32 v5, -v4, v3, v5
	v_cvt_u32_f32_e32 v4, v4
	s_delay_alu instid0(VALU_DEP_2) | instskip(NEXT) | instid1(VALU_DEP_1)
	v_cmp_ge_f32_e64 vcc_lo, |v5|, v3
	v_add_co_ci_u32_e64 v3, null, 0, v4, vcc_lo
	s_delay_alu instid0(VALU_DEP_1) | instskip(NEXT) | instid1(VALU_DEP_1)
	v_mul_lo_u32 v3, v3, v1
	v_dual_mov_b32 v6, v1 :: v_dual_sub_nc_u32 v3, v6, v3
	s_delay_alu instid0(VALU_DEP_1) | instskip(NEXT) | instid1(VALU_DEP_1)
	v_and_b32_e32 v4, 0xff, v3
	v_cmp_eq_u16_e32 vcc_lo, 0, v4
	s_or_b32 s47, vcc_lo, s47
	s_delay_alu instid0(SALU_CYCLE_1)
	s_and_not1_b32 exec_lo, exec_lo, s47
	s_cbranch_execnz .LBB7_1057
; %bb.1058:
	s_or_b32 exec_lo, exec_lo, s47
	v_mov_b32_e32 v6, v1
.LBB7_1059:
	s_or_b32 exec_lo, exec_lo, s0
	v_mov_b32_e32 v3, 0
	s_and_b32 s47, s31, 0xff
	s_delay_alu instid0(SALU_CYCLE_1) | instskip(NEXT) | instid1(VALU_DEP_1)
	s_cmp_lt_i32 s47, 11
	v_add_nc_u64_e32 v[2:3], s[4:5], v[2:3]
	s_cbranch_scc1 .LBB7_1067
; %bb.1060:
	s_and_b32 s48, 0xffff, s47
	s_delay_alu instid0(SALU_CYCLE_1)
	s_cmp_gt_i32 s48, 25
	s_cbranch_scc0 .LBB7_1068
; %bb.1061:
	s_cmp_gt_i32 s48, 28
	s_cbranch_scc0 .LBB7_1069
; %bb.1062:
	;; [unrolled: 3-line block ×4, first 2 shown]
	s_mov_b32 s50, 0
	s_mov_b32 s0, -1
	s_cmp_eq_u32 s48, 46
	s_mov_b32 s49, 0
	s_cbranch_scc0 .LBB7_1072
; %bb.1065:
	v_cvt_f32_ubyte0_e32 v1, v6
	s_mov_b32 s49, -1
	s_mov_b32 s0, 0
	s_delay_alu instid0(VALU_DEP_1) | instskip(NEXT) | instid1(VALU_DEP_1)
	v_bfe_u32 v4, v1, 16, 1
	v_add3_u32 v1, v1, v4, 0x7fff
	s_delay_alu instid0(VALU_DEP_1)
	v_lshrrev_b32_e32 v1, 16, v1
	global_store_b32 v[2:3], v1, off
	s_branch .LBB7_1072
.LBB7_1066:
	s_mov_b32 s50, 0
	s_mov_b32 s0, s43
	s_branch .LBB7_1183
.LBB7_1067:
	s_mov_b32 s48, -1
	s_mov_b32 s49, 0
	s_mov_b32 s0, s43
	s_branch .LBB7_1141
.LBB7_1068:
	s_mov_b32 s50, -1
	s_mov_b32 s49, 0
	s_mov_b32 s0, s43
	s_branch .LBB7_1099
.LBB7_1069:
	s_mov_b32 s50, -1
	s_mov_b32 s49, 0
	s_mov_b32 s0, s43
	s_branch .LBB7_1082
.LBB7_1070:
	s_mov_b32 s50, -1
	s_mov_b32 s49, 0
	s_mov_b32 s0, s43
	s_branch .LBB7_1078
.LBB7_1071:
	s_mov_b32 s50, -1
	s_mov_b32 s49, 0
	s_mov_b32 s0, s43
.LBB7_1072:
	s_and_b32 vcc_lo, exec_lo, s50
	s_cbranch_vccz .LBB7_1077
; %bb.1073:
	s_cmp_eq_u32 s48, 44
	s_mov_b32 s0, -1
	s_cbranch_scc0 .LBB7_1077
; %bb.1074:
	v_cvt_f32_ubyte0_e32 v5, v6
	s_mov_b32 s49, exec_lo
	s_wait_xcnt 0x0
	s_delay_alu instid0(VALU_DEP_1) | instskip(NEXT) | instid1(VALU_DEP_1)
	v_dual_mov_b32 v4, 0xff :: v_dual_lshrrev_b32 v1, 23, v5
	v_cmpx_ne_u32_e32 0xff, v1
; %bb.1075:
	v_and_b32_e32 v4, 0x400000, v5
	v_and_or_b32 v5, 0x3fffff, v5, v1
	s_delay_alu instid0(VALU_DEP_2) | instskip(NEXT) | instid1(VALU_DEP_2)
	v_cmp_ne_u32_e32 vcc_lo, 0, v4
	v_cmp_ne_u32_e64 s0, 0, v5
	s_and_b32 s0, vcc_lo, s0
	s_delay_alu instid0(SALU_CYCLE_1) | instskip(NEXT) | instid1(VALU_DEP_1)
	v_cndmask_b32_e64 v4, 0, 1, s0
	v_add_nc_u32_e32 v4, v1, v4
; %bb.1076:
	s_or_b32 exec_lo, exec_lo, s49
	s_mov_b32 s49, -1
	s_mov_b32 s0, 0
	global_store_b8 v[2:3], v4, off
.LBB7_1077:
	s_mov_b32 s50, 0
.LBB7_1078:
	s_delay_alu instid0(SALU_CYCLE_1)
	s_and_b32 vcc_lo, exec_lo, s50
	s_cbranch_vccz .LBB7_1081
; %bb.1079:
	s_cmp_eq_u32 s48, 29
	s_mov_b32 s0, -1
	s_cbranch_scc0 .LBB7_1081
; %bb.1080:
	s_wait_xcnt 0x0
	v_and_b32_e32 v4, 0xff, v6
	v_mov_b32_e32 v5, 0
	s_mov_b32 s49, -1
	s_mov_b32 s0, 0
	s_mov_b32 s50, 0
	global_store_b64 v[2:3], v[4:5], off
	s_branch .LBB7_1082
.LBB7_1081:
	s_mov_b32 s50, 0
.LBB7_1082:
	s_delay_alu instid0(SALU_CYCLE_1)
	s_and_b32 vcc_lo, exec_lo, s50
	s_cbranch_vccz .LBB7_1098
; %bb.1083:
	s_cmp_lt_i32 s48, 27
	s_mov_b32 s49, -1
	s_cbranch_scc1 .LBB7_1089
; %bb.1084:
	s_cmp_gt_i32 s48, 27
	s_cbranch_scc0 .LBB7_1086
; %bb.1085:
	s_wait_xcnt 0x0
	v_and_b32_e32 v1, 0xff, v6
	s_mov_b32 s49, 0
	global_store_b32 v[2:3], v1, off
.LBB7_1086:
	s_and_not1_b32 vcc_lo, exec_lo, s49
	s_cbranch_vccnz .LBB7_1088
; %bb.1087:
	s_wait_xcnt 0x0
	v_and_b32_e32 v1, 0xff, v6
	global_store_b16 v[2:3], v1, off
.LBB7_1088:
	s_mov_b32 s49, 0
.LBB7_1089:
	s_delay_alu instid0(SALU_CYCLE_1)
	s_and_not1_b32 vcc_lo, exec_lo, s49
	s_cbranch_vccnz .LBB7_1097
; %bb.1090:
	s_wait_xcnt 0x0
	v_cvt_f32_ubyte0_e32 v4, v6
	v_mov_b32_e32 v5, 0x80
	s_mov_b32 s49, exec_lo
	s_delay_alu instid0(VALU_DEP_2)
	v_cmpx_gt_u32_e32 0x43800000, v4
	s_cbranch_execz .LBB7_1096
; %bb.1091:
	s_mov_b32 s50, 0
	s_mov_b32 s51, exec_lo
                                        ; implicit-def: $vgpr1
	v_cmpx_lt_u32_e32 0x3bffffff, v4
	s_xor_b32 s51, exec_lo, s51
	s_cbranch_execz .LBB7_1211
; %bb.1092:
	v_bfe_u32 v1, v4, 20, 1
	s_mov_b32 s50, exec_lo
	s_delay_alu instid0(VALU_DEP_1) | instskip(NEXT) | instid1(VALU_DEP_1)
	v_add3_u32 v1, v4, v1, 0x487ffff
                                        ; implicit-def: $vgpr4
	v_lshrrev_b32_e32 v1, 20, v1
	s_and_not1_saveexec_b32 s51, s51
	s_cbranch_execnz .LBB7_1212
.LBB7_1093:
	s_or_b32 exec_lo, exec_lo, s51
	v_mov_b32_e32 v5, 0
	s_and_saveexec_b32 s51, s50
.LBB7_1094:
	v_mov_b32_e32 v5, v1
.LBB7_1095:
	s_or_b32 exec_lo, exec_lo, s51
.LBB7_1096:
	s_delay_alu instid0(SALU_CYCLE_1)
	s_or_b32 exec_lo, exec_lo, s49
	global_store_b8 v[2:3], v5, off
.LBB7_1097:
	s_mov_b32 s49, -1
.LBB7_1098:
	s_mov_b32 s50, 0
.LBB7_1099:
	s_delay_alu instid0(SALU_CYCLE_1)
	s_and_b32 vcc_lo, exec_lo, s50
	s_cbranch_vccz .LBB7_1140
; %bb.1100:
	s_cmp_gt_i32 s48, 22
	s_mov_b32 s50, -1
	s_cbranch_scc0 .LBB7_1132
; %bb.1101:
	s_cmp_lt_i32 s48, 24
	s_mov_b32 s49, -1
	s_cbranch_scc1 .LBB7_1121
; %bb.1102:
	s_cmp_gt_i32 s48, 24
	s_cbranch_scc0 .LBB7_1110
; %bb.1103:
	s_wait_xcnt 0x0
	v_cvt_f32_ubyte0_e32 v4, v6
	v_mov_b32_e32 v5, 0x80
	s_mov_b32 s49, exec_lo
	s_delay_alu instid0(VALU_DEP_2)
	v_cmpx_gt_u32_e32 0x47800000, v4
	s_cbranch_execz .LBB7_1109
; %bb.1104:
	s_mov_b32 s50, 0
	s_mov_b32 s51, exec_lo
                                        ; implicit-def: $vgpr1
	v_cmpx_lt_u32_e32 0x37ffffff, v4
	s_xor_b32 s51, exec_lo, s51
	s_cbranch_execz .LBB7_2263
; %bb.1105:
	v_bfe_u32 v1, v4, 21, 1
	s_mov_b32 s50, exec_lo
	s_delay_alu instid0(VALU_DEP_1) | instskip(NEXT) | instid1(VALU_DEP_1)
	v_add3_u32 v1, v4, v1, 0x88fffff
                                        ; implicit-def: $vgpr4
	v_lshrrev_b32_e32 v1, 21, v1
	s_and_not1_saveexec_b32 s51, s51
	s_cbranch_execnz .LBB7_2264
.LBB7_1106:
	s_or_b32 exec_lo, exec_lo, s51
	v_mov_b32_e32 v5, 0
	s_and_saveexec_b32 s51, s50
.LBB7_1107:
	v_mov_b32_e32 v5, v1
.LBB7_1108:
	s_or_b32 exec_lo, exec_lo, s51
.LBB7_1109:
	s_delay_alu instid0(SALU_CYCLE_1)
	s_or_b32 exec_lo, exec_lo, s49
	s_mov_b32 s49, 0
	global_store_b8 v[2:3], v5, off
.LBB7_1110:
	s_and_b32 vcc_lo, exec_lo, s49
	s_cbranch_vccz .LBB7_1120
; %bb.1111:
	s_wait_xcnt 0x0
	v_cvt_f32_ubyte0_e32 v4, v6
	s_mov_b32 s49, exec_lo
                                        ; implicit-def: $vgpr1
	s_delay_alu instid0(VALU_DEP_1)
	v_cmpx_gt_u32_e32 0x43f00000, v4
	s_xor_b32 s49, exec_lo, s49
	s_cbranch_execz .LBB7_1117
; %bb.1112:
	s_mov_b32 s50, exec_lo
                                        ; implicit-def: $vgpr1
	v_cmpx_lt_u32_e32 0x3c7fffff, v4
	s_xor_b32 s50, exec_lo, s50
; %bb.1113:
	v_bfe_u32 v1, v4, 20, 1
	s_delay_alu instid0(VALU_DEP_1) | instskip(NEXT) | instid1(VALU_DEP_1)
	v_add3_u32 v1, v4, v1, 0x407ffff
	v_and_b32_e32 v4, 0xff00000, v1
	v_lshrrev_b32_e32 v1, 20, v1
	s_delay_alu instid0(VALU_DEP_2) | instskip(NEXT) | instid1(VALU_DEP_2)
	v_cmp_ne_u32_e32 vcc_lo, 0x7f00000, v4
                                        ; implicit-def: $vgpr4
	v_cndmask_b32_e32 v1, 0x7e, v1, vcc_lo
; %bb.1114:
	s_and_not1_saveexec_b32 s50, s50
; %bb.1115:
	v_add_f32_e32 v1, 0x46800000, v4
; %bb.1116:
	s_or_b32 exec_lo, exec_lo, s50
                                        ; implicit-def: $vgpr4
.LBB7_1117:
	s_and_not1_saveexec_b32 s49, s49
; %bb.1118:
	v_mov_b32_e32 v1, 0x7f
	v_cmp_lt_u32_e32 vcc_lo, 0x7f800000, v4
	s_delay_alu instid0(VALU_DEP_2)
	v_cndmask_b32_e32 v1, 0x7e, v1, vcc_lo
; %bb.1119:
	s_or_b32 exec_lo, exec_lo, s49
	global_store_b8 v[2:3], v1, off
.LBB7_1120:
	s_mov_b32 s49, 0
.LBB7_1121:
	s_delay_alu instid0(SALU_CYCLE_1)
	s_and_not1_b32 vcc_lo, exec_lo, s49
	s_cbranch_vccnz .LBB7_1131
; %bb.1122:
	s_wait_xcnt 0x0
	v_cvt_f32_ubyte0_e32 v4, v6
	s_mov_b32 s49, exec_lo
                                        ; implicit-def: $vgpr1
	s_delay_alu instid0(VALU_DEP_1)
	v_cmpx_gt_u32_e32 0x47800000, v4
	s_xor_b32 s49, exec_lo, s49
	s_cbranch_execz .LBB7_1128
; %bb.1123:
	s_mov_b32 s50, exec_lo
                                        ; implicit-def: $vgpr1
	v_cmpx_lt_u32_e32 0x387fffff, v4
	s_xor_b32 s50, exec_lo, s50
; %bb.1124:
	v_bfe_u32 v1, v4, 21, 1
	s_delay_alu instid0(VALU_DEP_1) | instskip(NEXT) | instid1(VALU_DEP_1)
	v_add3_u32 v1, v4, v1, 0x80fffff
                                        ; implicit-def: $vgpr4
	v_lshrrev_b32_e32 v1, 21, v1
; %bb.1125:
	s_and_not1_saveexec_b32 s50, s50
; %bb.1126:
	v_add_f32_e32 v1, 0x43000000, v4
; %bb.1127:
	s_or_b32 exec_lo, exec_lo, s50
                                        ; implicit-def: $vgpr4
.LBB7_1128:
	s_and_not1_saveexec_b32 s49, s49
; %bb.1129:
	v_mov_b32_e32 v1, 0x7f
	v_cmp_lt_u32_e32 vcc_lo, 0x7f800000, v4
	s_delay_alu instid0(VALU_DEP_2)
	v_cndmask_b32_e32 v1, 0x7c, v1, vcc_lo
; %bb.1130:
	s_or_b32 exec_lo, exec_lo, s49
	global_store_b8 v[2:3], v1, off
.LBB7_1131:
	s_mov_b32 s50, 0
	s_mov_b32 s49, -1
.LBB7_1132:
	s_and_not1_b32 vcc_lo, exec_lo, s50
	s_cbranch_vccnz .LBB7_1140
; %bb.1133:
	s_cmp_gt_i32 s48, 14
	s_mov_b32 s50, -1
	s_cbranch_scc0 .LBB7_1137
; %bb.1134:
	s_cmp_eq_u32 s48, 15
	s_mov_b32 s0, -1
	s_cbranch_scc0 .LBB7_1136
; %bb.1135:
	s_wait_xcnt 0x0
	v_cvt_f32_ubyte0_e32 v1, v6
	s_mov_b32 s49, -1
	s_mov_b32 s0, 0
	s_delay_alu instid0(VALU_DEP_1) | instskip(NEXT) | instid1(VALU_DEP_1)
	v_bfe_u32 v4, v1, 16, 1
	v_add3_u32 v1, v1, v4, 0x7fff
	global_store_d16_hi_b16 v[2:3], v1, off
.LBB7_1136:
	s_mov_b32 s50, 0
.LBB7_1137:
	s_delay_alu instid0(SALU_CYCLE_1)
	s_and_b32 vcc_lo, exec_lo, s50
	s_cbranch_vccz .LBB7_1140
; %bb.1138:
	s_cmp_eq_u32 s48, 11
	s_mov_b32 s0, -1
	s_cbranch_scc0 .LBB7_1140
; %bb.1139:
	s_wait_xcnt 0x0
	v_and_b32_e32 v1, 0xff, v6
	s_mov_b32 s0, 0
	s_mov_b32 s49, -1
	s_delay_alu instid0(VALU_DEP_1)
	v_cmp_ne_u16_e32 vcc_lo, 0, v1
	v_cndmask_b32_e64 v1, 0, 1, vcc_lo
	global_store_b8 v[2:3], v1, off
.LBB7_1140:
	s_mov_b32 s48, 0
.LBB7_1141:
	s_delay_alu instid0(SALU_CYCLE_1)
	s_and_b32 vcc_lo, exec_lo, s48
	s_cbranch_vccz .LBB7_1180
; %bb.1142:
	s_and_b32 s47, 0xffff, s47
	s_mov_b32 s48, -1
	s_cmp_lt_i32 s47, 5
	s_cbranch_scc1 .LBB7_1163
; %bb.1143:
	s_cmp_lt_i32 s47, 8
	s_cbranch_scc1 .LBB7_1153
; %bb.1144:
	;; [unrolled: 3-line block ×3, first 2 shown]
	s_cmp_gt_i32 s47, 9
	s_cbranch_scc0 .LBB7_1147
; %bb.1146:
	s_wait_xcnt 0x0
	v_and_b32_e32 v1, 0xff, v6
	v_mov_b32_e32 v10, 0
	s_mov_b32 s48, 0
	s_delay_alu instid0(VALU_DEP_2) | instskip(NEXT) | instid1(VALU_DEP_2)
	v_and_b32_e32 v1, 0xffff, v1
	v_mov_b32_e32 v11, v10
	s_delay_alu instid0(VALU_DEP_2)
	v_cvt_f64_u32_e32 v[8:9], v1
	global_store_b128 v[2:3], v[8:11], off
.LBB7_1147:
	s_and_not1_b32 vcc_lo, exec_lo, s48
	s_cbranch_vccnz .LBB7_1149
; %bb.1148:
	s_wait_xcnt 0x0
	v_cvt_f32_ubyte0_e32 v4, v6
	v_mov_b32_e32 v5, 0
	global_store_b64 v[2:3], v[4:5], off
.LBB7_1149:
	s_mov_b32 s48, 0
.LBB7_1150:
	s_delay_alu instid0(SALU_CYCLE_1)
	s_and_not1_b32 vcc_lo, exec_lo, s48
	s_cbranch_vccnz .LBB7_1152
; %bb.1151:
	s_wait_xcnt 0x0
	v_and_b32_e32 v1, 0xff, v6
	s_delay_alu instid0(VALU_DEP_1) | instskip(NEXT) | instid1(VALU_DEP_1)
	v_cvt_f16_u16_e32 v1, v1
	v_and_b32_e32 v1, 0xffff, v1
	global_store_b32 v[2:3], v1, off
.LBB7_1152:
	s_mov_b32 s48, 0
.LBB7_1153:
	s_delay_alu instid0(SALU_CYCLE_1)
	s_and_not1_b32 vcc_lo, exec_lo, s48
	s_cbranch_vccnz .LBB7_1162
; %bb.1154:
	s_cmp_lt_i32 s47, 6
	s_mov_b32 s48, -1
	s_cbranch_scc1 .LBB7_1160
; %bb.1155:
	s_cmp_gt_i32 s47, 6
	s_cbranch_scc0 .LBB7_1157
; %bb.1156:
	s_wait_xcnt 0x0
	v_and_b32_e32 v1, 0xff, v6
	s_mov_b32 s48, 0
	s_delay_alu instid0(VALU_DEP_1) | instskip(NEXT) | instid1(VALU_DEP_1)
	v_and_b32_e32 v1, 0xffff, v1
	v_cvt_f64_u32_e32 v[4:5], v1
	global_store_b64 v[2:3], v[4:5], off
.LBB7_1157:
	s_and_not1_b32 vcc_lo, exec_lo, s48
	s_cbranch_vccnz .LBB7_1159
; %bb.1158:
	s_wait_xcnt 0x0
	v_cvt_f32_ubyte0_e32 v1, v6
	global_store_b32 v[2:3], v1, off
.LBB7_1159:
	s_mov_b32 s48, 0
.LBB7_1160:
	s_delay_alu instid0(SALU_CYCLE_1)
	s_and_not1_b32 vcc_lo, exec_lo, s48
	s_cbranch_vccnz .LBB7_1162
; %bb.1161:
	s_wait_xcnt 0x0
	v_and_b32_e32 v1, 0xff, v6
	s_delay_alu instid0(VALU_DEP_1)
	v_cvt_f16_u16_e32 v1, v1
	global_store_b16 v[2:3], v1, off
.LBB7_1162:
	s_mov_b32 s48, 0
.LBB7_1163:
	s_delay_alu instid0(SALU_CYCLE_1)
	s_and_not1_b32 vcc_lo, exec_lo, s48
	s_cbranch_vccnz .LBB7_1179
; %bb.1164:
	s_cmp_lt_i32 s47, 2
	s_mov_b32 s48, -1
	s_cbranch_scc1 .LBB7_1174
; %bb.1165:
	s_cmp_lt_i32 s47, 3
	s_cbranch_scc1 .LBB7_1171
; %bb.1166:
	s_cmp_gt_i32 s47, 3
	s_cbranch_scc0 .LBB7_1168
; %bb.1167:
	s_wait_xcnt 0x0
	v_and_b32_e32 v4, 0xff, v6
	v_mov_b32_e32 v5, 0
	s_mov_b32 s48, 0
	global_store_b64 v[2:3], v[4:5], off
.LBB7_1168:
	s_and_not1_b32 vcc_lo, exec_lo, s48
	s_cbranch_vccnz .LBB7_1170
; %bb.1169:
	s_wait_xcnt 0x0
	v_and_b32_e32 v1, 0xff, v6
	global_store_b32 v[2:3], v1, off
.LBB7_1170:
	s_mov_b32 s48, 0
.LBB7_1171:
	s_delay_alu instid0(SALU_CYCLE_1)
	s_and_not1_b32 vcc_lo, exec_lo, s48
	s_cbranch_vccnz .LBB7_1173
; %bb.1172:
	s_wait_xcnt 0x0
	v_and_b32_e32 v1, 0xff, v6
	global_store_b16 v[2:3], v1, off
.LBB7_1173:
	s_mov_b32 s48, 0
.LBB7_1174:
	s_delay_alu instid0(SALU_CYCLE_1)
	s_and_not1_b32 vcc_lo, exec_lo, s48
	s_cbranch_vccnz .LBB7_1179
; %bb.1175:
	s_cmp_gt_i32 s47, 0
	s_mov_b32 s47, -1
	s_cbranch_scc0 .LBB7_1177
; %bb.1176:
	s_mov_b32 s47, 0
	global_store_b8 v[2:3], v6, off
.LBB7_1177:
	s_and_not1_b32 vcc_lo, exec_lo, s47
	s_cbranch_vccnz .LBB7_1179
; %bb.1178:
	global_store_b8 v[2:3], v6, off
.LBB7_1179:
	s_mov_b32 s49, -1
.LBB7_1180:
	s_delay_alu instid0(SALU_CYCLE_1)
	s_and_not1_b32 vcc_lo, exec_lo, s49
	s_cbranch_vccnz .LBB7_1182
; %bb.1181:
	v_add_nc_u32_e32 v0, 0x80, v0
	s_mov_b32 s50, -1
	s_branch .LBB7_1184
.LBB7_1182:
	s_mov_b32 s50, 0
.LBB7_1183:
                                        ; implicit-def: $vgpr0
.LBB7_1184:
	s_and_not1_b32 s47, s43, exec_lo
	s_and_b32 s0, s0, exec_lo
	s_and_b32 s25, s25, exec_lo
	s_or_b32 s48, s47, s0
	s_and_not1_b32 s0, s44, exec_lo
	s_and_not1_b32 s47, s42, exec_lo
	s_and_b32 s24, s24, exec_lo
	s_or_b32 s49, s0, s25
	s_or_b32 s47, s47, s24
	s_or_not1_b32 s51, s50, exec_lo
.LBB7_1185:
	s_wait_xcnt 0x0
	s_or_b32 exec_lo, exec_lo, s46
	s_mov_b32 s25, 0
	s_mov_b32 s50, 0
	;; [unrolled: 1-line block ×3, first 2 shown]
                                        ; implicit-def: $sgpr0
                                        ; implicit-def: $vgpr8_vgpr9
                                        ; implicit-def: $vgpr6
                                        ; implicit-def: $vgpr2
                                        ; implicit-def: $vgpr4
	s_and_saveexec_b32 s46, s51
	s_cbranch_execz .LBB7_1276
; %bb.1186:
	v_cmp_gt_i32_e32 vcc_lo, s36, v0
	s_mov_b32 s51, s47
                                        ; implicit-def: $sgpr0
                                        ; implicit-def: $vgpr8_vgpr9
                                        ; implicit-def: $vgpr6
                                        ; implicit-def: $vgpr2
                                        ; implicit-def: $vgpr4
	s_and_saveexec_b32 s36, vcc_lo
	s_cbranch_execz .LBB7_1275
; %bb.1187:
	s_and_not1_b32 vcc_lo, exec_lo, s29
	s_cbranch_vccnz .LBB7_1193
; %bb.1188:
	s_and_not1_b32 vcc_lo, exec_lo, s37
	s_cbranch_vccnz .LBB7_1194
; %bb.1189:
	v_dual_mov_b32 v2, 0 :: v_dual_mov_b32 v1, v0
	s_wait_loadcnt 0x0
	v_dual_mov_b32 v4, 0 :: v_dual_mov_b32 v6, 0
	s_add_co_i32 s0, s35, 1
	s_mov_b64 s[24:25], 0xffffffffffffffe8
	s_and_b32 s0, s0, 30
	s_add_nc_u64 s[24:25], s[2:3], s[24:25]
.LBB7_1190:                             ; =>This Inner Loop Header: Depth=1
	s_clause 0x1
	s_load_b128 s[52:55], s[24:25], 0x1c
	s_load_b64 s[50:51], s[24:25], 0x2c
	s_add_co_i32 s0, s0, -2
	s_delay_alu instid0(SALU_CYCLE_1) | instskip(SKIP_2) | instid1(VALU_DEP_1)
	s_cmp_eq_u32 s0, 0
	s_wait_kmcnt 0x0
	v_mul_hi_u32 v3, s53, v1
	v_add_nc_u32_e32 v3, v1, v3
	s_delay_alu instid0(VALU_DEP_1) | instskip(NEXT) | instid1(VALU_DEP_1)
	v_lshrrev_b32_e32 v3, s54, v3
	v_mul_hi_u32 v5, s50, v3
	v_mul_lo_u32 v7, v3, s52
	s_clause 0x1
	s_load_b128 s[56:59], s[24:25], 0xdc
	s_load_b64 s[52:53], s[24:25], 0xec
	s_wait_xcnt 0x0
	s_add_nc_u64 s[24:25], s[24:25], 24
	s_delay_alu instid0(VALU_DEP_1) | instskip(NEXT) | instid1(VALU_DEP_1)
	v_dual_add_nc_u32 v5, v3, v5 :: v_dual_sub_nc_u32 v7, v1, v7
	v_lshrrev_b32_e32 v1, s51, v5
	s_wait_kmcnt 0x0
	s_delay_alu instid0(VALU_DEP_2) | instskip(NEXT) | instid1(VALU_DEP_2)
	v_mad_u32 v2, v7, s56, v2
	v_mul_lo_u32 v5, v1, s55
	v_mad_u32 v6, v7, s58, v6
	v_mad_u32 v4, v7, s57, v4
	s_delay_alu instid0(VALU_DEP_3) | instskip(NEXT) | instid1(VALU_DEP_1)
	v_sub_nc_u32_e32 v3, v3, v5
	v_mad_u32 v2, v3, s59, v2
	s_delay_alu instid0(VALU_DEP_4) | instskip(NEXT) | instid1(VALU_DEP_4)
	v_mad_u32 v6, v3, s53, v6
	v_mad_u32 v4, v3, s52, v4
	s_cbranch_scc0 .LBB7_1190
; %bb.1191:
	s_bitcmp1_b32 s35, 0
	s_cselect_b32 s0, -1, 0
	s_delay_alu instid0(SALU_CYCLE_1)
	s_and_b32 vcc_lo, exec_lo, s0
	s_cbranch_vccnz .LBB7_1195
; %bb.1192:
	s_clause 0x1
	s_load_b96 s[52:54], s[24:25], 0x1c
	s_load_b96 s[56:58], s[24:25], 0xdc
	s_wait_kmcnt 0x0
	v_mul_hi_u32 v3, s53, v1
	s_delay_alu instid0(VALU_DEP_1) | instskip(NEXT) | instid1(VALU_DEP_1)
	v_add_nc_u32_e32 v3, v1, v3
	v_lshrrev_b32_e32 v3, s54, v3
	s_delay_alu instid0(VALU_DEP_1) | instskip(NEXT) | instid1(VALU_DEP_1)
	v_mul_lo_u32 v3, v3, s52
	v_sub_nc_u32_e32 v1, v1, v3
	s_delay_alu instid0(VALU_DEP_1)
	v_mad_u32 v2, v1, s56, v2
	v_mad_u32 v4, v1, s57, v4
	;; [unrolled: 1-line block ×3, first 2 shown]
	s_branch .LBB7_1195
.LBB7_1193:
	s_mov_b32 s0, -1
                                        ; implicit-def: $vgpr6
                                        ; implicit-def: $vgpr4
                                        ; implicit-def: $vgpr2
	s_branch .LBB7_1196
.LBB7_1194:
	s_wait_loadcnt 0x0
	v_dual_mov_b32 v6, 0 :: v_dual_mov_b32 v4, 0
	v_mov_b32_e32 v2, 0
.LBB7_1195:
	s_mov_b32 s0, 0
.LBB7_1196:
	s_delay_alu instid0(SALU_CYCLE_1)
	s_and_not1_b32 vcc_lo, exec_lo, s0
	s_cbranch_vccnz .LBB7_1199
; %bb.1197:
	v_mov_b32_e32 v1, 0
	s_and_not1_b32 vcc_lo, exec_lo, s34
	s_delay_alu instid0(VALU_DEP_1) | instskip(NEXT) | instid1(VALU_DEP_1)
	v_mul_u64_e32 v[2:3], s[18:19], v[0:1]
	v_add_nc_u32_e32 v2, v0, v3
	s_delay_alu instid0(VALU_DEP_1) | instskip(NEXT) | instid1(VALU_DEP_1)
	v_lshrrev_b32_e32 v8, s10, v2
	v_mul_lo_u32 v2, v8, s8
	s_delay_alu instid0(VALU_DEP_1) | instskip(NEXT) | instid1(VALU_DEP_1)
	v_sub_nc_u32_e32 v0, v0, v2
	v_mul_lo_u32 v2, v0, s12
	s_wait_loadcnt 0x0
	v_mul_lo_u32 v6, v0, s14
	v_mul_lo_u32 v4, v0, s13
	s_cbranch_vccnz .LBB7_1199
; %bb.1198:
	v_mov_b32_e32 v9, v1
	s_delay_alu instid0(VALU_DEP_1) | instskip(NEXT) | instid1(VALU_DEP_1)
	v_mul_u64_e32 v[0:1], s[22:23], v[8:9]
	v_add_nc_u32_e32 v0, v8, v1
	s_delay_alu instid0(VALU_DEP_1) | instskip(NEXT) | instid1(VALU_DEP_1)
	v_lshrrev_b32_e32 v0, s1, v0
	v_mul_lo_u32 v0, v0, s11
	s_delay_alu instid0(VALU_DEP_1) | instskip(NEXT) | instid1(VALU_DEP_1)
	v_sub_nc_u32_e32 v0, v8, v0
	v_mad_u32 v2, v0, s15, v2
	v_mad_u32 v4, v0, s20, v4
	;; [unrolled: 1-line block ×3, first 2 shown]
.LBB7_1199:
	s_wait_loadcnt 0x0
	v_mov_b32_e32 v5, 0
	s_and_b32 s0, s33, 0xff
	s_delay_alu instid0(SALU_CYCLE_1) | instskip(NEXT) | instid1(VALU_DEP_1)
	s_cmp_lt_i32 s0, 11
	v_add_nc_u64_e32 v[8:9], s[6:7], v[4:5]
	s_cbranch_scc1 .LBB7_1206
; %bb.1200:
	s_and_b32 s1, 0xffff, s0
	s_mov_b32 s7, 0
	s_cmp_gt_i32 s1, 25
	s_cbranch_scc0 .LBB7_1207
; %bb.1201:
	s_cmp_gt_i32 s1, 28
	s_cbranch_scc0 .LBB7_1208
; %bb.1202:
	;; [unrolled: 3-line block ×4, first 2 shown]
	s_cmp_eq_u32 s1, 46
	s_mov_b32 s10, 0
	s_cbranch_scc0 .LBB7_1213
; %bb.1205:
	global_load_b32 v0, v[8:9], off
	s_mov_b32 s6, 0
	s_mov_b32 s8, -1
	s_wait_loadcnt 0x0
	v_lshlrev_b32_e32 v0, 16, v0
	s_delay_alu instid0(VALU_DEP_1) | instskip(NEXT) | instid1(VALU_DEP_1)
	v_trunc_f32_e32 v0, v0
	v_mul_f32_e64 v1, 0x2f800000, |v0|
	s_delay_alu instid0(VALU_DEP_1) | instskip(NEXT) | instid1(VALU_DEP_1)
	v_floor_f32_e32 v1, v1
	v_fma_f32 v1, 0xcf800000, v1, |v0|
	v_ashrrev_i32_e32 v0, 31, v0
	s_delay_alu instid0(VALU_DEP_2) | instskip(NEXT) | instid1(VALU_DEP_1)
	v_cvt_u32_f32_e32 v1, v1
	v_xor_b32_e32 v1, v1, v0
	s_delay_alu instid0(VALU_DEP_1)
	v_sub_nc_u32_e32 v4, v1, v0
	s_branch .LBB7_1215
.LBB7_1206:
	s_mov_b32 s1, -1
	s_mov_b32 s8, 0
	s_mov_b32 s7, 0
	;; [unrolled: 1-line block ×3, first 2 shown]
                                        ; implicit-def: $vgpr4
	s_branch .LBB7_1274
.LBB7_1207:
	s_mov_b32 s10, -1
	s_mov_b32 s8, 0
	s_mov_b32 s6, s47
                                        ; implicit-def: $vgpr4
	s_branch .LBB7_1242
.LBB7_1208:
	s_mov_b32 s10, -1
	s_mov_b32 s8, 0
	s_mov_b32 s6, s47
                                        ; implicit-def: $vgpr4
	s_branch .LBB7_1225
.LBB7_1209:
	s_mov_b32 s10, -1
	s_mov_b32 s8, 0
	s_mov_b32 s6, s47
                                        ; implicit-def: $vgpr4
	s_branch .LBB7_1220
.LBB7_1210:
	s_mov_b32 s10, -1
	s_mov_b32 s8, 0
	s_mov_b32 s6, s47
	s_branch .LBB7_1214
.LBB7_1211:
	s_and_not1_saveexec_b32 s51, s51
	s_cbranch_execz .LBB7_1093
.LBB7_1212:
	v_add_f32_e32 v1, 0x46000000, v4
	s_and_not1_b32 s50, s50, exec_lo
	s_delay_alu instid0(VALU_DEP_1) | instskip(NEXT) | instid1(VALU_DEP_1)
	v_and_b32_e32 v1, 0xff, v1
	v_cmp_ne_u32_e32 vcc_lo, 0, v1
	s_and_b32 s52, vcc_lo, exec_lo
	s_delay_alu instid0(SALU_CYCLE_1)
	s_or_b32 s50, s50, s52
	s_or_b32 exec_lo, exec_lo, s51
	v_mov_b32_e32 v5, 0
	s_and_saveexec_b32 s51, s50
	s_cbranch_execnz .LBB7_1094
	s_branch .LBB7_1095
.LBB7_1213:
	s_mov_b32 s6, -1
	s_mov_b32 s8, 0
.LBB7_1214:
                                        ; implicit-def: $vgpr4
.LBB7_1215:
	s_and_b32 vcc_lo, exec_lo, s10
	s_cbranch_vccz .LBB7_1219
; %bb.1216:
	s_cmp_eq_u32 s1, 44
	s_cbranch_scc0 .LBB7_1218
; %bb.1217:
	global_load_u8 v0, v[8:9], off
	s_mov_b32 s6, 0
	s_mov_b32 s8, -1
	s_wait_loadcnt 0x0
	v_lshlrev_b32_e32 v1, 23, v0
	v_cmp_ne_u32_e32 vcc_lo, 0, v0
	s_delay_alu instid0(VALU_DEP_2) | instskip(NEXT) | instid1(VALU_DEP_1)
	v_trunc_f32_e32 v1, v1
	v_mul_f32_e64 v3, 0x2f800000, |v1|
	s_delay_alu instid0(VALU_DEP_1) | instskip(NEXT) | instid1(VALU_DEP_1)
	v_floor_f32_e32 v3, v3
	v_fma_f32 v3, 0xcf800000, v3, |v1|
	v_ashrrev_i32_e32 v1, 31, v1
	s_delay_alu instid0(VALU_DEP_2) | instskip(NEXT) | instid1(VALU_DEP_1)
	v_cvt_u32_f32_e32 v3, v3
	v_xor_b32_e32 v3, v3, v1
	s_delay_alu instid0(VALU_DEP_1) | instskip(NEXT) | instid1(VALU_DEP_1)
	v_sub_nc_u32_e32 v1, v3, v1
	v_cndmask_b32_e32 v4, 0, v1, vcc_lo
	s_branch .LBB7_1219
.LBB7_1218:
	s_mov_b32 s6, -1
                                        ; implicit-def: $vgpr4
.LBB7_1219:
	s_mov_b32 s10, 0
.LBB7_1220:
	s_delay_alu instid0(SALU_CYCLE_1)
	s_and_b32 vcc_lo, exec_lo, s10
	s_cbranch_vccz .LBB7_1224
; %bb.1221:
	s_cmp_eq_u32 s1, 29
	s_cbranch_scc0 .LBB7_1223
; %bb.1222:
	global_load_b64 v[4:5], v[8:9], off
	s_mov_b32 s6, 0
	s_mov_b32 s8, -1
	s_branch .LBB7_1224
.LBB7_1223:
	s_mov_b32 s6, -1
                                        ; implicit-def: $vgpr4
.LBB7_1224:
	s_mov_b32 s10, 0
.LBB7_1225:
	s_delay_alu instid0(SALU_CYCLE_1)
	s_and_b32 vcc_lo, exec_lo, s10
	s_cbranch_vccz .LBB7_1241
; %bb.1226:
	s_cmp_lt_i32 s1, 27
	s_cbranch_scc1 .LBB7_1229
; %bb.1227:
	s_cmp_gt_i32 s1, 27
	s_cbranch_scc0 .LBB7_1230
; %bb.1228:
	s_wait_loadcnt 0x0
	global_load_b32 v4, v[8:9], off
	s_mov_b32 s8, 0
	s_branch .LBB7_1231
.LBB7_1229:
	s_mov_b32 s8, -1
                                        ; implicit-def: $vgpr4
	s_branch .LBB7_1234
.LBB7_1230:
	s_mov_b32 s8, -1
                                        ; implicit-def: $vgpr4
.LBB7_1231:
	s_delay_alu instid0(SALU_CYCLE_1)
	s_and_not1_b32 vcc_lo, exec_lo, s8
	s_cbranch_vccnz .LBB7_1233
; %bb.1232:
	s_wait_loadcnt 0x0
	global_load_u16 v4, v[8:9], off
.LBB7_1233:
	s_mov_b32 s8, 0
.LBB7_1234:
	s_delay_alu instid0(SALU_CYCLE_1)
	s_and_not1_b32 vcc_lo, exec_lo, s8
	s_cbranch_vccnz .LBB7_1240
; %bb.1235:
	global_load_u8 v0, v[8:9], off
	s_mov_b32 s10, 0
	s_mov_b32 s8, exec_lo
	s_wait_loadcnt 0x0
	v_cmpx_lt_i16_e32 0x7f, v0
	s_xor_b32 s8, exec_lo, s8
	s_cbranch_execz .LBB7_1252
; %bb.1236:
	v_cmp_ne_u16_e32 vcc_lo, 0x80, v0
	s_and_b32 s10, vcc_lo, exec_lo
	s_and_not1_saveexec_b32 s8, s8
	s_cbranch_execnz .LBB7_1253
.LBB7_1237:
	s_or_b32 exec_lo, exec_lo, s8
	v_mov_b32_e32 v4, 0
	s_and_saveexec_b32 s8, s10
	s_cbranch_execz .LBB7_1239
.LBB7_1238:
	v_and_b32_e32 v1, 0xffff, v0
	s_delay_alu instid0(VALU_DEP_1) | instskip(SKIP_1) | instid1(VALU_DEP_2)
	v_and_b32_e32 v3, 7, v1
	v_bfe_u32 v7, v1, 3, 4
	v_clz_i32_u32_e32 v4, v3
	s_delay_alu instid0(VALU_DEP_2) | instskip(NEXT) | instid1(VALU_DEP_2)
	v_cmp_eq_u32_e32 vcc_lo, 0, v7
	v_min_u32_e32 v4, 32, v4
	s_delay_alu instid0(VALU_DEP_1) | instskip(NEXT) | instid1(VALU_DEP_1)
	v_subrev_nc_u32_e32 v5, 28, v4
	v_dual_lshlrev_b32 v1, v5, v1 :: v_dual_sub_nc_u32 v4, 29, v4
	s_delay_alu instid0(VALU_DEP_1) | instskip(NEXT) | instid1(VALU_DEP_1)
	v_dual_lshlrev_b32 v0, 24, v0 :: v_dual_bitop2_b32 v1, 7, v1 bitop3:0x40
	v_cndmask_b32_e32 v1, v3, v1, vcc_lo
	s_delay_alu instid0(VALU_DEP_3) | instskip(NEXT) | instid1(VALU_DEP_3)
	v_cndmask_b32_e32 v4, v7, v4, vcc_lo
	v_and_b32_e32 v0, 0x80000000, v0
	s_delay_alu instid0(VALU_DEP_3) | instskip(NEXT) | instid1(VALU_DEP_3)
	v_lshlrev_b32_e32 v1, 20, v1
	v_lshl_add_u32 v3, v4, 23, 0x3b800000
	s_delay_alu instid0(VALU_DEP_1) | instskip(NEXT) | instid1(VALU_DEP_1)
	v_or3_b32 v0, v0, v3, v1
	v_trunc_f32_e32 v0, v0
	s_delay_alu instid0(VALU_DEP_1) | instskip(NEXT) | instid1(VALU_DEP_1)
	v_mul_f32_e64 v1, 0x2f800000, |v0|
	v_floor_f32_e32 v1, v1
	s_delay_alu instid0(VALU_DEP_1) | instskip(SKIP_1) | instid1(VALU_DEP_2)
	v_fma_f32 v1, 0xcf800000, v1, |v0|
	v_ashrrev_i32_e32 v0, 31, v0
	v_cvt_u32_f32_e32 v1, v1
	s_delay_alu instid0(VALU_DEP_1) | instskip(NEXT) | instid1(VALU_DEP_1)
	v_xor_b32_e32 v1, v1, v0
	v_sub_nc_u32_e32 v4, v1, v0
.LBB7_1239:
	s_or_b32 exec_lo, exec_lo, s8
.LBB7_1240:
	s_mov_b32 s8, -1
.LBB7_1241:
	s_mov_b32 s10, 0
.LBB7_1242:
	s_delay_alu instid0(SALU_CYCLE_1)
	s_and_b32 vcc_lo, exec_lo, s10
	s_cbranch_vccz .LBB7_1273
; %bb.1243:
	s_cmp_gt_i32 s1, 22
	s_cbranch_scc0 .LBB7_1251
; %bb.1244:
	s_cmp_lt_i32 s1, 24
	s_cbranch_scc1 .LBB7_1254
; %bb.1245:
	s_cmp_gt_i32 s1, 24
	s_cbranch_scc0 .LBB7_1255
; %bb.1246:
	global_load_u8 v0, v[8:9], off
	s_mov_b32 s8, 0
	s_mov_b32 s7, exec_lo
	s_wait_loadcnt 0x0
	v_cmpx_lt_i16_e32 0x7f, v0
	s_xor_b32 s7, exec_lo, s7
	s_cbranch_execz .LBB7_1267
; %bb.1247:
	v_cmp_ne_u16_e32 vcc_lo, 0x80, v0
	s_and_b32 s8, vcc_lo, exec_lo
	s_and_not1_saveexec_b32 s7, s7
	s_cbranch_execnz .LBB7_1268
.LBB7_1248:
	s_or_b32 exec_lo, exec_lo, s7
	v_mov_b32_e32 v4, 0
	s_and_saveexec_b32 s7, s8
	s_cbranch_execz .LBB7_1250
.LBB7_1249:
	v_and_b32_e32 v1, 0xffff, v0
	s_delay_alu instid0(VALU_DEP_1) | instskip(SKIP_1) | instid1(VALU_DEP_2)
	v_and_b32_e32 v3, 3, v1
	v_bfe_u32 v7, v1, 2, 5
	v_clz_i32_u32_e32 v4, v3
	s_delay_alu instid0(VALU_DEP_2) | instskip(NEXT) | instid1(VALU_DEP_2)
	v_cmp_eq_u32_e32 vcc_lo, 0, v7
	v_min_u32_e32 v4, 32, v4
	s_delay_alu instid0(VALU_DEP_1) | instskip(NEXT) | instid1(VALU_DEP_1)
	v_subrev_nc_u32_e32 v5, 29, v4
	v_dual_lshlrev_b32 v1, v5, v1 :: v_dual_sub_nc_u32 v4, 30, v4
	s_delay_alu instid0(VALU_DEP_1) | instskip(NEXT) | instid1(VALU_DEP_1)
	v_dual_lshlrev_b32 v0, 24, v0 :: v_dual_bitop2_b32 v1, 3, v1 bitop3:0x40
	v_cndmask_b32_e32 v1, v3, v1, vcc_lo
	s_delay_alu instid0(VALU_DEP_3) | instskip(NEXT) | instid1(VALU_DEP_3)
	v_cndmask_b32_e32 v4, v7, v4, vcc_lo
	v_and_b32_e32 v0, 0x80000000, v0
	s_delay_alu instid0(VALU_DEP_3) | instskip(NEXT) | instid1(VALU_DEP_3)
	v_lshlrev_b32_e32 v1, 21, v1
	v_lshl_add_u32 v3, v4, 23, 0x37800000
	s_delay_alu instid0(VALU_DEP_1) | instskip(NEXT) | instid1(VALU_DEP_1)
	v_or3_b32 v0, v0, v3, v1
	v_trunc_f32_e32 v0, v0
	s_delay_alu instid0(VALU_DEP_1) | instskip(NEXT) | instid1(VALU_DEP_1)
	v_mul_f32_e64 v1, 0x2f800000, |v0|
	v_floor_f32_e32 v1, v1
	s_delay_alu instid0(VALU_DEP_1) | instskip(SKIP_1) | instid1(VALU_DEP_2)
	v_fma_f32 v1, 0xcf800000, v1, |v0|
	v_ashrrev_i32_e32 v0, 31, v0
	v_cvt_u32_f32_e32 v1, v1
	s_delay_alu instid0(VALU_DEP_1) | instskip(NEXT) | instid1(VALU_DEP_1)
	v_xor_b32_e32 v1, v1, v0
	v_sub_nc_u32_e32 v4, v1, v0
.LBB7_1250:
	s_or_b32 exec_lo, exec_lo, s7
	s_mov_b32 s7, 0
	s_branch .LBB7_1256
.LBB7_1251:
	s_mov_b32 s7, -1
                                        ; implicit-def: $vgpr4
	s_branch .LBB7_1262
.LBB7_1252:
	s_and_not1_saveexec_b32 s8, s8
	s_cbranch_execz .LBB7_1237
.LBB7_1253:
	v_cmp_ne_u16_e32 vcc_lo, 0, v0
	s_and_not1_b32 s10, s10, exec_lo
	s_and_b32 s11, vcc_lo, exec_lo
	s_delay_alu instid0(SALU_CYCLE_1)
	s_or_b32 s10, s10, s11
	s_or_b32 exec_lo, exec_lo, s8
	v_mov_b32_e32 v4, 0
	s_and_saveexec_b32 s8, s10
	s_cbranch_execnz .LBB7_1238
	s_branch .LBB7_1239
.LBB7_1254:
	s_mov_b32 s7, -1
                                        ; implicit-def: $vgpr4
	s_branch .LBB7_1259
.LBB7_1255:
	s_mov_b32 s7, -1
                                        ; implicit-def: $vgpr4
.LBB7_1256:
	s_delay_alu instid0(SALU_CYCLE_1)
	s_and_b32 vcc_lo, exec_lo, s7
	s_cbranch_vccz .LBB7_1258
; %bb.1257:
	global_load_u8 v0, v[8:9], off
	s_wait_loadcnt 0x0
	v_lshlrev_b32_e32 v0, 24, v0
	s_delay_alu instid0(VALU_DEP_1) | instskip(NEXT) | instid1(VALU_DEP_1)
	v_and_b32_e32 v1, 0x7f000000, v0
	v_clz_i32_u32_e32 v3, v1
	v_add_nc_u32_e32 v5, 0x1000000, v1
	v_cmp_ne_u32_e32 vcc_lo, 0, v1
	s_delay_alu instid0(VALU_DEP_3) | instskip(NEXT) | instid1(VALU_DEP_1)
	v_min_u32_e32 v3, 32, v3
	v_sub_nc_u32_e64 v3, v3, 4 clamp
	s_delay_alu instid0(VALU_DEP_1) | instskip(NEXT) | instid1(VALU_DEP_1)
	v_dual_lshlrev_b32 v4, v3, v1 :: v_dual_lshlrev_b32 v3, 23, v3
	v_lshrrev_b32_e32 v4, 4, v4
	s_delay_alu instid0(VALU_DEP_1) | instskip(NEXT) | instid1(VALU_DEP_1)
	v_dual_sub_nc_u32 v3, v4, v3 :: v_dual_ashrrev_i32 v4, 8, v5
	v_add_nc_u32_e32 v3, 0x3c000000, v3
	s_delay_alu instid0(VALU_DEP_1) | instskip(NEXT) | instid1(VALU_DEP_1)
	v_and_or_b32 v3, 0x7f800000, v4, v3
	v_cndmask_b32_e32 v1, 0, v3, vcc_lo
	s_delay_alu instid0(VALU_DEP_1) | instskip(NEXT) | instid1(VALU_DEP_1)
	v_and_or_b32 v0, 0x80000000, v0, v1
	v_trunc_f32_e32 v0, v0
	s_delay_alu instid0(VALU_DEP_1) | instskip(NEXT) | instid1(VALU_DEP_1)
	v_mul_f32_e64 v1, 0x2f800000, |v0|
	v_floor_f32_e32 v1, v1
	s_delay_alu instid0(VALU_DEP_1) | instskip(SKIP_1) | instid1(VALU_DEP_2)
	v_fma_f32 v1, 0xcf800000, v1, |v0|
	v_ashrrev_i32_e32 v0, 31, v0
	v_cvt_u32_f32_e32 v1, v1
	s_delay_alu instid0(VALU_DEP_1) | instskip(NEXT) | instid1(VALU_DEP_1)
	v_xor_b32_e32 v1, v1, v0
	v_sub_nc_u32_e32 v4, v1, v0
.LBB7_1258:
	s_mov_b32 s7, 0
.LBB7_1259:
	s_delay_alu instid0(SALU_CYCLE_1)
	s_and_not1_b32 vcc_lo, exec_lo, s7
	s_cbranch_vccnz .LBB7_1261
; %bb.1260:
	global_load_u8 v0, v[8:9], off
	s_wait_loadcnt 0x0
	v_lshlrev_b32_e32 v1, 25, v0
	v_lshlrev_b16 v0, 8, v0
	s_delay_alu instid0(VALU_DEP_2) | instskip(NEXT) | instid1(VALU_DEP_2)
	v_cmp_gt_u32_e32 vcc_lo, 0x8000000, v1
	v_and_or_b32 v4, 0x7f00, v0, 0.5
	v_lshrrev_b32_e32 v3, 4, v1
	v_bfe_i32 v0, v0, 0, 16
	s_delay_alu instid0(VALU_DEP_3) | instskip(NEXT) | instid1(VALU_DEP_3)
	v_add_f32_e32 v4, -0.5, v4
	v_or_b32_e32 v3, 0x70000000, v3
	s_delay_alu instid0(VALU_DEP_1) | instskip(NEXT) | instid1(VALU_DEP_1)
	v_mul_f32_e32 v3, 0x7800000, v3
	v_cndmask_b32_e32 v1, v3, v4, vcc_lo
	s_delay_alu instid0(VALU_DEP_1) | instskip(NEXT) | instid1(VALU_DEP_1)
	v_and_or_b32 v0, 0x80000000, v0, v1
	v_trunc_f32_e32 v0, v0
	s_delay_alu instid0(VALU_DEP_1) | instskip(NEXT) | instid1(VALU_DEP_1)
	v_mul_f32_e64 v1, 0x2f800000, |v0|
	v_floor_f32_e32 v1, v1
	s_delay_alu instid0(VALU_DEP_1) | instskip(SKIP_1) | instid1(VALU_DEP_2)
	v_fma_f32 v1, 0xcf800000, v1, |v0|
	v_ashrrev_i32_e32 v0, 31, v0
	v_cvt_u32_f32_e32 v1, v1
	s_delay_alu instid0(VALU_DEP_1) | instskip(NEXT) | instid1(VALU_DEP_1)
	v_xor_b32_e32 v1, v1, v0
	v_sub_nc_u32_e32 v4, v1, v0
.LBB7_1261:
	s_mov_b32 s7, 0
	s_mov_b32 s8, -1
.LBB7_1262:
	s_and_not1_b32 vcc_lo, exec_lo, s7
	s_mov_b32 s7, 0
	s_cbranch_vccnz .LBB7_1273
; %bb.1263:
	s_cmp_gt_i32 s1, 14
	s_cbranch_scc0 .LBB7_1266
; %bb.1264:
	s_cmp_eq_u32 s1, 15
	s_cbranch_scc0 .LBB7_1269
; %bb.1265:
	global_load_u16 v0, v[8:9], off
	s_mov_b32 s6, 0
	s_mov_b32 s8, -1
	s_wait_loadcnt 0x0
	v_lshlrev_b32_e32 v0, 16, v0
	s_delay_alu instid0(VALU_DEP_1) | instskip(NEXT) | instid1(VALU_DEP_1)
	v_trunc_f32_e32 v0, v0
	v_mul_f32_e64 v1, 0x2f800000, |v0|
	s_delay_alu instid0(VALU_DEP_1) | instskip(NEXT) | instid1(VALU_DEP_1)
	v_floor_f32_e32 v1, v1
	v_fma_f32 v1, 0xcf800000, v1, |v0|
	v_ashrrev_i32_e32 v0, 31, v0
	s_delay_alu instid0(VALU_DEP_2) | instskip(NEXT) | instid1(VALU_DEP_1)
	v_cvt_u32_f32_e32 v1, v1
	v_xor_b32_e32 v1, v1, v0
	s_delay_alu instid0(VALU_DEP_1)
	v_sub_nc_u32_e32 v4, v1, v0
	s_branch .LBB7_1271
.LBB7_1266:
	s_mov_b32 s7, -1
	s_branch .LBB7_1270
.LBB7_1267:
	s_and_not1_saveexec_b32 s7, s7
	s_cbranch_execz .LBB7_1248
.LBB7_1268:
	v_cmp_ne_u16_e32 vcc_lo, 0, v0
	s_and_not1_b32 s8, s8, exec_lo
	s_and_b32 s10, vcc_lo, exec_lo
	s_delay_alu instid0(SALU_CYCLE_1)
	s_or_b32 s8, s8, s10
	s_or_b32 exec_lo, exec_lo, s7
	v_mov_b32_e32 v4, 0
	s_and_saveexec_b32 s7, s8
	s_cbranch_execnz .LBB7_1249
	s_branch .LBB7_1250
.LBB7_1269:
	s_mov_b32 s6, -1
.LBB7_1270:
                                        ; implicit-def: $vgpr4
.LBB7_1271:
	s_and_b32 vcc_lo, exec_lo, s7
	s_mov_b32 s7, 0
	s_cbranch_vccz .LBB7_1273
; %bb.1272:
	s_cmp_lg_u32 s1, 11
	s_mov_b32 s7, -1
	s_cselect_b32 s1, -1, 0
	s_and_not1_b32 s6, s6, exec_lo
	s_and_b32 s1, s1, exec_lo
	s_delay_alu instid0(SALU_CYCLE_1)
	s_or_b32 s6, s6, s1
.LBB7_1273:
	s_mov_b32 s1, 0
.LBB7_1274:
	s_delay_alu instid0(SALU_CYCLE_1)
	s_and_b32 s50, s1, exec_lo
	s_and_not1_b32 s1, s47, exec_lo
	s_and_b32 s6, s6, exec_lo
	s_and_b32 s24, s8, exec_lo
	;; [unrolled: 1-line block ×3, first 2 shown]
	s_or_b32 s51, s1, s6
.LBB7_1275:
	s_wait_xcnt 0x0
	s_or_b32 exec_lo, exec_lo, s36
	s_delay_alu instid0(SALU_CYCLE_1)
	s_and_not1_b32 s1, s47, exec_lo
	s_and_b32 s6, s51, exec_lo
	s_and_b32 s24, s24, exec_lo
	;; [unrolled: 1-line block ×4, first 2 shown]
	s_or_b32 s47, s1, s6
.LBB7_1276:
	s_or_b32 exec_lo, exec_lo, s46
	s_delay_alu instid0(SALU_CYCLE_1)
	s_and_not1_b32 s1, s43, exec_lo
	s_and_b32 s6, s48, exec_lo
	s_and_not1_b32 s7, s44, exec_lo
	s_and_b32 s8, s49, exec_lo
	s_or_b32 s43, s1, s6
	s_and_not1_b32 s1, s42, exec_lo
	s_and_b32 s6, s47, exec_lo
	s_or_b32 s44, s7, s8
	s_and_b32 s24, s24, exec_lo
	s_and_b32 s46, s50, exec_lo
	;; [unrolled: 1-line block ×3, first 2 shown]
	s_or_b32 s42, s1, s6
.LBB7_1277:
	s_or_b32 exec_lo, exec_lo, s45
	s_delay_alu instid0(SALU_CYCLE_1)
	s_and_not1_b32 s1, s38, exec_lo
	s_and_b32 s6, s43, exec_lo
	s_and_not1_b32 s7, s39, exec_lo
	s_and_b32 s8, s44, exec_lo
	s_or_b32 s38, s1, s6
	s_and_not1_b32 s1, s40, exec_lo
	s_and_b32 s6, s42, exec_lo
	s_or_b32 s39, s7, s8
	s_and_b32 s24, s24, exec_lo
	s_and_b32 s43, s46, exec_lo
	;; [unrolled: 1-line block ×3, first 2 shown]
	s_or_b32 s40, s1, s6
	s_or_b32 exec_lo, exec_lo, s41
	s_mov_b32 s1, 0
	s_and_saveexec_b32 s6, s40
	s_cbranch_execz .LBB7_397
.LBB7_1278:
	s_mov_b32 s1, exec_lo
	s_and_not1_b32 s19, s19, exec_lo
	s_trap 2
	s_or_b32 exec_lo, exec_lo, s6
	s_and_saveexec_b32 s6, s19
	s_delay_alu instid0(SALU_CYCLE_1)
	s_xor_b32 s6, exec_lo, s6
	s_cbranch_execnz .LBB7_398
.LBB7_1279:
	s_or_b32 exec_lo, exec_lo, s6
	s_and_saveexec_b32 s6, s43
	s_cbranch_execz .LBB7_1325
.LBB7_1280:
	s_sext_i32_i16 s7, s0
	s_delay_alu instid0(SALU_CYCLE_1)
	s_cmp_lt_i32 s7, 5
	s_cbranch_scc1 .LBB7_1285
; %bb.1281:
	s_cmp_lt_i32 s7, 8
	s_cbranch_scc1 .LBB7_1286
; %bb.1282:
	;; [unrolled: 3-line block ×3, first 2 shown]
	s_cmp_gt_i32 s7, 9
	s_cbranch_scc0 .LBB7_1288
; %bb.1284:
	global_load_b64 v[0:1], v[8:9], off
	s_mov_b32 s7, 0
	s_wait_loadcnt 0x0
	v_trunc_f64_e32 v[0:1], v[0:1]
	s_delay_alu instid0(VALU_DEP_1) | instskip(NEXT) | instid1(VALU_DEP_1)
	v_ldexp_f64 v[4:5], v[0:1], 0xffffffe0
	v_floor_f64_e32 v[4:5], v[4:5]
	s_delay_alu instid0(VALU_DEP_1) | instskip(NEXT) | instid1(VALU_DEP_1)
	v_fmamk_f64 v[0:1], v[4:5], 0xc1f00000, v[0:1]
	v_cvt_u32_f64_e32 v4, v[0:1]
	s_branch .LBB7_1289
.LBB7_1285:
                                        ; implicit-def: $vgpr4
	s_branch .LBB7_1306
.LBB7_1286:
                                        ; implicit-def: $vgpr4
	s_branch .LBB7_1295
.LBB7_1287:
	s_mov_b32 s7, -1
                                        ; implicit-def: $vgpr4
	s_branch .LBB7_1292
.LBB7_1288:
	s_mov_b32 s7, -1
                                        ; implicit-def: $vgpr4
.LBB7_1289:
	s_delay_alu instid0(SALU_CYCLE_1)
	s_and_not1_b32 vcc_lo, exec_lo, s7
	s_cbranch_vccnz .LBB7_1291
; %bb.1290:
	global_load_b32 v0, v[8:9], off
	s_wait_loadcnt 0x0
	v_trunc_f32_e32 v0, v0
	s_delay_alu instid0(VALU_DEP_1) | instskip(NEXT) | instid1(VALU_DEP_1)
	v_mul_f32_e64 v1, 0x2f800000, |v0|
	v_floor_f32_e32 v1, v1
	s_delay_alu instid0(VALU_DEP_1) | instskip(SKIP_1) | instid1(VALU_DEP_2)
	v_fma_f32 v1, 0xcf800000, v1, |v0|
	v_ashrrev_i32_e32 v0, 31, v0
	v_cvt_u32_f32_e32 v1, v1
	s_delay_alu instid0(VALU_DEP_1) | instskip(NEXT) | instid1(VALU_DEP_1)
	v_xor_b32_e32 v1, v1, v0
	v_sub_nc_u32_e32 v4, v1, v0
.LBB7_1291:
	s_mov_b32 s7, 0
.LBB7_1292:
	s_delay_alu instid0(SALU_CYCLE_1)
	s_and_not1_b32 vcc_lo, exec_lo, s7
	s_cbranch_vccnz .LBB7_1294
; %bb.1293:
	global_load_b32 v0, v[8:9], off
	s_wait_loadcnt 0x0
	v_cvt_f32_f16_e32 v0, v0
	s_delay_alu instid0(VALU_DEP_1)
	v_cvt_i32_f32_e32 v4, v0
.LBB7_1294:
	s_cbranch_execnz .LBB7_1305
.LBB7_1295:
	s_sext_i32_i16 s7, s0
	s_delay_alu instid0(SALU_CYCLE_1)
	s_cmp_lt_i32 s7, 6
	s_cbranch_scc1 .LBB7_1298
; %bb.1296:
	s_cmp_gt_i32 s7, 6
	s_cbranch_scc0 .LBB7_1299
; %bb.1297:
	global_load_b64 v[0:1], v[8:9], off
	s_mov_b32 s7, 0
	s_wait_loadcnt 0x0
	v_trunc_f64_e32 v[0:1], v[0:1]
	s_delay_alu instid0(VALU_DEP_1) | instskip(NEXT) | instid1(VALU_DEP_1)
	v_ldexp_f64 v[4:5], v[0:1], 0xffffffe0
	v_floor_f64_e32 v[4:5], v[4:5]
	s_delay_alu instid0(VALU_DEP_1) | instskip(NEXT) | instid1(VALU_DEP_1)
	v_fmamk_f64 v[0:1], v[4:5], 0xc1f00000, v[0:1]
	v_cvt_u32_f64_e32 v4, v[0:1]
	s_branch .LBB7_1300
.LBB7_1298:
	s_mov_b32 s7, -1
                                        ; implicit-def: $vgpr4
	s_branch .LBB7_1303
.LBB7_1299:
	s_mov_b32 s7, -1
                                        ; implicit-def: $vgpr4
.LBB7_1300:
	s_delay_alu instid0(SALU_CYCLE_1)
	s_and_not1_b32 vcc_lo, exec_lo, s7
	s_cbranch_vccnz .LBB7_1302
; %bb.1301:
	global_load_b32 v0, v[8:9], off
	s_wait_loadcnt 0x0
	v_trunc_f32_e32 v0, v0
	s_delay_alu instid0(VALU_DEP_1) | instskip(NEXT) | instid1(VALU_DEP_1)
	v_mul_f32_e64 v1, 0x2f800000, |v0|
	v_floor_f32_e32 v1, v1
	s_delay_alu instid0(VALU_DEP_1) | instskip(SKIP_1) | instid1(VALU_DEP_2)
	v_fma_f32 v1, 0xcf800000, v1, |v0|
	v_ashrrev_i32_e32 v0, 31, v0
	v_cvt_u32_f32_e32 v1, v1
	s_delay_alu instid0(VALU_DEP_1) | instskip(NEXT) | instid1(VALU_DEP_1)
	v_xor_b32_e32 v1, v1, v0
	v_sub_nc_u32_e32 v4, v1, v0
.LBB7_1302:
	s_mov_b32 s7, 0
.LBB7_1303:
	s_delay_alu instid0(SALU_CYCLE_1)
	s_and_not1_b32 vcc_lo, exec_lo, s7
	s_cbranch_vccnz .LBB7_1305
; %bb.1304:
	global_load_u16 v0, v[8:9], off
	s_wait_loadcnt 0x0
	v_cvt_f32_f16_e32 v0, v0
	s_delay_alu instid0(VALU_DEP_1)
	v_cvt_i32_f32_e32 v4, v0
.LBB7_1305:
	s_cbranch_execnz .LBB7_1324
.LBB7_1306:
	s_sext_i32_i16 s7, s0
	s_delay_alu instid0(SALU_CYCLE_1)
	s_cmp_lt_i32 s7, 2
	s_cbranch_scc1 .LBB7_1310
; %bb.1307:
	s_cmp_lt_i32 s7, 3
	s_cbranch_scc1 .LBB7_1311
; %bb.1308:
	s_cmp_gt_i32 s7, 3
	s_cbranch_scc0 .LBB7_1312
; %bb.1309:
	s_wait_loadcnt 0x0
	global_load_b64 v[4:5], v[8:9], off
	s_mov_b32 s7, 0
	s_branch .LBB7_1313
.LBB7_1310:
                                        ; implicit-def: $vgpr4
	s_branch .LBB7_1319
.LBB7_1311:
	s_mov_b32 s7, -1
                                        ; implicit-def: $vgpr4
	s_branch .LBB7_1316
.LBB7_1312:
	s_mov_b32 s7, -1
                                        ; implicit-def: $vgpr4
.LBB7_1313:
	s_delay_alu instid0(SALU_CYCLE_1)
	s_and_not1_b32 vcc_lo, exec_lo, s7
	s_cbranch_vccnz .LBB7_1315
; %bb.1314:
	s_wait_loadcnt 0x0
	global_load_b32 v4, v[8:9], off
.LBB7_1315:
	s_mov_b32 s7, 0
.LBB7_1316:
	s_delay_alu instid0(SALU_CYCLE_1)
	s_and_not1_b32 vcc_lo, exec_lo, s7
	s_cbranch_vccnz .LBB7_1318
; %bb.1317:
	s_wait_loadcnt 0x0
	global_load_u16 v4, v[8:9], off
.LBB7_1318:
	s_cbranch_execnz .LBB7_1324
.LBB7_1319:
	s_sext_i32_i16 s0, s0
	s_delay_alu instid0(SALU_CYCLE_1)
	s_cmp_gt_i32 s0, 0
	s_mov_b32 s0, 0
	s_cbranch_scc0 .LBB7_1321
; %bb.1320:
	s_wait_loadcnt 0x0
	global_load_u8 v4, v[8:9], off
	s_branch .LBB7_1322
.LBB7_1321:
	s_mov_b32 s0, -1
                                        ; implicit-def: $vgpr4
.LBB7_1322:
	s_delay_alu instid0(SALU_CYCLE_1)
	s_and_not1_b32 vcc_lo, exec_lo, s0
	s_cbranch_vccnz .LBB7_1324
; %bb.1323:
	s_wait_loadcnt 0x0
	global_load_u8 v4, v[8:9], off
.LBB7_1324:
	s_or_b32 s24, s24, exec_lo
.LBB7_1325:
	s_wait_xcnt 0x0
	s_or_b32 exec_lo, exec_lo, s6
	s_mov_b32 s8, 0
	s_mov_b32 s7, 0
	;; [unrolled: 1-line block ×3, first 2 shown]
                                        ; implicit-def: $sgpr0
                                        ; implicit-def: $vgpr8_vgpr9
                                        ; implicit-def: $vgpr0
	s_and_saveexec_b32 s6, s24
	s_cbranch_execz .LBB7_1333
; %bb.1326:
	s_wait_loadcnt 0x0
	v_mov_b32_e32 v7, 0
	s_and_b32 s0, s9, 0xff
	s_delay_alu instid0(SALU_CYCLE_1) | instskip(NEXT) | instid1(VALU_DEP_1)
	s_cmp_lt_i32 s0, 11
	v_add_nc_u64_e32 v[8:9], s[16:17], v[6:7]
	s_cbranch_scc1 .LBB7_1336
; %bb.1327:
	s_and_b32 s7, 0xffff, s0
	s_mov_b32 s9, 0
	s_cmp_gt_i32 s7, 25
	s_cbranch_scc0 .LBB7_1337
; %bb.1328:
	s_cmp_gt_i32 s7, 28
	s_cbranch_scc0 .LBB7_1338
; %bb.1329:
	;; [unrolled: 3-line block ×4, first 2 shown]
	s_cmp_eq_u32 s7, 46
	s_mov_b32 s11, 0
	s_cbranch_scc0 .LBB7_1341
; %bb.1332:
	global_load_b32 v0, v[8:9], off
	s_mov_b32 s10, -1
	s_wait_loadcnt 0x0
	v_lshlrev_b32_e32 v0, 16, v0
	s_delay_alu instid0(VALU_DEP_1) | instskip(NEXT) | instid1(VALU_DEP_1)
	v_trunc_f32_e32 v0, v0
	v_mul_f32_e64 v1, 0x2f800000, |v0|
	s_delay_alu instid0(VALU_DEP_1) | instskip(NEXT) | instid1(VALU_DEP_1)
	v_floor_f32_e32 v1, v1
	v_fma_f32 v1, 0xcf800000, v1, |v0|
	v_ashrrev_i32_e32 v0, 31, v0
	s_delay_alu instid0(VALU_DEP_2) | instskip(NEXT) | instid1(VALU_DEP_1)
	v_cvt_u32_f32_e32 v1, v1
	v_xor_b32_e32 v1, v1, v0
	s_delay_alu instid0(VALU_DEP_1)
	v_sub_nc_u32_e32 v0, v1, v0
	s_branch .LBB7_1343
.LBB7_1333:
	s_or_b32 exec_lo, exec_lo, s6
	s_and_saveexec_b32 s6, s39
	s_cbranch_execnz .LBB7_1402
.LBB7_1334:
	s_or_b32 exec_lo, exec_lo, s6
	s_and_saveexec_b32 s6, s8
	s_delay_alu instid0(SALU_CYCLE_1)
	s_xor_b32 s6, exec_lo, s6
	s_cbranch_execz .LBB7_1403
.LBB7_1335:
	s_wait_loadcnt 0x0
	global_load_u8 v0, v[8:9], off
	s_or_b32 s10, s10, exec_lo
	s_wait_loadcnt 0x0
	v_cmp_ne_u16_e32 vcc_lo, 0, v0
	v_cndmask_b32_e64 v0, 0, 1, vcc_lo
	s_wait_xcnt 0x0
	s_or_b32 exec_lo, exec_lo, s6
	s_and_saveexec_b32 s6, s7
	s_cbranch_execz .LBB7_1449
	s_branch .LBB7_1404
.LBB7_1336:
	s_mov_b32 s7, -1
	s_mov_b32 s9, 0
	s_mov_b32 s8, s39
                                        ; implicit-def: $vgpr0
	s_branch .LBB7_1401
.LBB7_1337:
	s_mov_b32 s8, s39
                                        ; implicit-def: $vgpr0
	s_cbranch_execnz .LBB7_1370
	s_branch .LBB7_1400
.LBB7_1338:
	s_mov_b32 s11, -1
	s_mov_b32 s8, s39
                                        ; implicit-def: $vgpr0
	s_branch .LBB7_1353
.LBB7_1339:
	s_mov_b32 s11, -1
	s_mov_b32 s8, s39
                                        ; implicit-def: $vgpr0
	s_branch .LBB7_1348
.LBB7_1340:
	s_mov_b32 s11, -1
	s_mov_b32 s8, s39
	s_branch .LBB7_1342
.LBB7_1341:
	s_mov_b32 s8, -1
.LBB7_1342:
                                        ; implicit-def: $vgpr0
.LBB7_1343:
	s_and_b32 vcc_lo, exec_lo, s11
	s_cbranch_vccz .LBB7_1347
; %bb.1344:
	s_cmp_eq_u32 s7, 44
	s_cbranch_scc0 .LBB7_1346
; %bb.1345:
	global_load_u8 v0, v[8:9], off
	s_mov_b32 s8, 0
	s_mov_b32 s10, -1
	s_wait_loadcnt 0x0
	v_lshlrev_b32_e32 v1, 23, v0
	v_cmp_ne_u32_e32 vcc_lo, 0, v0
	s_delay_alu instid0(VALU_DEP_2) | instskip(NEXT) | instid1(VALU_DEP_1)
	v_trunc_f32_e32 v1, v1
	v_mul_f32_e64 v3, 0x2f800000, |v1|
	s_delay_alu instid0(VALU_DEP_1) | instskip(NEXT) | instid1(VALU_DEP_1)
	v_floor_f32_e32 v3, v3
	v_fma_f32 v3, 0xcf800000, v3, |v1|
	v_ashrrev_i32_e32 v1, 31, v1
	s_delay_alu instid0(VALU_DEP_2) | instskip(NEXT) | instid1(VALU_DEP_1)
	v_cvt_u32_f32_e32 v3, v3
	v_xor_b32_e32 v3, v3, v1
	s_delay_alu instid0(VALU_DEP_1) | instskip(NEXT) | instid1(VALU_DEP_1)
	v_sub_nc_u32_e32 v1, v3, v1
	v_cndmask_b32_e32 v0, 0, v1, vcc_lo
	s_branch .LBB7_1347
.LBB7_1346:
	s_mov_b32 s8, -1
                                        ; implicit-def: $vgpr0
.LBB7_1347:
	s_mov_b32 s11, 0
.LBB7_1348:
	s_delay_alu instid0(SALU_CYCLE_1)
	s_and_b32 vcc_lo, exec_lo, s11
	s_cbranch_vccz .LBB7_1352
; %bb.1349:
	s_cmp_eq_u32 s7, 29
	s_cbranch_scc0 .LBB7_1351
; %bb.1350:
	global_load_b64 v[0:1], v[8:9], off
	s_mov_b32 s8, 0
	s_mov_b32 s10, -1
	s_branch .LBB7_1352
.LBB7_1351:
	s_mov_b32 s8, -1
                                        ; implicit-def: $vgpr0
.LBB7_1352:
	s_mov_b32 s11, 0
.LBB7_1353:
	s_delay_alu instid0(SALU_CYCLE_1)
	s_and_b32 vcc_lo, exec_lo, s11
	s_cbranch_vccz .LBB7_1369
; %bb.1354:
	s_cmp_lt_i32 s7, 27
	s_cbranch_scc1 .LBB7_1357
; %bb.1355:
	s_cmp_gt_i32 s7, 27
	s_cbranch_scc0 .LBB7_1358
; %bb.1356:
	s_wait_loadcnt 0x0
	global_load_b32 v0, v[8:9], off
	s_mov_b32 s10, 0
	s_branch .LBB7_1359
.LBB7_1357:
	s_mov_b32 s10, -1
                                        ; implicit-def: $vgpr0
	s_branch .LBB7_1362
.LBB7_1358:
	s_mov_b32 s10, -1
                                        ; implicit-def: $vgpr0
.LBB7_1359:
	s_delay_alu instid0(SALU_CYCLE_1)
	s_and_not1_b32 vcc_lo, exec_lo, s10
	s_cbranch_vccnz .LBB7_1361
; %bb.1360:
	s_wait_loadcnt 0x0
	global_load_u16 v0, v[8:9], off
.LBB7_1361:
	s_mov_b32 s10, 0
.LBB7_1362:
	s_delay_alu instid0(SALU_CYCLE_1)
	s_and_not1_b32 vcc_lo, exec_lo, s10
	s_cbranch_vccnz .LBB7_1368
; %bb.1363:
	s_wait_loadcnt 0x0
	global_load_u8 v1, v[8:9], off
	s_mov_b32 s11, 0
	s_mov_b32 s10, exec_lo
	s_wait_loadcnt 0x0
	v_cmpx_lt_i16_e32 0x7f, v1
	s_xor_b32 s10, exec_lo, s10
	s_cbranch_execz .LBB7_1379
; %bb.1364:
	v_cmp_ne_u16_e32 vcc_lo, 0x80, v1
	s_and_b32 s11, vcc_lo, exec_lo
	s_and_not1_saveexec_b32 s10, s10
	s_cbranch_execnz .LBB7_1380
.LBB7_1365:
	s_or_b32 exec_lo, exec_lo, s10
	v_mov_b32_e32 v0, 0
	s_and_saveexec_b32 s10, s11
	s_cbranch_execz .LBB7_1367
.LBB7_1366:
	v_and_b32_e32 v0, 0xffff, v1
	s_delay_alu instid0(VALU_DEP_1) | instskip(SKIP_1) | instid1(VALU_DEP_2)
	v_and_b32_e32 v3, 7, v0
	v_bfe_u32 v7, v0, 3, 4
	v_clz_i32_u32_e32 v5, v3
	s_delay_alu instid0(VALU_DEP_2) | instskip(NEXT) | instid1(VALU_DEP_2)
	v_cmp_eq_u32_e32 vcc_lo, 0, v7
	v_min_u32_e32 v5, 32, v5
	s_delay_alu instid0(VALU_DEP_1) | instskip(NEXT) | instid1(VALU_DEP_1)
	v_subrev_nc_u32_e32 v6, 28, v5
	v_dual_lshlrev_b32 v0, v6, v0 :: v_dual_sub_nc_u32 v5, 29, v5
	s_delay_alu instid0(VALU_DEP_1) | instskip(NEXT) | instid1(VALU_DEP_1)
	v_dual_lshlrev_b32 v1, 24, v1 :: v_dual_bitop2_b32 v0, 7, v0 bitop3:0x40
	v_cndmask_b32_e32 v0, v3, v0, vcc_lo
	s_delay_alu instid0(VALU_DEP_3) | instskip(NEXT) | instid1(VALU_DEP_3)
	v_cndmask_b32_e32 v5, v7, v5, vcc_lo
	v_and_b32_e32 v1, 0x80000000, v1
	s_delay_alu instid0(VALU_DEP_3) | instskip(NEXT) | instid1(VALU_DEP_3)
	v_lshlrev_b32_e32 v0, 20, v0
	v_lshl_add_u32 v3, v5, 23, 0x3b800000
	s_delay_alu instid0(VALU_DEP_1) | instskip(NEXT) | instid1(VALU_DEP_1)
	v_or3_b32 v0, v1, v3, v0
	v_trunc_f32_e32 v0, v0
	s_delay_alu instid0(VALU_DEP_1) | instskip(NEXT) | instid1(VALU_DEP_1)
	v_mul_f32_e64 v1, 0x2f800000, |v0|
	v_floor_f32_e32 v1, v1
	s_delay_alu instid0(VALU_DEP_1) | instskip(SKIP_1) | instid1(VALU_DEP_2)
	v_fma_f32 v1, 0xcf800000, v1, |v0|
	v_ashrrev_i32_e32 v0, 31, v0
	v_cvt_u32_f32_e32 v1, v1
	s_delay_alu instid0(VALU_DEP_1) | instskip(NEXT) | instid1(VALU_DEP_1)
	v_xor_b32_e32 v1, v1, v0
	v_sub_nc_u32_e32 v0, v1, v0
.LBB7_1367:
	s_or_b32 exec_lo, exec_lo, s10
.LBB7_1368:
	s_mov_b32 s10, -1
.LBB7_1369:
	s_branch .LBB7_1400
.LBB7_1370:
	s_cmp_gt_i32 s7, 22
	s_cbranch_scc0 .LBB7_1378
; %bb.1371:
	s_cmp_lt_i32 s7, 24
	s_cbranch_scc1 .LBB7_1381
; %bb.1372:
	s_cmp_gt_i32 s7, 24
	s_cbranch_scc0 .LBB7_1382
; %bb.1373:
	s_wait_loadcnt 0x0
	global_load_u8 v1, v[8:9], off
	s_mov_b32 s10, 0
	s_mov_b32 s9, exec_lo
	s_wait_loadcnt 0x0
	v_cmpx_lt_i16_e32 0x7f, v1
	s_xor_b32 s9, exec_lo, s9
	s_cbranch_execz .LBB7_1394
; %bb.1374:
	v_cmp_ne_u16_e32 vcc_lo, 0x80, v1
	s_and_b32 s10, vcc_lo, exec_lo
	s_and_not1_saveexec_b32 s9, s9
	s_cbranch_execnz .LBB7_1395
.LBB7_1375:
	s_or_b32 exec_lo, exec_lo, s9
	v_mov_b32_e32 v0, 0
	s_and_saveexec_b32 s9, s10
	s_cbranch_execz .LBB7_1377
.LBB7_1376:
	v_and_b32_e32 v0, 0xffff, v1
	s_delay_alu instid0(VALU_DEP_1) | instskip(SKIP_1) | instid1(VALU_DEP_2)
	v_and_b32_e32 v3, 3, v0
	v_bfe_u32 v7, v0, 2, 5
	v_clz_i32_u32_e32 v5, v3
	s_delay_alu instid0(VALU_DEP_2) | instskip(NEXT) | instid1(VALU_DEP_2)
	v_cmp_eq_u32_e32 vcc_lo, 0, v7
	v_min_u32_e32 v5, 32, v5
	s_delay_alu instid0(VALU_DEP_1) | instskip(NEXT) | instid1(VALU_DEP_1)
	v_subrev_nc_u32_e32 v6, 29, v5
	v_dual_lshlrev_b32 v0, v6, v0 :: v_dual_sub_nc_u32 v5, 30, v5
	s_delay_alu instid0(VALU_DEP_1) | instskip(NEXT) | instid1(VALU_DEP_1)
	v_dual_lshlrev_b32 v1, 24, v1 :: v_dual_bitop2_b32 v0, 3, v0 bitop3:0x40
	v_cndmask_b32_e32 v0, v3, v0, vcc_lo
	s_delay_alu instid0(VALU_DEP_3) | instskip(NEXT) | instid1(VALU_DEP_3)
	v_cndmask_b32_e32 v5, v7, v5, vcc_lo
	v_and_b32_e32 v1, 0x80000000, v1
	s_delay_alu instid0(VALU_DEP_3) | instskip(NEXT) | instid1(VALU_DEP_3)
	v_lshlrev_b32_e32 v0, 21, v0
	v_lshl_add_u32 v3, v5, 23, 0x37800000
	s_delay_alu instid0(VALU_DEP_1) | instskip(NEXT) | instid1(VALU_DEP_1)
	v_or3_b32 v0, v1, v3, v0
	v_trunc_f32_e32 v0, v0
	s_delay_alu instid0(VALU_DEP_1) | instskip(NEXT) | instid1(VALU_DEP_1)
	v_mul_f32_e64 v1, 0x2f800000, |v0|
	v_floor_f32_e32 v1, v1
	s_delay_alu instid0(VALU_DEP_1) | instskip(SKIP_1) | instid1(VALU_DEP_2)
	v_fma_f32 v1, 0xcf800000, v1, |v0|
	v_ashrrev_i32_e32 v0, 31, v0
	v_cvt_u32_f32_e32 v1, v1
	s_delay_alu instid0(VALU_DEP_1) | instskip(NEXT) | instid1(VALU_DEP_1)
	v_xor_b32_e32 v1, v1, v0
	v_sub_nc_u32_e32 v0, v1, v0
.LBB7_1377:
	s_or_b32 exec_lo, exec_lo, s9
	s_mov_b32 s9, 0
	s_branch .LBB7_1383
.LBB7_1378:
	s_mov_b32 s9, -1
                                        ; implicit-def: $vgpr0
	s_branch .LBB7_1389
.LBB7_1379:
	s_and_not1_saveexec_b32 s10, s10
	s_cbranch_execz .LBB7_1365
.LBB7_1380:
	v_cmp_ne_u16_e32 vcc_lo, 0, v1
	s_and_not1_b32 s11, s11, exec_lo
	s_and_b32 s12, vcc_lo, exec_lo
	s_delay_alu instid0(SALU_CYCLE_1)
	s_or_b32 s11, s11, s12
	s_or_b32 exec_lo, exec_lo, s10
	v_mov_b32_e32 v0, 0
	s_and_saveexec_b32 s10, s11
	s_cbranch_execnz .LBB7_1366
	s_branch .LBB7_1367
.LBB7_1381:
	s_mov_b32 s9, -1
                                        ; implicit-def: $vgpr0
	s_branch .LBB7_1386
.LBB7_1382:
	s_mov_b32 s9, -1
                                        ; implicit-def: $vgpr0
.LBB7_1383:
	s_delay_alu instid0(SALU_CYCLE_1)
	s_and_b32 vcc_lo, exec_lo, s9
	s_cbranch_vccz .LBB7_1385
; %bb.1384:
	s_wait_loadcnt 0x0
	global_load_u8 v0, v[8:9], off
	s_wait_loadcnt 0x0
	v_lshlrev_b32_e32 v0, 24, v0
	s_delay_alu instid0(VALU_DEP_1) | instskip(NEXT) | instid1(VALU_DEP_1)
	v_and_b32_e32 v1, 0x7f000000, v0
	v_clz_i32_u32_e32 v3, v1
	v_cmp_ne_u32_e32 vcc_lo, 0, v1
	v_add_nc_u32_e32 v6, 0x1000000, v1
	s_delay_alu instid0(VALU_DEP_3) | instskip(NEXT) | instid1(VALU_DEP_1)
	v_min_u32_e32 v3, 32, v3
	v_sub_nc_u32_e64 v3, v3, 4 clamp
	s_delay_alu instid0(VALU_DEP_1) | instskip(NEXT) | instid1(VALU_DEP_1)
	v_dual_lshlrev_b32 v5, v3, v1 :: v_dual_lshlrev_b32 v3, 23, v3
	v_lshrrev_b32_e32 v5, 4, v5
	s_delay_alu instid0(VALU_DEP_1) | instskip(NEXT) | instid1(VALU_DEP_1)
	v_dual_sub_nc_u32 v3, v5, v3 :: v_dual_ashrrev_i32 v5, 8, v6
	v_add_nc_u32_e32 v3, 0x3c000000, v3
	s_delay_alu instid0(VALU_DEP_1) | instskip(NEXT) | instid1(VALU_DEP_1)
	v_and_or_b32 v3, 0x7f800000, v5, v3
	v_cndmask_b32_e32 v1, 0, v3, vcc_lo
	s_delay_alu instid0(VALU_DEP_1) | instskip(NEXT) | instid1(VALU_DEP_1)
	v_and_or_b32 v0, 0x80000000, v0, v1
	v_trunc_f32_e32 v0, v0
	s_delay_alu instid0(VALU_DEP_1) | instskip(NEXT) | instid1(VALU_DEP_1)
	v_mul_f32_e64 v1, 0x2f800000, |v0|
	v_floor_f32_e32 v1, v1
	s_delay_alu instid0(VALU_DEP_1) | instskip(SKIP_1) | instid1(VALU_DEP_2)
	v_fma_f32 v1, 0xcf800000, v1, |v0|
	v_ashrrev_i32_e32 v0, 31, v0
	v_cvt_u32_f32_e32 v1, v1
	s_delay_alu instid0(VALU_DEP_1) | instskip(NEXT) | instid1(VALU_DEP_1)
	v_xor_b32_e32 v1, v1, v0
	v_sub_nc_u32_e32 v0, v1, v0
.LBB7_1385:
	s_mov_b32 s9, 0
.LBB7_1386:
	s_delay_alu instid0(SALU_CYCLE_1)
	s_and_not1_b32 vcc_lo, exec_lo, s9
	s_cbranch_vccnz .LBB7_1388
; %bb.1387:
	s_wait_loadcnt 0x0
	global_load_u8 v0, v[8:9], off
	s_wait_loadcnt 0x0
	v_lshlrev_b32_e32 v1, 25, v0
	v_lshlrev_b16 v0, 8, v0
	s_delay_alu instid0(VALU_DEP_1) | instskip(SKIP_1) | instid1(VALU_DEP_2)
	v_and_or_b32 v5, 0x7f00, v0, 0.5
	v_bfe_i32 v0, v0, 0, 16
	v_add_f32_e32 v5, -0.5, v5
	v_lshrrev_b32_e32 v3, 4, v1
	v_cmp_gt_u32_e32 vcc_lo, 0x8000000, v1
	s_delay_alu instid0(VALU_DEP_2) | instskip(NEXT) | instid1(VALU_DEP_1)
	v_or_b32_e32 v3, 0x70000000, v3
	v_mul_f32_e32 v3, 0x7800000, v3
	s_delay_alu instid0(VALU_DEP_1) | instskip(NEXT) | instid1(VALU_DEP_1)
	v_cndmask_b32_e32 v1, v3, v5, vcc_lo
	v_and_or_b32 v0, 0x80000000, v0, v1
	s_delay_alu instid0(VALU_DEP_1) | instskip(NEXT) | instid1(VALU_DEP_1)
	v_trunc_f32_e32 v0, v0
	v_mul_f32_e64 v1, 0x2f800000, |v0|
	s_delay_alu instid0(VALU_DEP_1) | instskip(NEXT) | instid1(VALU_DEP_1)
	v_floor_f32_e32 v1, v1
	v_fma_f32 v1, 0xcf800000, v1, |v0|
	v_ashrrev_i32_e32 v0, 31, v0
	s_delay_alu instid0(VALU_DEP_2) | instskip(NEXT) | instid1(VALU_DEP_1)
	v_cvt_u32_f32_e32 v1, v1
	v_xor_b32_e32 v1, v1, v0
	s_delay_alu instid0(VALU_DEP_1)
	v_sub_nc_u32_e32 v0, v1, v0
.LBB7_1388:
	s_mov_b32 s9, 0
	s_mov_b32 s10, -1
.LBB7_1389:
	s_and_not1_b32 vcc_lo, exec_lo, s9
	s_mov_b32 s9, 0
	s_cbranch_vccnz .LBB7_1400
; %bb.1390:
	s_cmp_gt_i32 s7, 14
	s_cbranch_scc0 .LBB7_1393
; %bb.1391:
	s_cmp_eq_u32 s7, 15
	s_cbranch_scc0 .LBB7_1396
; %bb.1392:
	s_wait_loadcnt 0x0
	global_load_u16 v0, v[8:9], off
	s_mov_b32 s8, 0
	s_mov_b32 s10, -1
	s_wait_loadcnt 0x0
	v_lshlrev_b32_e32 v0, 16, v0
	s_delay_alu instid0(VALU_DEP_1) | instskip(NEXT) | instid1(VALU_DEP_1)
	v_trunc_f32_e32 v0, v0
	v_mul_f32_e64 v1, 0x2f800000, |v0|
	s_delay_alu instid0(VALU_DEP_1) | instskip(NEXT) | instid1(VALU_DEP_1)
	v_floor_f32_e32 v1, v1
	v_fma_f32 v1, 0xcf800000, v1, |v0|
	v_ashrrev_i32_e32 v0, 31, v0
	s_delay_alu instid0(VALU_DEP_2) | instskip(NEXT) | instid1(VALU_DEP_1)
	v_cvt_u32_f32_e32 v1, v1
	v_xor_b32_e32 v1, v1, v0
	s_delay_alu instid0(VALU_DEP_1)
	v_sub_nc_u32_e32 v0, v1, v0
	s_branch .LBB7_1398
.LBB7_1393:
	s_mov_b32 s9, -1
	s_branch .LBB7_1397
.LBB7_1394:
	s_and_not1_saveexec_b32 s9, s9
	s_cbranch_execz .LBB7_1375
.LBB7_1395:
	v_cmp_ne_u16_e32 vcc_lo, 0, v1
	s_and_not1_b32 s10, s10, exec_lo
	s_and_b32 s11, vcc_lo, exec_lo
	s_delay_alu instid0(SALU_CYCLE_1)
	s_or_b32 s10, s10, s11
	s_or_b32 exec_lo, exec_lo, s9
	v_mov_b32_e32 v0, 0
	s_and_saveexec_b32 s9, s10
	s_cbranch_execnz .LBB7_1376
	s_branch .LBB7_1377
.LBB7_1396:
	s_mov_b32 s8, -1
.LBB7_1397:
                                        ; implicit-def: $vgpr0
.LBB7_1398:
	s_and_b32 vcc_lo, exec_lo, s9
	s_mov_b32 s9, 0
	s_cbranch_vccz .LBB7_1400
; %bb.1399:
	s_cmp_lg_u32 s7, 11
	s_mov_b32 s9, -1
	s_cselect_b32 s7, -1, 0
	s_and_not1_b32 s8, s8, exec_lo
	s_and_b32 s7, s7, exec_lo
	s_delay_alu instid0(SALU_CYCLE_1)
	s_or_b32 s8, s8, s7
.LBB7_1400:
	s_mov_b32 s7, 0
.LBB7_1401:
	s_and_not1_b32 s11, s39, exec_lo
	s_and_b32 s12, s8, exec_lo
	s_and_b32 s10, s10, exec_lo
	;; [unrolled: 1-line block ×4, first 2 shown]
	s_or_b32 s39, s11, s12
	s_wait_xcnt 0x0
	s_or_b32 exec_lo, exec_lo, s6
	s_and_saveexec_b32 s6, s39
	s_cbranch_execz .LBB7_1334
.LBB7_1402:
	s_or_b32 s1, s1, exec_lo
	s_and_not1_b32 s8, s8, exec_lo
	s_trap 2
	s_or_b32 exec_lo, exec_lo, s6
	s_and_saveexec_b32 s6, s8
	s_delay_alu instid0(SALU_CYCLE_1)
	s_xor_b32 s6, exec_lo, s6
	s_cbranch_execnz .LBB7_1335
.LBB7_1403:
	s_or_b32 exec_lo, exec_lo, s6
	s_and_saveexec_b32 s6, s7
	s_cbranch_execz .LBB7_1449
.LBB7_1404:
	s_sext_i32_i16 s7, s0
	s_delay_alu instid0(SALU_CYCLE_1)
	s_cmp_lt_i32 s7, 5
	s_cbranch_scc1 .LBB7_1409
; %bb.1405:
	s_cmp_lt_i32 s7, 8
	s_cbranch_scc1 .LBB7_1410
; %bb.1406:
	;; [unrolled: 3-line block ×3, first 2 shown]
	s_cmp_gt_i32 s7, 9
	s_cbranch_scc0 .LBB7_1412
; %bb.1408:
	s_wait_loadcnt 0x0
	global_load_b64 v[0:1], v[8:9], off
	s_mov_b32 s7, 0
	s_wait_loadcnt 0x0
	v_trunc_f64_e32 v[0:1], v[0:1]
	s_delay_alu instid0(VALU_DEP_1) | instskip(NEXT) | instid1(VALU_DEP_1)
	v_ldexp_f64 v[6:7], v[0:1], 0xffffffe0
	v_floor_f64_e32 v[6:7], v[6:7]
	s_delay_alu instid0(VALU_DEP_1) | instskip(NEXT) | instid1(VALU_DEP_1)
	v_fmamk_f64 v[0:1], v[6:7], 0xc1f00000, v[0:1]
	v_cvt_u32_f64_e32 v0, v[0:1]
	s_branch .LBB7_1413
.LBB7_1409:
                                        ; implicit-def: $vgpr0
	s_branch .LBB7_1430
.LBB7_1410:
                                        ; implicit-def: $vgpr0
	s_branch .LBB7_1419
.LBB7_1411:
	s_mov_b32 s7, -1
                                        ; implicit-def: $vgpr0
	s_branch .LBB7_1416
.LBB7_1412:
	s_mov_b32 s7, -1
                                        ; implicit-def: $vgpr0
.LBB7_1413:
	s_delay_alu instid0(SALU_CYCLE_1)
	s_and_not1_b32 vcc_lo, exec_lo, s7
	s_cbranch_vccnz .LBB7_1415
; %bb.1414:
	s_wait_loadcnt 0x0
	global_load_b32 v0, v[8:9], off
	s_wait_loadcnt 0x0
	v_trunc_f32_e32 v0, v0
	s_delay_alu instid0(VALU_DEP_1) | instskip(NEXT) | instid1(VALU_DEP_1)
	v_mul_f32_e64 v1, 0x2f800000, |v0|
	v_floor_f32_e32 v1, v1
	s_delay_alu instid0(VALU_DEP_1) | instskip(SKIP_1) | instid1(VALU_DEP_2)
	v_fma_f32 v1, 0xcf800000, v1, |v0|
	v_ashrrev_i32_e32 v0, 31, v0
	v_cvt_u32_f32_e32 v1, v1
	s_delay_alu instid0(VALU_DEP_1) | instskip(NEXT) | instid1(VALU_DEP_1)
	v_xor_b32_e32 v1, v1, v0
	v_sub_nc_u32_e32 v0, v1, v0
.LBB7_1415:
	s_mov_b32 s7, 0
.LBB7_1416:
	s_delay_alu instid0(SALU_CYCLE_1)
	s_and_not1_b32 vcc_lo, exec_lo, s7
	s_cbranch_vccnz .LBB7_1418
; %bb.1417:
	s_wait_loadcnt 0x0
	global_load_b32 v0, v[8:9], off
	s_wait_loadcnt 0x0
	v_cvt_f32_f16_e32 v0, v0
	s_delay_alu instid0(VALU_DEP_1)
	v_cvt_i32_f32_e32 v0, v0
.LBB7_1418:
	s_cbranch_execnz .LBB7_1429
.LBB7_1419:
	s_sext_i32_i16 s7, s0
	s_delay_alu instid0(SALU_CYCLE_1)
	s_cmp_lt_i32 s7, 6
	s_cbranch_scc1 .LBB7_1422
; %bb.1420:
	s_cmp_gt_i32 s7, 6
	s_cbranch_scc0 .LBB7_1423
; %bb.1421:
	s_wait_loadcnt 0x0
	global_load_b64 v[0:1], v[8:9], off
	s_mov_b32 s7, 0
	s_wait_loadcnt 0x0
	v_trunc_f64_e32 v[0:1], v[0:1]
	s_delay_alu instid0(VALU_DEP_1) | instskip(NEXT) | instid1(VALU_DEP_1)
	v_ldexp_f64 v[6:7], v[0:1], 0xffffffe0
	v_floor_f64_e32 v[6:7], v[6:7]
	s_delay_alu instid0(VALU_DEP_1) | instskip(NEXT) | instid1(VALU_DEP_1)
	v_fmamk_f64 v[0:1], v[6:7], 0xc1f00000, v[0:1]
	v_cvt_u32_f64_e32 v0, v[0:1]
	s_branch .LBB7_1424
.LBB7_1422:
	s_mov_b32 s7, -1
                                        ; implicit-def: $vgpr0
	s_branch .LBB7_1427
.LBB7_1423:
	s_mov_b32 s7, -1
                                        ; implicit-def: $vgpr0
.LBB7_1424:
	s_delay_alu instid0(SALU_CYCLE_1)
	s_and_not1_b32 vcc_lo, exec_lo, s7
	s_cbranch_vccnz .LBB7_1426
; %bb.1425:
	s_wait_loadcnt 0x0
	global_load_b32 v0, v[8:9], off
	s_wait_loadcnt 0x0
	v_trunc_f32_e32 v0, v0
	s_delay_alu instid0(VALU_DEP_1) | instskip(NEXT) | instid1(VALU_DEP_1)
	v_mul_f32_e64 v1, 0x2f800000, |v0|
	v_floor_f32_e32 v1, v1
	s_delay_alu instid0(VALU_DEP_1) | instskip(SKIP_1) | instid1(VALU_DEP_2)
	v_fma_f32 v1, 0xcf800000, v1, |v0|
	v_ashrrev_i32_e32 v0, 31, v0
	v_cvt_u32_f32_e32 v1, v1
	s_delay_alu instid0(VALU_DEP_1) | instskip(NEXT) | instid1(VALU_DEP_1)
	v_xor_b32_e32 v1, v1, v0
	v_sub_nc_u32_e32 v0, v1, v0
.LBB7_1426:
	s_mov_b32 s7, 0
.LBB7_1427:
	s_delay_alu instid0(SALU_CYCLE_1)
	s_and_not1_b32 vcc_lo, exec_lo, s7
	s_cbranch_vccnz .LBB7_1429
; %bb.1428:
	s_wait_loadcnt 0x0
	global_load_u16 v0, v[8:9], off
	s_wait_loadcnt 0x0
	v_cvt_f32_f16_e32 v0, v0
	s_delay_alu instid0(VALU_DEP_1)
	v_cvt_i32_f32_e32 v0, v0
.LBB7_1429:
	s_cbranch_execnz .LBB7_1448
.LBB7_1430:
	s_sext_i32_i16 s7, s0
	s_delay_alu instid0(SALU_CYCLE_1)
	s_cmp_lt_i32 s7, 2
	s_cbranch_scc1 .LBB7_1434
; %bb.1431:
	s_cmp_lt_i32 s7, 3
	s_cbranch_scc1 .LBB7_1435
; %bb.1432:
	s_cmp_gt_i32 s7, 3
	s_cbranch_scc0 .LBB7_1436
; %bb.1433:
	s_wait_loadcnt 0x0
	global_load_b64 v[0:1], v[8:9], off
	s_mov_b32 s7, 0
	s_branch .LBB7_1437
.LBB7_1434:
                                        ; implicit-def: $vgpr0
	s_branch .LBB7_1443
.LBB7_1435:
	s_mov_b32 s7, -1
                                        ; implicit-def: $vgpr0
	s_branch .LBB7_1440
.LBB7_1436:
	s_mov_b32 s7, -1
                                        ; implicit-def: $vgpr0
.LBB7_1437:
	s_delay_alu instid0(SALU_CYCLE_1)
	s_and_not1_b32 vcc_lo, exec_lo, s7
	s_cbranch_vccnz .LBB7_1439
; %bb.1438:
	s_wait_loadcnt 0x0
	global_load_b32 v0, v[8:9], off
.LBB7_1439:
	s_mov_b32 s7, 0
.LBB7_1440:
	s_delay_alu instid0(SALU_CYCLE_1)
	s_and_not1_b32 vcc_lo, exec_lo, s7
	s_cbranch_vccnz .LBB7_1442
; %bb.1441:
	s_wait_loadcnt 0x0
	global_load_u16 v0, v[8:9], off
.LBB7_1442:
	s_cbranch_execnz .LBB7_1448
.LBB7_1443:
	s_sext_i32_i16 s0, s0
	s_delay_alu instid0(SALU_CYCLE_1)
	s_cmp_gt_i32 s0, 0
	s_mov_b32 s0, 0
	s_cbranch_scc0 .LBB7_1445
; %bb.1444:
	s_wait_loadcnt 0x0
	global_load_u8 v0, v[8:9], off
	s_branch .LBB7_1446
.LBB7_1445:
	s_mov_b32 s0, -1
                                        ; implicit-def: $vgpr0
.LBB7_1446:
	s_delay_alu instid0(SALU_CYCLE_1)
	s_and_not1_b32 vcc_lo, exec_lo, s0
	s_cbranch_vccnz .LBB7_1448
; %bb.1447:
	s_wait_loadcnt 0x0
	global_load_u8 v0, v[8:9], off
.LBB7_1448:
	s_or_b32 s10, s10, exec_lo
.LBB7_1449:
	s_wait_xcnt 0x0
	s_or_b32 exec_lo, exec_lo, s6
	s_mov_b32 s0, 0
	s_mov_b32 s8, 0
                                        ; implicit-def: $sgpr6
                                        ; implicit-def: $vgpr6_vgpr7
	s_and_saveexec_b32 s7, s10
	s_cbranch_execz .LBB7_1460
; %bb.1450:
	s_wait_loadcnt 0x0
	v_and_b32_e32 v1, 0xff, v4
	s_mov_b32 s6, 0
	s_mov_b32 s0, exec_lo
	s_delay_alu instid0(VALU_DEP_1)
	v_cmpx_ne_u16_e32 0, v1
	s_cbranch_execz .LBB7_1453
.LBB7_1451:                             ; =>This Inner Loop Header: Depth=1
	s_delay_alu instid0(VALU_DEP_3) | instskip(SKIP_1) | instid1(VALU_DEP_1)
	v_cvt_f32_ubyte0_e32 v5, v0
	v_mov_b32_e32 v1, v4
	v_cvt_f32_ubyte0_e32 v3, v1
	s_delay_alu instid0(VALU_DEP_1) | instskip(SKIP_1) | instid1(TRANS32_DEP_1)
	v_rcp_iflag_f32_e32 v4, v3
	v_nop
	v_mul_f32_e32 v4, v5, v4
	s_delay_alu instid0(VALU_DEP_1) | instskip(NEXT) | instid1(VALU_DEP_1)
	v_trunc_f32_e32 v4, v4
	v_fma_f32 v5, -v4, v3, v5
	v_cvt_u32_f32_e32 v4, v4
	s_delay_alu instid0(VALU_DEP_2) | instskip(NEXT) | instid1(VALU_DEP_1)
	v_cmp_ge_f32_e64 vcc_lo, |v5|, v3
	v_add_co_ci_u32_e64 v3, null, 0, v4, vcc_lo
	s_delay_alu instid0(VALU_DEP_1) | instskip(NEXT) | instid1(VALU_DEP_1)
	v_mul_lo_u32 v3, v3, v1
	v_sub_nc_u32_e32 v0, v0, v3
	s_delay_alu instid0(VALU_DEP_1) | instskip(SKIP_1) | instid1(VALU_DEP_2)
	v_and_b32_e32 v4, 0xff, v0
	v_mov_b32_e32 v0, v1
	v_cmp_eq_u16_e32 vcc_lo, 0, v4
	s_or_b32 s6, vcc_lo, s6
	s_delay_alu instid0(SALU_CYCLE_1)
	s_and_not1_b32 exec_lo, exec_lo, s6
	s_cbranch_execnz .LBB7_1451
; %bb.1452:
	s_or_b32 exec_lo, exec_lo, s6
	v_mov_b32_e32 v0, v1
.LBB7_1453:
	s_or_b32 exec_lo, exec_lo, s0
	v_mov_b32_e32 v3, 0
	s_and_b32 s6, s31, 0xff
	s_delay_alu instid0(SALU_CYCLE_1) | instskip(NEXT) | instid1(VALU_DEP_1)
	s_cmp_lt_i32 s6, 11
	v_add_nc_u64_e32 v[6:7], s[4:5], v[2:3]
	s_cbranch_scc1 .LBB7_1463
; %bb.1454:
	s_and_b32 s4, 0xffff, s6
	s_mov_b32 s5, -1
	s_cmp_gt_i32 s4, 25
	s_mov_b32 s0, s38
	s_cbranch_scc0 .LBB7_1491
; %bb.1455:
	s_cmp_gt_i32 s4, 28
	s_mov_b32 s0, s38
	s_cbranch_scc0 .LBB7_1475
; %bb.1456:
	;; [unrolled: 4-line block ×4, first 2 shown]
	s_cmp_eq_u32 s4, 46
	s_mov_b32 s0, -1
	s_cbranch_scc0 .LBB7_1464
; %bb.1459:
	v_cvt_f32_ubyte0_e32 v1, v0
	s_mov_b32 s0, 0
	s_mov_b32 s5, 0
	s_delay_alu instid0(VALU_DEP_1) | instskip(NEXT) | instid1(VALU_DEP_1)
	v_bfe_u32 v2, v1, 16, 1
	v_add3_u32 v1, v1, v2, 0x7fff
	s_delay_alu instid0(VALU_DEP_1)
	v_lshrrev_b32_e32 v1, 16, v1
	global_store_b32 v[6:7], v1, off
	s_branch .LBB7_1465
.LBB7_1460:
	s_or_b32 exec_lo, exec_lo, s7
	s_and_saveexec_b32 s4, s38
	s_cbranch_execnz .LBB7_1533
.LBB7_1461:
	s_or_b32 exec_lo, exec_lo, s4
	s_and_saveexec_b32 s4, s0
	s_delay_alu instid0(SALU_CYCLE_1)
	s_xor_b32 s0, exec_lo, s4
	s_cbranch_execz .LBB7_1534
.LBB7_1462:
	s_wait_loadcnt 0x0
	s_delay_alu instid0(VALU_DEP_1) | instskip(NEXT) | instid1(VALU_DEP_1)
	v_and_b32_e32 v1, 0xff, v0
	v_cmp_ne_u16_e32 vcc_lo, 0, v1
	v_cndmask_b32_e64 v1, 0, 1, vcc_lo
	global_store_b8 v[6:7], v1, off
	s_wait_xcnt 0x0
	s_or_b32 exec_lo, exec_lo, s0
	s_and_saveexec_b32 s0, s8
	s_delay_alu instid0(SALU_CYCLE_1)
	s_xor_b32 s0, exec_lo, s0
	s_cbranch_execz .LBB7_1572
	s_branch .LBB7_1535
.LBB7_1463:
	s_mov_b32 s9, 0
	s_mov_b32 s5, -1
	s_mov_b32 s0, s38
	s_branch .LBB7_1532
.LBB7_1464:
	s_mov_b32 s5, 0
.LBB7_1465:
	s_delay_alu instid0(SALU_CYCLE_1)
	s_and_b32 vcc_lo, exec_lo, s5
	s_cbranch_vccz .LBB7_1470
; %bb.1466:
	s_cmp_eq_u32 s4, 44
	s_mov_b32 s0, -1
	s_cbranch_scc0 .LBB7_1470
; %bb.1467:
	v_cvt_f32_ubyte0_e32 v3, v0
	s_mov_b32 s5, exec_lo
	s_wait_xcnt 0x0
	s_delay_alu instid0(VALU_DEP_1) | instskip(NEXT) | instid1(VALU_DEP_1)
	v_dual_mov_b32 v2, 0xff :: v_dual_lshrrev_b32 v1, 23, v3
	v_cmpx_ne_u32_e32 0xff, v1
; %bb.1468:
	v_and_b32_e32 v2, 0x400000, v3
	v_and_or_b32 v3, 0x3fffff, v3, v1
	s_delay_alu instid0(VALU_DEP_2) | instskip(NEXT) | instid1(VALU_DEP_2)
	v_cmp_ne_u32_e32 vcc_lo, 0, v2
	v_cmp_ne_u32_e64 s0, 0, v3
	s_and_b32 s0, vcc_lo, s0
	s_delay_alu instid0(SALU_CYCLE_1) | instskip(NEXT) | instid1(VALU_DEP_1)
	v_cndmask_b32_e64 v2, 0, 1, s0
	v_add_nc_u32_e32 v2, v1, v2
; %bb.1469:
	s_or_b32 exec_lo, exec_lo, s5
	s_mov_b32 s0, 0
	global_store_b8 v[6:7], v2, off
.LBB7_1470:
	s_mov_b32 s5, 0
.LBB7_1471:
	s_delay_alu instid0(SALU_CYCLE_1)
	s_and_b32 vcc_lo, exec_lo, s5
	s_cbranch_vccz .LBB7_1474
; %bb.1472:
	s_cmp_eq_u32 s4, 29
	s_mov_b32 s0, -1
	s_cbranch_scc0 .LBB7_1474
; %bb.1473:
	s_wait_xcnt 0x0
	v_and_b32_e32 v2, 0xff, v0
	v_mov_b32_e32 v3, 0
	s_mov_b32 s0, 0
	s_mov_b32 s5, 0
	global_store_b64 v[6:7], v[2:3], off
	s_branch .LBB7_1475
.LBB7_1474:
	s_mov_b32 s5, 0
.LBB7_1475:
	s_delay_alu instid0(SALU_CYCLE_1)
	s_and_b32 vcc_lo, exec_lo, s5
	s_cbranch_vccz .LBB7_1490
; %bb.1476:
	s_cmp_lt_i32 s4, 27
	s_mov_b32 s5, -1
	s_cbranch_scc1 .LBB7_1482
; %bb.1477:
	s_cmp_gt_i32 s4, 27
	s_cbranch_scc0 .LBB7_1479
; %bb.1478:
	s_wait_xcnt 0x0
	v_and_b32_e32 v1, 0xff, v0
	s_mov_b32 s5, 0
	global_store_b32 v[6:7], v1, off
.LBB7_1479:
	s_and_not1_b32 vcc_lo, exec_lo, s5
	s_cbranch_vccnz .LBB7_1481
; %bb.1480:
	s_wait_xcnt 0x0
	v_and_b32_e32 v1, 0xff, v0
	global_store_b16 v[6:7], v1, off
.LBB7_1481:
	s_mov_b32 s5, 0
.LBB7_1482:
	s_delay_alu instid0(SALU_CYCLE_1)
	s_and_not1_b32 vcc_lo, exec_lo, s5
	s_cbranch_vccnz .LBB7_1490
; %bb.1483:
	s_wait_xcnt 0x0
	v_cvt_f32_ubyte0_e32 v2, v0
	v_mov_b32_e32 v3, 0x80
	s_mov_b32 s5, exec_lo
	s_delay_alu instid0(VALU_DEP_2)
	v_cmpx_gt_u32_e32 0x43800000, v2
	s_cbranch_execz .LBB7_1489
; %bb.1484:
	s_mov_b32 s8, 0
	s_mov_b32 s9, exec_lo
                                        ; implicit-def: $vgpr1
	v_cmpx_lt_u32_e32 0x3bffffff, v2
	s_xor_b32 s9, exec_lo, s9
	s_cbranch_execz .LBB7_1631
; %bb.1485:
	v_bfe_u32 v1, v2, 20, 1
	s_mov_b32 s8, exec_lo
	s_delay_alu instid0(VALU_DEP_1) | instskip(NEXT) | instid1(VALU_DEP_1)
	v_add3_u32 v1, v2, v1, 0x487ffff
                                        ; implicit-def: $vgpr2
	v_lshrrev_b32_e32 v1, 20, v1
	s_and_not1_saveexec_b32 s9, s9
	s_cbranch_execnz .LBB7_1632
.LBB7_1486:
	s_or_b32 exec_lo, exec_lo, s9
	v_mov_b32_e32 v3, 0
	s_and_saveexec_b32 s9, s8
.LBB7_1487:
	v_mov_b32_e32 v3, v1
.LBB7_1488:
	s_or_b32 exec_lo, exec_lo, s9
.LBB7_1489:
	s_delay_alu instid0(SALU_CYCLE_1)
	s_or_b32 exec_lo, exec_lo, s5
	global_store_b8 v[6:7], v3, off
.LBB7_1490:
	s_mov_b32 s5, 0
.LBB7_1491:
	s_delay_alu instid0(SALU_CYCLE_1)
	s_and_b32 vcc_lo, exec_lo, s5
	s_mov_b32 s5, 0
	s_cbranch_vccz .LBB7_1531
; %bb.1492:
	s_cmp_gt_i32 s4, 22
	s_mov_b32 s8, -1
	s_cbranch_scc0 .LBB7_1524
; %bb.1493:
	s_cmp_lt_i32 s4, 24
	s_cbranch_scc1 .LBB7_1513
; %bb.1494:
	s_cmp_gt_i32 s4, 24
	s_cbranch_scc0 .LBB7_1502
; %bb.1495:
	s_wait_xcnt 0x0
	v_cvt_f32_ubyte0_e32 v2, v0
	v_mov_b32_e32 v3, 0x80
	s_mov_b32 s8, exec_lo
	s_delay_alu instid0(VALU_DEP_2)
	v_cmpx_gt_u32_e32 0x47800000, v2
	s_cbranch_execz .LBB7_1501
; %bb.1496:
	s_mov_b32 s9, 0
	s_mov_b32 s10, exec_lo
                                        ; implicit-def: $vgpr1
	v_cmpx_lt_u32_e32 0x37ffffff, v2
	s_xor_b32 s10, exec_lo, s10
	s_cbranch_execz .LBB7_1752
; %bb.1497:
	v_bfe_u32 v1, v2, 21, 1
	s_mov_b32 s9, exec_lo
	s_delay_alu instid0(VALU_DEP_1) | instskip(NEXT) | instid1(VALU_DEP_1)
	v_add3_u32 v1, v2, v1, 0x88fffff
                                        ; implicit-def: $vgpr2
	v_lshrrev_b32_e32 v1, 21, v1
	s_and_not1_saveexec_b32 s10, s10
	s_cbranch_execnz .LBB7_1753
.LBB7_1498:
	s_or_b32 exec_lo, exec_lo, s10
	v_mov_b32_e32 v3, 0
	s_and_saveexec_b32 s10, s9
.LBB7_1499:
	v_mov_b32_e32 v3, v1
.LBB7_1500:
	s_or_b32 exec_lo, exec_lo, s10
.LBB7_1501:
	s_delay_alu instid0(SALU_CYCLE_1)
	s_or_b32 exec_lo, exec_lo, s8
	s_mov_b32 s8, 0
	global_store_b8 v[6:7], v3, off
.LBB7_1502:
	s_and_b32 vcc_lo, exec_lo, s8
	s_cbranch_vccz .LBB7_1512
; %bb.1503:
	s_wait_xcnt 0x0
	v_cvt_f32_ubyte0_e32 v2, v0
	s_mov_b32 s8, exec_lo
                                        ; implicit-def: $vgpr1
	s_delay_alu instid0(VALU_DEP_1)
	v_cmpx_gt_u32_e32 0x43f00000, v2
	s_xor_b32 s8, exec_lo, s8
	s_cbranch_execz .LBB7_1509
; %bb.1504:
	s_mov_b32 s9, exec_lo
                                        ; implicit-def: $vgpr1
	v_cmpx_lt_u32_e32 0x3c7fffff, v2
	s_xor_b32 s9, exec_lo, s9
; %bb.1505:
	v_bfe_u32 v1, v2, 20, 1
	s_delay_alu instid0(VALU_DEP_1) | instskip(NEXT) | instid1(VALU_DEP_1)
	v_add3_u32 v1, v2, v1, 0x407ffff
	v_and_b32_e32 v2, 0xff00000, v1
	v_lshrrev_b32_e32 v1, 20, v1
	s_delay_alu instid0(VALU_DEP_2) | instskip(NEXT) | instid1(VALU_DEP_2)
	v_cmp_ne_u32_e32 vcc_lo, 0x7f00000, v2
                                        ; implicit-def: $vgpr2
	v_cndmask_b32_e32 v1, 0x7e, v1, vcc_lo
; %bb.1506:
	s_and_not1_saveexec_b32 s9, s9
; %bb.1507:
	v_add_f32_e32 v1, 0x46800000, v2
; %bb.1508:
	s_or_b32 exec_lo, exec_lo, s9
                                        ; implicit-def: $vgpr2
.LBB7_1509:
	s_and_not1_saveexec_b32 s8, s8
; %bb.1510:
	v_mov_b32_e32 v1, 0x7f
	v_cmp_lt_u32_e32 vcc_lo, 0x7f800000, v2
	s_delay_alu instid0(VALU_DEP_2)
	v_cndmask_b32_e32 v1, 0x7e, v1, vcc_lo
; %bb.1511:
	s_or_b32 exec_lo, exec_lo, s8
	global_store_b8 v[6:7], v1, off
.LBB7_1512:
	s_mov_b32 s8, 0
.LBB7_1513:
	s_delay_alu instid0(SALU_CYCLE_1)
	s_and_not1_b32 vcc_lo, exec_lo, s8
	s_cbranch_vccnz .LBB7_1523
; %bb.1514:
	s_wait_xcnt 0x0
	v_cvt_f32_ubyte0_e32 v2, v0
	s_mov_b32 s8, exec_lo
                                        ; implicit-def: $vgpr1
	s_delay_alu instid0(VALU_DEP_1)
	v_cmpx_gt_u32_e32 0x47800000, v2
	s_xor_b32 s8, exec_lo, s8
	s_cbranch_execz .LBB7_1520
; %bb.1515:
	s_mov_b32 s9, exec_lo
                                        ; implicit-def: $vgpr1
	v_cmpx_lt_u32_e32 0x387fffff, v2
	s_xor_b32 s9, exec_lo, s9
; %bb.1516:
	v_bfe_u32 v1, v2, 21, 1
	s_delay_alu instid0(VALU_DEP_1) | instskip(NEXT) | instid1(VALU_DEP_1)
	v_add3_u32 v1, v2, v1, 0x80fffff
                                        ; implicit-def: $vgpr2
	v_lshrrev_b32_e32 v1, 21, v1
; %bb.1517:
	s_and_not1_saveexec_b32 s9, s9
; %bb.1518:
	v_add_f32_e32 v1, 0x43000000, v2
; %bb.1519:
	s_or_b32 exec_lo, exec_lo, s9
                                        ; implicit-def: $vgpr2
.LBB7_1520:
	s_and_not1_saveexec_b32 s8, s8
; %bb.1521:
	v_mov_b32_e32 v1, 0x7f
	v_cmp_lt_u32_e32 vcc_lo, 0x7f800000, v2
	s_delay_alu instid0(VALU_DEP_2)
	v_cndmask_b32_e32 v1, 0x7c, v1, vcc_lo
; %bb.1522:
	s_or_b32 exec_lo, exec_lo, s8
	global_store_b8 v[6:7], v1, off
.LBB7_1523:
	s_mov_b32 s8, 0
.LBB7_1524:
	s_delay_alu instid0(SALU_CYCLE_1)
	s_and_not1_b32 vcc_lo, exec_lo, s8
	s_mov_b32 s9, 0
	s_cbranch_vccnz .LBB7_1532
; %bb.1525:
	s_cmp_gt_i32 s4, 14
	s_mov_b32 s8, -1
	s_cbranch_scc0 .LBB7_1529
; %bb.1526:
	s_cmp_eq_u32 s4, 15
	s_mov_b32 s0, -1
	s_cbranch_scc0 .LBB7_1528
; %bb.1527:
	s_wait_xcnt 0x0
	v_cvt_f32_ubyte0_e32 v1, v0
	s_mov_b32 s0, 0
	s_delay_alu instid0(VALU_DEP_1) | instskip(NEXT) | instid1(VALU_DEP_1)
	v_bfe_u32 v2, v1, 16, 1
	v_add3_u32 v1, v1, v2, 0x7fff
	global_store_d16_hi_b16 v[6:7], v1, off
.LBB7_1528:
	s_mov_b32 s8, 0
.LBB7_1529:
	s_delay_alu instid0(SALU_CYCLE_1)
	s_and_b32 vcc_lo, exec_lo, s8
	s_cbranch_vccz .LBB7_1532
; %bb.1530:
	s_cmp_lg_u32 s4, 11
	s_mov_b32 s9, -1
	s_cselect_b32 s4, -1, 0
	s_and_not1_b32 s0, s0, exec_lo
	s_and_b32 s4, s4, exec_lo
	s_delay_alu instid0(SALU_CYCLE_1)
	s_or_b32 s0, s0, s4
	s_branch .LBB7_1532
.LBB7_1531:
	s_mov_b32 s9, 0
.LBB7_1532:
	s_and_b32 s8, s5, exec_lo
	s_and_not1_b32 s4, s38, exec_lo
	s_and_b32 s5, s0, exec_lo
	s_and_b32 s0, s9, exec_lo
	s_or_b32 s38, s4, s5
	s_wait_xcnt 0x0
	s_or_b32 exec_lo, exec_lo, s7
	s_and_saveexec_b32 s4, s38
	s_cbranch_execz .LBB7_1461
.LBB7_1533:
	s_or_b32 s1, s1, exec_lo
	s_and_not1_b32 s0, s0, exec_lo
	s_trap 2
	s_or_b32 exec_lo, exec_lo, s4
	s_and_saveexec_b32 s4, s0
	s_delay_alu instid0(SALU_CYCLE_1)
	s_xor_b32 s0, exec_lo, s4
	s_cbranch_execnz .LBB7_1462
.LBB7_1534:
	s_or_b32 exec_lo, exec_lo, s0
	s_and_saveexec_b32 s0, s8
	s_delay_alu instid0(SALU_CYCLE_1)
	s_xor_b32 s0, exec_lo, s0
	s_cbranch_execz .LBB7_1572
.LBB7_1535:
	s_sext_i32_i16 s5, s6
	s_mov_b32 s4, -1
	s_cmp_lt_i32 s5, 5
	s_cbranch_scc1 .LBB7_1556
; %bb.1536:
	s_cmp_lt_i32 s5, 8
	s_cbranch_scc1 .LBB7_1546
; %bb.1537:
	;; [unrolled: 3-line block ×3, first 2 shown]
	s_cmp_gt_i32 s5, 9
	s_cbranch_scc0 .LBB7_1540
; %bb.1539:
	s_wait_loadcnt 0x0
	v_and_b32_e32 v1, 0xff, v0
	v_mov_b32_e32 v4, 0
	s_mov_b32 s4, 0
	s_delay_alu instid0(VALU_DEP_2) | instskip(NEXT) | instid1(VALU_DEP_2)
	v_and_b32_e32 v1, 0xffff, v1
	v_mov_b32_e32 v5, v4
	s_delay_alu instid0(VALU_DEP_2)
	v_cvt_f64_u32_e32 v[2:3], v1
	global_store_b128 v[6:7], v[2:5], off
.LBB7_1540:
	s_and_not1_b32 vcc_lo, exec_lo, s4
	s_cbranch_vccnz .LBB7_1542
; %bb.1541:
	s_wait_loadcnt 0x0
	v_cvt_f32_ubyte0_e32 v2, v0
	v_mov_b32_e32 v3, 0
	global_store_b64 v[6:7], v[2:3], off
.LBB7_1542:
	s_mov_b32 s4, 0
.LBB7_1543:
	s_delay_alu instid0(SALU_CYCLE_1)
	s_and_not1_b32 vcc_lo, exec_lo, s4
	s_cbranch_vccnz .LBB7_1545
; %bb.1544:
	s_wait_loadcnt 0x0
	v_and_b32_e32 v1, 0xff, v0
	s_delay_alu instid0(VALU_DEP_1) | instskip(NEXT) | instid1(VALU_DEP_1)
	v_cvt_f16_u16_e32 v1, v1
	v_and_b32_e32 v1, 0xffff, v1
	global_store_b32 v[6:7], v1, off
.LBB7_1545:
	s_mov_b32 s4, 0
.LBB7_1546:
	s_delay_alu instid0(SALU_CYCLE_1)
	s_and_not1_b32 vcc_lo, exec_lo, s4
	s_cbranch_vccnz .LBB7_1555
; %bb.1547:
	s_sext_i32_i16 s5, s6
	s_mov_b32 s4, -1
	s_cmp_lt_i32 s5, 6
	s_cbranch_scc1 .LBB7_1553
; %bb.1548:
	s_cmp_gt_i32 s5, 6
	s_cbranch_scc0 .LBB7_1550
; %bb.1549:
	s_wait_loadcnt 0x0
	v_and_b32_e32 v1, 0xff, v0
	s_mov_b32 s4, 0
	s_delay_alu instid0(VALU_DEP_1) | instskip(NEXT) | instid1(VALU_DEP_1)
	v_and_b32_e32 v1, 0xffff, v1
	v_cvt_f64_u32_e32 v[2:3], v1
	global_store_b64 v[6:7], v[2:3], off
.LBB7_1550:
	s_and_not1_b32 vcc_lo, exec_lo, s4
	s_cbranch_vccnz .LBB7_1552
; %bb.1551:
	s_wait_loadcnt 0x0
	v_cvt_f32_ubyte0_e32 v1, v0
	global_store_b32 v[6:7], v1, off
.LBB7_1552:
	s_mov_b32 s4, 0
.LBB7_1553:
	s_delay_alu instid0(SALU_CYCLE_1)
	s_and_not1_b32 vcc_lo, exec_lo, s4
	s_cbranch_vccnz .LBB7_1555
; %bb.1554:
	s_wait_loadcnt 0x0
	v_and_b32_e32 v1, 0xff, v0
	s_delay_alu instid0(VALU_DEP_1)
	v_cvt_f16_u16_e32 v1, v1
	global_store_b16 v[6:7], v1, off
.LBB7_1555:
	s_mov_b32 s4, 0
.LBB7_1556:
	s_delay_alu instid0(SALU_CYCLE_1)
	s_and_not1_b32 vcc_lo, exec_lo, s4
	s_cbranch_vccnz .LBB7_1572
; %bb.1557:
	s_sext_i32_i16 s5, s6
	s_mov_b32 s4, -1
	s_cmp_lt_i32 s5, 2
	s_cbranch_scc1 .LBB7_1567
; %bb.1558:
	s_cmp_lt_i32 s5, 3
	s_cbranch_scc1 .LBB7_1564
; %bb.1559:
	s_wait_loadcnt 0x0
	v_and_b32_e32 v2, 0xff, v0
	s_cmp_gt_i32 s5, 3
	s_cbranch_scc0 .LBB7_1561
; %bb.1560:
	v_mov_b32_e32 v3, 0
	s_mov_b32 s4, 0
	global_store_b64 v[6:7], v[2:3], off
.LBB7_1561:
	s_and_not1_b32 vcc_lo, exec_lo, s4
	s_cbranch_vccnz .LBB7_1563
; %bb.1562:
	global_store_b32 v[6:7], v2, off
.LBB7_1563:
	s_mov_b32 s4, 0
.LBB7_1564:
	s_delay_alu instid0(SALU_CYCLE_1)
	s_and_not1_b32 vcc_lo, exec_lo, s4
	s_cbranch_vccnz .LBB7_1566
; %bb.1565:
	s_wait_loadcnt 0x0
	v_and_b32_e32 v1, 0xff, v0
	global_store_b16 v[6:7], v1, off
.LBB7_1566:
	s_mov_b32 s4, 0
.LBB7_1567:
	s_delay_alu instid0(SALU_CYCLE_1)
	s_and_not1_b32 vcc_lo, exec_lo, s4
	s_cbranch_vccnz .LBB7_1572
; %bb.1568:
	s_sext_i32_i16 s4, s6
	s_delay_alu instid0(SALU_CYCLE_1)
	s_cmp_gt_i32 s4, 0
	s_mov_b32 s4, -1
	s_cbranch_scc0 .LBB7_1570
; %bb.1569:
	s_mov_b32 s4, 0
	s_wait_loadcnt 0x0
	global_store_b8 v[6:7], v0, off
.LBB7_1570:
	s_and_not1_b32 vcc_lo, exec_lo, s4
	s_cbranch_vccnz .LBB7_1572
; %bb.1571:
	s_wait_loadcnt 0x0
	global_store_b8 v[6:7], v0, off
.LBB7_1572:
	s_wait_xcnt 0x0
	s_or_b32 exec_lo, exec_lo, s0
	s_delay_alu instid0(SALU_CYCLE_1)
	s_and_b32 s8, s1, exec_lo
                                        ; implicit-def: $vgpr1
                                        ; implicit-def: $vgpr0
.LBB7_1573:
	s_or_saveexec_b32 s9, s30
	s_mov_b32 s0, 0
                                        ; implicit-def: $vgpr2_vgpr3
                                        ; implicit-def: $sgpr1
                                        ; implicit-def: $vgpr10
	s_xor_b32 exec_lo, exec_lo, s9
	s_cbranch_execz .LBB7_2719
; %bb.1574:
	v_cndmask_b32_e64 v3, 0, 1, s29
	s_and_not1_b32 vcc_lo, exec_lo, s29
	s_cbranch_vccnz .LBB7_1580
; %bb.1575:
	s_cmp_lg_u32 s26, 0
	s_mov_b32 s4, 0
	s_cbranch_scc0 .LBB7_1584
; %bb.1576:
	s_min_u32 s5, s27, 15
	s_wait_loadcnt 0x0
	v_dual_mov_b32 v6, 0 :: v_dual_mov_b32 v2, v0
	v_dual_mov_b32 v22, 0 :: v_dual_mov_b32 v8, 0
	s_add_co_i32 s6, s5, 1
	s_mov_b64 s[0:1], 0xffffffffffffffe8
	s_and_b32 s6, s6, 30
	s_add_nc_u64 s[0:1], s[2:3], s[0:1]
.LBB7_1577:                             ; =>This Inner Loop Header: Depth=1
	s_clause 0x1
	s_load_b128 s[12:15], s[0:1], 0x1c
	s_load_b64 s[10:11], s[0:1], 0x2c
	s_add_co_i32 s6, s6, -2
	s_delay_alu instid0(SALU_CYCLE_1) | instskip(SKIP_2) | instid1(VALU_DEP_1)
	s_cmp_lg_u32 s6, 0
	s_wait_kmcnt 0x0
	v_mul_hi_u32 v4, s13, v2
	v_add_nc_u32_e32 v4, v2, v4
	s_delay_alu instid0(VALU_DEP_1) | instskip(NEXT) | instid1(VALU_DEP_1)
	v_lshrrev_b32_e32 v4, s14, v4
	v_mul_hi_u32 v5, s10, v4
	v_mul_lo_u32 v7, v4, s12
	s_clause 0x1
	s_load_b128 s[16:19], s[0:1], 0xdc
	s_load_b64 s[12:13], s[0:1], 0xec
	s_wait_xcnt 0x0
	s_add_nc_u64 s[0:1], s[0:1], 24
	s_delay_alu instid0(VALU_DEP_1) | instskip(NEXT) | instid1(VALU_DEP_1)
	v_dual_add_nc_u32 v5, v4, v5 :: v_dual_sub_nc_u32 v7, v2, v7
	v_lshrrev_b32_e32 v2, s11, v5
	s_wait_kmcnt 0x0
	s_delay_alu instid0(VALU_DEP_2) | instskip(NEXT) | instid1(VALU_DEP_2)
	v_mad_u32 v6, v7, s16, v6
	v_mul_lo_u32 v5, v2, s15
	v_mad_u32 v8, v7, s18, v8
	v_mad_u32 v7, v7, s17, v22
	s_delay_alu instid0(VALU_DEP_3) | instskip(NEXT) | instid1(VALU_DEP_1)
	v_sub_nc_u32_e32 v4, v4, v5
	v_mad_u32 v6, v4, s19, v6
	s_delay_alu instid0(VALU_DEP_4) | instskip(NEXT) | instid1(VALU_DEP_4)
	v_mad_u32 v8, v4, s13, v8
	v_mad_u32 v22, v4, s12, v7
	s_cbranch_scc1 .LBB7_1577
; %bb.1578:
	s_bitcmp1_b32 s5, 0
	s_cselect_b32 s5, -1, 0
	s_delay_alu instid0(SALU_CYCLE_1)
	s_and_b32 vcc_lo, exec_lo, s5
	s_cbranch_vccnz .LBB7_1581
; %bb.1579:
	s_clause 0x1
	s_load_b96 s[12:14], s[0:1], 0x1c
	s_load_b96 s[16:18], s[0:1], 0xdc
	s_wait_kmcnt 0x0
	v_mul_hi_u32 v4, s13, v2
	s_delay_alu instid0(VALU_DEP_1) | instskip(NEXT) | instid1(VALU_DEP_1)
	v_add_nc_u32_e32 v4, v2, v4
	v_lshrrev_b32_e32 v4, s14, v4
	s_delay_alu instid0(VALU_DEP_1) | instskip(NEXT) | instid1(VALU_DEP_1)
	v_mul_lo_u32 v4, v4, s12
	v_sub_nc_u32_e32 v2, v2, v4
	s_delay_alu instid0(VALU_DEP_1)
	v_mad_u32 v6, v2, s16, v6
	v_mad_u32 v22, v2, s17, v22
	;; [unrolled: 1-line block ×3, first 2 shown]
	s_and_not1_b32 vcc_lo, exec_lo, s4
	s_cbranch_vccz .LBB7_1582
	s_branch .LBB7_1585
.LBB7_1580:
	s_mov_b32 s4, -1
                                        ; implicit-def: $vgpr8
                                        ; implicit-def: $vgpr22
                                        ; implicit-def: $vgpr6
.LBB7_1581:
	s_delay_alu instid0(SALU_CYCLE_1)
	s_and_not1_b32 vcc_lo, exec_lo, s4
	s_cbranch_vccnz .LBB7_1585
.LBB7_1582:
	s_clause 0x1
	s_load_b96 s[4:6], s[2:3], 0x4
	s_load_b96 s[12:14], s[2:3], 0xc4
	s_cmp_lt_u32 s26, 2
	s_wait_loadcnt 0x0
	s_wait_kmcnt 0x0
	v_mul_hi_u32 v2, s5, v0
	s_delay_alu instid0(VALU_DEP_1) | instskip(NEXT) | instid1(VALU_DEP_1)
	v_add_nc_u32_e32 v2, v0, v2
	v_lshrrev_b32_e32 v2, s6, v2
	s_delay_alu instid0(VALU_DEP_1) | instskip(NEXT) | instid1(VALU_DEP_1)
	v_mul_lo_u32 v4, v2, s4
	v_sub_nc_u32_e32 v4, v0, v4
	s_delay_alu instid0(VALU_DEP_1)
	v_mul_lo_u32 v6, v4, s12
	v_mul_lo_u32 v8, v4, s14
	;; [unrolled: 1-line block ×3, first 2 shown]
	s_cbranch_scc1 .LBB7_1585
; %bb.1583:
	s_clause 0x1
	s_load_b96 s[4:6], s[2:3], 0x10
	s_load_b96 s[12:14], s[2:3], 0xd0
	s_wait_kmcnt 0x0
	v_mul_hi_u32 v4, s5, v2
	s_delay_alu instid0(VALU_DEP_1) | instskip(NEXT) | instid1(VALU_DEP_1)
	v_add_nc_u32_e32 v4, v2, v4
	v_lshrrev_b32_e32 v4, s6, v4
	s_delay_alu instid0(VALU_DEP_1) | instskip(NEXT) | instid1(VALU_DEP_1)
	v_mul_lo_u32 v4, v4, s4
	v_sub_nc_u32_e32 v2, v2, v4
	s_delay_alu instid0(VALU_DEP_1)
	v_mad_u32 v6, v2, s12, v6
	v_mad_u32 v22, v2, s13, v22
	v_mad_u32 v8, v2, s14, v8
	s_branch .LBB7_1585
.LBB7_1584:
	v_dual_mov_b32 v8, 0 :: v_dual_mov_b32 v22, 0
	s_wait_loadcnt 0x0
	v_mov_b32_e32 v6, 0
	s_and_not1_b32 vcc_lo, exec_lo, s4
	s_cbranch_vccz .LBB7_1582
.LBB7_1585:
	v_cmp_ne_u32_e32 vcc_lo, 1, v3
	s_wait_loadcnt 0x0
	v_add_nc_u32_e32 v2, 0x80, v0
	s_cbranch_vccnz .LBB7_1591
; %bb.1586:
	s_cmp_lg_u32 s26, 0
	s_mov_b32 s4, 0
	s_cbranch_scc0 .LBB7_1595
; %bb.1587:
	s_min_u32 s5, s27, 15
	v_dual_mov_b32 v4, 0 :: v_dual_mov_b32 v5, v2
	v_dual_mov_b32 v20, 0 :: v_dual_mov_b32 v12, 0
	s_add_co_i32 s6, s5, 1
	s_mov_b64 s[0:1], 0xffffffffffffffe8
	s_and_b32 s6, s6, 30
	s_add_nc_u64 s[0:1], s[2:3], s[0:1]
.LBB7_1588:                             ; =>This Inner Loop Header: Depth=1
	s_clause 0x1
	s_load_b128 s[12:15], s[0:1], 0x1c
	s_load_b64 s[10:11], s[0:1], 0x2c
	s_add_co_i32 s6, s6, -2
	s_delay_alu instid0(SALU_CYCLE_1) | instskip(SKIP_2) | instid1(VALU_DEP_1)
	s_cmp_lg_u32 s6, 0
	s_wait_kmcnt 0x0
	v_mul_hi_u32 v7, s13, v5
	v_add_nc_u32_e32 v7, v5, v7
	s_delay_alu instid0(VALU_DEP_1) | instskip(NEXT) | instid1(VALU_DEP_1)
	v_lshrrev_b32_e32 v7, s14, v7
	v_mul_hi_u32 v9, s10, v7
	v_mul_lo_u32 v10, v7, s12
	s_clause 0x1
	s_load_b128 s[16:19], s[0:1], 0xdc
	s_load_b64 s[12:13], s[0:1], 0xec
	s_wait_xcnt 0x0
	s_add_nc_u64 s[0:1], s[0:1], 24
	s_delay_alu instid0(VALU_DEP_1) | instskip(NEXT) | instid1(VALU_DEP_1)
	v_dual_add_nc_u32 v9, v7, v9 :: v_dual_sub_nc_u32 v10, v5, v10
	v_lshrrev_b32_e32 v5, s11, v9
	s_wait_kmcnt 0x0
	s_delay_alu instid0(VALU_DEP_2) | instskip(NEXT) | instid1(VALU_DEP_2)
	v_mad_u32 v4, v10, s16, v4
	v_mul_lo_u32 v9, v5, s15
	v_mad_u32 v11, v10, s18, v12
	v_mad_u32 v10, v10, s17, v20
	s_delay_alu instid0(VALU_DEP_3) | instskip(NEXT) | instid1(VALU_DEP_1)
	v_sub_nc_u32_e32 v7, v7, v9
	v_mad_u32 v4, v7, s19, v4
	s_delay_alu instid0(VALU_DEP_4) | instskip(NEXT) | instid1(VALU_DEP_4)
	v_mad_u32 v12, v7, s13, v11
	v_mad_u32 v20, v7, s12, v10
	s_cbranch_scc1 .LBB7_1588
; %bb.1589:
	s_bitcmp1_b32 s5, 0
	s_cselect_b32 s5, -1, 0
	s_delay_alu instid0(SALU_CYCLE_1)
	s_and_b32 vcc_lo, exec_lo, s5
	s_cbranch_vccnz .LBB7_1592
; %bb.1590:
	s_clause 0x1
	s_load_b96 s[12:14], s[0:1], 0x1c
	s_load_b96 s[16:18], s[0:1], 0xdc
	s_wait_kmcnt 0x0
	v_mul_hi_u32 v7, s13, v5
	s_delay_alu instid0(VALU_DEP_1) | instskip(NEXT) | instid1(VALU_DEP_1)
	v_add_nc_u32_e32 v7, v5, v7
	v_lshrrev_b32_e32 v7, s14, v7
	s_delay_alu instid0(VALU_DEP_1) | instskip(NEXT) | instid1(VALU_DEP_1)
	v_mul_lo_u32 v7, v7, s12
	v_sub_nc_u32_e32 v5, v5, v7
	s_delay_alu instid0(VALU_DEP_1)
	v_mad_u32 v4, v5, s16, v4
	v_mad_u32 v20, v5, s17, v20
	;; [unrolled: 1-line block ×3, first 2 shown]
	s_and_not1_b32 vcc_lo, exec_lo, s4
	s_cbranch_vccz .LBB7_1593
	s_branch .LBB7_1596
.LBB7_1591:
	s_mov_b32 s4, -1
                                        ; implicit-def: $vgpr12
                                        ; implicit-def: $vgpr20
                                        ; implicit-def: $vgpr4
.LBB7_1592:
	s_delay_alu instid0(SALU_CYCLE_1)
	s_and_not1_b32 vcc_lo, exec_lo, s4
	s_cbranch_vccnz .LBB7_1596
.LBB7_1593:
	s_clause 0x1
	s_load_b96 s[4:6], s[2:3], 0x4
	s_load_b96 s[12:14], s[2:3], 0xc4
	s_cmp_lt_u32 s26, 2
	s_wait_kmcnt 0x0
	v_mul_hi_u32 v4, s5, v2
	s_delay_alu instid0(VALU_DEP_1) | instskip(NEXT) | instid1(VALU_DEP_1)
	v_add_nc_u32_e32 v4, v2, v4
	v_lshrrev_b32_e32 v5, s6, v4
	s_delay_alu instid0(VALU_DEP_1) | instskip(NEXT) | instid1(VALU_DEP_1)
	v_mul_lo_u32 v4, v5, s4
	v_sub_nc_u32_e32 v2, v2, v4
	s_delay_alu instid0(VALU_DEP_1)
	v_mul_lo_u32 v4, v2, s12
	v_mul_lo_u32 v12, v2, s14
	;; [unrolled: 1-line block ×3, first 2 shown]
	s_cbranch_scc1 .LBB7_1596
; %bb.1594:
	s_clause 0x1
	s_load_b96 s[4:6], s[2:3], 0x10
	s_load_b96 s[12:14], s[2:3], 0xd0
	s_wait_kmcnt 0x0
	v_mul_hi_u32 v2, s5, v5
	s_delay_alu instid0(VALU_DEP_1) | instskip(NEXT) | instid1(VALU_DEP_1)
	v_add_nc_u32_e32 v2, v5, v2
	v_lshrrev_b32_e32 v2, s6, v2
	s_delay_alu instid0(VALU_DEP_1) | instskip(NEXT) | instid1(VALU_DEP_1)
	v_mul_lo_u32 v2, v2, s4
	v_sub_nc_u32_e32 v2, v5, v2
	s_delay_alu instid0(VALU_DEP_1)
	v_mad_u32 v4, v2, s12, v4
	v_mad_u32 v20, v2, s13, v20
	;; [unrolled: 1-line block ×3, first 2 shown]
	s_branch .LBB7_1596
.LBB7_1595:
	v_dual_mov_b32 v12, 0 :: v_dual_mov_b32 v20, 0
	v_mov_b32_e32 v4, 0
	s_and_not1_b32 vcc_lo, exec_lo, s4
	s_cbranch_vccz .LBB7_1593
.LBB7_1596:
	v_cmp_ne_u32_e32 vcc_lo, 1, v3
	v_add_nc_u32_e32 v0, 0x100, v0
	s_cbranch_vccnz .LBB7_1602
; %bb.1597:
	s_cmp_lg_u32 s26, 0
	s_mov_b32 s4, 0
	s_cbranch_scc0 .LBB7_1606
; %bb.1598:
	s_min_u32 s5, s27, 15
	v_dual_mov_b32 v2, 0 :: v_dual_mov_b32 v5, v0
	v_dual_mov_b32 v18, 0 :: v_dual_mov_b32 v16, 0
	s_add_co_i32 s6, s5, 1
	s_mov_b64 s[0:1], 0xffffffffffffffe8
	s_and_b32 s6, s6, 30
	s_add_nc_u64 s[0:1], s[2:3], s[0:1]
.LBB7_1599:                             ; =>This Inner Loop Header: Depth=1
	s_clause 0x1
	s_load_b128 s[12:15], s[0:1], 0x1c
	s_load_b64 s[10:11], s[0:1], 0x2c
	s_add_co_i32 s6, s6, -2
	s_delay_alu instid0(SALU_CYCLE_1) | instskip(SKIP_2) | instid1(VALU_DEP_1)
	s_cmp_lg_u32 s6, 0
	s_wait_kmcnt 0x0
	v_mul_hi_u32 v7, s13, v5
	v_add_nc_u32_e32 v7, v5, v7
	s_delay_alu instid0(VALU_DEP_1) | instskip(NEXT) | instid1(VALU_DEP_1)
	v_lshrrev_b32_e32 v7, s14, v7
	v_mul_hi_u32 v9, s10, v7
	v_mul_lo_u32 v10, v7, s12
	s_clause 0x1
	s_load_b128 s[16:19], s[0:1], 0xdc
	s_load_b64 s[12:13], s[0:1], 0xec
	s_wait_xcnt 0x0
	s_add_nc_u64 s[0:1], s[0:1], 24
	s_delay_alu instid0(VALU_DEP_1) | instskip(NEXT) | instid1(VALU_DEP_1)
	v_dual_add_nc_u32 v9, v7, v9 :: v_dual_sub_nc_u32 v10, v5, v10
	v_lshrrev_b32_e32 v5, s11, v9
	s_wait_kmcnt 0x0
	s_delay_alu instid0(VALU_DEP_2) | instskip(NEXT) | instid1(VALU_DEP_2)
	v_mad_u32 v2, v10, s16, v2
	v_mul_lo_u32 v9, v5, s15
	v_mad_u32 v11, v10, s18, v16
	v_mad_u32 v10, v10, s17, v18
	s_delay_alu instid0(VALU_DEP_3) | instskip(NEXT) | instid1(VALU_DEP_1)
	v_sub_nc_u32_e32 v7, v7, v9
	v_mad_u32 v2, v7, s19, v2
	s_delay_alu instid0(VALU_DEP_4) | instskip(NEXT) | instid1(VALU_DEP_4)
	v_mad_u32 v16, v7, s13, v11
	v_mad_u32 v18, v7, s12, v10
	s_cbranch_scc1 .LBB7_1599
; %bb.1600:
	s_bitcmp1_b32 s5, 0
	s_cselect_b32 s5, -1, 0
	s_delay_alu instid0(SALU_CYCLE_1)
	s_and_b32 vcc_lo, exec_lo, s5
	s_cbranch_vccnz .LBB7_1603
; %bb.1601:
	s_clause 0x1
	s_load_b96 s[12:14], s[0:1], 0x1c
	s_load_b96 s[16:18], s[0:1], 0xdc
	s_wait_kmcnt 0x0
	v_mul_hi_u32 v7, s13, v5
	s_delay_alu instid0(VALU_DEP_1) | instskip(NEXT) | instid1(VALU_DEP_1)
	v_add_nc_u32_e32 v7, v5, v7
	v_lshrrev_b32_e32 v7, s14, v7
	s_delay_alu instid0(VALU_DEP_1) | instskip(NEXT) | instid1(VALU_DEP_1)
	v_mul_lo_u32 v7, v7, s12
	v_sub_nc_u32_e32 v5, v5, v7
	s_delay_alu instid0(VALU_DEP_1)
	v_mad_u32 v2, v5, s16, v2
	v_mad_u32 v18, v5, s17, v18
	;; [unrolled: 1-line block ×3, first 2 shown]
	s_and_not1_b32 vcc_lo, exec_lo, s4
	s_cbranch_vccz .LBB7_1604
	s_branch .LBB7_1607
.LBB7_1602:
	s_mov_b32 s4, -1
                                        ; implicit-def: $vgpr16
                                        ; implicit-def: $vgpr18
                                        ; implicit-def: $vgpr2
.LBB7_1603:
	s_delay_alu instid0(SALU_CYCLE_1)
	s_and_not1_b32 vcc_lo, exec_lo, s4
	s_cbranch_vccnz .LBB7_1607
.LBB7_1604:
	s_clause 0x1
	s_load_b96 s[4:6], s[2:3], 0x4
	s_load_b96 s[12:14], s[2:3], 0xc4
	s_cmp_lt_u32 s26, 2
	s_wait_kmcnt 0x0
	v_mul_hi_u32 v2, s5, v0
	s_delay_alu instid0(VALU_DEP_1) | instskip(NEXT) | instid1(VALU_DEP_1)
	v_add_nc_u32_e32 v2, v0, v2
	v_lshrrev_b32_e32 v5, s6, v2
	s_delay_alu instid0(VALU_DEP_1) | instskip(NEXT) | instid1(VALU_DEP_1)
	v_mul_lo_u32 v2, v5, s4
	v_sub_nc_u32_e32 v0, v0, v2
	s_delay_alu instid0(VALU_DEP_1)
	v_mul_lo_u32 v2, v0, s12
	v_mul_lo_u32 v16, v0, s14
	v_mul_lo_u32 v18, v0, s13
	s_cbranch_scc1 .LBB7_1607
; %bb.1605:
	s_clause 0x1
	s_load_b96 s[4:6], s[2:3], 0x10
	s_load_b96 s[12:14], s[2:3], 0xd0
	s_wait_kmcnt 0x0
	v_mul_hi_u32 v0, s5, v5
	s_delay_alu instid0(VALU_DEP_1) | instskip(NEXT) | instid1(VALU_DEP_1)
	v_add_nc_u32_e32 v0, v5, v0
	v_lshrrev_b32_e32 v0, s6, v0
	s_delay_alu instid0(VALU_DEP_1) | instskip(NEXT) | instid1(VALU_DEP_1)
	v_mul_lo_u32 v0, v0, s4
	v_sub_nc_u32_e32 v0, v5, v0
	s_delay_alu instid0(VALU_DEP_1)
	v_mad_u32 v2, v0, s12, v2
	v_mad_u32 v18, v0, s13, v18
	;; [unrolled: 1-line block ×3, first 2 shown]
	s_branch .LBB7_1607
.LBB7_1606:
	v_dual_mov_b32 v16, 0 :: v_dual_mov_b32 v18, 0
	v_mov_b32_e32 v2, 0
	s_and_not1_b32 vcc_lo, exec_lo, s4
	s_cbranch_vccz .LBB7_1604
.LBB7_1607:
	v_cmp_ne_u32_e32 vcc_lo, 1, v3
	s_cbranch_vccnz .LBB7_1613
; %bb.1608:
	s_cmp_lg_u32 s26, 0
	s_mov_b32 s4, 0
	s_cbranch_scc0 .LBB7_1617
; %bb.1609:
	s_min_u32 s5, s27, 15
	v_dual_mov_b32 v0, 0 :: v_dual_mov_b32 v3, v1
	v_dual_mov_b32 v14, 0 :: v_dual_mov_b32 v10, 0
	s_add_co_i32 s6, s5, 1
	s_mov_b64 s[0:1], 0xffffffffffffffe8
	s_and_b32 s6, s6, 30
	s_add_nc_u64 s[0:1], s[2:3], s[0:1]
.LBB7_1610:                             ; =>This Inner Loop Header: Depth=1
	s_clause 0x1
	s_load_b128 s[12:15], s[0:1], 0x1c
	s_load_b64 s[10:11], s[0:1], 0x2c
	s_add_co_i32 s6, s6, -2
	s_delay_alu instid0(SALU_CYCLE_1) | instskip(SKIP_2) | instid1(VALU_DEP_1)
	s_cmp_lg_u32 s6, 0
	s_wait_kmcnt 0x0
	v_mul_hi_u32 v5, s13, v3
	v_add_nc_u32_e32 v5, v3, v5
	s_delay_alu instid0(VALU_DEP_1) | instskip(NEXT) | instid1(VALU_DEP_1)
	v_lshrrev_b32_e32 v5, s14, v5
	v_mul_hi_u32 v7, s10, v5
	v_mul_lo_u32 v9, v5, s12
	s_clause 0x1
	s_load_b128 s[16:19], s[0:1], 0xdc
	s_load_b64 s[12:13], s[0:1], 0xec
	s_wait_xcnt 0x0
	s_add_nc_u64 s[0:1], s[0:1], 24
	s_delay_alu instid0(VALU_DEP_1) | instskip(NEXT) | instid1(VALU_DEP_1)
	v_dual_add_nc_u32 v7, v5, v7 :: v_dual_sub_nc_u32 v9, v3, v9
	v_lshrrev_b32_e32 v3, s11, v7
	s_wait_kmcnt 0x0
	s_delay_alu instid0(VALU_DEP_2) | instskip(NEXT) | instid1(VALU_DEP_2)
	v_mad_u32 v0, v9, s16, v0
	v_mul_lo_u32 v7, v3, s15
	v_mad_u32 v10, v9, s18, v10
	v_mad_u32 v9, v9, s17, v14
	s_delay_alu instid0(VALU_DEP_3) | instskip(NEXT) | instid1(VALU_DEP_1)
	v_sub_nc_u32_e32 v5, v5, v7
	v_mad_u32 v0, v5, s19, v0
	s_delay_alu instid0(VALU_DEP_4) | instskip(NEXT) | instid1(VALU_DEP_4)
	v_mad_u32 v10, v5, s13, v10
	v_mad_u32 v14, v5, s12, v9
	s_cbranch_scc1 .LBB7_1610
; %bb.1611:
	s_bitcmp1_b32 s5, 0
	s_cselect_b32 s5, -1, 0
	s_delay_alu instid0(SALU_CYCLE_1)
	s_and_b32 vcc_lo, exec_lo, s5
	s_cbranch_vccnz .LBB7_1614
; %bb.1612:
	s_clause 0x1
	s_load_b96 s[12:14], s[0:1], 0x1c
	s_load_b96 s[16:18], s[0:1], 0xdc
	s_wait_kmcnt 0x0
	v_mul_hi_u32 v5, s13, v3
	s_delay_alu instid0(VALU_DEP_1) | instskip(NEXT) | instid1(VALU_DEP_1)
	v_add_nc_u32_e32 v5, v3, v5
	v_lshrrev_b32_e32 v5, s14, v5
	s_delay_alu instid0(VALU_DEP_1) | instskip(NEXT) | instid1(VALU_DEP_1)
	v_mul_lo_u32 v5, v5, s12
	v_sub_nc_u32_e32 v3, v3, v5
	s_delay_alu instid0(VALU_DEP_1)
	v_mad_u32 v0, v3, s16, v0
	v_mad_u32 v14, v3, s17, v14
	;; [unrolled: 1-line block ×3, first 2 shown]
	s_and_not1_b32 vcc_lo, exec_lo, s4
	s_cbranch_vccz .LBB7_1615
	s_branch .LBB7_1618
.LBB7_1613:
	s_mov_b32 s4, -1
                                        ; implicit-def: $vgpr10
                                        ; implicit-def: $vgpr14
                                        ; implicit-def: $vgpr0
.LBB7_1614:
	s_delay_alu instid0(SALU_CYCLE_1)
	s_and_not1_b32 vcc_lo, exec_lo, s4
	s_cbranch_vccnz .LBB7_1618
.LBB7_1615:
	s_clause 0x1
	s_load_b96 s[4:6], s[2:3], 0x4
	s_load_b96 s[12:14], s[2:3], 0xc4
	s_cmp_lt_u32 s26, 2
	s_wait_kmcnt 0x0
	v_mul_hi_u32 v0, s5, v1
	s_delay_alu instid0(VALU_DEP_1) | instskip(NEXT) | instid1(VALU_DEP_1)
	v_add_nc_u32_e32 v0, v1, v0
	v_lshrrev_b32_e32 v3, s6, v0
	s_delay_alu instid0(VALU_DEP_1) | instskip(NEXT) | instid1(VALU_DEP_1)
	v_mul_lo_u32 v0, v3, s4
	v_sub_nc_u32_e32 v1, v1, v0
	s_delay_alu instid0(VALU_DEP_1)
	v_mul_lo_u32 v0, v1, s12
	v_mul_lo_u32 v10, v1, s14
	;; [unrolled: 1-line block ×3, first 2 shown]
	s_cbranch_scc1 .LBB7_1618
; %bb.1616:
	s_clause 0x1
	s_load_b96 s[4:6], s[2:3], 0x10
	s_load_b96 s[12:14], s[2:3], 0xd0
	s_wait_kmcnt 0x0
	v_mul_hi_u32 v1, s5, v3
	s_delay_alu instid0(VALU_DEP_1) | instskip(NEXT) | instid1(VALU_DEP_1)
	v_add_nc_u32_e32 v1, v3, v1
	v_lshrrev_b32_e32 v1, s6, v1
	s_delay_alu instid0(VALU_DEP_1) | instskip(NEXT) | instid1(VALU_DEP_1)
	v_mul_lo_u32 v1, v1, s4
	v_sub_nc_u32_e32 v1, v3, v1
	s_delay_alu instid0(VALU_DEP_1)
	v_mad_u32 v0, v1, s12, v0
	v_mad_u32 v14, v1, s13, v14
	v_mad_u32 v10, v1, s14, v10
	s_branch .LBB7_1618
.LBB7_1617:
	v_dual_mov_b32 v10, 0 :: v_dual_mov_b32 v14, 0
	v_mov_b32_e32 v0, 0
	s_and_not1_b32 vcc_lo, exec_lo, s4
	s_cbranch_vccz .LBB7_1615
.LBB7_1618:
	v_mov_b32_e32 v23, 0
	s_load_b128 s[4:7], s[2:3], 0x188
	global_load_u8 v1, v23, s[2:3] offset:418
	s_wait_kmcnt 0x0
	v_add_nc_u64_e32 v[24:25], s[6:7], v[22:23]
	s_wait_loadcnt 0x0
	v_and_b32_e32 v3, 0xffff, v1
	v_readfirstlane_b32 s11, v1
	s_delay_alu instid0(VALU_DEP_2)
	v_cmp_gt_i32_e32 vcc_lo, 11, v3
	s_cbranch_vccnz .LBB7_1625
; %bb.1619:
	s_and_b32 s0, 0xffff, s11
	s_mov_b32 s12, 0
	s_cmp_gt_i32 s0, 25
	s_cbranch_scc0 .LBB7_1627
; %bb.1620:
	s_cmp_gt_i32 s0, 28
	s_cbranch_scc0 .LBB7_1628
; %bb.1621:
	;; [unrolled: 3-line block ×4, first 2 shown]
	s_cmp_eq_u32 s0, 46
	s_mov_b32 s10, 0
	s_cbranch_scc0 .LBB7_1633
; %bb.1624:
	global_load_b32 v1, v[24:25], off
	s_mov_b32 s1, 0
	s_mov_b32 s13, -1
	s_wait_loadcnt 0x0
	v_lshlrev_b32_e32 v1, 16, v1
	s_delay_alu instid0(VALU_DEP_1) | instskip(NEXT) | instid1(VALU_DEP_1)
	v_trunc_f32_e32 v1, v1
	v_mul_f32_e64 v3, 0x2f800000, |v1|
	s_delay_alu instid0(VALU_DEP_1) | instskip(NEXT) | instid1(VALU_DEP_1)
	v_floor_f32_e32 v3, v3
	v_fma_f32 v3, 0xcf800000, v3, |v1|
	v_ashrrev_i32_e32 v1, 31, v1
	s_delay_alu instid0(VALU_DEP_2) | instskip(NEXT) | instid1(VALU_DEP_1)
	v_cvt_u32_f32_e32 v3, v3
	v_xor_b32_e32 v3, v3, v1
	s_delay_alu instid0(VALU_DEP_1)
	v_sub_nc_u32_e32 v22, v3, v1
	s_branch .LBB7_1635
.LBB7_1625:
	s_mov_b32 s13, 0
	s_mov_b32 s10, s8
                                        ; implicit-def: $vgpr22
	s_cbranch_execnz .LBB7_1693
.LBB7_1626:
	s_and_not1_b32 vcc_lo, exec_lo, s13
	s_cbranch_vccz .LBB7_1738
	s_branch .LBB7_2717
.LBB7_1627:
	s_mov_b32 s13, 0
	s_mov_b32 s1, 0
                                        ; implicit-def: $vgpr22
	s_cbranch_execnz .LBB7_1660
	s_branch .LBB7_1689
.LBB7_1628:
	s_mov_b32 s13, 0
	s_mov_b32 s1, 0
                                        ; implicit-def: $vgpr22
	s_cbranch_execz .LBB7_1659
	s_branch .LBB7_1644
.LBB7_1629:
	s_mov_b32 s13, 0
	s_mov_b32 s1, 0
                                        ; implicit-def: $vgpr22
	s_cbranch_execnz .LBB7_1640
	s_branch .LBB7_1643
.LBB7_1630:
	s_mov_b32 s10, -1
	s_mov_b32 s13, 0
	s_mov_b32 s1, 0
	s_branch .LBB7_1634
.LBB7_1631:
	s_and_not1_saveexec_b32 s9, s9
	s_cbranch_execz .LBB7_1486
.LBB7_1632:
	v_add_f32_e32 v1, 0x46000000, v2
	s_and_not1_b32 s8, s8, exec_lo
	s_delay_alu instid0(VALU_DEP_1) | instskip(NEXT) | instid1(VALU_DEP_1)
	v_and_b32_e32 v1, 0xff, v1
	v_cmp_ne_u32_e32 vcc_lo, 0, v1
	s_and_b32 s10, vcc_lo, exec_lo
	s_delay_alu instid0(SALU_CYCLE_1)
	s_or_b32 s8, s8, s10
	s_or_b32 exec_lo, exec_lo, s9
	v_mov_b32_e32 v3, 0
	s_and_saveexec_b32 s9, s8
	s_cbranch_execnz .LBB7_1487
	s_branch .LBB7_1488
.LBB7_1633:
	s_mov_b32 s1, -1
	s_mov_b32 s13, 0
.LBB7_1634:
                                        ; implicit-def: $vgpr22
.LBB7_1635:
	s_and_b32 vcc_lo, exec_lo, s10
	s_cbranch_vccz .LBB7_1638
; %bb.1636:
	s_cmp_eq_u32 s0, 44
	s_cbranch_scc0 .LBB7_1639
; %bb.1637:
	global_load_u8 v1, v[24:25], off
	s_mov_b32 s1, 0
	s_mov_b32 s13, -1
	s_wait_loadcnt 0x0
	v_lshlrev_b32_e32 v3, 23, v1
	v_cmp_ne_u32_e32 vcc_lo, 0, v1
	s_delay_alu instid0(VALU_DEP_2) | instskip(NEXT) | instid1(VALU_DEP_1)
	v_trunc_f32_e32 v3, v3
	v_mul_f32_e64 v5, 0x2f800000, |v3|
	s_delay_alu instid0(VALU_DEP_1) | instskip(NEXT) | instid1(VALU_DEP_1)
	v_floor_f32_e32 v5, v5
	v_fma_f32 v5, 0xcf800000, v5, |v3|
	v_ashrrev_i32_e32 v3, 31, v3
	s_delay_alu instid0(VALU_DEP_2) | instskip(NEXT) | instid1(VALU_DEP_1)
	v_cvt_u32_f32_e32 v5, v5
	v_xor_b32_e32 v5, v5, v3
	s_delay_alu instid0(VALU_DEP_1) | instskip(NEXT) | instid1(VALU_DEP_1)
	v_sub_nc_u32_e32 v3, v5, v3
	v_cndmask_b32_e32 v22, 0, v3, vcc_lo
.LBB7_1638:
	s_branch .LBB7_1643
.LBB7_1639:
	s_mov_b32 s1, -1
                                        ; implicit-def: $vgpr22
	s_branch .LBB7_1643
.LBB7_1640:
	s_cmp_eq_u32 s0, 29
	s_cbranch_scc0 .LBB7_1642
; %bb.1641:
	global_load_b64 v[22:23], v[24:25], off
	s_mov_b32 s1, 0
	s_mov_b32 s13, -1
	s_branch .LBB7_1643
.LBB7_1642:
	s_mov_b32 s1, -1
                                        ; implicit-def: $vgpr22
.LBB7_1643:
	s_branch .LBB7_1659
.LBB7_1644:
	s_cmp_lt_i32 s0, 27
	s_cbranch_scc1 .LBB7_1647
; %bb.1645:
	s_cmp_gt_i32 s0, 27
	s_cbranch_scc0 .LBB7_1648
; %bb.1646:
	s_wait_loadcnt 0x0
	global_load_b32 v22, v[24:25], off
	s_mov_b32 s10, 0
	s_branch .LBB7_1649
.LBB7_1647:
	s_mov_b32 s10, -1
                                        ; implicit-def: $vgpr22
	s_branch .LBB7_1652
.LBB7_1648:
	s_mov_b32 s10, -1
                                        ; implicit-def: $vgpr22
.LBB7_1649:
	s_delay_alu instid0(SALU_CYCLE_1)
	s_and_not1_b32 vcc_lo, exec_lo, s10
	s_cbranch_vccnz .LBB7_1651
; %bb.1650:
	s_wait_loadcnt 0x0
	global_load_u16 v22, v[24:25], off
.LBB7_1651:
	s_mov_b32 s10, 0
.LBB7_1652:
	s_delay_alu instid0(SALU_CYCLE_1)
	s_and_not1_b32 vcc_lo, exec_lo, s10
	s_cbranch_vccnz .LBB7_1658
; %bb.1653:
	global_load_u8 v1, v[24:25], off
	s_mov_b32 s13, 0
	s_mov_b32 s10, exec_lo
	s_wait_loadcnt 0x0
	v_cmpx_lt_i16_e32 0x7f, v1
	s_xor_b32 s10, exec_lo, s10
	s_cbranch_execz .LBB7_1669
; %bb.1654:
	v_cmp_ne_u16_e32 vcc_lo, 0x80, v1
	s_and_b32 s13, vcc_lo, exec_lo
	s_and_not1_saveexec_b32 s10, s10
	s_cbranch_execnz .LBB7_1670
.LBB7_1655:
	s_or_b32 exec_lo, exec_lo, s10
	v_mov_b32_e32 v22, 0
	s_and_saveexec_b32 s10, s13
	s_cbranch_execz .LBB7_1657
.LBB7_1656:
	v_and_b32_e32 v3, 0xffff, v1
	s_delay_alu instid0(VALU_DEP_1) | instskip(SKIP_1) | instid1(VALU_DEP_2)
	v_dual_lshlrev_b32 v1, 24, v1 :: v_dual_bitop2_b32 v5, 7, v3 bitop3:0x40
	v_bfe_u32 v11, v3, 3, 4
	v_and_b32_e32 v1, 0x80000000, v1
	s_delay_alu instid0(VALU_DEP_3) | instskip(NEXT) | instid1(VALU_DEP_3)
	v_clz_i32_u32_e32 v7, v5
	v_cmp_eq_u32_e32 vcc_lo, 0, v11
	s_delay_alu instid0(VALU_DEP_2) | instskip(NEXT) | instid1(VALU_DEP_1)
	v_min_u32_e32 v7, 32, v7
	v_subrev_nc_u32_e32 v9, 28, v7
	v_sub_nc_u32_e32 v7, 29, v7
	s_delay_alu instid0(VALU_DEP_2) | instskip(NEXT) | instid1(VALU_DEP_2)
	v_lshlrev_b32_e32 v3, v9, v3
	v_cndmask_b32_e32 v7, v11, v7, vcc_lo
	s_delay_alu instid0(VALU_DEP_2) | instskip(NEXT) | instid1(VALU_DEP_1)
	v_and_b32_e32 v3, 7, v3
	v_cndmask_b32_e32 v3, v5, v3, vcc_lo
	s_delay_alu instid0(VALU_DEP_3) | instskip(NEXT) | instid1(VALU_DEP_2)
	v_lshl_add_u32 v5, v7, 23, 0x3b800000
	v_lshlrev_b32_e32 v3, 20, v3
	s_delay_alu instid0(VALU_DEP_1) | instskip(NEXT) | instid1(VALU_DEP_1)
	v_or3_b32 v1, v1, v5, v3
	v_trunc_f32_e32 v1, v1
	s_delay_alu instid0(VALU_DEP_1) | instskip(NEXT) | instid1(VALU_DEP_1)
	v_mul_f32_e64 v3, 0x2f800000, |v1|
	v_floor_f32_e32 v3, v3
	s_delay_alu instid0(VALU_DEP_1) | instskip(SKIP_1) | instid1(VALU_DEP_2)
	v_fma_f32 v3, 0xcf800000, v3, |v1|
	v_ashrrev_i32_e32 v1, 31, v1
	v_cvt_u32_f32_e32 v3, v3
	s_delay_alu instid0(VALU_DEP_1) | instskip(NEXT) | instid1(VALU_DEP_1)
	v_xor_b32_e32 v3, v3, v1
	v_sub_nc_u32_e32 v22, v3, v1
.LBB7_1657:
	s_or_b32 exec_lo, exec_lo, s10
.LBB7_1658:
	s_mov_b32 s13, -1
.LBB7_1659:
	s_branch .LBB7_1689
.LBB7_1660:
	s_cmp_gt_i32 s0, 22
	s_cbranch_scc0 .LBB7_1668
; %bb.1661:
	s_cmp_lt_i32 s0, 24
	s_cbranch_scc1 .LBB7_1671
; %bb.1662:
	s_cmp_gt_i32 s0, 24
	s_cbranch_scc0 .LBB7_1672
; %bb.1663:
	global_load_u8 v1, v[24:25], off
	s_mov_b32 s10, exec_lo
	s_wait_loadcnt 0x0
	v_cmpx_lt_i16_e32 0x7f, v1
	s_xor_b32 s10, exec_lo, s10
	s_cbranch_execz .LBB7_1683
; %bb.1664:
	v_cmp_ne_u16_e32 vcc_lo, 0x80, v1
	s_and_b32 s12, vcc_lo, exec_lo
	s_and_not1_saveexec_b32 s10, s10
	s_cbranch_execnz .LBB7_1684
.LBB7_1665:
	s_or_b32 exec_lo, exec_lo, s10
	v_mov_b32_e32 v22, 0
	s_and_saveexec_b32 s10, s12
	s_cbranch_execz .LBB7_1667
.LBB7_1666:
	v_and_b32_e32 v3, 0xffff, v1
	s_delay_alu instid0(VALU_DEP_1) | instskip(SKIP_1) | instid1(VALU_DEP_2)
	v_dual_lshlrev_b32 v1, 24, v1 :: v_dual_bitop2_b32 v5, 3, v3 bitop3:0x40
	v_bfe_u32 v11, v3, 2, 5
	v_and_b32_e32 v1, 0x80000000, v1
	s_delay_alu instid0(VALU_DEP_3) | instskip(NEXT) | instid1(VALU_DEP_3)
	v_clz_i32_u32_e32 v7, v5
	v_cmp_eq_u32_e32 vcc_lo, 0, v11
	s_delay_alu instid0(VALU_DEP_2) | instskip(NEXT) | instid1(VALU_DEP_1)
	v_min_u32_e32 v7, 32, v7
	v_subrev_nc_u32_e32 v9, 29, v7
	v_sub_nc_u32_e32 v7, 30, v7
	s_delay_alu instid0(VALU_DEP_2) | instskip(NEXT) | instid1(VALU_DEP_2)
	v_lshlrev_b32_e32 v3, v9, v3
	v_cndmask_b32_e32 v7, v11, v7, vcc_lo
	s_delay_alu instid0(VALU_DEP_2) | instskip(NEXT) | instid1(VALU_DEP_1)
	v_and_b32_e32 v3, 3, v3
	v_cndmask_b32_e32 v3, v5, v3, vcc_lo
	s_delay_alu instid0(VALU_DEP_3) | instskip(NEXT) | instid1(VALU_DEP_2)
	v_lshl_add_u32 v5, v7, 23, 0x37800000
	v_lshlrev_b32_e32 v3, 21, v3
	s_delay_alu instid0(VALU_DEP_1) | instskip(NEXT) | instid1(VALU_DEP_1)
	v_or3_b32 v1, v1, v5, v3
	v_trunc_f32_e32 v1, v1
	s_delay_alu instid0(VALU_DEP_1) | instskip(NEXT) | instid1(VALU_DEP_1)
	v_mul_f32_e64 v3, 0x2f800000, |v1|
	v_floor_f32_e32 v3, v3
	s_delay_alu instid0(VALU_DEP_1) | instskip(SKIP_1) | instid1(VALU_DEP_2)
	v_fma_f32 v3, 0xcf800000, v3, |v1|
	v_ashrrev_i32_e32 v1, 31, v1
	v_cvt_u32_f32_e32 v3, v3
	s_delay_alu instid0(VALU_DEP_1) | instskip(NEXT) | instid1(VALU_DEP_1)
	v_xor_b32_e32 v3, v3, v1
	v_sub_nc_u32_e32 v22, v3, v1
.LBB7_1667:
	s_or_b32 exec_lo, exec_lo, s10
	s_mov_b32 s10, 0
	s_branch .LBB7_1673
.LBB7_1668:
                                        ; implicit-def: $vgpr22
	s_mov_b32 s12, 0
	s_branch .LBB7_1679
.LBB7_1669:
	s_and_not1_saveexec_b32 s10, s10
	s_cbranch_execz .LBB7_1655
.LBB7_1670:
	v_cmp_ne_u16_e32 vcc_lo, 0, v1
	s_and_not1_b32 s13, s13, exec_lo
	s_and_b32 s14, vcc_lo, exec_lo
	s_delay_alu instid0(SALU_CYCLE_1)
	s_or_b32 s13, s13, s14
	s_or_b32 exec_lo, exec_lo, s10
	v_mov_b32_e32 v22, 0
	s_and_saveexec_b32 s10, s13
	s_cbranch_execnz .LBB7_1656
	s_branch .LBB7_1657
.LBB7_1671:
	s_mov_b32 s10, -1
                                        ; implicit-def: $vgpr22
	s_branch .LBB7_1676
.LBB7_1672:
	s_mov_b32 s10, -1
                                        ; implicit-def: $vgpr22
.LBB7_1673:
	s_delay_alu instid0(SALU_CYCLE_1)
	s_and_b32 vcc_lo, exec_lo, s10
	s_cbranch_vccz .LBB7_1675
; %bb.1674:
	global_load_u8 v1, v[24:25], off
	s_wait_loadcnt 0x0
	v_lshlrev_b32_e32 v1, 24, v1
	s_delay_alu instid0(VALU_DEP_1) | instskip(NEXT) | instid1(VALU_DEP_1)
	v_and_b32_e32 v3, 0x7f000000, v1
	v_clz_i32_u32_e32 v5, v3
	v_add_nc_u32_e32 v9, 0x1000000, v3
	v_cmp_ne_u32_e32 vcc_lo, 0, v3
	s_delay_alu instid0(VALU_DEP_3) | instskip(NEXT) | instid1(VALU_DEP_1)
	v_min_u32_e32 v5, 32, v5
	v_sub_nc_u32_e64 v5, v5, 4 clamp
	s_delay_alu instid0(VALU_DEP_1) | instskip(NEXT) | instid1(VALU_DEP_1)
	v_dual_lshlrev_b32 v7, v5, v3 :: v_dual_lshlrev_b32 v5, 23, v5
	v_lshrrev_b32_e32 v7, 4, v7
	s_delay_alu instid0(VALU_DEP_1) | instskip(SKIP_1) | instid1(VALU_DEP_2)
	v_sub_nc_u32_e32 v5, v7, v5
	v_ashrrev_i32_e32 v7, 8, v9
	v_add_nc_u32_e32 v5, 0x3c000000, v5
	s_delay_alu instid0(VALU_DEP_1) | instskip(NEXT) | instid1(VALU_DEP_1)
	v_and_or_b32 v5, 0x7f800000, v7, v5
	v_cndmask_b32_e32 v3, 0, v5, vcc_lo
	s_delay_alu instid0(VALU_DEP_1) | instskip(NEXT) | instid1(VALU_DEP_1)
	v_and_or_b32 v1, 0x80000000, v1, v3
	v_trunc_f32_e32 v1, v1
	s_delay_alu instid0(VALU_DEP_1) | instskip(NEXT) | instid1(VALU_DEP_1)
	v_mul_f32_e64 v3, 0x2f800000, |v1|
	v_floor_f32_e32 v3, v3
	s_delay_alu instid0(VALU_DEP_1) | instskip(SKIP_1) | instid1(VALU_DEP_2)
	v_fma_f32 v3, 0xcf800000, v3, |v1|
	v_ashrrev_i32_e32 v1, 31, v1
	v_cvt_u32_f32_e32 v3, v3
	s_delay_alu instid0(VALU_DEP_1) | instskip(NEXT) | instid1(VALU_DEP_1)
	v_xor_b32_e32 v3, v3, v1
	v_sub_nc_u32_e32 v22, v3, v1
.LBB7_1675:
	s_mov_b32 s10, 0
.LBB7_1676:
	s_delay_alu instid0(SALU_CYCLE_1)
	s_and_not1_b32 vcc_lo, exec_lo, s10
	s_cbranch_vccnz .LBB7_1678
; %bb.1677:
	global_load_u8 v1, v[24:25], off
	s_wait_loadcnt 0x0
	v_lshlrev_b32_e32 v3, 25, v1
	v_lshlrev_b16 v1, 8, v1
	s_delay_alu instid0(VALU_DEP_1) | instskip(SKIP_1) | instid1(VALU_DEP_2)
	v_and_or_b32 v7, 0x7f00, v1, 0.5
	v_bfe_i32 v1, v1, 0, 16
	v_add_f32_e32 v7, -0.5, v7
	v_lshrrev_b32_e32 v5, 4, v3
	v_cmp_gt_u32_e32 vcc_lo, 0x8000000, v3
	s_delay_alu instid0(VALU_DEP_2) | instskip(NEXT) | instid1(VALU_DEP_1)
	v_or_b32_e32 v5, 0x70000000, v5
	v_mul_f32_e32 v5, 0x7800000, v5
	s_delay_alu instid0(VALU_DEP_1) | instskip(NEXT) | instid1(VALU_DEP_1)
	v_cndmask_b32_e32 v3, v5, v7, vcc_lo
	v_and_or_b32 v1, 0x80000000, v1, v3
	s_delay_alu instid0(VALU_DEP_1) | instskip(NEXT) | instid1(VALU_DEP_1)
	v_trunc_f32_e32 v1, v1
	v_mul_f32_e64 v3, 0x2f800000, |v1|
	s_delay_alu instid0(VALU_DEP_1) | instskip(NEXT) | instid1(VALU_DEP_1)
	v_floor_f32_e32 v3, v3
	v_fma_f32 v3, 0xcf800000, v3, |v1|
	v_ashrrev_i32_e32 v1, 31, v1
	s_delay_alu instid0(VALU_DEP_2) | instskip(NEXT) | instid1(VALU_DEP_1)
	v_cvt_u32_f32_e32 v3, v3
	v_xor_b32_e32 v3, v3, v1
	s_delay_alu instid0(VALU_DEP_1)
	v_sub_nc_u32_e32 v22, v3, v1
.LBB7_1678:
	s_mov_b32 s13, -1
	s_mov_b32 s12, 0
	s_cbranch_execnz .LBB7_1689
.LBB7_1679:
	s_cmp_gt_i32 s0, 14
	s_cbranch_scc0 .LBB7_1682
; %bb.1680:
	s_cmp_eq_u32 s0, 15
	s_cbranch_scc0 .LBB7_1685
; %bb.1681:
	global_load_u16 v1, v[24:25], off
	s_mov_b32 s1, 0
	s_mov_b32 s13, -1
	s_wait_loadcnt 0x0
	v_lshlrev_b32_e32 v1, 16, v1
	s_delay_alu instid0(VALU_DEP_1) | instskip(NEXT) | instid1(VALU_DEP_1)
	v_trunc_f32_e32 v1, v1
	v_mul_f32_e64 v3, 0x2f800000, |v1|
	s_delay_alu instid0(VALU_DEP_1) | instskip(NEXT) | instid1(VALU_DEP_1)
	v_floor_f32_e32 v3, v3
	v_fma_f32 v3, 0xcf800000, v3, |v1|
	v_ashrrev_i32_e32 v1, 31, v1
	s_delay_alu instid0(VALU_DEP_2) | instskip(NEXT) | instid1(VALU_DEP_1)
	v_cvt_u32_f32_e32 v3, v3
	v_xor_b32_e32 v3, v3, v1
	s_delay_alu instid0(VALU_DEP_1)
	v_sub_nc_u32_e32 v22, v3, v1
	s_branch .LBB7_1686
.LBB7_1682:
	s_mov_b32 s10, -1
                                        ; implicit-def: $vgpr22
	s_branch .LBB7_1687
.LBB7_1683:
	s_and_not1_saveexec_b32 s10, s10
	s_cbranch_execz .LBB7_1665
.LBB7_1684:
	v_cmp_ne_u16_e32 vcc_lo, 0, v1
	s_and_not1_b32 s12, s12, exec_lo
	s_and_b32 s13, vcc_lo, exec_lo
	s_delay_alu instid0(SALU_CYCLE_1)
	s_or_b32 s12, s12, s13
	s_or_b32 exec_lo, exec_lo, s10
	v_mov_b32_e32 v22, 0
	s_and_saveexec_b32 s10, s12
	s_cbranch_execnz .LBB7_1666
	s_branch .LBB7_1667
.LBB7_1685:
	s_mov_b32 s1, -1
                                        ; implicit-def: $vgpr22
.LBB7_1686:
	s_mov_b32 s10, 0
.LBB7_1687:
	s_delay_alu instid0(SALU_CYCLE_1)
	s_and_b32 vcc_lo, exec_lo, s10
	s_cbranch_vccz .LBB7_1689
; %bb.1688:
	s_cmp_lg_u32 s0, 11
	s_mov_b32 s12, -1
	s_cselect_b32 s1, -1, 0
.LBB7_1689:
	s_delay_alu instid0(SALU_CYCLE_1)
	s_and_b32 vcc_lo, exec_lo, s1
	s_mov_b32 s10, s8
	s_cbranch_vccnz .LBB7_1750
; %bb.1690:
	s_and_not1_b32 vcc_lo, exec_lo, s12
	s_cbranch_vccnz .LBB7_1692
.LBB7_1691:
	global_load_u8 v1, v[24:25], off
	s_mov_b32 s13, -1
	s_wait_loadcnt 0x0
	v_cmp_ne_u16_e32 vcc_lo, 0, v1
	v_cndmask_b32_e64 v22, 0, 1, vcc_lo
.LBB7_1692:
	s_branch .LBB7_1626
.LBB7_1693:
	s_and_b32 s0, 0xffff, s11
	s_delay_alu instid0(SALU_CYCLE_1)
	s_cmp_lt_i32 s0, 5
	s_cbranch_scc1 .LBB7_1698
; %bb.1694:
	s_cmp_lt_i32 s0, 8
	s_cbranch_scc1 .LBB7_1699
; %bb.1695:
	;; [unrolled: 3-line block ×3, first 2 shown]
	s_cmp_gt_i32 s0, 9
	s_cbranch_scc0 .LBB7_1701
; %bb.1697:
	s_wait_loadcnt 0x0
	global_load_b64 v[22:23], v[24:25], off
	s_mov_b32 s1, 0
	s_wait_loadcnt 0x0
	v_trunc_f64_e32 v[22:23], v[22:23]
	s_delay_alu instid0(VALU_DEP_1) | instskip(NEXT) | instid1(VALU_DEP_1)
	v_ldexp_f64 v[26:27], v[22:23], 0xffffffe0
	v_floor_f64_e32 v[26:27], v[26:27]
	s_delay_alu instid0(VALU_DEP_1) | instskip(NEXT) | instid1(VALU_DEP_1)
	v_fmamk_f64 v[22:23], v[26:27], 0xc1f00000, v[22:23]
	v_cvt_u32_f64_e32 v22, v[22:23]
	s_branch .LBB7_1702
.LBB7_1698:
                                        ; implicit-def: $vgpr22
	s_branch .LBB7_1719
.LBB7_1699:
                                        ; implicit-def: $vgpr22
	s_branch .LBB7_1708
.LBB7_1700:
	s_mov_b32 s1, -1
                                        ; implicit-def: $vgpr22
	s_branch .LBB7_1705
.LBB7_1701:
	s_mov_b32 s1, -1
                                        ; implicit-def: $vgpr22
.LBB7_1702:
	s_delay_alu instid0(SALU_CYCLE_1)
	s_and_not1_b32 vcc_lo, exec_lo, s1
	s_cbranch_vccnz .LBB7_1704
; %bb.1703:
	global_load_b32 v1, v[24:25], off
	s_wait_loadcnt 0x0
	v_trunc_f32_e32 v1, v1
	s_delay_alu instid0(VALU_DEP_1) | instskip(NEXT) | instid1(VALU_DEP_1)
	v_mul_f32_e64 v3, 0x2f800000, |v1|
	v_floor_f32_e32 v3, v3
	s_delay_alu instid0(VALU_DEP_1) | instskip(SKIP_1) | instid1(VALU_DEP_2)
	v_fma_f32 v3, 0xcf800000, v3, |v1|
	v_ashrrev_i32_e32 v1, 31, v1
	v_cvt_u32_f32_e32 v3, v3
	s_delay_alu instid0(VALU_DEP_1) | instskip(NEXT) | instid1(VALU_DEP_1)
	v_xor_b32_e32 v3, v3, v1
	v_sub_nc_u32_e32 v22, v3, v1
.LBB7_1704:
	s_mov_b32 s1, 0
.LBB7_1705:
	s_delay_alu instid0(SALU_CYCLE_1)
	s_and_not1_b32 vcc_lo, exec_lo, s1
	s_cbranch_vccnz .LBB7_1707
; %bb.1706:
	global_load_b32 v1, v[24:25], off
	s_wait_loadcnt 0x0
	v_cvt_f32_f16_e32 v1, v1
	s_delay_alu instid0(VALU_DEP_1)
	v_cvt_i32_f32_e32 v22, v1
.LBB7_1707:
	s_cbranch_execnz .LBB7_1718
.LBB7_1708:
	s_cmp_lt_i32 s0, 6
	s_cbranch_scc1 .LBB7_1711
; %bb.1709:
	s_cmp_gt_i32 s0, 6
	s_cbranch_scc0 .LBB7_1712
; %bb.1710:
	s_wait_loadcnt 0x0
	global_load_b64 v[22:23], v[24:25], off
	s_mov_b32 s1, 0
	s_wait_loadcnt 0x0
	v_trunc_f64_e32 v[22:23], v[22:23]
	s_delay_alu instid0(VALU_DEP_1) | instskip(NEXT) | instid1(VALU_DEP_1)
	v_ldexp_f64 v[26:27], v[22:23], 0xffffffe0
	v_floor_f64_e32 v[26:27], v[26:27]
	s_delay_alu instid0(VALU_DEP_1) | instskip(NEXT) | instid1(VALU_DEP_1)
	v_fmamk_f64 v[22:23], v[26:27], 0xc1f00000, v[22:23]
	v_cvt_u32_f64_e32 v22, v[22:23]
	s_branch .LBB7_1713
.LBB7_1711:
	s_mov_b32 s1, -1
                                        ; implicit-def: $vgpr22
	s_branch .LBB7_1716
.LBB7_1712:
	s_mov_b32 s1, -1
                                        ; implicit-def: $vgpr22
.LBB7_1713:
	s_delay_alu instid0(SALU_CYCLE_1)
	s_and_not1_b32 vcc_lo, exec_lo, s1
	s_cbranch_vccnz .LBB7_1715
; %bb.1714:
	global_load_b32 v1, v[24:25], off
	s_wait_loadcnt 0x0
	v_trunc_f32_e32 v1, v1
	s_delay_alu instid0(VALU_DEP_1) | instskip(NEXT) | instid1(VALU_DEP_1)
	v_mul_f32_e64 v3, 0x2f800000, |v1|
	v_floor_f32_e32 v3, v3
	s_delay_alu instid0(VALU_DEP_1) | instskip(SKIP_1) | instid1(VALU_DEP_2)
	v_fma_f32 v3, 0xcf800000, v3, |v1|
	v_ashrrev_i32_e32 v1, 31, v1
	v_cvt_u32_f32_e32 v3, v3
	s_delay_alu instid0(VALU_DEP_1) | instskip(NEXT) | instid1(VALU_DEP_1)
	v_xor_b32_e32 v3, v3, v1
	v_sub_nc_u32_e32 v22, v3, v1
.LBB7_1715:
	s_mov_b32 s1, 0
.LBB7_1716:
	s_delay_alu instid0(SALU_CYCLE_1)
	s_and_not1_b32 vcc_lo, exec_lo, s1
	s_cbranch_vccnz .LBB7_1718
; %bb.1717:
	global_load_u16 v1, v[24:25], off
	s_wait_loadcnt 0x0
	v_cvt_f32_f16_e32 v1, v1
	s_delay_alu instid0(VALU_DEP_1)
	v_cvt_i32_f32_e32 v22, v1
.LBB7_1718:
	s_cbranch_execnz .LBB7_1737
.LBB7_1719:
	s_cmp_lt_i32 s0, 2
	s_cbranch_scc1 .LBB7_1723
; %bb.1720:
	s_cmp_lt_i32 s0, 3
	s_cbranch_scc1 .LBB7_1724
; %bb.1721:
	s_cmp_gt_i32 s0, 3
	s_cbranch_scc0 .LBB7_1725
; %bb.1722:
	s_wait_loadcnt 0x0
	global_load_b64 v[22:23], v[24:25], off
	s_mov_b32 s1, 0
	s_branch .LBB7_1726
.LBB7_1723:
                                        ; implicit-def: $vgpr22
	s_branch .LBB7_1732
.LBB7_1724:
	s_mov_b32 s1, -1
                                        ; implicit-def: $vgpr22
	s_branch .LBB7_1729
.LBB7_1725:
	s_mov_b32 s1, -1
                                        ; implicit-def: $vgpr22
.LBB7_1726:
	s_delay_alu instid0(SALU_CYCLE_1)
	s_and_not1_b32 vcc_lo, exec_lo, s1
	s_cbranch_vccnz .LBB7_1728
; %bb.1727:
	s_wait_loadcnt 0x0
	global_load_b32 v22, v[24:25], off
.LBB7_1728:
	s_mov_b32 s1, 0
.LBB7_1729:
	s_delay_alu instid0(SALU_CYCLE_1)
	s_and_not1_b32 vcc_lo, exec_lo, s1
	s_cbranch_vccnz .LBB7_1731
; %bb.1730:
	s_wait_loadcnt 0x0
	global_load_u16 v22, v[24:25], off
.LBB7_1731:
	s_cbranch_execnz .LBB7_1737
.LBB7_1732:
	s_cmp_gt_i32 s0, 0
	s_mov_b32 s0, 0
	s_cbranch_scc0 .LBB7_1734
; %bb.1733:
	s_wait_loadcnt 0x0
	global_load_u8 v22, v[24:25], off
	s_branch .LBB7_1735
.LBB7_1734:
	s_mov_b32 s0, -1
                                        ; implicit-def: $vgpr22
.LBB7_1735:
	s_delay_alu instid0(SALU_CYCLE_1)
	s_and_not1_b32 vcc_lo, exec_lo, s0
	s_cbranch_vccnz .LBB7_1737
; %bb.1736:
	s_wait_loadcnt 0x0
	global_load_u8 v22, v[24:25], off
.LBB7_1737:
.LBB7_1738:
	v_mov_b32_e32 v9, 0
	s_load_b64 s[0:1], s[2:3], 0x198
	global_load_u8 v1, v9, s[2:3] offset:419
	s_wait_kmcnt 0x0
	v_add_nc_u64_e32 v[24:25], s[0:1], v[8:9]
	s_wait_loadcnt 0x0
	v_and_b32_e32 v3, 0xffff, v1
	v_readfirstlane_b32 s12, v1
	s_delay_alu instid0(VALU_DEP_2)
	v_cmp_gt_i32_e32 vcc_lo, 11, v3
	s_cbranch_vccnz .LBB7_1745
; %bb.1739:
	s_and_b32 s13, 0xffff, s12
	s_mov_b32 s15, 0
	s_cmp_gt_i32 s13, 25
	s_cbranch_scc0 .LBB7_1747
; %bb.1740:
	s_cmp_gt_i32 s13, 28
	s_cbranch_scc0 .LBB7_1748
; %bb.1741:
	;; [unrolled: 3-line block ×4, first 2 shown]
	s_cmp_eq_u32 s13, 46
	s_mov_b32 s17, 0
	s_cbranch_scc0 .LBB7_1754
; %bb.1744:
	global_load_b32 v1, v[24:25], off
	s_mov_b32 s14, 0
	s_mov_b32 s16, -1
	s_wait_loadcnt 0x0
	v_lshlrev_b32_e32 v1, 16, v1
	s_delay_alu instid0(VALU_DEP_1) | instskip(NEXT) | instid1(VALU_DEP_1)
	v_trunc_f32_e32 v1, v1
	v_mul_f32_e64 v3, 0x2f800000, |v1|
	s_delay_alu instid0(VALU_DEP_1) | instskip(NEXT) | instid1(VALU_DEP_1)
	v_floor_f32_e32 v3, v3
	v_fma_f32 v3, 0xcf800000, v3, |v1|
	v_ashrrev_i32_e32 v1, 31, v1
	s_delay_alu instid0(VALU_DEP_2) | instskip(NEXT) | instid1(VALU_DEP_1)
	v_cvt_u32_f32_e32 v3, v3
	v_xor_b32_e32 v3, v3, v1
	s_delay_alu instid0(VALU_DEP_1)
	v_sub_nc_u32_e32 v8, v3, v1
	s_branch .LBB7_1756
.LBB7_1745:
	s_mov_b32 s16, 0
                                        ; implicit-def: $vgpr8
	s_cbranch_execnz .LBB7_1817
.LBB7_1746:
	s_and_not1_b32 vcc_lo, exec_lo, s16
	s_cbranch_vccnz .LBB7_2717
	s_branch .LBB7_1864
.LBB7_1747:
	s_mov_b32 s16, 0
	s_mov_b32 s14, 0
                                        ; implicit-def: $vgpr8
	s_cbranch_execnz .LBB7_1783
	s_branch .LBB7_1813
.LBB7_1748:
	s_mov_b32 s17, -1
	s_mov_b32 s16, 0
	s_mov_b32 s14, 0
                                        ; implicit-def: $vgpr8
	s_branch .LBB7_1766
.LBB7_1749:
	s_mov_b32 s17, -1
	s_mov_b32 s16, 0
	s_mov_b32 s14, 0
                                        ; implicit-def: $vgpr8
	s_branch .LBB7_1761
.LBB7_1750:
	s_or_b32 s10, s8, exec_lo
	s_trap 2
	s_cbranch_execz .LBB7_1691
	s_branch .LBB7_1692
.LBB7_1751:
	s_mov_b32 s17, -1
	s_mov_b32 s16, 0
	s_mov_b32 s14, 0
	s_branch .LBB7_1755
.LBB7_1752:
	s_and_not1_saveexec_b32 s10, s10
	s_cbranch_execz .LBB7_1498
.LBB7_1753:
	v_add_f32_e32 v1, 0x42800000, v2
	s_and_not1_b32 s9, s9, exec_lo
	s_delay_alu instid0(VALU_DEP_1) | instskip(NEXT) | instid1(VALU_DEP_1)
	v_and_b32_e32 v1, 0xff, v1
	v_cmp_ne_u32_e32 vcc_lo, 0, v1
	s_and_b32 s11, vcc_lo, exec_lo
	s_delay_alu instid0(SALU_CYCLE_1)
	s_or_b32 s9, s9, s11
	s_or_b32 exec_lo, exec_lo, s10
	v_mov_b32_e32 v3, 0
	s_and_saveexec_b32 s10, s9
	s_cbranch_execnz .LBB7_1499
	s_branch .LBB7_1500
.LBB7_1754:
	s_mov_b32 s14, -1
	s_mov_b32 s16, 0
.LBB7_1755:
                                        ; implicit-def: $vgpr8
.LBB7_1756:
	s_and_b32 vcc_lo, exec_lo, s17
	s_cbranch_vccz .LBB7_1760
; %bb.1757:
	s_cmp_eq_u32 s13, 44
	s_cbranch_scc0 .LBB7_1759
; %bb.1758:
	global_load_u8 v1, v[24:25], off
	s_mov_b32 s14, 0
	s_mov_b32 s16, -1
	s_wait_loadcnt 0x0
	v_lshlrev_b32_e32 v3, 23, v1
	v_cmp_ne_u32_e32 vcc_lo, 0, v1
	s_delay_alu instid0(VALU_DEP_2) | instskip(NEXT) | instid1(VALU_DEP_1)
	v_trunc_f32_e32 v3, v3
	v_mul_f32_e64 v5, 0x2f800000, |v3|
	s_delay_alu instid0(VALU_DEP_1) | instskip(NEXT) | instid1(VALU_DEP_1)
	v_floor_f32_e32 v5, v5
	v_fma_f32 v5, 0xcf800000, v5, |v3|
	v_ashrrev_i32_e32 v3, 31, v3
	s_delay_alu instid0(VALU_DEP_2) | instskip(NEXT) | instid1(VALU_DEP_1)
	v_cvt_u32_f32_e32 v5, v5
	v_xor_b32_e32 v5, v5, v3
	s_delay_alu instid0(VALU_DEP_1) | instskip(NEXT) | instid1(VALU_DEP_1)
	v_sub_nc_u32_e32 v3, v5, v3
	v_cndmask_b32_e32 v8, 0, v3, vcc_lo
	s_branch .LBB7_1760
.LBB7_1759:
	s_mov_b32 s14, -1
                                        ; implicit-def: $vgpr8
.LBB7_1760:
	s_mov_b32 s17, 0
.LBB7_1761:
	s_delay_alu instid0(SALU_CYCLE_1)
	s_and_b32 vcc_lo, exec_lo, s17
	s_cbranch_vccz .LBB7_1765
; %bb.1762:
	s_cmp_eq_u32 s13, 29
	s_cbranch_scc0 .LBB7_1764
; %bb.1763:
	global_load_b64 v[8:9], v[24:25], off
	s_mov_b32 s14, 0
	s_mov_b32 s16, -1
	s_branch .LBB7_1765
.LBB7_1764:
	s_mov_b32 s14, -1
                                        ; implicit-def: $vgpr8
.LBB7_1765:
	s_mov_b32 s17, 0
.LBB7_1766:
	s_delay_alu instid0(SALU_CYCLE_1)
	s_and_b32 vcc_lo, exec_lo, s17
	s_cbranch_vccz .LBB7_1782
; %bb.1767:
	s_cmp_lt_i32 s13, 27
	s_cbranch_scc1 .LBB7_1770
; %bb.1768:
	s_cmp_gt_i32 s13, 27
	s_cbranch_scc0 .LBB7_1771
; %bb.1769:
	s_wait_loadcnt 0x0
	global_load_b32 v8, v[24:25], off
	s_mov_b32 s16, 0
	s_branch .LBB7_1772
.LBB7_1770:
	s_mov_b32 s16, -1
                                        ; implicit-def: $vgpr8
	s_branch .LBB7_1775
.LBB7_1771:
	s_mov_b32 s16, -1
                                        ; implicit-def: $vgpr8
.LBB7_1772:
	s_delay_alu instid0(SALU_CYCLE_1)
	s_and_not1_b32 vcc_lo, exec_lo, s16
	s_cbranch_vccnz .LBB7_1774
; %bb.1773:
	s_wait_loadcnt 0x0
	global_load_u16 v8, v[24:25], off
.LBB7_1774:
	s_mov_b32 s16, 0
.LBB7_1775:
	s_delay_alu instid0(SALU_CYCLE_1)
	s_and_not1_b32 vcc_lo, exec_lo, s16
	s_cbranch_vccnz .LBB7_1781
; %bb.1776:
	global_load_u8 v1, v[24:25], off
	s_mov_b32 s17, 0
	s_mov_b32 s16, exec_lo
	s_wait_loadcnt 0x0
	v_cmpx_lt_i16_e32 0x7f, v1
	s_xor_b32 s16, exec_lo, s16
	s_cbranch_execz .LBB7_1792
; %bb.1777:
	v_cmp_ne_u16_e32 vcc_lo, 0x80, v1
	s_and_b32 s17, vcc_lo, exec_lo
	s_and_not1_saveexec_b32 s16, s16
	s_cbranch_execnz .LBB7_1793
.LBB7_1778:
	s_or_b32 exec_lo, exec_lo, s16
	v_mov_b32_e32 v8, 0
	s_and_saveexec_b32 s16, s17
	s_cbranch_execz .LBB7_1780
.LBB7_1779:
	v_and_b32_e32 v3, 0xffff, v1
	s_delay_alu instid0(VALU_DEP_1) | instskip(SKIP_1) | instid1(VALU_DEP_2)
	v_dual_lshlrev_b32 v1, 24, v1 :: v_dual_bitop2_b32 v5, 7, v3 bitop3:0x40
	v_bfe_u32 v9, v3, 3, 4
	v_and_b32_e32 v1, 0x80000000, v1
	s_delay_alu instid0(VALU_DEP_3) | instskip(NEXT) | instid1(VALU_DEP_3)
	v_clz_i32_u32_e32 v7, v5
	v_cmp_eq_u32_e32 vcc_lo, 0, v9
	s_delay_alu instid0(VALU_DEP_2) | instskip(NEXT) | instid1(VALU_DEP_1)
	v_min_u32_e32 v7, 32, v7
	v_subrev_nc_u32_e32 v8, 28, v7
	v_sub_nc_u32_e32 v7, 29, v7
	s_delay_alu instid0(VALU_DEP_2) | instskip(NEXT) | instid1(VALU_DEP_2)
	v_lshlrev_b32_e32 v3, v8, v3
	v_cndmask_b32_e32 v7, v9, v7, vcc_lo
	s_delay_alu instid0(VALU_DEP_2) | instskip(NEXT) | instid1(VALU_DEP_1)
	v_and_b32_e32 v3, 7, v3
	v_cndmask_b32_e32 v3, v5, v3, vcc_lo
	s_delay_alu instid0(VALU_DEP_3) | instskip(NEXT) | instid1(VALU_DEP_2)
	v_lshl_add_u32 v5, v7, 23, 0x3b800000
	v_lshlrev_b32_e32 v3, 20, v3
	s_delay_alu instid0(VALU_DEP_1) | instskip(NEXT) | instid1(VALU_DEP_1)
	v_or3_b32 v1, v1, v5, v3
	v_trunc_f32_e32 v1, v1
	s_delay_alu instid0(VALU_DEP_1) | instskip(NEXT) | instid1(VALU_DEP_1)
	v_mul_f32_e64 v3, 0x2f800000, |v1|
	v_floor_f32_e32 v3, v3
	s_delay_alu instid0(VALU_DEP_1) | instskip(SKIP_1) | instid1(VALU_DEP_2)
	v_fma_f32 v3, 0xcf800000, v3, |v1|
	v_ashrrev_i32_e32 v1, 31, v1
	v_cvt_u32_f32_e32 v3, v3
	s_delay_alu instid0(VALU_DEP_1) | instskip(NEXT) | instid1(VALU_DEP_1)
	v_xor_b32_e32 v3, v3, v1
	v_sub_nc_u32_e32 v8, v3, v1
.LBB7_1780:
	s_or_b32 exec_lo, exec_lo, s16
.LBB7_1781:
	s_mov_b32 s16, -1
.LBB7_1782:
	s_branch .LBB7_1813
.LBB7_1783:
	s_cmp_gt_i32 s13, 22
	s_cbranch_scc0 .LBB7_1791
; %bb.1784:
	s_cmp_lt_i32 s13, 24
	s_cbranch_scc1 .LBB7_1794
; %bb.1785:
	s_cmp_gt_i32 s13, 24
	s_cbranch_scc0 .LBB7_1795
; %bb.1786:
	global_load_u8 v1, v[24:25], off
	s_mov_b32 s16, 0
	s_mov_b32 s15, exec_lo
	s_wait_loadcnt 0x0
	v_cmpx_lt_i16_e32 0x7f, v1
	s_xor_b32 s15, exec_lo, s15
	s_cbranch_execz .LBB7_1807
; %bb.1787:
	v_cmp_ne_u16_e32 vcc_lo, 0x80, v1
	s_and_b32 s16, vcc_lo, exec_lo
	s_and_not1_saveexec_b32 s15, s15
	s_cbranch_execnz .LBB7_1808
.LBB7_1788:
	s_or_b32 exec_lo, exec_lo, s15
	v_mov_b32_e32 v8, 0
	s_and_saveexec_b32 s15, s16
	s_cbranch_execz .LBB7_1790
.LBB7_1789:
	v_and_b32_e32 v3, 0xffff, v1
	s_delay_alu instid0(VALU_DEP_1) | instskip(SKIP_1) | instid1(VALU_DEP_2)
	v_dual_lshlrev_b32 v1, 24, v1 :: v_dual_bitop2_b32 v5, 3, v3 bitop3:0x40
	v_bfe_u32 v9, v3, 2, 5
	v_and_b32_e32 v1, 0x80000000, v1
	s_delay_alu instid0(VALU_DEP_3) | instskip(NEXT) | instid1(VALU_DEP_3)
	v_clz_i32_u32_e32 v7, v5
	v_cmp_eq_u32_e32 vcc_lo, 0, v9
	s_delay_alu instid0(VALU_DEP_2) | instskip(NEXT) | instid1(VALU_DEP_1)
	v_min_u32_e32 v7, 32, v7
	v_subrev_nc_u32_e32 v8, 29, v7
	v_sub_nc_u32_e32 v7, 30, v7
	s_delay_alu instid0(VALU_DEP_2) | instskip(NEXT) | instid1(VALU_DEP_2)
	v_lshlrev_b32_e32 v3, v8, v3
	v_cndmask_b32_e32 v7, v9, v7, vcc_lo
	s_delay_alu instid0(VALU_DEP_2) | instskip(NEXT) | instid1(VALU_DEP_1)
	v_and_b32_e32 v3, 3, v3
	v_cndmask_b32_e32 v3, v5, v3, vcc_lo
	s_delay_alu instid0(VALU_DEP_3) | instskip(NEXT) | instid1(VALU_DEP_2)
	v_lshl_add_u32 v5, v7, 23, 0x37800000
	v_lshlrev_b32_e32 v3, 21, v3
	s_delay_alu instid0(VALU_DEP_1) | instskip(NEXT) | instid1(VALU_DEP_1)
	v_or3_b32 v1, v1, v5, v3
	v_trunc_f32_e32 v1, v1
	s_delay_alu instid0(VALU_DEP_1) | instskip(NEXT) | instid1(VALU_DEP_1)
	v_mul_f32_e64 v3, 0x2f800000, |v1|
	v_floor_f32_e32 v3, v3
	s_delay_alu instid0(VALU_DEP_1) | instskip(SKIP_1) | instid1(VALU_DEP_2)
	v_fma_f32 v3, 0xcf800000, v3, |v1|
	v_ashrrev_i32_e32 v1, 31, v1
	v_cvt_u32_f32_e32 v3, v3
	s_delay_alu instid0(VALU_DEP_1) | instskip(NEXT) | instid1(VALU_DEP_1)
	v_xor_b32_e32 v3, v3, v1
	v_sub_nc_u32_e32 v8, v3, v1
.LBB7_1790:
	s_or_b32 exec_lo, exec_lo, s15
	s_mov_b32 s15, 0
	s_branch .LBB7_1796
.LBB7_1791:
	s_mov_b32 s15, -1
                                        ; implicit-def: $vgpr8
	s_branch .LBB7_1802
.LBB7_1792:
	s_and_not1_saveexec_b32 s16, s16
	s_cbranch_execz .LBB7_1778
.LBB7_1793:
	v_cmp_ne_u16_e32 vcc_lo, 0, v1
	s_and_not1_b32 s17, s17, exec_lo
	s_and_b32 s18, vcc_lo, exec_lo
	s_delay_alu instid0(SALU_CYCLE_1)
	s_or_b32 s17, s17, s18
	s_or_b32 exec_lo, exec_lo, s16
	v_mov_b32_e32 v8, 0
	s_and_saveexec_b32 s16, s17
	s_cbranch_execnz .LBB7_1779
	s_branch .LBB7_1780
.LBB7_1794:
	s_mov_b32 s15, -1
                                        ; implicit-def: $vgpr8
	s_branch .LBB7_1799
.LBB7_1795:
	s_mov_b32 s15, -1
                                        ; implicit-def: $vgpr8
.LBB7_1796:
	s_delay_alu instid0(SALU_CYCLE_1)
	s_and_b32 vcc_lo, exec_lo, s15
	s_cbranch_vccz .LBB7_1798
; %bb.1797:
	global_load_u8 v1, v[24:25], off
	s_wait_loadcnt 0x0
	v_lshlrev_b32_e32 v1, 24, v1
	s_delay_alu instid0(VALU_DEP_1) | instskip(NEXT) | instid1(VALU_DEP_1)
	v_and_b32_e32 v3, 0x7f000000, v1
	v_clz_i32_u32_e32 v5, v3
	v_cmp_ne_u32_e32 vcc_lo, 0, v3
	v_add_nc_u32_e32 v8, 0x1000000, v3
	s_delay_alu instid0(VALU_DEP_3) | instskip(NEXT) | instid1(VALU_DEP_1)
	v_min_u32_e32 v5, 32, v5
	v_sub_nc_u32_e64 v5, v5, 4 clamp
	s_delay_alu instid0(VALU_DEP_1) | instskip(NEXT) | instid1(VALU_DEP_1)
	v_dual_lshlrev_b32 v7, v5, v3 :: v_dual_lshlrev_b32 v5, 23, v5
	v_lshrrev_b32_e32 v7, 4, v7
	s_delay_alu instid0(VALU_DEP_1) | instskip(NEXT) | instid1(VALU_DEP_1)
	v_dual_sub_nc_u32 v5, v7, v5 :: v_dual_ashrrev_i32 v7, 8, v8
	v_add_nc_u32_e32 v5, 0x3c000000, v5
	s_delay_alu instid0(VALU_DEP_1) | instskip(NEXT) | instid1(VALU_DEP_1)
	v_and_or_b32 v5, 0x7f800000, v7, v5
	v_cndmask_b32_e32 v3, 0, v5, vcc_lo
	s_delay_alu instid0(VALU_DEP_1) | instskip(NEXT) | instid1(VALU_DEP_1)
	v_and_or_b32 v1, 0x80000000, v1, v3
	v_trunc_f32_e32 v1, v1
	s_delay_alu instid0(VALU_DEP_1) | instskip(NEXT) | instid1(VALU_DEP_1)
	v_mul_f32_e64 v3, 0x2f800000, |v1|
	v_floor_f32_e32 v3, v3
	s_delay_alu instid0(VALU_DEP_1) | instskip(SKIP_1) | instid1(VALU_DEP_2)
	v_fma_f32 v3, 0xcf800000, v3, |v1|
	v_ashrrev_i32_e32 v1, 31, v1
	v_cvt_u32_f32_e32 v3, v3
	s_delay_alu instid0(VALU_DEP_1) | instskip(NEXT) | instid1(VALU_DEP_1)
	v_xor_b32_e32 v3, v3, v1
	v_sub_nc_u32_e32 v8, v3, v1
.LBB7_1798:
	s_mov_b32 s15, 0
.LBB7_1799:
	s_delay_alu instid0(SALU_CYCLE_1)
	s_and_not1_b32 vcc_lo, exec_lo, s15
	s_cbranch_vccnz .LBB7_1801
; %bb.1800:
	global_load_u8 v1, v[24:25], off
	s_wait_loadcnt 0x0
	v_lshlrev_b32_e32 v3, 25, v1
	v_lshlrev_b16 v1, 8, v1
	s_delay_alu instid0(VALU_DEP_1) | instskip(SKIP_1) | instid1(VALU_DEP_2)
	v_and_or_b32 v7, 0x7f00, v1, 0.5
	v_bfe_i32 v1, v1, 0, 16
	v_add_f32_e32 v7, -0.5, v7
	v_lshrrev_b32_e32 v5, 4, v3
	v_cmp_gt_u32_e32 vcc_lo, 0x8000000, v3
	s_delay_alu instid0(VALU_DEP_2) | instskip(NEXT) | instid1(VALU_DEP_1)
	v_or_b32_e32 v5, 0x70000000, v5
	v_mul_f32_e32 v5, 0x7800000, v5
	s_delay_alu instid0(VALU_DEP_1) | instskip(NEXT) | instid1(VALU_DEP_1)
	v_cndmask_b32_e32 v3, v5, v7, vcc_lo
	v_and_or_b32 v1, 0x80000000, v1, v3
	s_delay_alu instid0(VALU_DEP_1) | instskip(NEXT) | instid1(VALU_DEP_1)
	v_trunc_f32_e32 v1, v1
	v_mul_f32_e64 v3, 0x2f800000, |v1|
	s_delay_alu instid0(VALU_DEP_1) | instskip(NEXT) | instid1(VALU_DEP_1)
	v_floor_f32_e32 v3, v3
	v_fma_f32 v3, 0xcf800000, v3, |v1|
	v_ashrrev_i32_e32 v1, 31, v1
	s_delay_alu instid0(VALU_DEP_2) | instskip(NEXT) | instid1(VALU_DEP_1)
	v_cvt_u32_f32_e32 v3, v3
	v_xor_b32_e32 v3, v3, v1
	s_delay_alu instid0(VALU_DEP_1)
	v_sub_nc_u32_e32 v8, v3, v1
.LBB7_1801:
	s_mov_b32 s15, 0
	s_mov_b32 s16, -1
.LBB7_1802:
	s_and_not1_b32 vcc_lo, exec_lo, s15
	s_mov_b32 s15, 0
	s_cbranch_vccnz .LBB7_1813
; %bb.1803:
	s_cmp_gt_i32 s13, 14
	s_cbranch_scc0 .LBB7_1806
; %bb.1804:
	s_cmp_eq_u32 s13, 15
	s_cbranch_scc0 .LBB7_1809
; %bb.1805:
	global_load_u16 v1, v[24:25], off
	s_mov_b32 s14, 0
	s_mov_b32 s16, -1
	s_wait_loadcnt 0x0
	v_lshlrev_b32_e32 v1, 16, v1
	s_delay_alu instid0(VALU_DEP_1) | instskip(NEXT) | instid1(VALU_DEP_1)
	v_trunc_f32_e32 v1, v1
	v_mul_f32_e64 v3, 0x2f800000, |v1|
	s_delay_alu instid0(VALU_DEP_1) | instskip(NEXT) | instid1(VALU_DEP_1)
	v_floor_f32_e32 v3, v3
	v_fma_f32 v3, 0xcf800000, v3, |v1|
	v_ashrrev_i32_e32 v1, 31, v1
	s_delay_alu instid0(VALU_DEP_2) | instskip(NEXT) | instid1(VALU_DEP_1)
	v_cvt_u32_f32_e32 v3, v3
	v_xor_b32_e32 v3, v3, v1
	s_delay_alu instid0(VALU_DEP_1)
	v_sub_nc_u32_e32 v8, v3, v1
	s_branch .LBB7_1811
.LBB7_1806:
	s_mov_b32 s15, -1
	s_branch .LBB7_1810
.LBB7_1807:
	s_and_not1_saveexec_b32 s15, s15
	s_cbranch_execz .LBB7_1788
.LBB7_1808:
	v_cmp_ne_u16_e32 vcc_lo, 0, v1
	s_and_not1_b32 s16, s16, exec_lo
	s_and_b32 s17, vcc_lo, exec_lo
	s_delay_alu instid0(SALU_CYCLE_1)
	s_or_b32 s16, s16, s17
	s_or_b32 exec_lo, exec_lo, s15
	v_mov_b32_e32 v8, 0
	s_and_saveexec_b32 s15, s16
	s_cbranch_execnz .LBB7_1789
	s_branch .LBB7_1790
.LBB7_1809:
	s_mov_b32 s14, -1
.LBB7_1810:
                                        ; implicit-def: $vgpr8
.LBB7_1811:
	s_and_b32 vcc_lo, exec_lo, s15
	s_mov_b32 s15, 0
	s_cbranch_vccz .LBB7_1813
; %bb.1812:
	s_cmp_lg_u32 s13, 11
	s_mov_b32 s15, -1
	s_cselect_b32 s14, -1, 0
.LBB7_1813:
	s_delay_alu instid0(SALU_CYCLE_1)
	s_and_b32 vcc_lo, exec_lo, s14
	s_cbranch_vccnz .LBB7_1879
; %bb.1814:
	s_and_not1_b32 vcc_lo, exec_lo, s15
	s_cbranch_vccnz .LBB7_1816
.LBB7_1815:
	global_load_u8 v1, v[24:25], off
	s_mov_b32 s16, -1
	s_wait_loadcnt 0x0
	v_cmp_ne_u16_e32 vcc_lo, 0, v1
	v_cndmask_b32_e64 v8, 0, 1, vcc_lo
.LBB7_1816:
	s_branch .LBB7_1746
.LBB7_1817:
	s_and_b32 s13, 0xffff, s12
	s_delay_alu instid0(SALU_CYCLE_1)
	s_cmp_lt_i32 s13, 5
	s_cbranch_scc1 .LBB7_1822
; %bb.1818:
	s_cmp_lt_i32 s13, 8
	s_cbranch_scc1 .LBB7_1823
; %bb.1819:
	s_cmp_lt_i32 s13, 9
	s_cbranch_scc1 .LBB7_1824
; %bb.1820:
	s_cmp_gt_i32 s13, 9
	s_cbranch_scc0 .LBB7_1825
; %bb.1821:
	s_wait_loadcnt 0x0
	global_load_b64 v[8:9], v[24:25], off
	s_mov_b32 s14, 0
	s_wait_loadcnt 0x0
	v_trunc_f64_e32 v[8:9], v[8:9]
	s_delay_alu instid0(VALU_DEP_1) | instskip(NEXT) | instid1(VALU_DEP_1)
	v_ldexp_f64 v[26:27], v[8:9], 0xffffffe0
	v_floor_f64_e32 v[26:27], v[26:27]
	s_delay_alu instid0(VALU_DEP_1) | instskip(NEXT) | instid1(VALU_DEP_1)
	v_fmamk_f64 v[8:9], v[26:27], 0xc1f00000, v[8:9]
	v_cvt_u32_f64_e32 v8, v[8:9]
	s_branch .LBB7_1826
.LBB7_1822:
                                        ; implicit-def: $vgpr8
	s_branch .LBB7_1844
.LBB7_1823:
	s_mov_b32 s14, -1
                                        ; implicit-def: $vgpr8
	s_branch .LBB7_1832
.LBB7_1824:
	s_mov_b32 s14, -1
                                        ; implicit-def: $vgpr8
	s_branch .LBB7_1829
.LBB7_1825:
	s_mov_b32 s14, -1
                                        ; implicit-def: $vgpr8
.LBB7_1826:
	s_delay_alu instid0(SALU_CYCLE_1)
	s_and_not1_b32 vcc_lo, exec_lo, s14
	s_cbranch_vccnz .LBB7_1828
; %bb.1827:
	global_load_b32 v1, v[24:25], off
	s_wait_loadcnt 0x0
	v_trunc_f32_e32 v1, v1
	s_delay_alu instid0(VALU_DEP_1) | instskip(NEXT) | instid1(VALU_DEP_1)
	v_mul_f32_e64 v3, 0x2f800000, |v1|
	v_floor_f32_e32 v3, v3
	s_delay_alu instid0(VALU_DEP_1) | instskip(SKIP_1) | instid1(VALU_DEP_2)
	v_fma_f32 v3, 0xcf800000, v3, |v1|
	v_ashrrev_i32_e32 v1, 31, v1
	v_cvt_u32_f32_e32 v3, v3
	s_delay_alu instid0(VALU_DEP_1) | instskip(NEXT) | instid1(VALU_DEP_1)
	v_xor_b32_e32 v3, v3, v1
	v_sub_nc_u32_e32 v8, v3, v1
.LBB7_1828:
	s_mov_b32 s14, 0
.LBB7_1829:
	s_delay_alu instid0(SALU_CYCLE_1)
	s_and_not1_b32 vcc_lo, exec_lo, s14
	s_cbranch_vccnz .LBB7_1831
; %bb.1830:
	global_load_b32 v1, v[24:25], off
	s_wait_loadcnt 0x0
	v_cvt_f32_f16_e32 v1, v1
	s_delay_alu instid0(VALU_DEP_1)
	v_cvt_i32_f32_e32 v8, v1
.LBB7_1831:
	s_mov_b32 s14, 0
.LBB7_1832:
	s_delay_alu instid0(SALU_CYCLE_1)
	s_and_not1_b32 vcc_lo, exec_lo, s14
	s_cbranch_vccnz .LBB7_1843
; %bb.1833:
	s_cmp_lt_i32 s13, 6
	s_cbranch_scc1 .LBB7_1836
; %bb.1834:
	s_cmp_gt_i32 s13, 6
	s_cbranch_scc0 .LBB7_1837
; %bb.1835:
	s_wait_loadcnt 0x0
	global_load_b64 v[8:9], v[24:25], off
	s_mov_b32 s14, 0
	s_wait_loadcnt 0x0
	v_trunc_f64_e32 v[8:9], v[8:9]
	s_delay_alu instid0(VALU_DEP_1) | instskip(NEXT) | instid1(VALU_DEP_1)
	v_ldexp_f64 v[26:27], v[8:9], 0xffffffe0
	v_floor_f64_e32 v[26:27], v[26:27]
	s_delay_alu instid0(VALU_DEP_1) | instskip(NEXT) | instid1(VALU_DEP_1)
	v_fmamk_f64 v[8:9], v[26:27], 0xc1f00000, v[8:9]
	v_cvt_u32_f64_e32 v8, v[8:9]
	s_branch .LBB7_1838
.LBB7_1836:
	s_mov_b32 s14, -1
                                        ; implicit-def: $vgpr8
	s_branch .LBB7_1841
.LBB7_1837:
	s_mov_b32 s14, -1
                                        ; implicit-def: $vgpr8
.LBB7_1838:
	s_delay_alu instid0(SALU_CYCLE_1)
	s_and_not1_b32 vcc_lo, exec_lo, s14
	s_cbranch_vccnz .LBB7_1840
; %bb.1839:
	global_load_b32 v1, v[24:25], off
	s_wait_loadcnt 0x0
	v_trunc_f32_e32 v1, v1
	s_delay_alu instid0(VALU_DEP_1) | instskip(NEXT) | instid1(VALU_DEP_1)
	v_mul_f32_e64 v3, 0x2f800000, |v1|
	v_floor_f32_e32 v3, v3
	s_delay_alu instid0(VALU_DEP_1) | instskip(SKIP_1) | instid1(VALU_DEP_2)
	v_fma_f32 v3, 0xcf800000, v3, |v1|
	v_ashrrev_i32_e32 v1, 31, v1
	v_cvt_u32_f32_e32 v3, v3
	s_delay_alu instid0(VALU_DEP_1) | instskip(NEXT) | instid1(VALU_DEP_1)
	v_xor_b32_e32 v3, v3, v1
	v_sub_nc_u32_e32 v8, v3, v1
.LBB7_1840:
	s_mov_b32 s14, 0
.LBB7_1841:
	s_delay_alu instid0(SALU_CYCLE_1)
	s_and_not1_b32 vcc_lo, exec_lo, s14
	s_cbranch_vccnz .LBB7_1843
; %bb.1842:
	global_load_u16 v1, v[24:25], off
	s_wait_loadcnt 0x0
	v_cvt_f32_f16_e32 v1, v1
	s_delay_alu instid0(VALU_DEP_1)
	v_cvt_i32_f32_e32 v8, v1
.LBB7_1843:
	s_cbranch_execnz .LBB7_1863
.LBB7_1844:
	s_cmp_lt_i32 s13, 2
	s_cbranch_scc1 .LBB7_1848
; %bb.1845:
	s_cmp_lt_i32 s13, 3
	s_cbranch_scc1 .LBB7_1849
; %bb.1846:
	s_cmp_gt_i32 s13, 3
	s_cbranch_scc0 .LBB7_1850
; %bb.1847:
	s_wait_loadcnt 0x0
	global_load_b64 v[8:9], v[24:25], off
	s_mov_b32 s14, 0
	s_branch .LBB7_1851
.LBB7_1848:
	s_mov_b32 s14, -1
                                        ; implicit-def: $vgpr8
	s_branch .LBB7_1857
.LBB7_1849:
	s_mov_b32 s14, -1
                                        ; implicit-def: $vgpr8
	s_branch .LBB7_1854
.LBB7_1850:
	s_mov_b32 s14, -1
                                        ; implicit-def: $vgpr8
.LBB7_1851:
	s_delay_alu instid0(SALU_CYCLE_1)
	s_and_not1_b32 vcc_lo, exec_lo, s14
	s_cbranch_vccnz .LBB7_1853
; %bb.1852:
	s_wait_loadcnt 0x0
	global_load_b32 v8, v[24:25], off
.LBB7_1853:
	s_mov_b32 s14, 0
.LBB7_1854:
	s_delay_alu instid0(SALU_CYCLE_1)
	s_and_not1_b32 vcc_lo, exec_lo, s14
	s_cbranch_vccnz .LBB7_1856
; %bb.1855:
	s_wait_loadcnt 0x0
	global_load_u16 v8, v[24:25], off
.LBB7_1856:
	s_mov_b32 s14, 0
.LBB7_1857:
	s_delay_alu instid0(SALU_CYCLE_1)
	s_and_not1_b32 vcc_lo, exec_lo, s14
	s_cbranch_vccnz .LBB7_1863
; %bb.1858:
	s_cmp_gt_i32 s13, 0
	s_mov_b32 s13, 0
	s_cbranch_scc0 .LBB7_1860
; %bb.1859:
	s_wait_loadcnt 0x0
	global_load_u8 v8, v[24:25], off
	s_branch .LBB7_1861
.LBB7_1860:
	s_mov_b32 s13, -1
                                        ; implicit-def: $vgpr8
.LBB7_1861:
	s_delay_alu instid0(SALU_CYCLE_1)
	s_and_not1_b32 vcc_lo, exec_lo, s13
	s_cbranch_vccnz .LBB7_1863
; %bb.1862:
	s_wait_loadcnt 0x0
	global_load_u8 v8, v[24:25], off
.LBB7_1863:
.LBB7_1864:
	v_and_b32_e32 v1, 0xff, v22
	s_mov_b32 s14, 0
	s_mov_b32 s13, exec_lo
	s_wait_xcnt 0x0
	s_delay_alu instid0(VALU_DEP_1)
	v_cmpx_ne_u16_e32 0, v1
	s_cbranch_execz .LBB7_1867
.LBB7_1865:                             ; =>This Inner Loop Header: Depth=1
	s_wait_loadcnt 0x0
	s_delay_alu instid0(VALU_DEP_3) | instskip(SKIP_1) | instid1(VALU_DEP_1)
	v_cvt_f32_ubyte0_e32 v7, v8
	v_mov_b32_e32 v1, v22
	v_cvt_f32_ubyte0_e32 v3, v1
	s_delay_alu instid0(VALU_DEP_1) | instskip(SKIP_1) | instid1(TRANS32_DEP_1)
	v_rcp_iflag_f32_e32 v5, v3
	v_nop
	v_mul_f32_e32 v5, v7, v5
	s_delay_alu instid0(VALU_DEP_1) | instskip(NEXT) | instid1(VALU_DEP_1)
	v_trunc_f32_e32 v5, v5
	v_fma_f32 v7, -v5, v3, v7
	v_cvt_u32_f32_e32 v5, v5
	s_delay_alu instid0(VALU_DEP_2) | instskip(NEXT) | instid1(VALU_DEP_1)
	v_cmp_ge_f32_e64 vcc_lo, |v7|, v3
	v_add_co_ci_u32_e64 v3, null, 0, v5, vcc_lo
	s_delay_alu instid0(VALU_DEP_1) | instskip(NEXT) | instid1(VALU_DEP_1)
	v_mul_lo_u32 v3, v3, v1
	v_dual_mov_b32 v8, v1 :: v_dual_sub_nc_u32 v3, v8, v3
	s_delay_alu instid0(VALU_DEP_1) | instskip(NEXT) | instid1(VALU_DEP_1)
	v_and_b32_e32 v22, 0xff, v3
	v_cmp_eq_u16_e32 vcc_lo, 0, v22
	s_or_b32 s14, vcc_lo, s14
	s_delay_alu instid0(SALU_CYCLE_1)
	s_and_not1_b32 exec_lo, exec_lo, s14
	s_cbranch_execnz .LBB7_1865
; %bb.1866:
	s_or_b32 exec_lo, exec_lo, s14
	v_mov_b32_e32 v8, v1
.LBB7_1867:
	s_or_b32 exec_lo, exec_lo, s13
	v_mov_b32_e32 v21, 0
	s_and_b32 s11, 0xffff, s11
	s_delay_alu instid0(SALU_CYCLE_1) | instskip(NEXT) | instid1(VALU_DEP_1)
	s_cmp_lt_i32 s11, 11
	v_add_nc_u64_e32 v[22:23], s[6:7], v[20:21]
	s_cbranch_scc1 .LBB7_1874
; %bb.1868:
	s_cmp_gt_i32 s11, 25
	s_mov_b32 s14, 0
	s_cbranch_scc0 .LBB7_1876
; %bb.1869:
	s_cmp_gt_i32 s11, 28
	s_cbranch_scc0 .LBB7_1877
; %bb.1870:
	s_cmp_gt_i32 s11, 43
	;; [unrolled: 3-line block ×3, first 2 shown]
	s_cbranch_scc0 .LBB7_1880
; %bb.1872:
	s_cmp_eq_u32 s11, 46
	s_mov_b32 s16, 0
	s_cbranch_scc0 .LBB7_1881
; %bb.1873:
	global_load_b32 v1, v[22:23], off
	s_mov_b32 s13, 0
	s_mov_b32 s15, -1
	s_wait_loadcnt 0x0
	v_lshlrev_b32_e32 v1, 16, v1
	s_delay_alu instid0(VALU_DEP_1) | instskip(NEXT) | instid1(VALU_DEP_1)
	v_trunc_f32_e32 v1, v1
	v_mul_f32_e64 v3, 0x2f800000, |v1|
	s_delay_alu instid0(VALU_DEP_1) | instskip(NEXT) | instid1(VALU_DEP_1)
	v_floor_f32_e32 v3, v3
	v_fma_f32 v3, 0xcf800000, v3, |v1|
	v_ashrrev_i32_e32 v1, 31, v1
	s_delay_alu instid0(VALU_DEP_2) | instskip(NEXT) | instid1(VALU_DEP_1)
	v_cvt_u32_f32_e32 v3, v3
	v_xor_b32_e32 v3, v3, v1
	s_delay_alu instid0(VALU_DEP_1)
	v_sub_nc_u32_e32 v20, v3, v1
	s_branch .LBB7_1883
.LBB7_1874:
	s_mov_b32 s15, 0
                                        ; implicit-def: $vgpr20
	s_cbranch_execnz .LBB7_1945
.LBB7_1875:
	s_and_not1_b32 vcc_lo, exec_lo, s15
	s_cbranch_vccnz .LBB7_2717
	s_branch .LBB7_1993
.LBB7_1876:
	s_mov_b32 s16, -1
	s_mov_b32 s15, 0
	s_mov_b32 s13, 0
                                        ; implicit-def: $vgpr20
	s_branch .LBB7_1910
.LBB7_1877:
	s_mov_b32 s16, -1
	s_mov_b32 s15, 0
	s_mov_b32 s13, 0
                                        ; implicit-def: $vgpr20
	s_branch .LBB7_1893
.LBB7_1878:
	s_mov_b32 s16, -1
	s_mov_b32 s15, 0
	s_mov_b32 s13, 0
                                        ; implicit-def: $vgpr20
	s_branch .LBB7_1888
.LBB7_1879:
	s_or_b32 s10, s10, exec_lo
	s_trap 2
	s_cbranch_execz .LBB7_1815
	s_branch .LBB7_1816
.LBB7_1880:
	s_mov_b32 s16, -1
	s_mov_b32 s15, 0
	s_mov_b32 s13, 0
	s_branch .LBB7_1882
.LBB7_1881:
	s_mov_b32 s13, -1
	s_mov_b32 s15, 0
.LBB7_1882:
                                        ; implicit-def: $vgpr20
.LBB7_1883:
	s_and_b32 vcc_lo, exec_lo, s16
	s_cbranch_vccz .LBB7_1887
; %bb.1884:
	s_cmp_eq_u32 s11, 44
	s_cbranch_scc0 .LBB7_1886
; %bb.1885:
	global_load_u8 v1, v[22:23], off
	s_mov_b32 s13, 0
	s_mov_b32 s15, -1
	s_wait_loadcnt 0x0
	v_lshlrev_b32_e32 v3, 23, v1
	v_cmp_ne_u32_e32 vcc_lo, 0, v1
	s_delay_alu instid0(VALU_DEP_2) | instskip(NEXT) | instid1(VALU_DEP_1)
	v_trunc_f32_e32 v3, v3
	v_mul_f32_e64 v5, 0x2f800000, |v3|
	s_delay_alu instid0(VALU_DEP_1) | instskip(NEXT) | instid1(VALU_DEP_1)
	v_floor_f32_e32 v5, v5
	v_fma_f32 v5, 0xcf800000, v5, |v3|
	v_ashrrev_i32_e32 v3, 31, v3
	s_delay_alu instid0(VALU_DEP_2) | instskip(NEXT) | instid1(VALU_DEP_1)
	v_cvt_u32_f32_e32 v5, v5
	v_xor_b32_e32 v5, v5, v3
	s_delay_alu instid0(VALU_DEP_1) | instskip(NEXT) | instid1(VALU_DEP_1)
	v_sub_nc_u32_e32 v3, v5, v3
	v_cndmask_b32_e32 v20, 0, v3, vcc_lo
	s_branch .LBB7_1887
.LBB7_1886:
	s_mov_b32 s13, -1
                                        ; implicit-def: $vgpr20
.LBB7_1887:
	s_mov_b32 s16, 0
.LBB7_1888:
	s_delay_alu instid0(SALU_CYCLE_1)
	s_and_b32 vcc_lo, exec_lo, s16
	s_cbranch_vccz .LBB7_1892
; %bb.1889:
	s_cmp_eq_u32 s11, 29
	s_cbranch_scc0 .LBB7_1891
; %bb.1890:
	global_load_b64 v[20:21], v[22:23], off
	s_mov_b32 s13, 0
	s_mov_b32 s15, -1
	s_branch .LBB7_1892
.LBB7_1891:
	s_mov_b32 s13, -1
                                        ; implicit-def: $vgpr20
.LBB7_1892:
	s_mov_b32 s16, 0
.LBB7_1893:
	s_delay_alu instid0(SALU_CYCLE_1)
	s_and_b32 vcc_lo, exec_lo, s16
	s_cbranch_vccz .LBB7_1909
; %bb.1894:
	s_cmp_lt_i32 s11, 27
	s_cbranch_scc1 .LBB7_1897
; %bb.1895:
	s_cmp_gt_i32 s11, 27
	s_cbranch_scc0 .LBB7_1898
; %bb.1896:
	s_wait_loadcnt 0x0
	global_load_b32 v20, v[22:23], off
	s_mov_b32 s15, 0
	s_branch .LBB7_1899
.LBB7_1897:
	s_mov_b32 s15, -1
                                        ; implicit-def: $vgpr20
	s_branch .LBB7_1902
.LBB7_1898:
	s_mov_b32 s15, -1
                                        ; implicit-def: $vgpr20
.LBB7_1899:
	s_delay_alu instid0(SALU_CYCLE_1)
	s_and_not1_b32 vcc_lo, exec_lo, s15
	s_cbranch_vccnz .LBB7_1901
; %bb.1900:
	s_wait_loadcnt 0x0
	global_load_u16 v20, v[22:23], off
.LBB7_1901:
	s_mov_b32 s15, 0
.LBB7_1902:
	s_delay_alu instid0(SALU_CYCLE_1)
	s_and_not1_b32 vcc_lo, exec_lo, s15
	s_cbranch_vccnz .LBB7_1908
; %bb.1903:
	global_load_u8 v1, v[22:23], off
	s_mov_b32 s16, 0
	s_mov_b32 s15, exec_lo
	s_wait_loadcnt 0x0
	v_cmpx_lt_i16_e32 0x7f, v1
	s_xor_b32 s15, exec_lo, s15
	s_cbranch_execz .LBB7_1920
; %bb.1904:
	v_cmp_ne_u16_e32 vcc_lo, 0x80, v1
	s_and_b32 s16, vcc_lo, exec_lo
	s_and_not1_saveexec_b32 s15, s15
	s_cbranch_execnz .LBB7_1921
.LBB7_1905:
	s_or_b32 exec_lo, exec_lo, s15
	v_mov_b32_e32 v20, 0
	s_and_saveexec_b32 s15, s16
	s_cbranch_execz .LBB7_1907
.LBB7_1906:
	v_and_b32_e32 v3, 0xffff, v1
	s_delay_alu instid0(VALU_DEP_1) | instskip(SKIP_1) | instid1(VALU_DEP_2)
	v_dual_lshlrev_b32 v1, 24, v1 :: v_dual_bitop2_b32 v5, 7, v3 bitop3:0x40
	v_bfe_u32 v11, v3, 3, 4
	v_and_b32_e32 v1, 0x80000000, v1
	s_delay_alu instid0(VALU_DEP_3) | instskip(NEXT) | instid1(VALU_DEP_3)
	v_clz_i32_u32_e32 v7, v5
	v_cmp_eq_u32_e32 vcc_lo, 0, v11
	s_delay_alu instid0(VALU_DEP_2) | instskip(NEXT) | instid1(VALU_DEP_1)
	v_min_u32_e32 v7, 32, v7
	v_subrev_nc_u32_e32 v9, 28, v7
	v_sub_nc_u32_e32 v7, 29, v7
	s_delay_alu instid0(VALU_DEP_2) | instskip(NEXT) | instid1(VALU_DEP_2)
	v_lshlrev_b32_e32 v3, v9, v3
	v_cndmask_b32_e32 v7, v11, v7, vcc_lo
	s_delay_alu instid0(VALU_DEP_2) | instskip(NEXT) | instid1(VALU_DEP_1)
	v_and_b32_e32 v3, 7, v3
	v_cndmask_b32_e32 v3, v5, v3, vcc_lo
	s_delay_alu instid0(VALU_DEP_3) | instskip(NEXT) | instid1(VALU_DEP_2)
	v_lshl_add_u32 v5, v7, 23, 0x3b800000
	v_lshlrev_b32_e32 v3, 20, v3
	s_delay_alu instid0(VALU_DEP_1) | instskip(NEXT) | instid1(VALU_DEP_1)
	v_or3_b32 v1, v1, v5, v3
	v_trunc_f32_e32 v1, v1
	s_delay_alu instid0(VALU_DEP_1) | instskip(NEXT) | instid1(VALU_DEP_1)
	v_mul_f32_e64 v3, 0x2f800000, |v1|
	v_floor_f32_e32 v3, v3
	s_delay_alu instid0(VALU_DEP_1) | instskip(SKIP_1) | instid1(VALU_DEP_2)
	v_fma_f32 v3, 0xcf800000, v3, |v1|
	v_ashrrev_i32_e32 v1, 31, v1
	v_cvt_u32_f32_e32 v3, v3
	s_delay_alu instid0(VALU_DEP_1) | instskip(NEXT) | instid1(VALU_DEP_1)
	v_xor_b32_e32 v3, v3, v1
	v_sub_nc_u32_e32 v20, v3, v1
.LBB7_1907:
	s_or_b32 exec_lo, exec_lo, s15
.LBB7_1908:
	s_mov_b32 s15, -1
.LBB7_1909:
	s_mov_b32 s16, 0
.LBB7_1910:
	s_delay_alu instid0(SALU_CYCLE_1)
	s_and_b32 vcc_lo, exec_lo, s16
	s_cbranch_vccz .LBB7_1941
; %bb.1911:
	s_cmp_gt_i32 s11, 22
	s_cbranch_scc0 .LBB7_1919
; %bb.1912:
	s_cmp_lt_i32 s11, 24
	s_cbranch_scc1 .LBB7_1922
; %bb.1913:
	s_cmp_gt_i32 s11, 24
	s_cbranch_scc0 .LBB7_1923
; %bb.1914:
	global_load_u8 v1, v[22:23], off
	s_mov_b32 s15, 0
	s_mov_b32 s14, exec_lo
	s_wait_loadcnt 0x0
	v_cmpx_lt_i16_e32 0x7f, v1
	s_xor_b32 s14, exec_lo, s14
	s_cbranch_execz .LBB7_1935
; %bb.1915:
	v_cmp_ne_u16_e32 vcc_lo, 0x80, v1
	s_and_b32 s15, vcc_lo, exec_lo
	s_and_not1_saveexec_b32 s14, s14
	s_cbranch_execnz .LBB7_1936
.LBB7_1916:
	s_or_b32 exec_lo, exec_lo, s14
	v_mov_b32_e32 v20, 0
	s_and_saveexec_b32 s14, s15
	s_cbranch_execz .LBB7_1918
.LBB7_1917:
	v_and_b32_e32 v3, 0xffff, v1
	s_delay_alu instid0(VALU_DEP_1) | instskip(SKIP_1) | instid1(VALU_DEP_2)
	v_dual_lshlrev_b32 v1, 24, v1 :: v_dual_bitop2_b32 v5, 3, v3 bitop3:0x40
	v_bfe_u32 v11, v3, 2, 5
	v_and_b32_e32 v1, 0x80000000, v1
	s_delay_alu instid0(VALU_DEP_3) | instskip(NEXT) | instid1(VALU_DEP_3)
	v_clz_i32_u32_e32 v7, v5
	v_cmp_eq_u32_e32 vcc_lo, 0, v11
	s_delay_alu instid0(VALU_DEP_2) | instskip(NEXT) | instid1(VALU_DEP_1)
	v_min_u32_e32 v7, 32, v7
	v_subrev_nc_u32_e32 v9, 29, v7
	v_sub_nc_u32_e32 v7, 30, v7
	s_delay_alu instid0(VALU_DEP_2) | instskip(NEXT) | instid1(VALU_DEP_2)
	v_lshlrev_b32_e32 v3, v9, v3
	v_cndmask_b32_e32 v7, v11, v7, vcc_lo
	s_delay_alu instid0(VALU_DEP_2) | instskip(NEXT) | instid1(VALU_DEP_1)
	v_and_b32_e32 v3, 3, v3
	v_cndmask_b32_e32 v3, v5, v3, vcc_lo
	s_delay_alu instid0(VALU_DEP_3) | instskip(NEXT) | instid1(VALU_DEP_2)
	v_lshl_add_u32 v5, v7, 23, 0x37800000
	v_lshlrev_b32_e32 v3, 21, v3
	s_delay_alu instid0(VALU_DEP_1) | instskip(NEXT) | instid1(VALU_DEP_1)
	v_or3_b32 v1, v1, v5, v3
	v_trunc_f32_e32 v1, v1
	s_delay_alu instid0(VALU_DEP_1) | instskip(NEXT) | instid1(VALU_DEP_1)
	v_mul_f32_e64 v3, 0x2f800000, |v1|
	v_floor_f32_e32 v3, v3
	s_delay_alu instid0(VALU_DEP_1) | instskip(SKIP_1) | instid1(VALU_DEP_2)
	v_fma_f32 v3, 0xcf800000, v3, |v1|
	v_ashrrev_i32_e32 v1, 31, v1
	v_cvt_u32_f32_e32 v3, v3
	s_delay_alu instid0(VALU_DEP_1) | instskip(NEXT) | instid1(VALU_DEP_1)
	v_xor_b32_e32 v3, v3, v1
	v_sub_nc_u32_e32 v20, v3, v1
.LBB7_1918:
	s_or_b32 exec_lo, exec_lo, s14
	s_mov_b32 s14, 0
	s_branch .LBB7_1924
.LBB7_1919:
	s_mov_b32 s14, -1
                                        ; implicit-def: $vgpr20
	s_branch .LBB7_1930
.LBB7_1920:
	s_and_not1_saveexec_b32 s15, s15
	s_cbranch_execz .LBB7_1905
.LBB7_1921:
	v_cmp_ne_u16_e32 vcc_lo, 0, v1
	s_and_not1_b32 s16, s16, exec_lo
	s_and_b32 s17, vcc_lo, exec_lo
	s_delay_alu instid0(SALU_CYCLE_1)
	s_or_b32 s16, s16, s17
	s_or_b32 exec_lo, exec_lo, s15
	v_mov_b32_e32 v20, 0
	s_and_saveexec_b32 s15, s16
	s_cbranch_execnz .LBB7_1906
	s_branch .LBB7_1907
.LBB7_1922:
	s_mov_b32 s14, -1
                                        ; implicit-def: $vgpr20
	s_branch .LBB7_1927
.LBB7_1923:
	s_mov_b32 s14, -1
                                        ; implicit-def: $vgpr20
.LBB7_1924:
	s_delay_alu instid0(SALU_CYCLE_1)
	s_and_b32 vcc_lo, exec_lo, s14
	s_cbranch_vccz .LBB7_1926
; %bb.1925:
	global_load_u8 v1, v[22:23], off
	s_wait_loadcnt 0x0
	v_lshlrev_b32_e32 v1, 24, v1
	s_delay_alu instid0(VALU_DEP_1) | instskip(NEXT) | instid1(VALU_DEP_1)
	v_and_b32_e32 v3, 0x7f000000, v1
	v_clz_i32_u32_e32 v5, v3
	v_add_nc_u32_e32 v9, 0x1000000, v3
	v_cmp_ne_u32_e32 vcc_lo, 0, v3
	s_delay_alu instid0(VALU_DEP_3) | instskip(NEXT) | instid1(VALU_DEP_1)
	v_min_u32_e32 v5, 32, v5
	v_sub_nc_u32_e64 v5, v5, 4 clamp
	s_delay_alu instid0(VALU_DEP_1) | instskip(NEXT) | instid1(VALU_DEP_1)
	v_dual_lshlrev_b32 v7, v5, v3 :: v_dual_lshlrev_b32 v5, 23, v5
	v_lshrrev_b32_e32 v7, 4, v7
	s_delay_alu instid0(VALU_DEP_1) | instskip(SKIP_1) | instid1(VALU_DEP_2)
	v_sub_nc_u32_e32 v5, v7, v5
	v_ashrrev_i32_e32 v7, 8, v9
	v_add_nc_u32_e32 v5, 0x3c000000, v5
	s_delay_alu instid0(VALU_DEP_1) | instskip(NEXT) | instid1(VALU_DEP_1)
	v_and_or_b32 v5, 0x7f800000, v7, v5
	v_cndmask_b32_e32 v3, 0, v5, vcc_lo
	s_delay_alu instid0(VALU_DEP_1) | instskip(NEXT) | instid1(VALU_DEP_1)
	v_and_or_b32 v1, 0x80000000, v1, v3
	v_trunc_f32_e32 v1, v1
	s_delay_alu instid0(VALU_DEP_1) | instskip(NEXT) | instid1(VALU_DEP_1)
	v_mul_f32_e64 v3, 0x2f800000, |v1|
	v_floor_f32_e32 v3, v3
	s_delay_alu instid0(VALU_DEP_1) | instskip(SKIP_1) | instid1(VALU_DEP_2)
	v_fma_f32 v3, 0xcf800000, v3, |v1|
	v_ashrrev_i32_e32 v1, 31, v1
	v_cvt_u32_f32_e32 v3, v3
	s_delay_alu instid0(VALU_DEP_1) | instskip(NEXT) | instid1(VALU_DEP_1)
	v_xor_b32_e32 v3, v3, v1
	v_sub_nc_u32_e32 v20, v3, v1
.LBB7_1926:
	s_mov_b32 s14, 0
.LBB7_1927:
	s_delay_alu instid0(SALU_CYCLE_1)
	s_and_not1_b32 vcc_lo, exec_lo, s14
	s_cbranch_vccnz .LBB7_1929
; %bb.1928:
	global_load_u8 v1, v[22:23], off
	s_wait_loadcnt 0x0
	v_lshlrev_b32_e32 v3, 25, v1
	v_lshlrev_b16 v1, 8, v1
	s_delay_alu instid0(VALU_DEP_1) | instskip(SKIP_1) | instid1(VALU_DEP_2)
	v_and_or_b32 v7, 0x7f00, v1, 0.5
	v_bfe_i32 v1, v1, 0, 16
	v_add_f32_e32 v7, -0.5, v7
	v_lshrrev_b32_e32 v5, 4, v3
	v_cmp_gt_u32_e32 vcc_lo, 0x8000000, v3
	s_delay_alu instid0(VALU_DEP_2) | instskip(NEXT) | instid1(VALU_DEP_1)
	v_or_b32_e32 v5, 0x70000000, v5
	v_mul_f32_e32 v5, 0x7800000, v5
	s_delay_alu instid0(VALU_DEP_1) | instskip(NEXT) | instid1(VALU_DEP_1)
	v_cndmask_b32_e32 v3, v5, v7, vcc_lo
	v_and_or_b32 v1, 0x80000000, v1, v3
	s_delay_alu instid0(VALU_DEP_1) | instskip(NEXT) | instid1(VALU_DEP_1)
	v_trunc_f32_e32 v1, v1
	v_mul_f32_e64 v3, 0x2f800000, |v1|
	s_delay_alu instid0(VALU_DEP_1) | instskip(NEXT) | instid1(VALU_DEP_1)
	v_floor_f32_e32 v3, v3
	v_fma_f32 v3, 0xcf800000, v3, |v1|
	v_ashrrev_i32_e32 v1, 31, v1
	s_delay_alu instid0(VALU_DEP_2) | instskip(NEXT) | instid1(VALU_DEP_1)
	v_cvt_u32_f32_e32 v3, v3
	v_xor_b32_e32 v3, v3, v1
	s_delay_alu instid0(VALU_DEP_1)
	v_sub_nc_u32_e32 v20, v3, v1
.LBB7_1929:
	s_mov_b32 s14, 0
	s_mov_b32 s15, -1
.LBB7_1930:
	s_and_not1_b32 vcc_lo, exec_lo, s14
	s_mov_b32 s14, 0
	s_cbranch_vccnz .LBB7_1941
; %bb.1931:
	s_cmp_gt_i32 s11, 14
	s_cbranch_scc0 .LBB7_1934
; %bb.1932:
	s_cmp_eq_u32 s11, 15
	s_cbranch_scc0 .LBB7_1937
; %bb.1933:
	global_load_u16 v1, v[22:23], off
	s_mov_b32 s13, 0
	s_mov_b32 s15, -1
	s_wait_loadcnt 0x0
	v_lshlrev_b32_e32 v1, 16, v1
	s_delay_alu instid0(VALU_DEP_1) | instskip(NEXT) | instid1(VALU_DEP_1)
	v_trunc_f32_e32 v1, v1
	v_mul_f32_e64 v3, 0x2f800000, |v1|
	s_delay_alu instid0(VALU_DEP_1) | instskip(NEXT) | instid1(VALU_DEP_1)
	v_floor_f32_e32 v3, v3
	v_fma_f32 v3, 0xcf800000, v3, |v1|
	v_ashrrev_i32_e32 v1, 31, v1
	s_delay_alu instid0(VALU_DEP_2) | instskip(NEXT) | instid1(VALU_DEP_1)
	v_cvt_u32_f32_e32 v3, v3
	v_xor_b32_e32 v3, v3, v1
	s_delay_alu instid0(VALU_DEP_1)
	v_sub_nc_u32_e32 v20, v3, v1
	s_branch .LBB7_1939
.LBB7_1934:
	s_mov_b32 s14, -1
	s_branch .LBB7_1938
.LBB7_1935:
	s_and_not1_saveexec_b32 s14, s14
	s_cbranch_execz .LBB7_1916
.LBB7_1936:
	v_cmp_ne_u16_e32 vcc_lo, 0, v1
	s_and_not1_b32 s15, s15, exec_lo
	s_and_b32 s16, vcc_lo, exec_lo
	s_delay_alu instid0(SALU_CYCLE_1)
	s_or_b32 s15, s15, s16
	s_or_b32 exec_lo, exec_lo, s14
	v_mov_b32_e32 v20, 0
	s_and_saveexec_b32 s14, s15
	s_cbranch_execnz .LBB7_1917
	s_branch .LBB7_1918
.LBB7_1937:
	s_mov_b32 s13, -1
.LBB7_1938:
                                        ; implicit-def: $vgpr20
.LBB7_1939:
	s_and_b32 vcc_lo, exec_lo, s14
	s_mov_b32 s14, 0
	s_cbranch_vccz .LBB7_1941
; %bb.1940:
	s_cmp_lg_u32 s11, 11
	s_mov_b32 s14, -1
	s_cselect_b32 s13, -1, 0
.LBB7_1941:
	s_delay_alu instid0(SALU_CYCLE_1)
	s_and_b32 vcc_lo, exec_lo, s13
	s_cbranch_vccnz .LBB7_2004
; %bb.1942:
	s_and_not1_b32 vcc_lo, exec_lo, s14
	s_cbranch_vccnz .LBB7_1944
.LBB7_1943:
	global_load_u8 v1, v[22:23], off
	s_mov_b32 s15, -1
	s_wait_loadcnt 0x0
	v_cmp_ne_u16_e32 vcc_lo, 0, v1
	v_cndmask_b32_e64 v20, 0, 1, vcc_lo
.LBB7_1944:
	s_branch .LBB7_1875
.LBB7_1945:
	s_cmp_lt_i32 s11, 5
	s_cbranch_scc1 .LBB7_1950
; %bb.1946:
	s_cmp_lt_i32 s11, 8
	s_cbranch_scc1 .LBB7_1951
; %bb.1947:
	;; [unrolled: 3-line block ×3, first 2 shown]
	s_cmp_gt_i32 s11, 9
	s_cbranch_scc0 .LBB7_1953
; %bb.1949:
	s_wait_loadcnt 0x0
	global_load_b64 v[20:21], v[22:23], off
	s_mov_b32 s13, 0
	s_wait_loadcnt 0x0
	v_trunc_f64_e32 v[20:21], v[20:21]
	s_delay_alu instid0(VALU_DEP_1) | instskip(NEXT) | instid1(VALU_DEP_1)
	v_ldexp_f64 v[24:25], v[20:21], 0xffffffe0
	v_floor_f64_e32 v[24:25], v[24:25]
	s_delay_alu instid0(VALU_DEP_1) | instskip(NEXT) | instid1(VALU_DEP_1)
	v_fmamk_f64 v[20:21], v[24:25], 0xc1f00000, v[20:21]
	v_cvt_u32_f64_e32 v20, v[20:21]
	s_branch .LBB7_1954
.LBB7_1950:
	s_mov_b32 s13, -1
                                        ; implicit-def: $vgpr20
	s_branch .LBB7_1972
.LBB7_1951:
	s_mov_b32 s13, -1
                                        ; implicit-def: $vgpr20
	s_branch .LBB7_1960
.LBB7_1952:
	s_mov_b32 s13, -1
                                        ; implicit-def: $vgpr20
	s_branch .LBB7_1957
.LBB7_1953:
	s_mov_b32 s13, -1
                                        ; implicit-def: $vgpr20
.LBB7_1954:
	s_delay_alu instid0(SALU_CYCLE_1)
	s_and_not1_b32 vcc_lo, exec_lo, s13
	s_cbranch_vccnz .LBB7_1956
; %bb.1955:
	global_load_b32 v1, v[22:23], off
	s_wait_loadcnt 0x0
	v_trunc_f32_e32 v1, v1
	s_delay_alu instid0(VALU_DEP_1) | instskip(NEXT) | instid1(VALU_DEP_1)
	v_mul_f32_e64 v3, 0x2f800000, |v1|
	v_floor_f32_e32 v3, v3
	s_delay_alu instid0(VALU_DEP_1) | instskip(SKIP_1) | instid1(VALU_DEP_2)
	v_fma_f32 v3, 0xcf800000, v3, |v1|
	v_ashrrev_i32_e32 v1, 31, v1
	v_cvt_u32_f32_e32 v3, v3
	s_delay_alu instid0(VALU_DEP_1) | instskip(NEXT) | instid1(VALU_DEP_1)
	v_xor_b32_e32 v3, v3, v1
	v_sub_nc_u32_e32 v20, v3, v1
.LBB7_1956:
	s_mov_b32 s13, 0
.LBB7_1957:
	s_delay_alu instid0(SALU_CYCLE_1)
	s_and_not1_b32 vcc_lo, exec_lo, s13
	s_cbranch_vccnz .LBB7_1959
; %bb.1958:
	global_load_b32 v1, v[22:23], off
	s_wait_loadcnt 0x0
	v_cvt_f32_f16_e32 v1, v1
	s_delay_alu instid0(VALU_DEP_1)
	v_cvt_i32_f32_e32 v20, v1
.LBB7_1959:
	s_mov_b32 s13, 0
.LBB7_1960:
	s_delay_alu instid0(SALU_CYCLE_1)
	s_and_not1_b32 vcc_lo, exec_lo, s13
	s_cbranch_vccnz .LBB7_1971
; %bb.1961:
	s_cmp_lt_i32 s11, 6
	s_cbranch_scc1 .LBB7_1964
; %bb.1962:
	s_cmp_gt_i32 s11, 6
	s_cbranch_scc0 .LBB7_1965
; %bb.1963:
	s_wait_loadcnt 0x0
	global_load_b64 v[20:21], v[22:23], off
	s_mov_b32 s13, 0
	s_wait_loadcnt 0x0
	v_trunc_f64_e32 v[20:21], v[20:21]
	s_delay_alu instid0(VALU_DEP_1) | instskip(NEXT) | instid1(VALU_DEP_1)
	v_ldexp_f64 v[24:25], v[20:21], 0xffffffe0
	v_floor_f64_e32 v[24:25], v[24:25]
	s_delay_alu instid0(VALU_DEP_1) | instskip(NEXT) | instid1(VALU_DEP_1)
	v_fmamk_f64 v[20:21], v[24:25], 0xc1f00000, v[20:21]
	v_cvt_u32_f64_e32 v20, v[20:21]
	s_branch .LBB7_1966
.LBB7_1964:
	s_mov_b32 s13, -1
                                        ; implicit-def: $vgpr20
	s_branch .LBB7_1969
.LBB7_1965:
	s_mov_b32 s13, -1
                                        ; implicit-def: $vgpr20
.LBB7_1966:
	s_delay_alu instid0(SALU_CYCLE_1)
	s_and_not1_b32 vcc_lo, exec_lo, s13
	s_cbranch_vccnz .LBB7_1968
; %bb.1967:
	global_load_b32 v1, v[22:23], off
	s_wait_loadcnt 0x0
	v_trunc_f32_e32 v1, v1
	s_delay_alu instid0(VALU_DEP_1) | instskip(NEXT) | instid1(VALU_DEP_1)
	v_mul_f32_e64 v3, 0x2f800000, |v1|
	v_floor_f32_e32 v3, v3
	s_delay_alu instid0(VALU_DEP_1) | instskip(SKIP_1) | instid1(VALU_DEP_2)
	v_fma_f32 v3, 0xcf800000, v3, |v1|
	v_ashrrev_i32_e32 v1, 31, v1
	v_cvt_u32_f32_e32 v3, v3
	s_delay_alu instid0(VALU_DEP_1) | instskip(NEXT) | instid1(VALU_DEP_1)
	v_xor_b32_e32 v3, v3, v1
	v_sub_nc_u32_e32 v20, v3, v1
.LBB7_1968:
	s_mov_b32 s13, 0
.LBB7_1969:
	s_delay_alu instid0(SALU_CYCLE_1)
	s_and_not1_b32 vcc_lo, exec_lo, s13
	s_cbranch_vccnz .LBB7_1971
; %bb.1970:
	global_load_u16 v1, v[22:23], off
	s_wait_loadcnt 0x0
	v_cvt_f32_f16_e32 v1, v1
	s_delay_alu instid0(VALU_DEP_1)
	v_cvt_i32_f32_e32 v20, v1
.LBB7_1971:
	s_mov_b32 s13, 0
.LBB7_1972:
	s_delay_alu instid0(SALU_CYCLE_1)
	s_and_not1_b32 vcc_lo, exec_lo, s13
	s_cbranch_vccnz .LBB7_1992
; %bb.1973:
	s_cmp_lt_i32 s11, 2
	s_cbranch_scc1 .LBB7_1977
; %bb.1974:
	s_cmp_lt_i32 s11, 3
	s_cbranch_scc1 .LBB7_1978
; %bb.1975:
	s_cmp_gt_i32 s11, 3
	s_cbranch_scc0 .LBB7_1979
; %bb.1976:
	s_wait_loadcnt 0x0
	global_load_b64 v[20:21], v[22:23], off
	s_mov_b32 s13, 0
	s_branch .LBB7_1980
.LBB7_1977:
	s_mov_b32 s13, -1
                                        ; implicit-def: $vgpr20
	s_branch .LBB7_1986
.LBB7_1978:
	s_mov_b32 s13, -1
                                        ; implicit-def: $vgpr20
	s_branch .LBB7_1983
.LBB7_1979:
	s_mov_b32 s13, -1
                                        ; implicit-def: $vgpr20
.LBB7_1980:
	s_delay_alu instid0(SALU_CYCLE_1)
	s_and_not1_b32 vcc_lo, exec_lo, s13
	s_cbranch_vccnz .LBB7_1982
; %bb.1981:
	s_wait_loadcnt 0x0
	global_load_b32 v20, v[22:23], off
.LBB7_1982:
	s_mov_b32 s13, 0
.LBB7_1983:
	s_delay_alu instid0(SALU_CYCLE_1)
	s_and_not1_b32 vcc_lo, exec_lo, s13
	s_cbranch_vccnz .LBB7_1985
; %bb.1984:
	s_wait_loadcnt 0x0
	global_load_u16 v20, v[22:23], off
.LBB7_1985:
	s_mov_b32 s13, 0
.LBB7_1986:
	s_delay_alu instid0(SALU_CYCLE_1)
	s_and_not1_b32 vcc_lo, exec_lo, s13
	s_cbranch_vccnz .LBB7_1992
; %bb.1987:
	s_cmp_gt_i32 s11, 0
	s_mov_b32 s13, 0
	s_cbranch_scc0 .LBB7_1989
; %bb.1988:
	s_wait_loadcnt 0x0
	global_load_u8 v20, v[22:23], off
	s_branch .LBB7_1990
.LBB7_1989:
	s_mov_b32 s13, -1
                                        ; implicit-def: $vgpr20
.LBB7_1990:
	s_delay_alu instid0(SALU_CYCLE_1)
	s_and_not1_b32 vcc_lo, exec_lo, s13
	s_cbranch_vccnz .LBB7_1992
; %bb.1991:
	s_wait_loadcnt 0x0
	global_load_u8 v20, v[22:23], off
.LBB7_1992:
.LBB7_1993:
	v_mov_b32_e32 v13, 0
	s_and_b32 s12, 0xffff, s12
	s_delay_alu instid0(SALU_CYCLE_1) | instskip(SKIP_1) | instid1(VALU_DEP_1)
	s_cmp_lt_i32 s12, 11
	s_wait_xcnt 0x0
	v_add_nc_u64_e32 v[22:23], s[0:1], v[12:13]
	s_cbranch_scc1 .LBB7_2000
; %bb.1994:
	s_cmp_gt_i32 s12, 25
	s_mov_b32 s14, 0
	s_cbranch_scc0 .LBB7_2001
; %bb.1995:
	s_cmp_gt_i32 s12, 28
	s_cbranch_scc0 .LBB7_2002
; %bb.1996:
	s_cmp_gt_i32 s12, 43
	;; [unrolled: 3-line block ×3, first 2 shown]
	s_cbranch_scc0 .LBB7_2005
; %bb.1998:
	s_cmp_eq_u32 s12, 46
	s_mov_b32 s16, 0
	s_cbranch_scc0 .LBB7_2006
; %bb.1999:
	global_load_b32 v1, v[22:23], off
	s_mov_b32 s13, 0
	s_mov_b32 s15, -1
	s_wait_loadcnt 0x0
	v_lshlrev_b32_e32 v1, 16, v1
	s_delay_alu instid0(VALU_DEP_1) | instskip(NEXT) | instid1(VALU_DEP_1)
	v_trunc_f32_e32 v1, v1
	v_mul_f32_e64 v3, 0x2f800000, |v1|
	s_delay_alu instid0(VALU_DEP_1) | instskip(NEXT) | instid1(VALU_DEP_1)
	v_floor_f32_e32 v3, v3
	v_fma_f32 v3, 0xcf800000, v3, |v1|
	v_ashrrev_i32_e32 v1, 31, v1
	s_delay_alu instid0(VALU_DEP_2) | instskip(NEXT) | instid1(VALU_DEP_1)
	v_cvt_u32_f32_e32 v3, v3
	v_xor_b32_e32 v3, v3, v1
	s_delay_alu instid0(VALU_DEP_1)
	v_sub_nc_u32_e32 v12, v3, v1
	s_branch .LBB7_2008
.LBB7_2000:
	s_mov_b32 s13, -1
	s_mov_b32 s15, 0
                                        ; implicit-def: $vgpr12
	s_branch .LBB7_2070
.LBB7_2001:
	s_mov_b32 s16, -1
	s_mov_b32 s15, 0
	s_mov_b32 s13, 0
                                        ; implicit-def: $vgpr12
	s_branch .LBB7_2035
.LBB7_2002:
	s_mov_b32 s16, -1
	s_mov_b32 s15, 0
	s_mov_b32 s13, 0
                                        ; implicit-def: $vgpr12
	s_branch .LBB7_2018
.LBB7_2003:
	s_mov_b32 s16, -1
	s_mov_b32 s15, 0
	s_mov_b32 s13, 0
                                        ; implicit-def: $vgpr12
	s_branch .LBB7_2013
.LBB7_2004:
	s_or_b32 s10, s10, exec_lo
	s_trap 2
	s_cbranch_execz .LBB7_1943
	s_branch .LBB7_1944
.LBB7_2005:
	s_mov_b32 s16, -1
	s_mov_b32 s15, 0
	s_mov_b32 s13, 0
	s_branch .LBB7_2007
.LBB7_2006:
	s_mov_b32 s13, -1
	s_mov_b32 s15, 0
.LBB7_2007:
                                        ; implicit-def: $vgpr12
.LBB7_2008:
	s_and_b32 vcc_lo, exec_lo, s16
	s_cbranch_vccz .LBB7_2012
; %bb.2009:
	s_cmp_eq_u32 s12, 44
	s_cbranch_scc0 .LBB7_2011
; %bb.2010:
	global_load_u8 v1, v[22:23], off
	s_mov_b32 s13, 0
	s_mov_b32 s15, -1
	s_wait_loadcnt 0x0
	v_lshlrev_b32_e32 v3, 23, v1
	v_cmp_ne_u32_e32 vcc_lo, 0, v1
	s_delay_alu instid0(VALU_DEP_2) | instskip(NEXT) | instid1(VALU_DEP_1)
	v_trunc_f32_e32 v3, v3
	v_mul_f32_e64 v5, 0x2f800000, |v3|
	s_delay_alu instid0(VALU_DEP_1) | instskip(NEXT) | instid1(VALU_DEP_1)
	v_floor_f32_e32 v5, v5
	v_fma_f32 v5, 0xcf800000, v5, |v3|
	v_ashrrev_i32_e32 v3, 31, v3
	s_delay_alu instid0(VALU_DEP_2) | instskip(NEXT) | instid1(VALU_DEP_1)
	v_cvt_u32_f32_e32 v5, v5
	v_xor_b32_e32 v5, v5, v3
	s_delay_alu instid0(VALU_DEP_1) | instskip(NEXT) | instid1(VALU_DEP_1)
	v_sub_nc_u32_e32 v3, v5, v3
	v_cndmask_b32_e32 v12, 0, v3, vcc_lo
	s_branch .LBB7_2012
.LBB7_2011:
	s_mov_b32 s13, -1
                                        ; implicit-def: $vgpr12
.LBB7_2012:
	s_mov_b32 s16, 0
.LBB7_2013:
	s_delay_alu instid0(SALU_CYCLE_1)
	s_and_b32 vcc_lo, exec_lo, s16
	s_cbranch_vccz .LBB7_2017
; %bb.2014:
	s_cmp_eq_u32 s12, 29
	s_cbranch_scc0 .LBB7_2016
; %bb.2015:
	global_load_b64 v[12:13], v[22:23], off
	s_mov_b32 s13, 0
	s_mov_b32 s15, -1
	s_branch .LBB7_2017
.LBB7_2016:
	s_mov_b32 s13, -1
                                        ; implicit-def: $vgpr12
.LBB7_2017:
	s_mov_b32 s16, 0
.LBB7_2018:
	s_delay_alu instid0(SALU_CYCLE_1)
	s_and_b32 vcc_lo, exec_lo, s16
	s_cbranch_vccz .LBB7_2034
; %bb.2019:
	s_cmp_lt_i32 s12, 27
	s_cbranch_scc1 .LBB7_2022
; %bb.2020:
	s_cmp_gt_i32 s12, 27
	s_cbranch_scc0 .LBB7_2023
; %bb.2021:
	s_wait_loadcnt 0x0
	global_load_b32 v12, v[22:23], off
	s_mov_b32 s15, 0
	s_branch .LBB7_2024
.LBB7_2022:
	s_mov_b32 s15, -1
                                        ; implicit-def: $vgpr12
	s_branch .LBB7_2027
.LBB7_2023:
	s_mov_b32 s15, -1
                                        ; implicit-def: $vgpr12
.LBB7_2024:
	s_delay_alu instid0(SALU_CYCLE_1)
	s_and_not1_b32 vcc_lo, exec_lo, s15
	s_cbranch_vccnz .LBB7_2026
; %bb.2025:
	s_wait_loadcnt 0x0
	global_load_u16 v12, v[22:23], off
.LBB7_2026:
	s_mov_b32 s15, 0
.LBB7_2027:
	s_delay_alu instid0(SALU_CYCLE_1)
	s_and_not1_b32 vcc_lo, exec_lo, s15
	s_cbranch_vccnz .LBB7_2033
; %bb.2028:
	global_load_u8 v1, v[22:23], off
	s_mov_b32 s16, 0
	s_mov_b32 s15, exec_lo
	s_wait_loadcnt 0x0
	v_cmpx_lt_i16_e32 0x7f, v1
	s_xor_b32 s15, exec_lo, s15
	s_cbranch_execz .LBB7_2045
; %bb.2029:
	v_cmp_ne_u16_e32 vcc_lo, 0x80, v1
	s_and_b32 s16, vcc_lo, exec_lo
	s_and_not1_saveexec_b32 s15, s15
	s_cbranch_execnz .LBB7_2046
.LBB7_2030:
	s_or_b32 exec_lo, exec_lo, s15
	v_mov_b32_e32 v12, 0
	s_and_saveexec_b32 s15, s16
	s_cbranch_execz .LBB7_2032
.LBB7_2031:
	v_and_b32_e32 v3, 0xffff, v1
	s_delay_alu instid0(VALU_DEP_1) | instskip(SKIP_1) | instid1(VALU_DEP_2)
	v_dual_lshlrev_b32 v1, 24, v1 :: v_dual_bitop2_b32 v5, 7, v3 bitop3:0x40
	v_bfe_u32 v11, v3, 3, 4
	v_and_b32_e32 v1, 0x80000000, v1
	s_delay_alu instid0(VALU_DEP_3) | instskip(NEXT) | instid1(VALU_DEP_3)
	v_clz_i32_u32_e32 v7, v5
	v_cmp_eq_u32_e32 vcc_lo, 0, v11
	s_delay_alu instid0(VALU_DEP_2) | instskip(NEXT) | instid1(VALU_DEP_1)
	v_min_u32_e32 v7, 32, v7
	v_subrev_nc_u32_e32 v9, 28, v7
	v_sub_nc_u32_e32 v7, 29, v7
	s_delay_alu instid0(VALU_DEP_2) | instskip(NEXT) | instid1(VALU_DEP_2)
	v_lshlrev_b32_e32 v3, v9, v3
	v_cndmask_b32_e32 v7, v11, v7, vcc_lo
	s_delay_alu instid0(VALU_DEP_2) | instskip(NEXT) | instid1(VALU_DEP_1)
	v_and_b32_e32 v3, 7, v3
	v_cndmask_b32_e32 v3, v5, v3, vcc_lo
	s_delay_alu instid0(VALU_DEP_3) | instskip(NEXT) | instid1(VALU_DEP_2)
	v_lshl_add_u32 v5, v7, 23, 0x3b800000
	v_lshlrev_b32_e32 v3, 20, v3
	s_delay_alu instid0(VALU_DEP_1) | instskip(NEXT) | instid1(VALU_DEP_1)
	v_or3_b32 v1, v1, v5, v3
	v_trunc_f32_e32 v1, v1
	s_delay_alu instid0(VALU_DEP_1) | instskip(NEXT) | instid1(VALU_DEP_1)
	v_mul_f32_e64 v3, 0x2f800000, |v1|
	v_floor_f32_e32 v3, v3
	s_delay_alu instid0(VALU_DEP_1) | instskip(SKIP_1) | instid1(VALU_DEP_2)
	v_fma_f32 v3, 0xcf800000, v3, |v1|
	v_ashrrev_i32_e32 v1, 31, v1
	v_cvt_u32_f32_e32 v3, v3
	s_delay_alu instid0(VALU_DEP_1) | instskip(NEXT) | instid1(VALU_DEP_1)
	v_xor_b32_e32 v3, v3, v1
	v_sub_nc_u32_e32 v12, v3, v1
.LBB7_2032:
	s_or_b32 exec_lo, exec_lo, s15
.LBB7_2033:
	s_mov_b32 s15, -1
.LBB7_2034:
	s_mov_b32 s16, 0
.LBB7_2035:
	s_delay_alu instid0(SALU_CYCLE_1)
	s_and_b32 vcc_lo, exec_lo, s16
	s_cbranch_vccz .LBB7_2066
; %bb.2036:
	s_cmp_gt_i32 s12, 22
	s_cbranch_scc0 .LBB7_2044
; %bb.2037:
	s_cmp_lt_i32 s12, 24
	s_cbranch_scc1 .LBB7_2047
; %bb.2038:
	s_cmp_gt_i32 s12, 24
	s_cbranch_scc0 .LBB7_2048
; %bb.2039:
	global_load_u8 v1, v[22:23], off
	s_mov_b32 s15, 0
	s_mov_b32 s14, exec_lo
	s_wait_loadcnt 0x0
	v_cmpx_lt_i16_e32 0x7f, v1
	s_xor_b32 s14, exec_lo, s14
	s_cbranch_execz .LBB7_2060
; %bb.2040:
	v_cmp_ne_u16_e32 vcc_lo, 0x80, v1
	s_and_b32 s15, vcc_lo, exec_lo
	s_and_not1_saveexec_b32 s14, s14
	s_cbranch_execnz .LBB7_2061
.LBB7_2041:
	s_or_b32 exec_lo, exec_lo, s14
	v_mov_b32_e32 v12, 0
	s_and_saveexec_b32 s14, s15
	s_cbranch_execz .LBB7_2043
.LBB7_2042:
	v_and_b32_e32 v3, 0xffff, v1
	s_delay_alu instid0(VALU_DEP_1) | instskip(SKIP_1) | instid1(VALU_DEP_2)
	v_dual_lshlrev_b32 v1, 24, v1 :: v_dual_bitop2_b32 v5, 3, v3 bitop3:0x40
	v_bfe_u32 v11, v3, 2, 5
	v_and_b32_e32 v1, 0x80000000, v1
	s_delay_alu instid0(VALU_DEP_3) | instskip(NEXT) | instid1(VALU_DEP_3)
	v_clz_i32_u32_e32 v7, v5
	v_cmp_eq_u32_e32 vcc_lo, 0, v11
	s_delay_alu instid0(VALU_DEP_2) | instskip(NEXT) | instid1(VALU_DEP_1)
	v_min_u32_e32 v7, 32, v7
	v_subrev_nc_u32_e32 v9, 29, v7
	v_sub_nc_u32_e32 v7, 30, v7
	s_delay_alu instid0(VALU_DEP_2) | instskip(NEXT) | instid1(VALU_DEP_2)
	v_lshlrev_b32_e32 v3, v9, v3
	v_cndmask_b32_e32 v7, v11, v7, vcc_lo
	s_delay_alu instid0(VALU_DEP_2) | instskip(NEXT) | instid1(VALU_DEP_1)
	v_and_b32_e32 v3, 3, v3
	v_cndmask_b32_e32 v3, v5, v3, vcc_lo
	s_delay_alu instid0(VALU_DEP_3) | instskip(NEXT) | instid1(VALU_DEP_2)
	v_lshl_add_u32 v5, v7, 23, 0x37800000
	v_lshlrev_b32_e32 v3, 21, v3
	s_delay_alu instid0(VALU_DEP_1) | instskip(NEXT) | instid1(VALU_DEP_1)
	v_or3_b32 v1, v1, v5, v3
	v_trunc_f32_e32 v1, v1
	s_delay_alu instid0(VALU_DEP_1) | instskip(NEXT) | instid1(VALU_DEP_1)
	v_mul_f32_e64 v3, 0x2f800000, |v1|
	v_floor_f32_e32 v3, v3
	s_delay_alu instid0(VALU_DEP_1) | instskip(SKIP_1) | instid1(VALU_DEP_2)
	v_fma_f32 v3, 0xcf800000, v3, |v1|
	v_ashrrev_i32_e32 v1, 31, v1
	v_cvt_u32_f32_e32 v3, v3
	s_delay_alu instid0(VALU_DEP_1) | instskip(NEXT) | instid1(VALU_DEP_1)
	v_xor_b32_e32 v3, v3, v1
	v_sub_nc_u32_e32 v12, v3, v1
.LBB7_2043:
	s_or_b32 exec_lo, exec_lo, s14
	s_mov_b32 s14, 0
	s_branch .LBB7_2049
.LBB7_2044:
	s_mov_b32 s14, -1
                                        ; implicit-def: $vgpr12
	s_branch .LBB7_2055
.LBB7_2045:
	s_and_not1_saveexec_b32 s15, s15
	s_cbranch_execz .LBB7_2030
.LBB7_2046:
	v_cmp_ne_u16_e32 vcc_lo, 0, v1
	s_and_not1_b32 s16, s16, exec_lo
	s_and_b32 s17, vcc_lo, exec_lo
	s_delay_alu instid0(SALU_CYCLE_1)
	s_or_b32 s16, s16, s17
	s_or_b32 exec_lo, exec_lo, s15
	v_mov_b32_e32 v12, 0
	s_and_saveexec_b32 s15, s16
	s_cbranch_execnz .LBB7_2031
	s_branch .LBB7_2032
.LBB7_2047:
	s_mov_b32 s14, -1
                                        ; implicit-def: $vgpr12
	s_branch .LBB7_2052
.LBB7_2048:
	s_mov_b32 s14, -1
                                        ; implicit-def: $vgpr12
.LBB7_2049:
	s_delay_alu instid0(SALU_CYCLE_1)
	s_and_b32 vcc_lo, exec_lo, s14
	s_cbranch_vccz .LBB7_2051
; %bb.2050:
	global_load_u8 v1, v[22:23], off
	s_wait_loadcnt 0x0
	v_lshlrev_b32_e32 v1, 24, v1
	s_delay_alu instid0(VALU_DEP_1) | instskip(NEXT) | instid1(VALU_DEP_1)
	v_and_b32_e32 v3, 0x7f000000, v1
	v_clz_i32_u32_e32 v5, v3
	v_add_nc_u32_e32 v9, 0x1000000, v3
	v_cmp_ne_u32_e32 vcc_lo, 0, v3
	s_delay_alu instid0(VALU_DEP_3) | instskip(NEXT) | instid1(VALU_DEP_1)
	v_min_u32_e32 v5, 32, v5
	v_sub_nc_u32_e64 v5, v5, 4 clamp
	s_delay_alu instid0(VALU_DEP_1) | instskip(NEXT) | instid1(VALU_DEP_1)
	v_dual_lshlrev_b32 v7, v5, v3 :: v_dual_lshlrev_b32 v5, 23, v5
	v_lshrrev_b32_e32 v7, 4, v7
	s_delay_alu instid0(VALU_DEP_1) | instskip(SKIP_1) | instid1(VALU_DEP_2)
	v_sub_nc_u32_e32 v5, v7, v5
	v_ashrrev_i32_e32 v7, 8, v9
	v_add_nc_u32_e32 v5, 0x3c000000, v5
	s_delay_alu instid0(VALU_DEP_1) | instskip(NEXT) | instid1(VALU_DEP_1)
	v_and_or_b32 v5, 0x7f800000, v7, v5
	v_cndmask_b32_e32 v3, 0, v5, vcc_lo
	s_delay_alu instid0(VALU_DEP_1) | instskip(NEXT) | instid1(VALU_DEP_1)
	v_and_or_b32 v1, 0x80000000, v1, v3
	v_trunc_f32_e32 v1, v1
	s_delay_alu instid0(VALU_DEP_1) | instskip(NEXT) | instid1(VALU_DEP_1)
	v_mul_f32_e64 v3, 0x2f800000, |v1|
	v_floor_f32_e32 v3, v3
	s_delay_alu instid0(VALU_DEP_1) | instskip(SKIP_1) | instid1(VALU_DEP_2)
	v_fma_f32 v3, 0xcf800000, v3, |v1|
	v_ashrrev_i32_e32 v1, 31, v1
	v_cvt_u32_f32_e32 v3, v3
	s_delay_alu instid0(VALU_DEP_1) | instskip(NEXT) | instid1(VALU_DEP_1)
	v_xor_b32_e32 v3, v3, v1
	v_sub_nc_u32_e32 v12, v3, v1
.LBB7_2051:
	s_mov_b32 s14, 0
.LBB7_2052:
	s_delay_alu instid0(SALU_CYCLE_1)
	s_and_not1_b32 vcc_lo, exec_lo, s14
	s_cbranch_vccnz .LBB7_2054
; %bb.2053:
	global_load_u8 v1, v[22:23], off
	s_wait_loadcnt 0x0
	v_lshlrev_b32_e32 v3, 25, v1
	v_lshlrev_b16 v1, 8, v1
	s_delay_alu instid0(VALU_DEP_1) | instskip(SKIP_1) | instid1(VALU_DEP_2)
	v_and_or_b32 v7, 0x7f00, v1, 0.5
	v_bfe_i32 v1, v1, 0, 16
	v_add_f32_e32 v7, -0.5, v7
	v_lshrrev_b32_e32 v5, 4, v3
	v_cmp_gt_u32_e32 vcc_lo, 0x8000000, v3
	s_delay_alu instid0(VALU_DEP_2) | instskip(NEXT) | instid1(VALU_DEP_1)
	v_or_b32_e32 v5, 0x70000000, v5
	v_mul_f32_e32 v5, 0x7800000, v5
	s_delay_alu instid0(VALU_DEP_1) | instskip(NEXT) | instid1(VALU_DEP_1)
	v_cndmask_b32_e32 v3, v5, v7, vcc_lo
	v_and_or_b32 v1, 0x80000000, v1, v3
	s_delay_alu instid0(VALU_DEP_1) | instskip(NEXT) | instid1(VALU_DEP_1)
	v_trunc_f32_e32 v1, v1
	v_mul_f32_e64 v3, 0x2f800000, |v1|
	s_delay_alu instid0(VALU_DEP_1) | instskip(NEXT) | instid1(VALU_DEP_1)
	v_floor_f32_e32 v3, v3
	v_fma_f32 v3, 0xcf800000, v3, |v1|
	v_ashrrev_i32_e32 v1, 31, v1
	s_delay_alu instid0(VALU_DEP_2) | instskip(NEXT) | instid1(VALU_DEP_1)
	v_cvt_u32_f32_e32 v3, v3
	v_xor_b32_e32 v3, v3, v1
	s_delay_alu instid0(VALU_DEP_1)
	v_sub_nc_u32_e32 v12, v3, v1
.LBB7_2054:
	s_mov_b32 s14, 0
	s_mov_b32 s15, -1
.LBB7_2055:
	s_and_not1_b32 vcc_lo, exec_lo, s14
	s_mov_b32 s14, 0
	s_cbranch_vccnz .LBB7_2066
; %bb.2056:
	s_cmp_gt_i32 s12, 14
	s_cbranch_scc0 .LBB7_2059
; %bb.2057:
	s_cmp_eq_u32 s12, 15
	s_cbranch_scc0 .LBB7_2062
; %bb.2058:
	global_load_u16 v1, v[22:23], off
	s_mov_b32 s13, 0
	s_mov_b32 s15, -1
	s_wait_loadcnt 0x0
	v_lshlrev_b32_e32 v1, 16, v1
	s_delay_alu instid0(VALU_DEP_1) | instskip(NEXT) | instid1(VALU_DEP_1)
	v_trunc_f32_e32 v1, v1
	v_mul_f32_e64 v3, 0x2f800000, |v1|
	s_delay_alu instid0(VALU_DEP_1) | instskip(NEXT) | instid1(VALU_DEP_1)
	v_floor_f32_e32 v3, v3
	v_fma_f32 v3, 0xcf800000, v3, |v1|
	v_ashrrev_i32_e32 v1, 31, v1
	s_delay_alu instid0(VALU_DEP_2) | instskip(NEXT) | instid1(VALU_DEP_1)
	v_cvt_u32_f32_e32 v3, v3
	v_xor_b32_e32 v3, v3, v1
	s_delay_alu instid0(VALU_DEP_1)
	v_sub_nc_u32_e32 v12, v3, v1
	s_branch .LBB7_2064
.LBB7_2059:
	s_mov_b32 s14, -1
	s_branch .LBB7_2063
.LBB7_2060:
	s_and_not1_saveexec_b32 s14, s14
	s_cbranch_execz .LBB7_2041
.LBB7_2061:
	v_cmp_ne_u16_e32 vcc_lo, 0, v1
	s_and_not1_b32 s15, s15, exec_lo
	s_and_b32 s16, vcc_lo, exec_lo
	s_delay_alu instid0(SALU_CYCLE_1)
	s_or_b32 s15, s15, s16
	s_or_b32 exec_lo, exec_lo, s14
	v_mov_b32_e32 v12, 0
	s_and_saveexec_b32 s14, s15
	s_cbranch_execnz .LBB7_2042
	s_branch .LBB7_2043
.LBB7_2062:
	s_mov_b32 s13, -1
.LBB7_2063:
                                        ; implicit-def: $vgpr12
.LBB7_2064:
	s_and_b32 vcc_lo, exec_lo, s14
	s_mov_b32 s14, 0
	s_cbranch_vccz .LBB7_2066
; %bb.2065:
	s_cmp_lg_u32 s12, 11
	s_mov_b32 s14, -1
	s_cselect_b32 s13, -1, 0
.LBB7_2066:
	s_delay_alu instid0(SALU_CYCLE_1)
	s_and_b32 vcc_lo, exec_lo, s13
	s_cbranch_vccnz .LBB7_2134
; %bb.2067:
	s_and_not1_b32 vcc_lo, exec_lo, s14
	s_cbranch_vccnz .LBB7_2069
.LBB7_2068:
	global_load_u8 v1, v[22:23], off
	s_mov_b32 s15, -1
	s_wait_loadcnt 0x0
	v_cmp_ne_u16_e32 vcc_lo, 0, v1
	v_cndmask_b32_e64 v12, 0, 1, vcc_lo
.LBB7_2069:
	s_mov_b32 s13, 0
.LBB7_2070:
	s_delay_alu instid0(SALU_CYCLE_1)
	s_and_b32 vcc_lo, exec_lo, s13
	s_cbranch_vccz .LBB7_2119
; %bb.2071:
	s_cmp_lt_i32 s12, 5
	s_cbranch_scc1 .LBB7_2076
; %bb.2072:
	s_cmp_lt_i32 s12, 8
	s_cbranch_scc1 .LBB7_2077
	;; [unrolled: 3-line block ×3, first 2 shown]
; %bb.2074:
	s_cmp_gt_i32 s12, 9
	s_cbranch_scc0 .LBB7_2079
; %bb.2075:
	s_wait_loadcnt 0x0
	global_load_b64 v[12:13], v[22:23], off
	s_mov_b32 s13, 0
	s_wait_loadcnt 0x0
	v_trunc_f64_e32 v[12:13], v[12:13]
	s_delay_alu instid0(VALU_DEP_1) | instskip(NEXT) | instid1(VALU_DEP_1)
	v_ldexp_f64 v[24:25], v[12:13], 0xffffffe0
	v_floor_f64_e32 v[24:25], v[24:25]
	s_delay_alu instid0(VALU_DEP_1) | instskip(NEXT) | instid1(VALU_DEP_1)
	v_fmamk_f64 v[12:13], v[24:25], 0xc1f00000, v[12:13]
	v_cvt_u32_f64_e32 v12, v[12:13]
	s_branch .LBB7_2080
.LBB7_2076:
	s_mov_b32 s13, -1
                                        ; implicit-def: $vgpr12
	s_branch .LBB7_2098
.LBB7_2077:
	s_mov_b32 s13, -1
                                        ; implicit-def: $vgpr12
	s_branch .LBB7_2086
.LBB7_2078:
	s_mov_b32 s13, -1
                                        ; implicit-def: $vgpr12
	s_branch .LBB7_2083
.LBB7_2079:
	s_mov_b32 s13, -1
                                        ; implicit-def: $vgpr12
.LBB7_2080:
	s_delay_alu instid0(SALU_CYCLE_1)
	s_and_not1_b32 vcc_lo, exec_lo, s13
	s_cbranch_vccnz .LBB7_2082
; %bb.2081:
	global_load_b32 v1, v[22:23], off
	s_wait_loadcnt 0x0
	v_trunc_f32_e32 v1, v1
	s_delay_alu instid0(VALU_DEP_1) | instskip(NEXT) | instid1(VALU_DEP_1)
	v_mul_f32_e64 v3, 0x2f800000, |v1|
	v_floor_f32_e32 v3, v3
	s_delay_alu instid0(VALU_DEP_1) | instskip(SKIP_1) | instid1(VALU_DEP_2)
	v_fma_f32 v3, 0xcf800000, v3, |v1|
	v_ashrrev_i32_e32 v1, 31, v1
	v_cvt_u32_f32_e32 v3, v3
	s_delay_alu instid0(VALU_DEP_1) | instskip(NEXT) | instid1(VALU_DEP_1)
	v_xor_b32_e32 v3, v3, v1
	v_sub_nc_u32_e32 v12, v3, v1
.LBB7_2082:
	s_mov_b32 s13, 0
.LBB7_2083:
	s_delay_alu instid0(SALU_CYCLE_1)
	s_and_not1_b32 vcc_lo, exec_lo, s13
	s_cbranch_vccnz .LBB7_2085
; %bb.2084:
	global_load_b32 v1, v[22:23], off
	s_wait_loadcnt 0x0
	v_cvt_f32_f16_e32 v1, v1
	s_delay_alu instid0(VALU_DEP_1)
	v_cvt_i32_f32_e32 v12, v1
.LBB7_2085:
	s_mov_b32 s13, 0
.LBB7_2086:
	s_delay_alu instid0(SALU_CYCLE_1)
	s_and_not1_b32 vcc_lo, exec_lo, s13
	s_cbranch_vccnz .LBB7_2097
; %bb.2087:
	s_cmp_lt_i32 s12, 6
	s_cbranch_scc1 .LBB7_2090
; %bb.2088:
	s_cmp_gt_i32 s12, 6
	s_cbranch_scc0 .LBB7_2091
; %bb.2089:
	s_wait_loadcnt 0x0
	global_load_b64 v[12:13], v[22:23], off
	s_mov_b32 s13, 0
	s_wait_loadcnt 0x0
	v_trunc_f64_e32 v[12:13], v[12:13]
	s_delay_alu instid0(VALU_DEP_1) | instskip(NEXT) | instid1(VALU_DEP_1)
	v_ldexp_f64 v[24:25], v[12:13], 0xffffffe0
	v_floor_f64_e32 v[24:25], v[24:25]
	s_delay_alu instid0(VALU_DEP_1) | instskip(NEXT) | instid1(VALU_DEP_1)
	v_fmamk_f64 v[12:13], v[24:25], 0xc1f00000, v[12:13]
	v_cvt_u32_f64_e32 v12, v[12:13]
	s_branch .LBB7_2092
.LBB7_2090:
	s_mov_b32 s13, -1
                                        ; implicit-def: $vgpr12
	s_branch .LBB7_2095
.LBB7_2091:
	s_mov_b32 s13, -1
                                        ; implicit-def: $vgpr12
.LBB7_2092:
	s_delay_alu instid0(SALU_CYCLE_1)
	s_and_not1_b32 vcc_lo, exec_lo, s13
	s_cbranch_vccnz .LBB7_2094
; %bb.2093:
	global_load_b32 v1, v[22:23], off
	s_wait_loadcnt 0x0
	v_trunc_f32_e32 v1, v1
	s_delay_alu instid0(VALU_DEP_1) | instskip(NEXT) | instid1(VALU_DEP_1)
	v_mul_f32_e64 v3, 0x2f800000, |v1|
	v_floor_f32_e32 v3, v3
	s_delay_alu instid0(VALU_DEP_1) | instskip(SKIP_1) | instid1(VALU_DEP_2)
	v_fma_f32 v3, 0xcf800000, v3, |v1|
	v_ashrrev_i32_e32 v1, 31, v1
	v_cvt_u32_f32_e32 v3, v3
	s_delay_alu instid0(VALU_DEP_1) | instskip(NEXT) | instid1(VALU_DEP_1)
	v_xor_b32_e32 v3, v3, v1
	v_sub_nc_u32_e32 v12, v3, v1
.LBB7_2094:
	s_mov_b32 s13, 0
.LBB7_2095:
	s_delay_alu instid0(SALU_CYCLE_1)
	s_and_not1_b32 vcc_lo, exec_lo, s13
	s_cbranch_vccnz .LBB7_2097
; %bb.2096:
	global_load_u16 v1, v[22:23], off
	s_wait_loadcnt 0x0
	v_cvt_f32_f16_e32 v1, v1
	s_delay_alu instid0(VALU_DEP_1)
	v_cvt_i32_f32_e32 v12, v1
.LBB7_2097:
	s_mov_b32 s13, 0
.LBB7_2098:
	s_delay_alu instid0(SALU_CYCLE_1)
	s_and_not1_b32 vcc_lo, exec_lo, s13
	s_cbranch_vccnz .LBB7_2118
; %bb.2099:
	s_cmp_lt_i32 s12, 2
	s_cbranch_scc1 .LBB7_2103
; %bb.2100:
	s_cmp_lt_i32 s12, 3
	s_cbranch_scc1 .LBB7_2104
; %bb.2101:
	s_cmp_gt_i32 s12, 3
	s_cbranch_scc0 .LBB7_2105
; %bb.2102:
	s_wait_loadcnt 0x0
	global_load_b64 v[12:13], v[22:23], off
	s_mov_b32 s13, 0
	s_branch .LBB7_2106
.LBB7_2103:
	s_mov_b32 s13, -1
                                        ; implicit-def: $vgpr12
	s_branch .LBB7_2112
.LBB7_2104:
	s_mov_b32 s13, -1
                                        ; implicit-def: $vgpr12
	s_branch .LBB7_2109
.LBB7_2105:
	s_mov_b32 s13, -1
                                        ; implicit-def: $vgpr12
.LBB7_2106:
	s_delay_alu instid0(SALU_CYCLE_1)
	s_and_not1_b32 vcc_lo, exec_lo, s13
	s_cbranch_vccnz .LBB7_2108
; %bb.2107:
	s_wait_loadcnt 0x0
	global_load_b32 v12, v[22:23], off
.LBB7_2108:
	s_mov_b32 s13, 0
.LBB7_2109:
	s_delay_alu instid0(SALU_CYCLE_1)
	s_and_not1_b32 vcc_lo, exec_lo, s13
	s_cbranch_vccnz .LBB7_2111
; %bb.2110:
	s_wait_loadcnt 0x0
	global_load_u16 v12, v[22:23], off
.LBB7_2111:
	s_mov_b32 s13, 0
.LBB7_2112:
	s_delay_alu instid0(SALU_CYCLE_1)
	s_and_not1_b32 vcc_lo, exec_lo, s13
	s_cbranch_vccnz .LBB7_2118
; %bb.2113:
	s_cmp_gt_i32 s12, 0
	s_mov_b32 s13, 0
	s_cbranch_scc0 .LBB7_2115
; %bb.2114:
	s_wait_loadcnt 0x0
	global_load_u8 v12, v[22:23], off
	s_branch .LBB7_2116
.LBB7_2115:
	s_mov_b32 s13, -1
                                        ; implicit-def: $vgpr12
.LBB7_2116:
	s_delay_alu instid0(SALU_CYCLE_1)
	s_and_not1_b32 vcc_lo, exec_lo, s13
	s_cbranch_vccnz .LBB7_2118
; %bb.2117:
	s_wait_loadcnt 0x0
	global_load_u8 v12, v[22:23], off
.LBB7_2118:
	s_mov_b32 s15, -1
.LBB7_2119:
	s_delay_alu instid0(SALU_CYCLE_1)
	s_and_not1_b32 vcc_lo, exec_lo, s15
	s_cbranch_vccnz .LBB7_2717
; %bb.2120:
	s_wait_loadcnt 0x0
	s_delay_alu instid0(VALU_DEP_3) | instskip(SKIP_3) | instid1(VALU_DEP_1)
	v_and_b32_e32 v1, 0xff, v20
	s_mov_b32 s14, 0
	s_mov_b32 s13, exec_lo
	s_wait_xcnt 0x0
	v_cmpx_ne_u16_e32 0, v1
	s_cbranch_execz .LBB7_2123
.LBB7_2121:                             ; =>This Inner Loop Header: Depth=1
	s_delay_alu instid0(VALU_DEP_3) | instskip(SKIP_1) | instid1(VALU_DEP_1)
	v_cvt_f32_ubyte0_e32 v7, v12
	v_mov_b32_e32 v1, v20
	v_cvt_f32_ubyte0_e32 v3, v1
	s_delay_alu instid0(VALU_DEP_1) | instskip(SKIP_1) | instid1(TRANS32_DEP_1)
	v_rcp_iflag_f32_e32 v5, v3
	v_nop
	v_mul_f32_e32 v5, v7, v5
	s_delay_alu instid0(VALU_DEP_1) | instskip(NEXT) | instid1(VALU_DEP_1)
	v_trunc_f32_e32 v5, v5
	v_fma_f32 v7, -v5, v3, v7
	v_cvt_u32_f32_e32 v5, v5
	s_delay_alu instid0(VALU_DEP_2) | instskip(NEXT) | instid1(VALU_DEP_1)
	v_cmp_ge_f32_e64 vcc_lo, |v7|, v3
	v_add_co_ci_u32_e64 v3, null, 0, v5, vcc_lo
	s_delay_alu instid0(VALU_DEP_1) | instskip(NEXT) | instid1(VALU_DEP_1)
	v_mul_lo_u32 v3, v3, v1
	v_dual_mov_b32 v12, v1 :: v_dual_sub_nc_u32 v3, v12, v3
	s_delay_alu instid0(VALU_DEP_1) | instskip(NEXT) | instid1(VALU_DEP_1)
	v_and_b32_e32 v20, 0xff, v3
	v_cmp_eq_u16_e32 vcc_lo, 0, v20
	s_or_b32 s14, vcc_lo, s14
	s_delay_alu instid0(SALU_CYCLE_1)
	s_and_not1_b32 exec_lo, exec_lo, s14
	s_cbranch_execnz .LBB7_2121
; %bb.2122:
	s_or_b32 exec_lo, exec_lo, s14
	v_mov_b32_e32 v12, v1
.LBB7_2123:
	s_or_b32 exec_lo, exec_lo, s13
	v_mov_b32_e32 v19, 0
	s_cmp_lt_i32 s11, 11
	s_delay_alu instid0(VALU_DEP_1)
	v_add_nc_u64_e32 v[20:21], s[6:7], v[18:19]
	s_cbranch_scc1 .LBB7_2130
; %bb.2124:
	s_cmp_gt_i32 s11, 25
	s_mov_b32 s14, 0
	s_cbranch_scc0 .LBB7_2131
; %bb.2125:
	s_cmp_gt_i32 s11, 28
	s_cbranch_scc0 .LBB7_2132
; %bb.2126:
	s_cmp_gt_i32 s11, 43
	;; [unrolled: 3-line block ×3, first 2 shown]
	s_cbranch_scc0 .LBB7_2135
; %bb.2128:
	s_cmp_eq_u32 s11, 46
	s_mov_b32 s16, 0
	s_cbranch_scc0 .LBB7_2136
; %bb.2129:
	global_load_b32 v1, v[20:21], off
	s_mov_b32 s13, 0
	s_mov_b32 s15, -1
	s_wait_loadcnt 0x0
	v_lshlrev_b32_e32 v1, 16, v1
	s_delay_alu instid0(VALU_DEP_1) | instskip(NEXT) | instid1(VALU_DEP_1)
	v_trunc_f32_e32 v1, v1
	v_mul_f32_e64 v3, 0x2f800000, |v1|
	s_delay_alu instid0(VALU_DEP_1) | instskip(NEXT) | instid1(VALU_DEP_1)
	v_floor_f32_e32 v3, v3
	v_fma_f32 v3, 0xcf800000, v3, |v1|
	v_ashrrev_i32_e32 v1, 31, v1
	s_delay_alu instid0(VALU_DEP_2) | instskip(NEXT) | instid1(VALU_DEP_1)
	v_cvt_u32_f32_e32 v3, v3
	v_xor_b32_e32 v3, v3, v1
	s_delay_alu instid0(VALU_DEP_1)
	v_sub_nc_u32_e32 v18, v3, v1
	s_branch .LBB7_2138
.LBB7_2130:
	s_mov_b32 s13, -1
	s_mov_b32 s15, 0
                                        ; implicit-def: $vgpr18
	s_branch .LBB7_2200
.LBB7_2131:
	s_mov_b32 s16, -1
	s_mov_b32 s15, 0
	s_mov_b32 s13, 0
                                        ; implicit-def: $vgpr18
	s_branch .LBB7_2165
.LBB7_2132:
	s_mov_b32 s16, -1
	s_mov_b32 s15, 0
	s_mov_b32 s13, 0
                                        ; implicit-def: $vgpr18
	s_branch .LBB7_2148
.LBB7_2133:
	s_mov_b32 s16, -1
	s_mov_b32 s15, 0
	s_mov_b32 s13, 0
                                        ; implicit-def: $vgpr18
	s_branch .LBB7_2143
.LBB7_2134:
	s_or_b32 s10, s10, exec_lo
	s_trap 2
	s_cbranch_execz .LBB7_2068
	s_branch .LBB7_2069
.LBB7_2135:
	s_mov_b32 s16, -1
	s_mov_b32 s15, 0
	s_mov_b32 s13, 0
	s_branch .LBB7_2137
.LBB7_2136:
	s_mov_b32 s13, -1
	s_mov_b32 s15, 0
.LBB7_2137:
                                        ; implicit-def: $vgpr18
.LBB7_2138:
	s_and_b32 vcc_lo, exec_lo, s16
	s_cbranch_vccz .LBB7_2142
; %bb.2139:
	s_cmp_eq_u32 s11, 44
	s_cbranch_scc0 .LBB7_2141
; %bb.2140:
	global_load_u8 v1, v[20:21], off
	s_mov_b32 s13, 0
	s_mov_b32 s15, -1
	s_wait_loadcnt 0x0
	v_lshlrev_b32_e32 v3, 23, v1
	v_cmp_ne_u32_e32 vcc_lo, 0, v1
	s_delay_alu instid0(VALU_DEP_2) | instskip(NEXT) | instid1(VALU_DEP_1)
	v_trunc_f32_e32 v3, v3
	v_mul_f32_e64 v5, 0x2f800000, |v3|
	s_delay_alu instid0(VALU_DEP_1) | instskip(NEXT) | instid1(VALU_DEP_1)
	v_floor_f32_e32 v5, v5
	v_fma_f32 v5, 0xcf800000, v5, |v3|
	v_ashrrev_i32_e32 v3, 31, v3
	s_delay_alu instid0(VALU_DEP_2) | instskip(NEXT) | instid1(VALU_DEP_1)
	v_cvt_u32_f32_e32 v5, v5
	v_xor_b32_e32 v5, v5, v3
	s_delay_alu instid0(VALU_DEP_1) | instskip(NEXT) | instid1(VALU_DEP_1)
	v_sub_nc_u32_e32 v3, v5, v3
	v_cndmask_b32_e32 v18, 0, v3, vcc_lo
	s_branch .LBB7_2142
.LBB7_2141:
	s_mov_b32 s13, -1
                                        ; implicit-def: $vgpr18
.LBB7_2142:
	s_mov_b32 s16, 0
.LBB7_2143:
	s_delay_alu instid0(SALU_CYCLE_1)
	s_and_b32 vcc_lo, exec_lo, s16
	s_cbranch_vccz .LBB7_2147
; %bb.2144:
	s_cmp_eq_u32 s11, 29
	s_cbranch_scc0 .LBB7_2146
; %bb.2145:
	global_load_b64 v[18:19], v[20:21], off
	s_mov_b32 s13, 0
	s_mov_b32 s15, -1
	s_branch .LBB7_2147
.LBB7_2146:
	s_mov_b32 s13, -1
                                        ; implicit-def: $vgpr18
.LBB7_2147:
	s_mov_b32 s16, 0
.LBB7_2148:
	s_delay_alu instid0(SALU_CYCLE_1)
	s_and_b32 vcc_lo, exec_lo, s16
	s_cbranch_vccz .LBB7_2164
; %bb.2149:
	s_cmp_lt_i32 s11, 27
	s_cbranch_scc1 .LBB7_2152
; %bb.2150:
	s_cmp_gt_i32 s11, 27
	s_cbranch_scc0 .LBB7_2153
; %bb.2151:
	s_wait_loadcnt 0x0
	global_load_b32 v18, v[20:21], off
	s_mov_b32 s15, 0
	s_branch .LBB7_2154
.LBB7_2152:
	s_mov_b32 s15, -1
                                        ; implicit-def: $vgpr18
	s_branch .LBB7_2157
.LBB7_2153:
	s_mov_b32 s15, -1
                                        ; implicit-def: $vgpr18
.LBB7_2154:
	s_delay_alu instid0(SALU_CYCLE_1)
	s_and_not1_b32 vcc_lo, exec_lo, s15
	s_cbranch_vccnz .LBB7_2156
; %bb.2155:
	s_wait_loadcnt 0x0
	global_load_u16 v18, v[20:21], off
.LBB7_2156:
	s_mov_b32 s15, 0
.LBB7_2157:
	s_delay_alu instid0(SALU_CYCLE_1)
	s_and_not1_b32 vcc_lo, exec_lo, s15
	s_cbranch_vccnz .LBB7_2163
; %bb.2158:
	global_load_u8 v1, v[20:21], off
	s_mov_b32 s16, 0
	s_mov_b32 s15, exec_lo
	s_wait_loadcnt 0x0
	v_cmpx_lt_i16_e32 0x7f, v1
	s_xor_b32 s15, exec_lo, s15
	s_cbranch_execz .LBB7_2175
; %bb.2159:
	v_cmp_ne_u16_e32 vcc_lo, 0x80, v1
	s_and_b32 s16, vcc_lo, exec_lo
	s_and_not1_saveexec_b32 s15, s15
	s_cbranch_execnz .LBB7_2176
.LBB7_2160:
	s_or_b32 exec_lo, exec_lo, s15
	v_mov_b32_e32 v18, 0
	s_and_saveexec_b32 s15, s16
	s_cbranch_execz .LBB7_2162
.LBB7_2161:
	v_and_b32_e32 v3, 0xffff, v1
	s_delay_alu instid0(VALU_DEP_1) | instskip(SKIP_1) | instid1(VALU_DEP_2)
	v_dual_lshlrev_b32 v1, 24, v1 :: v_dual_bitop2_b32 v5, 7, v3 bitop3:0x40
	v_bfe_u32 v11, v3, 3, 4
	v_and_b32_e32 v1, 0x80000000, v1
	s_delay_alu instid0(VALU_DEP_3) | instskip(NEXT) | instid1(VALU_DEP_3)
	v_clz_i32_u32_e32 v7, v5
	v_cmp_eq_u32_e32 vcc_lo, 0, v11
	s_delay_alu instid0(VALU_DEP_2) | instskip(NEXT) | instid1(VALU_DEP_1)
	v_min_u32_e32 v7, 32, v7
	v_subrev_nc_u32_e32 v9, 28, v7
	v_sub_nc_u32_e32 v7, 29, v7
	s_delay_alu instid0(VALU_DEP_2) | instskip(NEXT) | instid1(VALU_DEP_2)
	v_lshlrev_b32_e32 v3, v9, v3
	v_cndmask_b32_e32 v7, v11, v7, vcc_lo
	s_delay_alu instid0(VALU_DEP_2) | instskip(NEXT) | instid1(VALU_DEP_1)
	v_and_b32_e32 v3, 7, v3
	v_cndmask_b32_e32 v3, v5, v3, vcc_lo
	s_delay_alu instid0(VALU_DEP_3) | instskip(NEXT) | instid1(VALU_DEP_2)
	v_lshl_add_u32 v5, v7, 23, 0x3b800000
	v_lshlrev_b32_e32 v3, 20, v3
	s_delay_alu instid0(VALU_DEP_1) | instskip(NEXT) | instid1(VALU_DEP_1)
	v_or3_b32 v1, v1, v5, v3
	v_trunc_f32_e32 v1, v1
	s_delay_alu instid0(VALU_DEP_1) | instskip(NEXT) | instid1(VALU_DEP_1)
	v_mul_f32_e64 v3, 0x2f800000, |v1|
	v_floor_f32_e32 v3, v3
	s_delay_alu instid0(VALU_DEP_1) | instskip(SKIP_1) | instid1(VALU_DEP_2)
	v_fma_f32 v3, 0xcf800000, v3, |v1|
	v_ashrrev_i32_e32 v1, 31, v1
	v_cvt_u32_f32_e32 v3, v3
	s_delay_alu instid0(VALU_DEP_1) | instskip(NEXT) | instid1(VALU_DEP_1)
	v_xor_b32_e32 v3, v3, v1
	v_sub_nc_u32_e32 v18, v3, v1
.LBB7_2162:
	s_or_b32 exec_lo, exec_lo, s15
.LBB7_2163:
	s_mov_b32 s15, -1
.LBB7_2164:
	s_mov_b32 s16, 0
.LBB7_2165:
	s_delay_alu instid0(SALU_CYCLE_1)
	s_and_b32 vcc_lo, exec_lo, s16
	s_cbranch_vccz .LBB7_2196
; %bb.2166:
	s_cmp_gt_i32 s11, 22
	s_cbranch_scc0 .LBB7_2174
; %bb.2167:
	s_cmp_lt_i32 s11, 24
	s_cbranch_scc1 .LBB7_2177
; %bb.2168:
	s_cmp_gt_i32 s11, 24
	s_cbranch_scc0 .LBB7_2178
; %bb.2169:
	global_load_u8 v1, v[20:21], off
	s_mov_b32 s15, 0
	s_mov_b32 s14, exec_lo
	s_wait_loadcnt 0x0
	v_cmpx_lt_i16_e32 0x7f, v1
	s_xor_b32 s14, exec_lo, s14
	s_cbranch_execz .LBB7_2190
; %bb.2170:
	v_cmp_ne_u16_e32 vcc_lo, 0x80, v1
	s_and_b32 s15, vcc_lo, exec_lo
	s_and_not1_saveexec_b32 s14, s14
	s_cbranch_execnz .LBB7_2191
.LBB7_2171:
	s_or_b32 exec_lo, exec_lo, s14
	v_mov_b32_e32 v18, 0
	s_and_saveexec_b32 s14, s15
	s_cbranch_execz .LBB7_2173
.LBB7_2172:
	v_and_b32_e32 v3, 0xffff, v1
	s_delay_alu instid0(VALU_DEP_1) | instskip(SKIP_1) | instid1(VALU_DEP_2)
	v_dual_lshlrev_b32 v1, 24, v1 :: v_dual_bitop2_b32 v5, 3, v3 bitop3:0x40
	v_bfe_u32 v11, v3, 2, 5
	v_and_b32_e32 v1, 0x80000000, v1
	s_delay_alu instid0(VALU_DEP_3) | instskip(NEXT) | instid1(VALU_DEP_3)
	v_clz_i32_u32_e32 v7, v5
	v_cmp_eq_u32_e32 vcc_lo, 0, v11
	s_delay_alu instid0(VALU_DEP_2) | instskip(NEXT) | instid1(VALU_DEP_1)
	v_min_u32_e32 v7, 32, v7
	v_subrev_nc_u32_e32 v9, 29, v7
	v_sub_nc_u32_e32 v7, 30, v7
	s_delay_alu instid0(VALU_DEP_2) | instskip(NEXT) | instid1(VALU_DEP_2)
	v_lshlrev_b32_e32 v3, v9, v3
	v_cndmask_b32_e32 v7, v11, v7, vcc_lo
	s_delay_alu instid0(VALU_DEP_2) | instskip(NEXT) | instid1(VALU_DEP_1)
	v_and_b32_e32 v3, 3, v3
	v_cndmask_b32_e32 v3, v5, v3, vcc_lo
	s_delay_alu instid0(VALU_DEP_3) | instskip(NEXT) | instid1(VALU_DEP_2)
	v_lshl_add_u32 v5, v7, 23, 0x37800000
	v_lshlrev_b32_e32 v3, 21, v3
	s_delay_alu instid0(VALU_DEP_1) | instskip(NEXT) | instid1(VALU_DEP_1)
	v_or3_b32 v1, v1, v5, v3
	v_trunc_f32_e32 v1, v1
	s_delay_alu instid0(VALU_DEP_1) | instskip(NEXT) | instid1(VALU_DEP_1)
	v_mul_f32_e64 v3, 0x2f800000, |v1|
	v_floor_f32_e32 v3, v3
	s_delay_alu instid0(VALU_DEP_1) | instskip(SKIP_1) | instid1(VALU_DEP_2)
	v_fma_f32 v3, 0xcf800000, v3, |v1|
	v_ashrrev_i32_e32 v1, 31, v1
	v_cvt_u32_f32_e32 v3, v3
	s_delay_alu instid0(VALU_DEP_1) | instskip(NEXT) | instid1(VALU_DEP_1)
	v_xor_b32_e32 v3, v3, v1
	v_sub_nc_u32_e32 v18, v3, v1
.LBB7_2173:
	s_or_b32 exec_lo, exec_lo, s14
	s_mov_b32 s14, 0
	s_branch .LBB7_2179
.LBB7_2174:
	s_mov_b32 s14, -1
                                        ; implicit-def: $vgpr18
	s_branch .LBB7_2185
.LBB7_2175:
	s_and_not1_saveexec_b32 s15, s15
	s_cbranch_execz .LBB7_2160
.LBB7_2176:
	v_cmp_ne_u16_e32 vcc_lo, 0, v1
	s_and_not1_b32 s16, s16, exec_lo
	s_and_b32 s17, vcc_lo, exec_lo
	s_delay_alu instid0(SALU_CYCLE_1)
	s_or_b32 s16, s16, s17
	s_or_b32 exec_lo, exec_lo, s15
	v_mov_b32_e32 v18, 0
	s_and_saveexec_b32 s15, s16
	s_cbranch_execnz .LBB7_2161
	s_branch .LBB7_2162
.LBB7_2177:
	s_mov_b32 s14, -1
                                        ; implicit-def: $vgpr18
	s_branch .LBB7_2182
.LBB7_2178:
	s_mov_b32 s14, -1
                                        ; implicit-def: $vgpr18
.LBB7_2179:
	s_delay_alu instid0(SALU_CYCLE_1)
	s_and_b32 vcc_lo, exec_lo, s14
	s_cbranch_vccz .LBB7_2181
; %bb.2180:
	global_load_u8 v1, v[20:21], off
	s_wait_loadcnt 0x0
	v_lshlrev_b32_e32 v1, 24, v1
	s_delay_alu instid0(VALU_DEP_1) | instskip(NEXT) | instid1(VALU_DEP_1)
	v_and_b32_e32 v3, 0x7f000000, v1
	v_clz_i32_u32_e32 v5, v3
	v_add_nc_u32_e32 v9, 0x1000000, v3
	v_cmp_ne_u32_e32 vcc_lo, 0, v3
	s_delay_alu instid0(VALU_DEP_3) | instskip(NEXT) | instid1(VALU_DEP_1)
	v_min_u32_e32 v5, 32, v5
	v_sub_nc_u32_e64 v5, v5, 4 clamp
	s_delay_alu instid0(VALU_DEP_1) | instskip(NEXT) | instid1(VALU_DEP_1)
	v_dual_lshlrev_b32 v7, v5, v3 :: v_dual_lshlrev_b32 v5, 23, v5
	v_lshrrev_b32_e32 v7, 4, v7
	s_delay_alu instid0(VALU_DEP_1) | instskip(SKIP_1) | instid1(VALU_DEP_2)
	v_sub_nc_u32_e32 v5, v7, v5
	v_ashrrev_i32_e32 v7, 8, v9
	v_add_nc_u32_e32 v5, 0x3c000000, v5
	s_delay_alu instid0(VALU_DEP_1) | instskip(NEXT) | instid1(VALU_DEP_1)
	v_and_or_b32 v5, 0x7f800000, v7, v5
	v_cndmask_b32_e32 v3, 0, v5, vcc_lo
	s_delay_alu instid0(VALU_DEP_1) | instskip(NEXT) | instid1(VALU_DEP_1)
	v_and_or_b32 v1, 0x80000000, v1, v3
	v_trunc_f32_e32 v1, v1
	s_delay_alu instid0(VALU_DEP_1) | instskip(NEXT) | instid1(VALU_DEP_1)
	v_mul_f32_e64 v3, 0x2f800000, |v1|
	v_floor_f32_e32 v3, v3
	s_delay_alu instid0(VALU_DEP_1) | instskip(SKIP_1) | instid1(VALU_DEP_2)
	v_fma_f32 v3, 0xcf800000, v3, |v1|
	v_ashrrev_i32_e32 v1, 31, v1
	v_cvt_u32_f32_e32 v3, v3
	s_delay_alu instid0(VALU_DEP_1) | instskip(NEXT) | instid1(VALU_DEP_1)
	v_xor_b32_e32 v3, v3, v1
	v_sub_nc_u32_e32 v18, v3, v1
.LBB7_2181:
	s_mov_b32 s14, 0
.LBB7_2182:
	s_delay_alu instid0(SALU_CYCLE_1)
	s_and_not1_b32 vcc_lo, exec_lo, s14
	s_cbranch_vccnz .LBB7_2184
; %bb.2183:
	global_load_u8 v1, v[20:21], off
	s_wait_loadcnt 0x0
	v_lshlrev_b32_e32 v3, 25, v1
	v_lshlrev_b16 v1, 8, v1
	s_delay_alu instid0(VALU_DEP_1) | instskip(SKIP_1) | instid1(VALU_DEP_2)
	v_and_or_b32 v7, 0x7f00, v1, 0.5
	v_bfe_i32 v1, v1, 0, 16
	v_add_f32_e32 v7, -0.5, v7
	v_lshrrev_b32_e32 v5, 4, v3
	v_cmp_gt_u32_e32 vcc_lo, 0x8000000, v3
	s_delay_alu instid0(VALU_DEP_2) | instskip(NEXT) | instid1(VALU_DEP_1)
	v_or_b32_e32 v5, 0x70000000, v5
	v_mul_f32_e32 v5, 0x7800000, v5
	s_delay_alu instid0(VALU_DEP_1) | instskip(NEXT) | instid1(VALU_DEP_1)
	v_cndmask_b32_e32 v3, v5, v7, vcc_lo
	v_and_or_b32 v1, 0x80000000, v1, v3
	s_delay_alu instid0(VALU_DEP_1) | instskip(NEXT) | instid1(VALU_DEP_1)
	v_trunc_f32_e32 v1, v1
	v_mul_f32_e64 v3, 0x2f800000, |v1|
	s_delay_alu instid0(VALU_DEP_1) | instskip(NEXT) | instid1(VALU_DEP_1)
	v_floor_f32_e32 v3, v3
	v_fma_f32 v3, 0xcf800000, v3, |v1|
	v_ashrrev_i32_e32 v1, 31, v1
	s_delay_alu instid0(VALU_DEP_2) | instskip(NEXT) | instid1(VALU_DEP_1)
	v_cvt_u32_f32_e32 v3, v3
	v_xor_b32_e32 v3, v3, v1
	s_delay_alu instid0(VALU_DEP_1)
	v_sub_nc_u32_e32 v18, v3, v1
.LBB7_2184:
	s_mov_b32 s14, 0
	s_mov_b32 s15, -1
.LBB7_2185:
	s_and_not1_b32 vcc_lo, exec_lo, s14
	s_mov_b32 s14, 0
	s_cbranch_vccnz .LBB7_2196
; %bb.2186:
	s_cmp_gt_i32 s11, 14
	s_cbranch_scc0 .LBB7_2189
; %bb.2187:
	s_cmp_eq_u32 s11, 15
	s_cbranch_scc0 .LBB7_2192
; %bb.2188:
	global_load_u16 v1, v[20:21], off
	s_mov_b32 s13, 0
	s_mov_b32 s15, -1
	s_wait_loadcnt 0x0
	v_lshlrev_b32_e32 v1, 16, v1
	s_delay_alu instid0(VALU_DEP_1) | instskip(NEXT) | instid1(VALU_DEP_1)
	v_trunc_f32_e32 v1, v1
	v_mul_f32_e64 v3, 0x2f800000, |v1|
	s_delay_alu instid0(VALU_DEP_1) | instskip(NEXT) | instid1(VALU_DEP_1)
	v_floor_f32_e32 v3, v3
	v_fma_f32 v3, 0xcf800000, v3, |v1|
	v_ashrrev_i32_e32 v1, 31, v1
	s_delay_alu instid0(VALU_DEP_2) | instskip(NEXT) | instid1(VALU_DEP_1)
	v_cvt_u32_f32_e32 v3, v3
	v_xor_b32_e32 v3, v3, v1
	s_delay_alu instid0(VALU_DEP_1)
	v_sub_nc_u32_e32 v18, v3, v1
	s_branch .LBB7_2194
.LBB7_2189:
	s_mov_b32 s14, -1
	s_branch .LBB7_2193
.LBB7_2190:
	s_and_not1_saveexec_b32 s14, s14
	s_cbranch_execz .LBB7_2171
.LBB7_2191:
	v_cmp_ne_u16_e32 vcc_lo, 0, v1
	s_and_not1_b32 s15, s15, exec_lo
	s_and_b32 s16, vcc_lo, exec_lo
	s_delay_alu instid0(SALU_CYCLE_1)
	s_or_b32 s15, s15, s16
	s_or_b32 exec_lo, exec_lo, s14
	v_mov_b32_e32 v18, 0
	s_and_saveexec_b32 s14, s15
	s_cbranch_execnz .LBB7_2172
	s_branch .LBB7_2173
.LBB7_2192:
	s_mov_b32 s13, -1
.LBB7_2193:
                                        ; implicit-def: $vgpr18
.LBB7_2194:
	s_and_b32 vcc_lo, exec_lo, s14
	s_mov_b32 s14, 0
	s_cbranch_vccz .LBB7_2196
; %bb.2195:
	s_cmp_lg_u32 s11, 11
	s_mov_b32 s14, -1
	s_cselect_b32 s13, -1, 0
.LBB7_2196:
	s_delay_alu instid0(SALU_CYCLE_1)
	s_and_b32 vcc_lo, exec_lo, s13
	s_cbranch_vccnz .LBB7_2261
; %bb.2197:
	s_and_not1_b32 vcc_lo, exec_lo, s14
	s_cbranch_vccnz .LBB7_2199
.LBB7_2198:
	global_load_u8 v1, v[20:21], off
	s_mov_b32 s15, -1
	s_wait_loadcnt 0x0
	v_cmp_ne_u16_e32 vcc_lo, 0, v1
	v_cndmask_b32_e64 v18, 0, 1, vcc_lo
.LBB7_2199:
	s_mov_b32 s13, 0
.LBB7_2200:
	s_delay_alu instid0(SALU_CYCLE_1)
	s_and_b32 vcc_lo, exec_lo, s13
	s_cbranch_vccz .LBB7_2249
; %bb.2201:
	s_cmp_lt_i32 s11, 5
	s_cbranch_scc1 .LBB7_2206
; %bb.2202:
	s_cmp_lt_i32 s11, 8
	s_cbranch_scc1 .LBB7_2207
	;; [unrolled: 3-line block ×3, first 2 shown]
; %bb.2204:
	s_cmp_gt_i32 s11, 9
	s_cbranch_scc0 .LBB7_2209
; %bb.2205:
	s_wait_loadcnt 0x0
	global_load_b64 v[18:19], v[20:21], off
	s_mov_b32 s13, 0
	s_wait_loadcnt 0x0
	v_trunc_f64_e32 v[18:19], v[18:19]
	s_delay_alu instid0(VALU_DEP_1) | instskip(NEXT) | instid1(VALU_DEP_1)
	v_ldexp_f64 v[22:23], v[18:19], 0xffffffe0
	v_floor_f64_e32 v[22:23], v[22:23]
	s_delay_alu instid0(VALU_DEP_1) | instskip(NEXT) | instid1(VALU_DEP_1)
	v_fmamk_f64 v[18:19], v[22:23], 0xc1f00000, v[18:19]
	v_cvt_u32_f64_e32 v18, v[18:19]
	s_branch .LBB7_2210
.LBB7_2206:
	s_mov_b32 s13, -1
                                        ; implicit-def: $vgpr18
	s_branch .LBB7_2228
.LBB7_2207:
	s_mov_b32 s13, -1
                                        ; implicit-def: $vgpr18
	s_branch .LBB7_2216
.LBB7_2208:
	s_mov_b32 s13, -1
                                        ; implicit-def: $vgpr18
	s_branch .LBB7_2213
.LBB7_2209:
	s_mov_b32 s13, -1
                                        ; implicit-def: $vgpr18
.LBB7_2210:
	s_delay_alu instid0(SALU_CYCLE_1)
	s_and_not1_b32 vcc_lo, exec_lo, s13
	s_cbranch_vccnz .LBB7_2212
; %bb.2211:
	global_load_b32 v1, v[20:21], off
	s_wait_loadcnt 0x0
	v_trunc_f32_e32 v1, v1
	s_delay_alu instid0(VALU_DEP_1) | instskip(NEXT) | instid1(VALU_DEP_1)
	v_mul_f32_e64 v3, 0x2f800000, |v1|
	v_floor_f32_e32 v3, v3
	s_delay_alu instid0(VALU_DEP_1) | instskip(SKIP_1) | instid1(VALU_DEP_2)
	v_fma_f32 v3, 0xcf800000, v3, |v1|
	v_ashrrev_i32_e32 v1, 31, v1
	v_cvt_u32_f32_e32 v3, v3
	s_delay_alu instid0(VALU_DEP_1) | instskip(NEXT) | instid1(VALU_DEP_1)
	v_xor_b32_e32 v3, v3, v1
	v_sub_nc_u32_e32 v18, v3, v1
.LBB7_2212:
	s_mov_b32 s13, 0
.LBB7_2213:
	s_delay_alu instid0(SALU_CYCLE_1)
	s_and_not1_b32 vcc_lo, exec_lo, s13
	s_cbranch_vccnz .LBB7_2215
; %bb.2214:
	global_load_b32 v1, v[20:21], off
	s_wait_loadcnt 0x0
	v_cvt_f32_f16_e32 v1, v1
	s_delay_alu instid0(VALU_DEP_1)
	v_cvt_i32_f32_e32 v18, v1
.LBB7_2215:
	s_mov_b32 s13, 0
.LBB7_2216:
	s_delay_alu instid0(SALU_CYCLE_1)
	s_and_not1_b32 vcc_lo, exec_lo, s13
	s_cbranch_vccnz .LBB7_2227
; %bb.2217:
	s_cmp_lt_i32 s11, 6
	s_cbranch_scc1 .LBB7_2220
; %bb.2218:
	s_cmp_gt_i32 s11, 6
	s_cbranch_scc0 .LBB7_2221
; %bb.2219:
	s_wait_loadcnt 0x0
	global_load_b64 v[18:19], v[20:21], off
	s_mov_b32 s13, 0
	s_wait_loadcnt 0x0
	v_trunc_f64_e32 v[18:19], v[18:19]
	s_delay_alu instid0(VALU_DEP_1) | instskip(NEXT) | instid1(VALU_DEP_1)
	v_ldexp_f64 v[22:23], v[18:19], 0xffffffe0
	v_floor_f64_e32 v[22:23], v[22:23]
	s_delay_alu instid0(VALU_DEP_1) | instskip(NEXT) | instid1(VALU_DEP_1)
	v_fmamk_f64 v[18:19], v[22:23], 0xc1f00000, v[18:19]
	v_cvt_u32_f64_e32 v18, v[18:19]
	s_branch .LBB7_2222
.LBB7_2220:
	s_mov_b32 s13, -1
                                        ; implicit-def: $vgpr18
	s_branch .LBB7_2225
.LBB7_2221:
	s_mov_b32 s13, -1
                                        ; implicit-def: $vgpr18
.LBB7_2222:
	s_delay_alu instid0(SALU_CYCLE_1)
	s_and_not1_b32 vcc_lo, exec_lo, s13
	s_cbranch_vccnz .LBB7_2224
; %bb.2223:
	global_load_b32 v1, v[20:21], off
	s_wait_loadcnt 0x0
	v_trunc_f32_e32 v1, v1
	s_delay_alu instid0(VALU_DEP_1) | instskip(NEXT) | instid1(VALU_DEP_1)
	v_mul_f32_e64 v3, 0x2f800000, |v1|
	v_floor_f32_e32 v3, v3
	s_delay_alu instid0(VALU_DEP_1) | instskip(SKIP_1) | instid1(VALU_DEP_2)
	v_fma_f32 v3, 0xcf800000, v3, |v1|
	v_ashrrev_i32_e32 v1, 31, v1
	v_cvt_u32_f32_e32 v3, v3
	s_delay_alu instid0(VALU_DEP_1) | instskip(NEXT) | instid1(VALU_DEP_1)
	v_xor_b32_e32 v3, v3, v1
	v_sub_nc_u32_e32 v18, v3, v1
.LBB7_2224:
	s_mov_b32 s13, 0
.LBB7_2225:
	s_delay_alu instid0(SALU_CYCLE_1)
	s_and_not1_b32 vcc_lo, exec_lo, s13
	s_cbranch_vccnz .LBB7_2227
; %bb.2226:
	global_load_u16 v1, v[20:21], off
	s_wait_loadcnt 0x0
	v_cvt_f32_f16_e32 v1, v1
	s_delay_alu instid0(VALU_DEP_1)
	v_cvt_i32_f32_e32 v18, v1
.LBB7_2227:
	s_mov_b32 s13, 0
.LBB7_2228:
	s_delay_alu instid0(SALU_CYCLE_1)
	s_and_not1_b32 vcc_lo, exec_lo, s13
	s_cbranch_vccnz .LBB7_2248
; %bb.2229:
	s_cmp_lt_i32 s11, 2
	s_cbranch_scc1 .LBB7_2233
; %bb.2230:
	s_cmp_lt_i32 s11, 3
	s_cbranch_scc1 .LBB7_2234
; %bb.2231:
	s_cmp_gt_i32 s11, 3
	s_cbranch_scc0 .LBB7_2235
; %bb.2232:
	s_wait_loadcnt 0x0
	global_load_b64 v[18:19], v[20:21], off
	s_mov_b32 s13, 0
	s_branch .LBB7_2236
.LBB7_2233:
	s_mov_b32 s13, -1
                                        ; implicit-def: $vgpr18
	s_branch .LBB7_2242
.LBB7_2234:
	s_mov_b32 s13, -1
                                        ; implicit-def: $vgpr18
	s_branch .LBB7_2239
.LBB7_2235:
	s_mov_b32 s13, -1
                                        ; implicit-def: $vgpr18
.LBB7_2236:
	s_delay_alu instid0(SALU_CYCLE_1)
	s_and_not1_b32 vcc_lo, exec_lo, s13
	s_cbranch_vccnz .LBB7_2238
; %bb.2237:
	s_wait_loadcnt 0x0
	global_load_b32 v18, v[20:21], off
.LBB7_2238:
	s_mov_b32 s13, 0
.LBB7_2239:
	s_delay_alu instid0(SALU_CYCLE_1)
	s_and_not1_b32 vcc_lo, exec_lo, s13
	s_cbranch_vccnz .LBB7_2241
; %bb.2240:
	s_wait_loadcnt 0x0
	global_load_u16 v18, v[20:21], off
.LBB7_2241:
	s_mov_b32 s13, 0
.LBB7_2242:
	s_delay_alu instid0(SALU_CYCLE_1)
	s_and_not1_b32 vcc_lo, exec_lo, s13
	s_cbranch_vccnz .LBB7_2248
; %bb.2243:
	s_cmp_gt_i32 s11, 0
	s_mov_b32 s13, 0
	s_cbranch_scc0 .LBB7_2245
; %bb.2244:
	s_wait_loadcnt 0x0
	global_load_u8 v18, v[20:21], off
	s_branch .LBB7_2246
.LBB7_2245:
	s_mov_b32 s13, -1
                                        ; implicit-def: $vgpr18
.LBB7_2246:
	s_delay_alu instid0(SALU_CYCLE_1)
	s_and_not1_b32 vcc_lo, exec_lo, s13
	s_cbranch_vccnz .LBB7_2248
; %bb.2247:
	s_wait_loadcnt 0x0
	global_load_u8 v18, v[20:21], off
.LBB7_2248:
	s_mov_b32 s15, -1
.LBB7_2249:
	s_delay_alu instid0(SALU_CYCLE_1)
	s_and_not1_b32 vcc_lo, exec_lo, s15
	s_cbranch_vccnz .LBB7_2717
; %bb.2250:
	v_mov_b32_e32 v17, 0
	s_cmp_lt_i32 s12, 11
	s_wait_xcnt 0x0
	s_delay_alu instid0(VALU_DEP_1)
	v_add_nc_u64_e32 v[20:21], s[0:1], v[16:17]
	s_cbranch_scc1 .LBB7_2257
; %bb.2251:
	s_cmp_gt_i32 s12, 25
	s_mov_b32 s14, 0
	s_cbranch_scc0 .LBB7_2258
; %bb.2252:
	s_cmp_gt_i32 s12, 28
	s_cbranch_scc0 .LBB7_2259
; %bb.2253:
	s_cmp_gt_i32 s12, 43
	;; [unrolled: 3-line block ×3, first 2 shown]
	s_cbranch_scc0 .LBB7_2262
; %bb.2255:
	s_cmp_eq_u32 s12, 46
	s_mov_b32 s16, 0
	s_cbranch_scc0 .LBB7_2265
; %bb.2256:
	global_load_b32 v1, v[20:21], off
	s_mov_b32 s13, 0
	s_mov_b32 s15, -1
	s_wait_loadcnt 0x0
	v_lshlrev_b32_e32 v1, 16, v1
	s_delay_alu instid0(VALU_DEP_1) | instskip(NEXT) | instid1(VALU_DEP_1)
	v_trunc_f32_e32 v1, v1
	v_mul_f32_e64 v3, 0x2f800000, |v1|
	s_delay_alu instid0(VALU_DEP_1) | instskip(NEXT) | instid1(VALU_DEP_1)
	v_floor_f32_e32 v3, v3
	v_fma_f32 v3, 0xcf800000, v3, |v1|
	v_ashrrev_i32_e32 v1, 31, v1
	s_delay_alu instid0(VALU_DEP_2) | instskip(NEXT) | instid1(VALU_DEP_1)
	v_cvt_u32_f32_e32 v3, v3
	v_xor_b32_e32 v3, v3, v1
	s_delay_alu instid0(VALU_DEP_1)
	v_sub_nc_u32_e32 v16, v3, v1
	s_branch .LBB7_2267
.LBB7_2257:
	s_mov_b32 s13, -1
	s_mov_b32 s15, 0
                                        ; implicit-def: $vgpr16
	s_branch .LBB7_2329
.LBB7_2258:
	s_mov_b32 s16, -1
	s_mov_b32 s15, 0
	s_mov_b32 s13, 0
                                        ; implicit-def: $vgpr16
	s_branch .LBB7_2294
.LBB7_2259:
	s_mov_b32 s16, -1
	s_mov_b32 s15, 0
	s_mov_b32 s13, 0
                                        ; implicit-def: $vgpr16
	s_branch .LBB7_2277
.LBB7_2260:
	s_mov_b32 s16, -1
	s_mov_b32 s15, 0
	s_mov_b32 s13, 0
                                        ; implicit-def: $vgpr16
	s_branch .LBB7_2272
.LBB7_2261:
	s_or_b32 s10, s10, exec_lo
	s_trap 2
	s_cbranch_execz .LBB7_2198
	s_branch .LBB7_2199
.LBB7_2262:
	s_mov_b32 s16, -1
	s_mov_b32 s15, 0
	s_mov_b32 s13, 0
	s_branch .LBB7_2266
.LBB7_2263:
	s_and_not1_saveexec_b32 s51, s51
	s_cbranch_execz .LBB7_1106
.LBB7_2264:
	v_add_f32_e32 v1, 0x42800000, v4
	s_and_not1_b32 s50, s50, exec_lo
	s_delay_alu instid0(VALU_DEP_1) | instskip(NEXT) | instid1(VALU_DEP_1)
	v_and_b32_e32 v1, 0xff, v1
	v_cmp_ne_u32_e32 vcc_lo, 0, v1
	s_and_b32 s52, vcc_lo, exec_lo
	s_delay_alu instid0(SALU_CYCLE_1)
	s_or_b32 s50, s50, s52
	s_or_b32 exec_lo, exec_lo, s51
	v_mov_b32_e32 v5, 0
	s_and_saveexec_b32 s51, s50
	s_cbranch_execnz .LBB7_1107
	s_branch .LBB7_1108
.LBB7_2265:
	s_mov_b32 s13, -1
	s_mov_b32 s15, 0
.LBB7_2266:
                                        ; implicit-def: $vgpr16
.LBB7_2267:
	s_and_b32 vcc_lo, exec_lo, s16
	s_cbranch_vccz .LBB7_2271
; %bb.2268:
	s_cmp_eq_u32 s12, 44
	s_cbranch_scc0 .LBB7_2270
; %bb.2269:
	global_load_u8 v1, v[20:21], off
	s_mov_b32 s13, 0
	s_mov_b32 s15, -1
	s_wait_loadcnt 0x0
	v_lshlrev_b32_e32 v3, 23, v1
	v_cmp_ne_u32_e32 vcc_lo, 0, v1
	s_delay_alu instid0(VALU_DEP_2) | instskip(NEXT) | instid1(VALU_DEP_1)
	v_trunc_f32_e32 v3, v3
	v_mul_f32_e64 v5, 0x2f800000, |v3|
	s_delay_alu instid0(VALU_DEP_1) | instskip(NEXT) | instid1(VALU_DEP_1)
	v_floor_f32_e32 v5, v5
	v_fma_f32 v5, 0xcf800000, v5, |v3|
	v_ashrrev_i32_e32 v3, 31, v3
	s_delay_alu instid0(VALU_DEP_2) | instskip(NEXT) | instid1(VALU_DEP_1)
	v_cvt_u32_f32_e32 v5, v5
	v_xor_b32_e32 v5, v5, v3
	s_delay_alu instid0(VALU_DEP_1) | instskip(NEXT) | instid1(VALU_DEP_1)
	v_sub_nc_u32_e32 v3, v5, v3
	v_cndmask_b32_e32 v16, 0, v3, vcc_lo
	s_branch .LBB7_2271
.LBB7_2270:
	s_mov_b32 s13, -1
                                        ; implicit-def: $vgpr16
.LBB7_2271:
	s_mov_b32 s16, 0
.LBB7_2272:
	s_delay_alu instid0(SALU_CYCLE_1)
	s_and_b32 vcc_lo, exec_lo, s16
	s_cbranch_vccz .LBB7_2276
; %bb.2273:
	s_cmp_eq_u32 s12, 29
	s_cbranch_scc0 .LBB7_2275
; %bb.2274:
	global_load_b64 v[16:17], v[20:21], off
	s_mov_b32 s13, 0
	s_mov_b32 s15, -1
	s_branch .LBB7_2276
.LBB7_2275:
	s_mov_b32 s13, -1
                                        ; implicit-def: $vgpr16
.LBB7_2276:
	s_mov_b32 s16, 0
.LBB7_2277:
	s_delay_alu instid0(SALU_CYCLE_1)
	s_and_b32 vcc_lo, exec_lo, s16
	s_cbranch_vccz .LBB7_2293
; %bb.2278:
	s_cmp_lt_i32 s12, 27
	s_cbranch_scc1 .LBB7_2281
; %bb.2279:
	s_cmp_gt_i32 s12, 27
	s_cbranch_scc0 .LBB7_2282
; %bb.2280:
	s_wait_loadcnt 0x0
	global_load_b32 v16, v[20:21], off
	s_mov_b32 s15, 0
	s_branch .LBB7_2283
.LBB7_2281:
	s_mov_b32 s15, -1
                                        ; implicit-def: $vgpr16
	s_branch .LBB7_2286
.LBB7_2282:
	s_mov_b32 s15, -1
                                        ; implicit-def: $vgpr16
.LBB7_2283:
	s_delay_alu instid0(SALU_CYCLE_1)
	s_and_not1_b32 vcc_lo, exec_lo, s15
	s_cbranch_vccnz .LBB7_2285
; %bb.2284:
	s_wait_loadcnt 0x0
	global_load_u16 v16, v[20:21], off
.LBB7_2285:
	s_mov_b32 s15, 0
.LBB7_2286:
	s_delay_alu instid0(SALU_CYCLE_1)
	s_and_not1_b32 vcc_lo, exec_lo, s15
	s_cbranch_vccnz .LBB7_2292
; %bb.2287:
	global_load_u8 v1, v[20:21], off
	s_mov_b32 s16, 0
	s_mov_b32 s15, exec_lo
	s_wait_loadcnt 0x0
	v_cmpx_lt_i16_e32 0x7f, v1
	s_xor_b32 s15, exec_lo, s15
	s_cbranch_execz .LBB7_2304
; %bb.2288:
	v_cmp_ne_u16_e32 vcc_lo, 0x80, v1
	s_and_b32 s16, vcc_lo, exec_lo
	s_and_not1_saveexec_b32 s15, s15
	s_cbranch_execnz .LBB7_2305
.LBB7_2289:
	s_or_b32 exec_lo, exec_lo, s15
	v_mov_b32_e32 v16, 0
	s_and_saveexec_b32 s15, s16
	s_cbranch_execz .LBB7_2291
.LBB7_2290:
	v_and_b32_e32 v3, 0xffff, v1
	s_delay_alu instid0(VALU_DEP_1) | instskip(SKIP_1) | instid1(VALU_DEP_2)
	v_dual_lshlrev_b32 v1, 24, v1 :: v_dual_bitop2_b32 v5, 7, v3 bitop3:0x40
	v_bfe_u32 v11, v3, 3, 4
	v_and_b32_e32 v1, 0x80000000, v1
	s_delay_alu instid0(VALU_DEP_3) | instskip(NEXT) | instid1(VALU_DEP_3)
	v_clz_i32_u32_e32 v7, v5
	v_cmp_eq_u32_e32 vcc_lo, 0, v11
	s_delay_alu instid0(VALU_DEP_2) | instskip(NEXT) | instid1(VALU_DEP_1)
	v_min_u32_e32 v7, 32, v7
	v_subrev_nc_u32_e32 v9, 28, v7
	v_sub_nc_u32_e32 v7, 29, v7
	s_delay_alu instid0(VALU_DEP_2) | instskip(NEXT) | instid1(VALU_DEP_2)
	v_lshlrev_b32_e32 v3, v9, v3
	v_cndmask_b32_e32 v7, v11, v7, vcc_lo
	s_delay_alu instid0(VALU_DEP_2) | instskip(NEXT) | instid1(VALU_DEP_1)
	v_and_b32_e32 v3, 7, v3
	v_cndmask_b32_e32 v3, v5, v3, vcc_lo
	s_delay_alu instid0(VALU_DEP_3) | instskip(NEXT) | instid1(VALU_DEP_2)
	v_lshl_add_u32 v5, v7, 23, 0x3b800000
	v_lshlrev_b32_e32 v3, 20, v3
	s_delay_alu instid0(VALU_DEP_1) | instskip(NEXT) | instid1(VALU_DEP_1)
	v_or3_b32 v1, v1, v5, v3
	v_trunc_f32_e32 v1, v1
	s_delay_alu instid0(VALU_DEP_1) | instskip(NEXT) | instid1(VALU_DEP_1)
	v_mul_f32_e64 v3, 0x2f800000, |v1|
	v_floor_f32_e32 v3, v3
	s_delay_alu instid0(VALU_DEP_1) | instskip(SKIP_1) | instid1(VALU_DEP_2)
	v_fma_f32 v3, 0xcf800000, v3, |v1|
	v_ashrrev_i32_e32 v1, 31, v1
	v_cvt_u32_f32_e32 v3, v3
	s_delay_alu instid0(VALU_DEP_1) | instskip(NEXT) | instid1(VALU_DEP_1)
	v_xor_b32_e32 v3, v3, v1
	v_sub_nc_u32_e32 v16, v3, v1
.LBB7_2291:
	s_or_b32 exec_lo, exec_lo, s15
.LBB7_2292:
	s_mov_b32 s15, -1
.LBB7_2293:
	s_mov_b32 s16, 0
.LBB7_2294:
	s_delay_alu instid0(SALU_CYCLE_1)
	s_and_b32 vcc_lo, exec_lo, s16
	s_cbranch_vccz .LBB7_2325
; %bb.2295:
	s_cmp_gt_i32 s12, 22
	s_cbranch_scc0 .LBB7_2303
; %bb.2296:
	s_cmp_lt_i32 s12, 24
	s_cbranch_scc1 .LBB7_2306
; %bb.2297:
	s_cmp_gt_i32 s12, 24
	s_cbranch_scc0 .LBB7_2307
; %bb.2298:
	global_load_u8 v1, v[20:21], off
	s_mov_b32 s15, 0
	s_mov_b32 s14, exec_lo
	s_wait_loadcnt 0x0
	v_cmpx_lt_i16_e32 0x7f, v1
	s_xor_b32 s14, exec_lo, s14
	s_cbranch_execz .LBB7_2319
; %bb.2299:
	v_cmp_ne_u16_e32 vcc_lo, 0x80, v1
	s_and_b32 s15, vcc_lo, exec_lo
	s_and_not1_saveexec_b32 s14, s14
	s_cbranch_execnz .LBB7_2320
.LBB7_2300:
	s_or_b32 exec_lo, exec_lo, s14
	v_mov_b32_e32 v16, 0
	s_and_saveexec_b32 s14, s15
	s_cbranch_execz .LBB7_2302
.LBB7_2301:
	v_and_b32_e32 v3, 0xffff, v1
	s_delay_alu instid0(VALU_DEP_1) | instskip(SKIP_1) | instid1(VALU_DEP_2)
	v_dual_lshlrev_b32 v1, 24, v1 :: v_dual_bitop2_b32 v5, 3, v3 bitop3:0x40
	v_bfe_u32 v11, v3, 2, 5
	v_and_b32_e32 v1, 0x80000000, v1
	s_delay_alu instid0(VALU_DEP_3) | instskip(NEXT) | instid1(VALU_DEP_3)
	v_clz_i32_u32_e32 v7, v5
	v_cmp_eq_u32_e32 vcc_lo, 0, v11
	s_delay_alu instid0(VALU_DEP_2) | instskip(NEXT) | instid1(VALU_DEP_1)
	v_min_u32_e32 v7, 32, v7
	v_subrev_nc_u32_e32 v9, 29, v7
	v_sub_nc_u32_e32 v7, 30, v7
	s_delay_alu instid0(VALU_DEP_2) | instskip(NEXT) | instid1(VALU_DEP_2)
	v_lshlrev_b32_e32 v3, v9, v3
	v_cndmask_b32_e32 v7, v11, v7, vcc_lo
	s_delay_alu instid0(VALU_DEP_2) | instskip(NEXT) | instid1(VALU_DEP_1)
	v_and_b32_e32 v3, 3, v3
	v_cndmask_b32_e32 v3, v5, v3, vcc_lo
	s_delay_alu instid0(VALU_DEP_3) | instskip(NEXT) | instid1(VALU_DEP_2)
	v_lshl_add_u32 v5, v7, 23, 0x37800000
	v_lshlrev_b32_e32 v3, 21, v3
	s_delay_alu instid0(VALU_DEP_1) | instskip(NEXT) | instid1(VALU_DEP_1)
	v_or3_b32 v1, v1, v5, v3
	v_trunc_f32_e32 v1, v1
	s_delay_alu instid0(VALU_DEP_1) | instskip(NEXT) | instid1(VALU_DEP_1)
	v_mul_f32_e64 v3, 0x2f800000, |v1|
	v_floor_f32_e32 v3, v3
	s_delay_alu instid0(VALU_DEP_1) | instskip(SKIP_1) | instid1(VALU_DEP_2)
	v_fma_f32 v3, 0xcf800000, v3, |v1|
	v_ashrrev_i32_e32 v1, 31, v1
	v_cvt_u32_f32_e32 v3, v3
	s_delay_alu instid0(VALU_DEP_1) | instskip(NEXT) | instid1(VALU_DEP_1)
	v_xor_b32_e32 v3, v3, v1
	v_sub_nc_u32_e32 v16, v3, v1
.LBB7_2302:
	s_or_b32 exec_lo, exec_lo, s14
	s_mov_b32 s14, 0
	s_branch .LBB7_2308
.LBB7_2303:
	s_mov_b32 s14, -1
                                        ; implicit-def: $vgpr16
	s_branch .LBB7_2314
.LBB7_2304:
	s_and_not1_saveexec_b32 s15, s15
	s_cbranch_execz .LBB7_2289
.LBB7_2305:
	v_cmp_ne_u16_e32 vcc_lo, 0, v1
	s_and_not1_b32 s16, s16, exec_lo
	s_and_b32 s17, vcc_lo, exec_lo
	s_delay_alu instid0(SALU_CYCLE_1)
	s_or_b32 s16, s16, s17
	s_or_b32 exec_lo, exec_lo, s15
	v_mov_b32_e32 v16, 0
	s_and_saveexec_b32 s15, s16
	s_cbranch_execnz .LBB7_2290
	s_branch .LBB7_2291
.LBB7_2306:
	s_mov_b32 s14, -1
                                        ; implicit-def: $vgpr16
	s_branch .LBB7_2311
.LBB7_2307:
	s_mov_b32 s14, -1
                                        ; implicit-def: $vgpr16
.LBB7_2308:
	s_delay_alu instid0(SALU_CYCLE_1)
	s_and_b32 vcc_lo, exec_lo, s14
	s_cbranch_vccz .LBB7_2310
; %bb.2309:
	global_load_u8 v1, v[20:21], off
	s_wait_loadcnt 0x0
	v_lshlrev_b32_e32 v1, 24, v1
	s_delay_alu instid0(VALU_DEP_1) | instskip(NEXT) | instid1(VALU_DEP_1)
	v_and_b32_e32 v3, 0x7f000000, v1
	v_clz_i32_u32_e32 v5, v3
	v_add_nc_u32_e32 v9, 0x1000000, v3
	v_cmp_ne_u32_e32 vcc_lo, 0, v3
	s_delay_alu instid0(VALU_DEP_3) | instskip(NEXT) | instid1(VALU_DEP_1)
	v_min_u32_e32 v5, 32, v5
	v_sub_nc_u32_e64 v5, v5, 4 clamp
	s_delay_alu instid0(VALU_DEP_1) | instskip(NEXT) | instid1(VALU_DEP_1)
	v_dual_lshlrev_b32 v7, v5, v3 :: v_dual_lshlrev_b32 v5, 23, v5
	v_lshrrev_b32_e32 v7, 4, v7
	s_delay_alu instid0(VALU_DEP_1) | instskip(SKIP_1) | instid1(VALU_DEP_2)
	v_sub_nc_u32_e32 v5, v7, v5
	v_ashrrev_i32_e32 v7, 8, v9
	v_add_nc_u32_e32 v5, 0x3c000000, v5
	s_delay_alu instid0(VALU_DEP_1) | instskip(NEXT) | instid1(VALU_DEP_1)
	v_and_or_b32 v5, 0x7f800000, v7, v5
	v_cndmask_b32_e32 v3, 0, v5, vcc_lo
	s_delay_alu instid0(VALU_DEP_1) | instskip(NEXT) | instid1(VALU_DEP_1)
	v_and_or_b32 v1, 0x80000000, v1, v3
	v_trunc_f32_e32 v1, v1
	s_delay_alu instid0(VALU_DEP_1) | instskip(NEXT) | instid1(VALU_DEP_1)
	v_mul_f32_e64 v3, 0x2f800000, |v1|
	v_floor_f32_e32 v3, v3
	s_delay_alu instid0(VALU_DEP_1) | instskip(SKIP_1) | instid1(VALU_DEP_2)
	v_fma_f32 v3, 0xcf800000, v3, |v1|
	v_ashrrev_i32_e32 v1, 31, v1
	v_cvt_u32_f32_e32 v3, v3
	s_delay_alu instid0(VALU_DEP_1) | instskip(NEXT) | instid1(VALU_DEP_1)
	v_xor_b32_e32 v3, v3, v1
	v_sub_nc_u32_e32 v16, v3, v1
.LBB7_2310:
	s_mov_b32 s14, 0
.LBB7_2311:
	s_delay_alu instid0(SALU_CYCLE_1)
	s_and_not1_b32 vcc_lo, exec_lo, s14
	s_cbranch_vccnz .LBB7_2313
; %bb.2312:
	global_load_u8 v1, v[20:21], off
	s_wait_loadcnt 0x0
	v_lshlrev_b32_e32 v3, 25, v1
	v_lshlrev_b16 v1, 8, v1
	s_delay_alu instid0(VALU_DEP_1) | instskip(SKIP_1) | instid1(VALU_DEP_2)
	v_and_or_b32 v7, 0x7f00, v1, 0.5
	v_bfe_i32 v1, v1, 0, 16
	v_add_f32_e32 v7, -0.5, v7
	v_lshrrev_b32_e32 v5, 4, v3
	v_cmp_gt_u32_e32 vcc_lo, 0x8000000, v3
	s_delay_alu instid0(VALU_DEP_2) | instskip(NEXT) | instid1(VALU_DEP_1)
	v_or_b32_e32 v5, 0x70000000, v5
	v_mul_f32_e32 v5, 0x7800000, v5
	s_delay_alu instid0(VALU_DEP_1) | instskip(NEXT) | instid1(VALU_DEP_1)
	v_cndmask_b32_e32 v3, v5, v7, vcc_lo
	v_and_or_b32 v1, 0x80000000, v1, v3
	s_delay_alu instid0(VALU_DEP_1) | instskip(NEXT) | instid1(VALU_DEP_1)
	v_trunc_f32_e32 v1, v1
	v_mul_f32_e64 v3, 0x2f800000, |v1|
	s_delay_alu instid0(VALU_DEP_1) | instskip(NEXT) | instid1(VALU_DEP_1)
	v_floor_f32_e32 v3, v3
	v_fma_f32 v3, 0xcf800000, v3, |v1|
	v_ashrrev_i32_e32 v1, 31, v1
	s_delay_alu instid0(VALU_DEP_2) | instskip(NEXT) | instid1(VALU_DEP_1)
	v_cvt_u32_f32_e32 v3, v3
	v_xor_b32_e32 v3, v3, v1
	s_delay_alu instid0(VALU_DEP_1)
	v_sub_nc_u32_e32 v16, v3, v1
.LBB7_2313:
	s_mov_b32 s14, 0
	s_mov_b32 s15, -1
.LBB7_2314:
	s_and_not1_b32 vcc_lo, exec_lo, s14
	s_mov_b32 s14, 0
	s_cbranch_vccnz .LBB7_2325
; %bb.2315:
	s_cmp_gt_i32 s12, 14
	s_cbranch_scc0 .LBB7_2318
; %bb.2316:
	s_cmp_eq_u32 s12, 15
	s_cbranch_scc0 .LBB7_2321
; %bb.2317:
	global_load_u16 v1, v[20:21], off
	s_mov_b32 s13, 0
	s_mov_b32 s15, -1
	s_wait_loadcnt 0x0
	v_lshlrev_b32_e32 v1, 16, v1
	s_delay_alu instid0(VALU_DEP_1) | instskip(NEXT) | instid1(VALU_DEP_1)
	v_trunc_f32_e32 v1, v1
	v_mul_f32_e64 v3, 0x2f800000, |v1|
	s_delay_alu instid0(VALU_DEP_1) | instskip(NEXT) | instid1(VALU_DEP_1)
	v_floor_f32_e32 v3, v3
	v_fma_f32 v3, 0xcf800000, v3, |v1|
	v_ashrrev_i32_e32 v1, 31, v1
	s_delay_alu instid0(VALU_DEP_2) | instskip(NEXT) | instid1(VALU_DEP_1)
	v_cvt_u32_f32_e32 v3, v3
	v_xor_b32_e32 v3, v3, v1
	s_delay_alu instid0(VALU_DEP_1)
	v_sub_nc_u32_e32 v16, v3, v1
	s_branch .LBB7_2323
.LBB7_2318:
	s_mov_b32 s14, -1
	s_branch .LBB7_2322
.LBB7_2319:
	s_and_not1_saveexec_b32 s14, s14
	s_cbranch_execz .LBB7_2300
.LBB7_2320:
	v_cmp_ne_u16_e32 vcc_lo, 0, v1
	s_and_not1_b32 s15, s15, exec_lo
	s_and_b32 s16, vcc_lo, exec_lo
	s_delay_alu instid0(SALU_CYCLE_1)
	s_or_b32 s15, s15, s16
	s_or_b32 exec_lo, exec_lo, s14
	v_mov_b32_e32 v16, 0
	s_and_saveexec_b32 s14, s15
	s_cbranch_execnz .LBB7_2301
	s_branch .LBB7_2302
.LBB7_2321:
	s_mov_b32 s13, -1
.LBB7_2322:
                                        ; implicit-def: $vgpr16
.LBB7_2323:
	s_and_b32 vcc_lo, exec_lo, s14
	s_mov_b32 s14, 0
	s_cbranch_vccz .LBB7_2325
; %bb.2324:
	s_cmp_lg_u32 s12, 11
	s_mov_b32 s14, -1
	s_cselect_b32 s13, -1, 0
.LBB7_2325:
	s_delay_alu instid0(SALU_CYCLE_1)
	s_and_b32 vcc_lo, exec_lo, s13
	s_cbranch_vccnz .LBB7_2393
; %bb.2326:
	s_and_not1_b32 vcc_lo, exec_lo, s14
	s_cbranch_vccnz .LBB7_2328
.LBB7_2327:
	global_load_u8 v1, v[20:21], off
	s_mov_b32 s15, -1
	s_wait_loadcnt 0x0
	v_cmp_ne_u16_e32 vcc_lo, 0, v1
	v_cndmask_b32_e64 v16, 0, 1, vcc_lo
.LBB7_2328:
	s_mov_b32 s13, 0
.LBB7_2329:
	s_delay_alu instid0(SALU_CYCLE_1)
	s_and_b32 vcc_lo, exec_lo, s13
	s_cbranch_vccz .LBB7_2378
; %bb.2330:
	s_cmp_lt_i32 s12, 5
	s_cbranch_scc1 .LBB7_2335
; %bb.2331:
	s_cmp_lt_i32 s12, 8
	s_cbranch_scc1 .LBB7_2336
	;; [unrolled: 3-line block ×3, first 2 shown]
; %bb.2333:
	s_cmp_gt_i32 s12, 9
	s_cbranch_scc0 .LBB7_2338
; %bb.2334:
	s_wait_loadcnt 0x0
	global_load_b64 v[16:17], v[20:21], off
	s_mov_b32 s13, 0
	s_wait_loadcnt 0x0
	v_trunc_f64_e32 v[16:17], v[16:17]
	s_delay_alu instid0(VALU_DEP_1) | instskip(NEXT) | instid1(VALU_DEP_1)
	v_ldexp_f64 v[22:23], v[16:17], 0xffffffe0
	v_floor_f64_e32 v[22:23], v[22:23]
	s_delay_alu instid0(VALU_DEP_1) | instskip(NEXT) | instid1(VALU_DEP_1)
	v_fmamk_f64 v[16:17], v[22:23], 0xc1f00000, v[16:17]
	v_cvt_u32_f64_e32 v16, v[16:17]
	s_branch .LBB7_2339
.LBB7_2335:
	s_mov_b32 s13, -1
                                        ; implicit-def: $vgpr16
	s_branch .LBB7_2357
.LBB7_2336:
	s_mov_b32 s13, -1
                                        ; implicit-def: $vgpr16
	s_branch .LBB7_2345
.LBB7_2337:
	s_mov_b32 s13, -1
                                        ; implicit-def: $vgpr16
	s_branch .LBB7_2342
.LBB7_2338:
	s_mov_b32 s13, -1
                                        ; implicit-def: $vgpr16
.LBB7_2339:
	s_delay_alu instid0(SALU_CYCLE_1)
	s_and_not1_b32 vcc_lo, exec_lo, s13
	s_cbranch_vccnz .LBB7_2341
; %bb.2340:
	global_load_b32 v1, v[20:21], off
	s_wait_loadcnt 0x0
	v_trunc_f32_e32 v1, v1
	s_delay_alu instid0(VALU_DEP_1) | instskip(NEXT) | instid1(VALU_DEP_1)
	v_mul_f32_e64 v3, 0x2f800000, |v1|
	v_floor_f32_e32 v3, v3
	s_delay_alu instid0(VALU_DEP_1) | instskip(SKIP_1) | instid1(VALU_DEP_2)
	v_fma_f32 v3, 0xcf800000, v3, |v1|
	v_ashrrev_i32_e32 v1, 31, v1
	v_cvt_u32_f32_e32 v3, v3
	s_delay_alu instid0(VALU_DEP_1) | instskip(NEXT) | instid1(VALU_DEP_1)
	v_xor_b32_e32 v3, v3, v1
	v_sub_nc_u32_e32 v16, v3, v1
.LBB7_2341:
	s_mov_b32 s13, 0
.LBB7_2342:
	s_delay_alu instid0(SALU_CYCLE_1)
	s_and_not1_b32 vcc_lo, exec_lo, s13
	s_cbranch_vccnz .LBB7_2344
; %bb.2343:
	global_load_b32 v1, v[20:21], off
	s_wait_loadcnt 0x0
	v_cvt_f32_f16_e32 v1, v1
	s_delay_alu instid0(VALU_DEP_1)
	v_cvt_i32_f32_e32 v16, v1
.LBB7_2344:
	s_mov_b32 s13, 0
.LBB7_2345:
	s_delay_alu instid0(SALU_CYCLE_1)
	s_and_not1_b32 vcc_lo, exec_lo, s13
	s_cbranch_vccnz .LBB7_2356
; %bb.2346:
	s_cmp_lt_i32 s12, 6
	s_cbranch_scc1 .LBB7_2349
; %bb.2347:
	s_cmp_gt_i32 s12, 6
	s_cbranch_scc0 .LBB7_2350
; %bb.2348:
	s_wait_loadcnt 0x0
	global_load_b64 v[16:17], v[20:21], off
	s_mov_b32 s13, 0
	s_wait_loadcnt 0x0
	v_trunc_f64_e32 v[16:17], v[16:17]
	s_delay_alu instid0(VALU_DEP_1) | instskip(NEXT) | instid1(VALU_DEP_1)
	v_ldexp_f64 v[22:23], v[16:17], 0xffffffe0
	v_floor_f64_e32 v[22:23], v[22:23]
	s_delay_alu instid0(VALU_DEP_1) | instskip(NEXT) | instid1(VALU_DEP_1)
	v_fmamk_f64 v[16:17], v[22:23], 0xc1f00000, v[16:17]
	v_cvt_u32_f64_e32 v16, v[16:17]
	s_branch .LBB7_2351
.LBB7_2349:
	s_mov_b32 s13, -1
                                        ; implicit-def: $vgpr16
	s_branch .LBB7_2354
.LBB7_2350:
	s_mov_b32 s13, -1
                                        ; implicit-def: $vgpr16
.LBB7_2351:
	s_delay_alu instid0(SALU_CYCLE_1)
	s_and_not1_b32 vcc_lo, exec_lo, s13
	s_cbranch_vccnz .LBB7_2353
; %bb.2352:
	global_load_b32 v1, v[20:21], off
	s_wait_loadcnt 0x0
	v_trunc_f32_e32 v1, v1
	s_delay_alu instid0(VALU_DEP_1) | instskip(NEXT) | instid1(VALU_DEP_1)
	v_mul_f32_e64 v3, 0x2f800000, |v1|
	v_floor_f32_e32 v3, v3
	s_delay_alu instid0(VALU_DEP_1) | instskip(SKIP_1) | instid1(VALU_DEP_2)
	v_fma_f32 v3, 0xcf800000, v3, |v1|
	v_ashrrev_i32_e32 v1, 31, v1
	v_cvt_u32_f32_e32 v3, v3
	s_delay_alu instid0(VALU_DEP_1) | instskip(NEXT) | instid1(VALU_DEP_1)
	v_xor_b32_e32 v3, v3, v1
	v_sub_nc_u32_e32 v16, v3, v1
.LBB7_2353:
	s_mov_b32 s13, 0
.LBB7_2354:
	s_delay_alu instid0(SALU_CYCLE_1)
	s_and_not1_b32 vcc_lo, exec_lo, s13
	s_cbranch_vccnz .LBB7_2356
; %bb.2355:
	global_load_u16 v1, v[20:21], off
	s_wait_loadcnt 0x0
	v_cvt_f32_f16_e32 v1, v1
	s_delay_alu instid0(VALU_DEP_1)
	v_cvt_i32_f32_e32 v16, v1
.LBB7_2356:
	s_mov_b32 s13, 0
.LBB7_2357:
	s_delay_alu instid0(SALU_CYCLE_1)
	s_and_not1_b32 vcc_lo, exec_lo, s13
	s_cbranch_vccnz .LBB7_2377
; %bb.2358:
	s_cmp_lt_i32 s12, 2
	s_cbranch_scc1 .LBB7_2362
; %bb.2359:
	s_cmp_lt_i32 s12, 3
	s_cbranch_scc1 .LBB7_2363
; %bb.2360:
	s_cmp_gt_i32 s12, 3
	s_cbranch_scc0 .LBB7_2364
; %bb.2361:
	s_wait_loadcnt 0x0
	global_load_b64 v[16:17], v[20:21], off
	s_mov_b32 s13, 0
	s_branch .LBB7_2365
.LBB7_2362:
	s_mov_b32 s13, -1
                                        ; implicit-def: $vgpr16
	s_branch .LBB7_2371
.LBB7_2363:
	s_mov_b32 s13, -1
                                        ; implicit-def: $vgpr16
	s_branch .LBB7_2368
.LBB7_2364:
	s_mov_b32 s13, -1
                                        ; implicit-def: $vgpr16
.LBB7_2365:
	s_delay_alu instid0(SALU_CYCLE_1)
	s_and_not1_b32 vcc_lo, exec_lo, s13
	s_cbranch_vccnz .LBB7_2367
; %bb.2366:
	s_wait_loadcnt 0x0
	global_load_b32 v16, v[20:21], off
.LBB7_2367:
	s_mov_b32 s13, 0
.LBB7_2368:
	s_delay_alu instid0(SALU_CYCLE_1)
	s_and_not1_b32 vcc_lo, exec_lo, s13
	s_cbranch_vccnz .LBB7_2370
; %bb.2369:
	s_wait_loadcnt 0x0
	global_load_u16 v16, v[20:21], off
.LBB7_2370:
	s_mov_b32 s13, 0
.LBB7_2371:
	s_delay_alu instid0(SALU_CYCLE_1)
	s_and_not1_b32 vcc_lo, exec_lo, s13
	s_cbranch_vccnz .LBB7_2377
; %bb.2372:
	s_cmp_gt_i32 s12, 0
	s_mov_b32 s13, 0
	s_cbranch_scc0 .LBB7_2374
; %bb.2373:
	s_wait_loadcnt 0x0
	global_load_u8 v16, v[20:21], off
	s_branch .LBB7_2375
.LBB7_2374:
	s_mov_b32 s13, -1
                                        ; implicit-def: $vgpr16
.LBB7_2375:
	s_delay_alu instid0(SALU_CYCLE_1)
	s_and_not1_b32 vcc_lo, exec_lo, s13
	s_cbranch_vccnz .LBB7_2377
; %bb.2376:
	s_wait_loadcnt 0x0
	global_load_u8 v16, v[20:21], off
.LBB7_2377:
	s_mov_b32 s15, -1
.LBB7_2378:
	s_delay_alu instid0(SALU_CYCLE_1)
	s_and_not1_b32 vcc_lo, exec_lo, s15
	s_cbranch_vccnz .LBB7_2717
; %bb.2379:
	s_wait_loadcnt 0x0
	s_delay_alu instid0(VALU_DEP_3) | instskip(SKIP_3) | instid1(VALU_DEP_1)
	v_and_b32_e32 v1, 0xff, v18
	s_mov_b32 s14, 0
	s_mov_b32 s13, exec_lo
	s_wait_xcnt 0x0
	v_cmpx_ne_u16_e32 0, v1
	s_cbranch_execz .LBB7_2382
.LBB7_2380:                             ; =>This Inner Loop Header: Depth=1
	s_delay_alu instid0(VALU_DEP_3) | instskip(SKIP_1) | instid1(VALU_DEP_1)
	v_cvt_f32_ubyte0_e32 v7, v16
	v_mov_b32_e32 v1, v18
	v_cvt_f32_ubyte0_e32 v3, v1
	s_delay_alu instid0(VALU_DEP_1) | instskip(SKIP_1) | instid1(TRANS32_DEP_1)
	v_rcp_iflag_f32_e32 v5, v3
	v_nop
	v_mul_f32_e32 v5, v7, v5
	s_delay_alu instid0(VALU_DEP_1) | instskip(NEXT) | instid1(VALU_DEP_1)
	v_trunc_f32_e32 v5, v5
	v_fma_f32 v7, -v5, v3, v7
	v_cvt_u32_f32_e32 v5, v5
	s_delay_alu instid0(VALU_DEP_2) | instskip(NEXT) | instid1(VALU_DEP_1)
	v_cmp_ge_f32_e64 vcc_lo, |v7|, v3
	v_add_co_ci_u32_e64 v3, null, 0, v5, vcc_lo
	s_delay_alu instid0(VALU_DEP_1) | instskip(NEXT) | instid1(VALU_DEP_1)
	v_mul_lo_u32 v3, v3, v1
	v_dual_mov_b32 v16, v1 :: v_dual_sub_nc_u32 v3, v16, v3
	s_delay_alu instid0(VALU_DEP_1) | instskip(NEXT) | instid1(VALU_DEP_1)
	v_and_b32_e32 v18, 0xff, v3
	v_cmp_eq_u16_e32 vcc_lo, 0, v18
	s_or_b32 s14, vcc_lo, s14
	s_delay_alu instid0(SALU_CYCLE_1)
	s_and_not1_b32 exec_lo, exec_lo, s14
	s_cbranch_execnz .LBB7_2380
; %bb.2381:
	s_or_b32 exec_lo, exec_lo, s14
	v_mov_b32_e32 v16, v1
.LBB7_2382:
	s_or_b32 exec_lo, exec_lo, s13
	v_mov_b32_e32 v15, 0
	s_cmp_lt_i32 s11, 11
	s_delay_alu instid0(VALU_DEP_1)
	v_add_nc_u64_e32 v[18:19], s[6:7], v[14:15]
	s_cbranch_scc1 .LBB7_2389
; %bb.2383:
	s_cmp_gt_i32 s11, 25
	s_mov_b32 s7, 0
	s_cbranch_scc0 .LBB7_2390
; %bb.2384:
	s_cmp_gt_i32 s11, 28
	s_cbranch_scc0 .LBB7_2391
; %bb.2385:
	s_cmp_gt_i32 s11, 43
	;; [unrolled: 3-line block ×3, first 2 shown]
	s_cbranch_scc0 .LBB7_2394
; %bb.2387:
	s_cmp_eq_u32 s11, 46
	s_mov_b32 s14, 0
	s_cbranch_scc0 .LBB7_2395
; %bb.2388:
	global_load_b32 v1, v[18:19], off
	s_mov_b32 s6, 0
	s_mov_b32 s13, -1
	s_wait_loadcnt 0x0
	v_lshlrev_b32_e32 v1, 16, v1
	s_delay_alu instid0(VALU_DEP_1) | instskip(NEXT) | instid1(VALU_DEP_1)
	v_trunc_f32_e32 v1, v1
	v_mul_f32_e64 v3, 0x2f800000, |v1|
	s_delay_alu instid0(VALU_DEP_1) | instskip(NEXT) | instid1(VALU_DEP_1)
	v_floor_f32_e32 v3, v3
	v_fma_f32 v3, 0xcf800000, v3, |v1|
	v_ashrrev_i32_e32 v1, 31, v1
	s_delay_alu instid0(VALU_DEP_2) | instskip(NEXT) | instid1(VALU_DEP_1)
	v_cvt_u32_f32_e32 v3, v3
	v_xor_b32_e32 v3, v3, v1
	s_delay_alu instid0(VALU_DEP_1)
	v_sub_nc_u32_e32 v14, v3, v1
	s_branch .LBB7_2397
.LBB7_2389:
	s_mov_b32 s6, -1
	s_mov_b32 s13, 0
                                        ; implicit-def: $vgpr14
	s_branch .LBB7_2459
.LBB7_2390:
	s_mov_b32 s14, -1
	s_mov_b32 s13, 0
	s_mov_b32 s6, 0
                                        ; implicit-def: $vgpr14
	s_branch .LBB7_2424
.LBB7_2391:
	s_mov_b32 s14, -1
	s_mov_b32 s13, 0
	s_mov_b32 s6, 0
                                        ; implicit-def: $vgpr14
	s_branch .LBB7_2407
.LBB7_2392:
	s_mov_b32 s14, -1
	s_mov_b32 s13, 0
	s_mov_b32 s6, 0
                                        ; implicit-def: $vgpr14
	s_branch .LBB7_2402
.LBB7_2393:
	s_or_b32 s10, s10, exec_lo
	s_trap 2
	s_cbranch_execz .LBB7_2327
	s_branch .LBB7_2328
.LBB7_2394:
	s_mov_b32 s14, -1
	s_mov_b32 s13, 0
	s_mov_b32 s6, 0
	s_branch .LBB7_2396
.LBB7_2395:
	s_mov_b32 s6, -1
	s_mov_b32 s13, 0
.LBB7_2396:
                                        ; implicit-def: $vgpr14
.LBB7_2397:
	s_and_b32 vcc_lo, exec_lo, s14
	s_cbranch_vccz .LBB7_2401
; %bb.2398:
	s_cmp_eq_u32 s11, 44
	s_cbranch_scc0 .LBB7_2400
; %bb.2399:
	global_load_u8 v1, v[18:19], off
	s_mov_b32 s6, 0
	s_mov_b32 s13, -1
	s_wait_loadcnt 0x0
	v_lshlrev_b32_e32 v3, 23, v1
	v_cmp_ne_u32_e32 vcc_lo, 0, v1
	s_delay_alu instid0(VALU_DEP_2) | instskip(NEXT) | instid1(VALU_DEP_1)
	v_trunc_f32_e32 v3, v3
	v_mul_f32_e64 v5, 0x2f800000, |v3|
	s_delay_alu instid0(VALU_DEP_1) | instskip(NEXT) | instid1(VALU_DEP_1)
	v_floor_f32_e32 v5, v5
	v_fma_f32 v5, 0xcf800000, v5, |v3|
	v_ashrrev_i32_e32 v3, 31, v3
	s_delay_alu instid0(VALU_DEP_2) | instskip(NEXT) | instid1(VALU_DEP_1)
	v_cvt_u32_f32_e32 v5, v5
	v_xor_b32_e32 v5, v5, v3
	s_delay_alu instid0(VALU_DEP_1) | instskip(NEXT) | instid1(VALU_DEP_1)
	v_sub_nc_u32_e32 v3, v5, v3
	v_cndmask_b32_e32 v14, 0, v3, vcc_lo
	s_branch .LBB7_2401
.LBB7_2400:
	s_mov_b32 s6, -1
                                        ; implicit-def: $vgpr14
.LBB7_2401:
	s_mov_b32 s14, 0
.LBB7_2402:
	s_delay_alu instid0(SALU_CYCLE_1)
	s_and_b32 vcc_lo, exec_lo, s14
	s_cbranch_vccz .LBB7_2406
; %bb.2403:
	s_cmp_eq_u32 s11, 29
	s_cbranch_scc0 .LBB7_2405
; %bb.2404:
	global_load_b64 v[14:15], v[18:19], off
	s_mov_b32 s6, 0
	s_mov_b32 s13, -1
	s_branch .LBB7_2406
.LBB7_2405:
	s_mov_b32 s6, -1
                                        ; implicit-def: $vgpr14
.LBB7_2406:
	s_mov_b32 s14, 0
.LBB7_2407:
	s_delay_alu instid0(SALU_CYCLE_1)
	s_and_b32 vcc_lo, exec_lo, s14
	s_cbranch_vccz .LBB7_2423
; %bb.2408:
	s_cmp_lt_i32 s11, 27
	s_cbranch_scc1 .LBB7_2411
; %bb.2409:
	s_cmp_gt_i32 s11, 27
	s_cbranch_scc0 .LBB7_2412
; %bb.2410:
	s_wait_loadcnt 0x0
	global_load_b32 v14, v[18:19], off
	s_mov_b32 s13, 0
	s_branch .LBB7_2413
.LBB7_2411:
	s_mov_b32 s13, -1
                                        ; implicit-def: $vgpr14
	s_branch .LBB7_2416
.LBB7_2412:
	s_mov_b32 s13, -1
                                        ; implicit-def: $vgpr14
.LBB7_2413:
	s_delay_alu instid0(SALU_CYCLE_1)
	s_and_not1_b32 vcc_lo, exec_lo, s13
	s_cbranch_vccnz .LBB7_2415
; %bb.2414:
	s_wait_loadcnt 0x0
	global_load_u16 v14, v[18:19], off
.LBB7_2415:
	s_mov_b32 s13, 0
.LBB7_2416:
	s_delay_alu instid0(SALU_CYCLE_1)
	s_and_not1_b32 vcc_lo, exec_lo, s13
	s_cbranch_vccnz .LBB7_2422
; %bb.2417:
	global_load_u8 v1, v[18:19], off
	s_mov_b32 s14, 0
	s_mov_b32 s13, exec_lo
	s_wait_loadcnt 0x0
	v_cmpx_lt_i16_e32 0x7f, v1
	s_xor_b32 s13, exec_lo, s13
	s_cbranch_execz .LBB7_2434
; %bb.2418:
	v_cmp_ne_u16_e32 vcc_lo, 0x80, v1
	s_and_b32 s14, vcc_lo, exec_lo
	s_and_not1_saveexec_b32 s13, s13
	s_cbranch_execnz .LBB7_2435
.LBB7_2419:
	s_or_b32 exec_lo, exec_lo, s13
	v_mov_b32_e32 v14, 0
	s_and_saveexec_b32 s13, s14
	s_cbranch_execz .LBB7_2421
.LBB7_2420:
	v_and_b32_e32 v3, 0xffff, v1
	s_delay_alu instid0(VALU_DEP_1) | instskip(SKIP_1) | instid1(VALU_DEP_2)
	v_dual_lshlrev_b32 v1, 24, v1 :: v_dual_bitop2_b32 v5, 7, v3 bitop3:0x40
	v_bfe_u32 v11, v3, 3, 4
	v_and_b32_e32 v1, 0x80000000, v1
	s_delay_alu instid0(VALU_DEP_3) | instskip(NEXT) | instid1(VALU_DEP_3)
	v_clz_i32_u32_e32 v7, v5
	v_cmp_eq_u32_e32 vcc_lo, 0, v11
	s_delay_alu instid0(VALU_DEP_2) | instskip(NEXT) | instid1(VALU_DEP_1)
	v_min_u32_e32 v7, 32, v7
	v_subrev_nc_u32_e32 v9, 28, v7
	v_sub_nc_u32_e32 v7, 29, v7
	s_delay_alu instid0(VALU_DEP_2) | instskip(NEXT) | instid1(VALU_DEP_2)
	v_lshlrev_b32_e32 v3, v9, v3
	v_cndmask_b32_e32 v7, v11, v7, vcc_lo
	s_delay_alu instid0(VALU_DEP_2) | instskip(NEXT) | instid1(VALU_DEP_1)
	v_and_b32_e32 v3, 7, v3
	v_cndmask_b32_e32 v3, v5, v3, vcc_lo
	s_delay_alu instid0(VALU_DEP_3) | instskip(NEXT) | instid1(VALU_DEP_2)
	v_lshl_add_u32 v5, v7, 23, 0x3b800000
	v_lshlrev_b32_e32 v3, 20, v3
	s_delay_alu instid0(VALU_DEP_1) | instskip(NEXT) | instid1(VALU_DEP_1)
	v_or3_b32 v1, v1, v5, v3
	v_trunc_f32_e32 v1, v1
	s_delay_alu instid0(VALU_DEP_1) | instskip(NEXT) | instid1(VALU_DEP_1)
	v_mul_f32_e64 v3, 0x2f800000, |v1|
	v_floor_f32_e32 v3, v3
	s_delay_alu instid0(VALU_DEP_1) | instskip(SKIP_1) | instid1(VALU_DEP_2)
	v_fma_f32 v3, 0xcf800000, v3, |v1|
	v_ashrrev_i32_e32 v1, 31, v1
	v_cvt_u32_f32_e32 v3, v3
	s_delay_alu instid0(VALU_DEP_1) | instskip(NEXT) | instid1(VALU_DEP_1)
	v_xor_b32_e32 v3, v3, v1
	v_sub_nc_u32_e32 v14, v3, v1
.LBB7_2421:
	s_or_b32 exec_lo, exec_lo, s13
.LBB7_2422:
	s_mov_b32 s13, -1
.LBB7_2423:
	s_mov_b32 s14, 0
.LBB7_2424:
	s_delay_alu instid0(SALU_CYCLE_1)
	s_and_b32 vcc_lo, exec_lo, s14
	s_cbranch_vccz .LBB7_2455
; %bb.2425:
	s_cmp_gt_i32 s11, 22
	s_cbranch_scc0 .LBB7_2433
; %bb.2426:
	s_cmp_lt_i32 s11, 24
	s_cbranch_scc1 .LBB7_2436
; %bb.2427:
	s_cmp_gt_i32 s11, 24
	s_cbranch_scc0 .LBB7_2437
; %bb.2428:
	global_load_u8 v1, v[18:19], off
	s_mov_b32 s13, 0
	s_mov_b32 s7, exec_lo
	s_wait_loadcnt 0x0
	v_cmpx_lt_i16_e32 0x7f, v1
	s_xor_b32 s7, exec_lo, s7
	s_cbranch_execz .LBB7_2449
; %bb.2429:
	v_cmp_ne_u16_e32 vcc_lo, 0x80, v1
	s_and_b32 s13, vcc_lo, exec_lo
	s_and_not1_saveexec_b32 s7, s7
	s_cbranch_execnz .LBB7_2450
.LBB7_2430:
	s_or_b32 exec_lo, exec_lo, s7
	v_mov_b32_e32 v14, 0
	s_and_saveexec_b32 s7, s13
	s_cbranch_execz .LBB7_2432
.LBB7_2431:
	v_and_b32_e32 v3, 0xffff, v1
	s_delay_alu instid0(VALU_DEP_1) | instskip(SKIP_1) | instid1(VALU_DEP_2)
	v_dual_lshlrev_b32 v1, 24, v1 :: v_dual_bitop2_b32 v5, 3, v3 bitop3:0x40
	v_bfe_u32 v11, v3, 2, 5
	v_and_b32_e32 v1, 0x80000000, v1
	s_delay_alu instid0(VALU_DEP_3) | instskip(NEXT) | instid1(VALU_DEP_3)
	v_clz_i32_u32_e32 v7, v5
	v_cmp_eq_u32_e32 vcc_lo, 0, v11
	s_delay_alu instid0(VALU_DEP_2) | instskip(NEXT) | instid1(VALU_DEP_1)
	v_min_u32_e32 v7, 32, v7
	v_subrev_nc_u32_e32 v9, 29, v7
	v_sub_nc_u32_e32 v7, 30, v7
	s_delay_alu instid0(VALU_DEP_2) | instskip(NEXT) | instid1(VALU_DEP_2)
	v_lshlrev_b32_e32 v3, v9, v3
	v_cndmask_b32_e32 v7, v11, v7, vcc_lo
	s_delay_alu instid0(VALU_DEP_2) | instskip(NEXT) | instid1(VALU_DEP_1)
	v_and_b32_e32 v3, 3, v3
	v_cndmask_b32_e32 v3, v5, v3, vcc_lo
	s_delay_alu instid0(VALU_DEP_3) | instskip(NEXT) | instid1(VALU_DEP_2)
	v_lshl_add_u32 v5, v7, 23, 0x37800000
	v_lshlrev_b32_e32 v3, 21, v3
	s_delay_alu instid0(VALU_DEP_1) | instskip(NEXT) | instid1(VALU_DEP_1)
	v_or3_b32 v1, v1, v5, v3
	v_trunc_f32_e32 v1, v1
	s_delay_alu instid0(VALU_DEP_1) | instskip(NEXT) | instid1(VALU_DEP_1)
	v_mul_f32_e64 v3, 0x2f800000, |v1|
	v_floor_f32_e32 v3, v3
	s_delay_alu instid0(VALU_DEP_1) | instskip(SKIP_1) | instid1(VALU_DEP_2)
	v_fma_f32 v3, 0xcf800000, v3, |v1|
	v_ashrrev_i32_e32 v1, 31, v1
	v_cvt_u32_f32_e32 v3, v3
	s_delay_alu instid0(VALU_DEP_1) | instskip(NEXT) | instid1(VALU_DEP_1)
	v_xor_b32_e32 v3, v3, v1
	v_sub_nc_u32_e32 v14, v3, v1
.LBB7_2432:
	s_or_b32 exec_lo, exec_lo, s7
	s_mov_b32 s7, 0
	s_branch .LBB7_2438
.LBB7_2433:
	s_mov_b32 s7, -1
                                        ; implicit-def: $vgpr14
	s_branch .LBB7_2444
.LBB7_2434:
	s_and_not1_saveexec_b32 s13, s13
	s_cbranch_execz .LBB7_2419
.LBB7_2435:
	v_cmp_ne_u16_e32 vcc_lo, 0, v1
	s_and_not1_b32 s14, s14, exec_lo
	s_and_b32 s15, vcc_lo, exec_lo
	s_delay_alu instid0(SALU_CYCLE_1)
	s_or_b32 s14, s14, s15
	s_or_b32 exec_lo, exec_lo, s13
	v_mov_b32_e32 v14, 0
	s_and_saveexec_b32 s13, s14
	s_cbranch_execnz .LBB7_2420
	s_branch .LBB7_2421
.LBB7_2436:
	s_mov_b32 s7, -1
                                        ; implicit-def: $vgpr14
	s_branch .LBB7_2441
.LBB7_2437:
	s_mov_b32 s7, -1
                                        ; implicit-def: $vgpr14
.LBB7_2438:
	s_delay_alu instid0(SALU_CYCLE_1)
	s_and_b32 vcc_lo, exec_lo, s7
	s_cbranch_vccz .LBB7_2440
; %bb.2439:
	global_load_u8 v1, v[18:19], off
	s_wait_loadcnt 0x0
	v_lshlrev_b32_e32 v1, 24, v1
	s_delay_alu instid0(VALU_DEP_1) | instskip(NEXT) | instid1(VALU_DEP_1)
	v_and_b32_e32 v3, 0x7f000000, v1
	v_clz_i32_u32_e32 v5, v3
	v_add_nc_u32_e32 v9, 0x1000000, v3
	v_cmp_ne_u32_e32 vcc_lo, 0, v3
	s_delay_alu instid0(VALU_DEP_3) | instskip(NEXT) | instid1(VALU_DEP_1)
	v_min_u32_e32 v5, 32, v5
	v_sub_nc_u32_e64 v5, v5, 4 clamp
	s_delay_alu instid0(VALU_DEP_1) | instskip(NEXT) | instid1(VALU_DEP_1)
	v_dual_lshlrev_b32 v7, v5, v3 :: v_dual_lshlrev_b32 v5, 23, v5
	v_lshrrev_b32_e32 v7, 4, v7
	s_delay_alu instid0(VALU_DEP_1) | instskip(SKIP_1) | instid1(VALU_DEP_2)
	v_sub_nc_u32_e32 v5, v7, v5
	v_ashrrev_i32_e32 v7, 8, v9
	v_add_nc_u32_e32 v5, 0x3c000000, v5
	s_delay_alu instid0(VALU_DEP_1) | instskip(NEXT) | instid1(VALU_DEP_1)
	v_and_or_b32 v5, 0x7f800000, v7, v5
	v_cndmask_b32_e32 v3, 0, v5, vcc_lo
	s_delay_alu instid0(VALU_DEP_1) | instskip(NEXT) | instid1(VALU_DEP_1)
	v_and_or_b32 v1, 0x80000000, v1, v3
	v_trunc_f32_e32 v1, v1
	s_delay_alu instid0(VALU_DEP_1) | instskip(NEXT) | instid1(VALU_DEP_1)
	v_mul_f32_e64 v3, 0x2f800000, |v1|
	v_floor_f32_e32 v3, v3
	s_delay_alu instid0(VALU_DEP_1) | instskip(SKIP_1) | instid1(VALU_DEP_2)
	v_fma_f32 v3, 0xcf800000, v3, |v1|
	v_ashrrev_i32_e32 v1, 31, v1
	v_cvt_u32_f32_e32 v3, v3
	s_delay_alu instid0(VALU_DEP_1) | instskip(NEXT) | instid1(VALU_DEP_1)
	v_xor_b32_e32 v3, v3, v1
	v_sub_nc_u32_e32 v14, v3, v1
.LBB7_2440:
	s_mov_b32 s7, 0
.LBB7_2441:
	s_delay_alu instid0(SALU_CYCLE_1)
	s_and_not1_b32 vcc_lo, exec_lo, s7
	s_cbranch_vccnz .LBB7_2443
; %bb.2442:
	global_load_u8 v1, v[18:19], off
	s_wait_loadcnt 0x0
	v_lshlrev_b32_e32 v3, 25, v1
	v_lshlrev_b16 v1, 8, v1
	s_delay_alu instid0(VALU_DEP_1) | instskip(SKIP_1) | instid1(VALU_DEP_2)
	v_and_or_b32 v7, 0x7f00, v1, 0.5
	v_bfe_i32 v1, v1, 0, 16
	v_add_f32_e32 v7, -0.5, v7
	v_lshrrev_b32_e32 v5, 4, v3
	v_cmp_gt_u32_e32 vcc_lo, 0x8000000, v3
	s_delay_alu instid0(VALU_DEP_2) | instskip(NEXT) | instid1(VALU_DEP_1)
	v_or_b32_e32 v5, 0x70000000, v5
	v_mul_f32_e32 v5, 0x7800000, v5
	s_delay_alu instid0(VALU_DEP_1) | instskip(NEXT) | instid1(VALU_DEP_1)
	v_cndmask_b32_e32 v3, v5, v7, vcc_lo
	v_and_or_b32 v1, 0x80000000, v1, v3
	s_delay_alu instid0(VALU_DEP_1) | instskip(NEXT) | instid1(VALU_DEP_1)
	v_trunc_f32_e32 v1, v1
	v_mul_f32_e64 v3, 0x2f800000, |v1|
	s_delay_alu instid0(VALU_DEP_1) | instskip(NEXT) | instid1(VALU_DEP_1)
	v_floor_f32_e32 v3, v3
	v_fma_f32 v3, 0xcf800000, v3, |v1|
	v_ashrrev_i32_e32 v1, 31, v1
	s_delay_alu instid0(VALU_DEP_2) | instskip(NEXT) | instid1(VALU_DEP_1)
	v_cvt_u32_f32_e32 v3, v3
	v_xor_b32_e32 v3, v3, v1
	s_delay_alu instid0(VALU_DEP_1)
	v_sub_nc_u32_e32 v14, v3, v1
.LBB7_2443:
	s_mov_b32 s7, 0
	s_mov_b32 s13, -1
.LBB7_2444:
	s_and_not1_b32 vcc_lo, exec_lo, s7
	s_mov_b32 s7, 0
	s_cbranch_vccnz .LBB7_2455
; %bb.2445:
	s_cmp_gt_i32 s11, 14
	s_cbranch_scc0 .LBB7_2448
; %bb.2446:
	s_cmp_eq_u32 s11, 15
	s_cbranch_scc0 .LBB7_2451
; %bb.2447:
	global_load_u16 v1, v[18:19], off
	s_mov_b32 s6, 0
	s_mov_b32 s13, -1
	s_wait_loadcnt 0x0
	v_lshlrev_b32_e32 v1, 16, v1
	s_delay_alu instid0(VALU_DEP_1) | instskip(NEXT) | instid1(VALU_DEP_1)
	v_trunc_f32_e32 v1, v1
	v_mul_f32_e64 v3, 0x2f800000, |v1|
	s_delay_alu instid0(VALU_DEP_1) | instskip(NEXT) | instid1(VALU_DEP_1)
	v_floor_f32_e32 v3, v3
	v_fma_f32 v3, 0xcf800000, v3, |v1|
	v_ashrrev_i32_e32 v1, 31, v1
	s_delay_alu instid0(VALU_DEP_2) | instskip(NEXT) | instid1(VALU_DEP_1)
	v_cvt_u32_f32_e32 v3, v3
	v_xor_b32_e32 v3, v3, v1
	s_delay_alu instid0(VALU_DEP_1)
	v_sub_nc_u32_e32 v14, v3, v1
	s_branch .LBB7_2453
.LBB7_2448:
	s_mov_b32 s7, -1
	s_branch .LBB7_2452
.LBB7_2449:
	s_and_not1_saveexec_b32 s7, s7
	s_cbranch_execz .LBB7_2430
.LBB7_2450:
	v_cmp_ne_u16_e32 vcc_lo, 0, v1
	s_and_not1_b32 s13, s13, exec_lo
	s_and_b32 s14, vcc_lo, exec_lo
	s_delay_alu instid0(SALU_CYCLE_1)
	s_or_b32 s13, s13, s14
	s_or_b32 exec_lo, exec_lo, s7
	v_mov_b32_e32 v14, 0
	s_and_saveexec_b32 s7, s13
	s_cbranch_execnz .LBB7_2431
	s_branch .LBB7_2432
.LBB7_2451:
	s_mov_b32 s6, -1
.LBB7_2452:
                                        ; implicit-def: $vgpr14
.LBB7_2453:
	s_and_b32 vcc_lo, exec_lo, s7
	s_mov_b32 s7, 0
	s_cbranch_vccz .LBB7_2455
; %bb.2454:
	s_cmp_lg_u32 s11, 11
	s_mov_b32 s7, -1
	s_cselect_b32 s6, -1, 0
.LBB7_2455:
	s_delay_alu instid0(SALU_CYCLE_1)
	s_and_b32 vcc_lo, exec_lo, s6
	s_cbranch_vccnz .LBB7_2520
; %bb.2456:
	s_and_not1_b32 vcc_lo, exec_lo, s7
	s_cbranch_vccnz .LBB7_2458
.LBB7_2457:
	global_load_u8 v1, v[18:19], off
	s_mov_b32 s13, -1
	s_wait_loadcnt 0x0
	v_cmp_ne_u16_e32 vcc_lo, 0, v1
	v_cndmask_b32_e64 v14, 0, 1, vcc_lo
.LBB7_2458:
	s_mov_b32 s6, 0
.LBB7_2459:
	s_delay_alu instid0(SALU_CYCLE_1)
	s_and_b32 vcc_lo, exec_lo, s6
	s_cbranch_vccz .LBB7_2508
; %bb.2460:
	s_cmp_lt_i32 s11, 5
	s_cbranch_scc1 .LBB7_2465
; %bb.2461:
	s_cmp_lt_i32 s11, 8
	s_cbranch_scc1 .LBB7_2466
; %bb.2462:
	s_cmp_lt_i32 s11, 9
	s_cbranch_scc1 .LBB7_2467
; %bb.2463:
	s_cmp_gt_i32 s11, 9
	s_cbranch_scc0 .LBB7_2468
; %bb.2464:
	s_wait_loadcnt 0x0
	global_load_b64 v[14:15], v[18:19], off
	s_mov_b32 s6, 0
	s_wait_loadcnt 0x0
	v_trunc_f64_e32 v[14:15], v[14:15]
	s_delay_alu instid0(VALU_DEP_1) | instskip(NEXT) | instid1(VALU_DEP_1)
	v_ldexp_f64 v[20:21], v[14:15], 0xffffffe0
	v_floor_f64_e32 v[20:21], v[20:21]
	s_delay_alu instid0(VALU_DEP_1) | instskip(NEXT) | instid1(VALU_DEP_1)
	v_fmamk_f64 v[14:15], v[20:21], 0xc1f00000, v[14:15]
	v_cvt_u32_f64_e32 v14, v[14:15]
	s_branch .LBB7_2469
.LBB7_2465:
	s_mov_b32 s6, -1
                                        ; implicit-def: $vgpr14
	s_branch .LBB7_2487
.LBB7_2466:
	s_mov_b32 s6, -1
                                        ; implicit-def: $vgpr14
	s_branch .LBB7_2475
.LBB7_2467:
	s_mov_b32 s6, -1
                                        ; implicit-def: $vgpr14
	s_branch .LBB7_2472
.LBB7_2468:
	s_mov_b32 s6, -1
                                        ; implicit-def: $vgpr14
.LBB7_2469:
	s_delay_alu instid0(SALU_CYCLE_1)
	s_and_not1_b32 vcc_lo, exec_lo, s6
	s_cbranch_vccnz .LBB7_2471
; %bb.2470:
	global_load_b32 v1, v[18:19], off
	s_wait_loadcnt 0x0
	v_trunc_f32_e32 v1, v1
	s_delay_alu instid0(VALU_DEP_1) | instskip(NEXT) | instid1(VALU_DEP_1)
	v_mul_f32_e64 v3, 0x2f800000, |v1|
	v_floor_f32_e32 v3, v3
	s_delay_alu instid0(VALU_DEP_1) | instskip(SKIP_1) | instid1(VALU_DEP_2)
	v_fma_f32 v3, 0xcf800000, v3, |v1|
	v_ashrrev_i32_e32 v1, 31, v1
	v_cvt_u32_f32_e32 v3, v3
	s_delay_alu instid0(VALU_DEP_1) | instskip(NEXT) | instid1(VALU_DEP_1)
	v_xor_b32_e32 v3, v3, v1
	v_sub_nc_u32_e32 v14, v3, v1
.LBB7_2471:
	s_mov_b32 s6, 0
.LBB7_2472:
	s_delay_alu instid0(SALU_CYCLE_1)
	s_and_not1_b32 vcc_lo, exec_lo, s6
	s_cbranch_vccnz .LBB7_2474
; %bb.2473:
	global_load_b32 v1, v[18:19], off
	s_wait_loadcnt 0x0
	v_cvt_f32_f16_e32 v1, v1
	s_delay_alu instid0(VALU_DEP_1)
	v_cvt_i32_f32_e32 v14, v1
.LBB7_2474:
	s_mov_b32 s6, 0
.LBB7_2475:
	s_delay_alu instid0(SALU_CYCLE_1)
	s_and_not1_b32 vcc_lo, exec_lo, s6
	s_cbranch_vccnz .LBB7_2486
; %bb.2476:
	s_cmp_lt_i32 s11, 6
	s_cbranch_scc1 .LBB7_2479
; %bb.2477:
	s_cmp_gt_i32 s11, 6
	s_cbranch_scc0 .LBB7_2480
; %bb.2478:
	s_wait_loadcnt 0x0
	global_load_b64 v[14:15], v[18:19], off
	s_mov_b32 s6, 0
	s_wait_loadcnt 0x0
	v_trunc_f64_e32 v[14:15], v[14:15]
	s_delay_alu instid0(VALU_DEP_1) | instskip(NEXT) | instid1(VALU_DEP_1)
	v_ldexp_f64 v[20:21], v[14:15], 0xffffffe0
	v_floor_f64_e32 v[20:21], v[20:21]
	s_delay_alu instid0(VALU_DEP_1) | instskip(NEXT) | instid1(VALU_DEP_1)
	v_fmamk_f64 v[14:15], v[20:21], 0xc1f00000, v[14:15]
	v_cvt_u32_f64_e32 v14, v[14:15]
	s_branch .LBB7_2481
.LBB7_2479:
	s_mov_b32 s6, -1
                                        ; implicit-def: $vgpr14
	s_branch .LBB7_2484
.LBB7_2480:
	s_mov_b32 s6, -1
                                        ; implicit-def: $vgpr14
.LBB7_2481:
	s_delay_alu instid0(SALU_CYCLE_1)
	s_and_not1_b32 vcc_lo, exec_lo, s6
	s_cbranch_vccnz .LBB7_2483
; %bb.2482:
	global_load_b32 v1, v[18:19], off
	s_wait_loadcnt 0x0
	v_trunc_f32_e32 v1, v1
	s_delay_alu instid0(VALU_DEP_1) | instskip(NEXT) | instid1(VALU_DEP_1)
	v_mul_f32_e64 v3, 0x2f800000, |v1|
	v_floor_f32_e32 v3, v3
	s_delay_alu instid0(VALU_DEP_1) | instskip(SKIP_1) | instid1(VALU_DEP_2)
	v_fma_f32 v3, 0xcf800000, v3, |v1|
	v_ashrrev_i32_e32 v1, 31, v1
	v_cvt_u32_f32_e32 v3, v3
	s_delay_alu instid0(VALU_DEP_1) | instskip(NEXT) | instid1(VALU_DEP_1)
	v_xor_b32_e32 v3, v3, v1
	v_sub_nc_u32_e32 v14, v3, v1
.LBB7_2483:
	s_mov_b32 s6, 0
.LBB7_2484:
	s_delay_alu instid0(SALU_CYCLE_1)
	s_and_not1_b32 vcc_lo, exec_lo, s6
	s_cbranch_vccnz .LBB7_2486
; %bb.2485:
	global_load_u16 v1, v[18:19], off
	s_wait_loadcnt 0x0
	v_cvt_f32_f16_e32 v1, v1
	s_delay_alu instid0(VALU_DEP_1)
	v_cvt_i32_f32_e32 v14, v1
.LBB7_2486:
	s_mov_b32 s6, 0
.LBB7_2487:
	s_delay_alu instid0(SALU_CYCLE_1)
	s_and_not1_b32 vcc_lo, exec_lo, s6
	s_cbranch_vccnz .LBB7_2507
; %bb.2488:
	s_cmp_lt_i32 s11, 2
	s_cbranch_scc1 .LBB7_2492
; %bb.2489:
	s_cmp_lt_i32 s11, 3
	s_cbranch_scc1 .LBB7_2493
; %bb.2490:
	s_cmp_gt_i32 s11, 3
	s_cbranch_scc0 .LBB7_2494
; %bb.2491:
	s_wait_loadcnt 0x0
	global_load_b64 v[14:15], v[18:19], off
	s_mov_b32 s6, 0
	s_branch .LBB7_2495
.LBB7_2492:
	s_mov_b32 s6, -1
                                        ; implicit-def: $vgpr14
	s_branch .LBB7_2501
.LBB7_2493:
	s_mov_b32 s6, -1
                                        ; implicit-def: $vgpr14
	s_branch .LBB7_2498
.LBB7_2494:
	s_mov_b32 s6, -1
                                        ; implicit-def: $vgpr14
.LBB7_2495:
	s_delay_alu instid0(SALU_CYCLE_1)
	s_and_not1_b32 vcc_lo, exec_lo, s6
	s_cbranch_vccnz .LBB7_2497
; %bb.2496:
	s_wait_loadcnt 0x0
	global_load_b32 v14, v[18:19], off
.LBB7_2497:
	s_mov_b32 s6, 0
.LBB7_2498:
	s_delay_alu instid0(SALU_CYCLE_1)
	s_and_not1_b32 vcc_lo, exec_lo, s6
	s_cbranch_vccnz .LBB7_2500
; %bb.2499:
	s_wait_loadcnt 0x0
	global_load_u16 v14, v[18:19], off
.LBB7_2500:
	s_mov_b32 s6, 0
.LBB7_2501:
	s_delay_alu instid0(SALU_CYCLE_1)
	s_and_not1_b32 vcc_lo, exec_lo, s6
	s_cbranch_vccnz .LBB7_2507
; %bb.2502:
	s_cmp_gt_i32 s11, 0
	s_mov_b32 s6, 0
	s_cbranch_scc0 .LBB7_2504
; %bb.2503:
	s_wait_loadcnt 0x0
	global_load_u8 v14, v[18:19], off
	s_branch .LBB7_2505
.LBB7_2504:
	s_mov_b32 s6, -1
                                        ; implicit-def: $vgpr14
.LBB7_2505:
	s_delay_alu instid0(SALU_CYCLE_1)
	s_and_not1_b32 vcc_lo, exec_lo, s6
	s_cbranch_vccnz .LBB7_2507
; %bb.2506:
	s_wait_loadcnt 0x0
	global_load_u8 v14, v[18:19], off
.LBB7_2507:
	s_mov_b32 s13, -1
.LBB7_2508:
	s_delay_alu instid0(SALU_CYCLE_1)
	s_and_not1_b32 vcc_lo, exec_lo, s13
	s_cbranch_vccnz .LBB7_2717
; %bb.2509:
	v_mov_b32_e32 v11, 0
	s_cmp_lt_i32 s12, 11
	s_wait_xcnt 0x0
	s_delay_alu instid0(VALU_DEP_1)
	v_add_nc_u64_e32 v[18:19], s[0:1], v[10:11]
	s_cbranch_scc1 .LBB7_2516
; %bb.2510:
	s_cmp_gt_i32 s12, 25
	s_mov_b32 s1, 0
	s_cbranch_scc0 .LBB7_2517
; %bb.2511:
	s_cmp_gt_i32 s12, 28
	s_cbranch_scc0 .LBB7_2518
; %bb.2512:
	s_cmp_gt_i32 s12, 43
	;; [unrolled: 3-line block ×3, first 2 shown]
	s_cbranch_scc0 .LBB7_2521
; %bb.2514:
	s_cmp_eq_u32 s12, 46
	s_mov_b32 s7, 0
	s_cbranch_scc0 .LBB7_2522
; %bb.2515:
	global_load_b32 v1, v[18:19], off
	s_mov_b32 s0, 0
	s_mov_b32 s6, -1
	s_wait_loadcnt 0x0
	v_lshlrev_b32_e32 v1, 16, v1
	s_delay_alu instid0(VALU_DEP_1) | instskip(NEXT) | instid1(VALU_DEP_1)
	v_trunc_f32_e32 v1, v1
	v_mul_f32_e64 v3, 0x2f800000, |v1|
	s_delay_alu instid0(VALU_DEP_1) | instskip(NEXT) | instid1(VALU_DEP_1)
	v_floor_f32_e32 v3, v3
	v_fma_f32 v3, 0xcf800000, v3, |v1|
	v_ashrrev_i32_e32 v1, 31, v1
	s_delay_alu instid0(VALU_DEP_2) | instskip(NEXT) | instid1(VALU_DEP_1)
	v_cvt_u32_f32_e32 v3, v3
	v_xor_b32_e32 v3, v3, v1
	s_delay_alu instid0(VALU_DEP_1)
	v_sub_nc_u32_e32 v10, v3, v1
	s_branch .LBB7_2524
.LBB7_2516:
	s_mov_b32 s0, -1
	s_mov_b32 s6, 0
                                        ; implicit-def: $vgpr10
	s_branch .LBB7_2586
.LBB7_2517:
	s_mov_b32 s7, -1
	s_mov_b32 s6, 0
	s_mov_b32 s0, 0
                                        ; implicit-def: $vgpr10
	s_branch .LBB7_2551
.LBB7_2518:
	s_mov_b32 s7, -1
	s_mov_b32 s6, 0
	s_mov_b32 s0, 0
                                        ; implicit-def: $vgpr10
	s_branch .LBB7_2534
.LBB7_2519:
	s_mov_b32 s7, -1
	s_mov_b32 s6, 0
	s_mov_b32 s0, 0
                                        ; implicit-def: $vgpr10
	s_branch .LBB7_2529
.LBB7_2520:
	s_or_b32 s10, s10, exec_lo
	s_trap 2
	s_cbranch_execz .LBB7_2457
	s_branch .LBB7_2458
.LBB7_2521:
	s_mov_b32 s7, -1
	s_mov_b32 s6, 0
	s_mov_b32 s0, 0
	s_branch .LBB7_2523
.LBB7_2522:
	s_mov_b32 s0, -1
	s_mov_b32 s6, 0
.LBB7_2523:
                                        ; implicit-def: $vgpr10
.LBB7_2524:
	s_and_b32 vcc_lo, exec_lo, s7
	s_cbranch_vccz .LBB7_2528
; %bb.2525:
	s_cmp_eq_u32 s12, 44
	s_cbranch_scc0 .LBB7_2527
; %bb.2526:
	global_load_u8 v1, v[18:19], off
	s_mov_b32 s0, 0
	s_mov_b32 s6, -1
	s_wait_loadcnt 0x0
	v_lshlrev_b32_e32 v3, 23, v1
	v_cmp_ne_u32_e32 vcc_lo, 0, v1
	s_delay_alu instid0(VALU_DEP_2) | instskip(NEXT) | instid1(VALU_DEP_1)
	v_trunc_f32_e32 v3, v3
	v_mul_f32_e64 v5, 0x2f800000, |v3|
	s_delay_alu instid0(VALU_DEP_1) | instskip(NEXT) | instid1(VALU_DEP_1)
	v_floor_f32_e32 v5, v5
	v_fma_f32 v5, 0xcf800000, v5, |v3|
	v_ashrrev_i32_e32 v3, 31, v3
	s_delay_alu instid0(VALU_DEP_2) | instskip(NEXT) | instid1(VALU_DEP_1)
	v_cvt_u32_f32_e32 v5, v5
	v_xor_b32_e32 v5, v5, v3
	s_delay_alu instid0(VALU_DEP_1) | instskip(NEXT) | instid1(VALU_DEP_1)
	v_sub_nc_u32_e32 v3, v5, v3
	v_cndmask_b32_e32 v10, 0, v3, vcc_lo
	s_branch .LBB7_2528
.LBB7_2527:
	s_mov_b32 s0, -1
                                        ; implicit-def: $vgpr10
.LBB7_2528:
	s_mov_b32 s7, 0
.LBB7_2529:
	s_delay_alu instid0(SALU_CYCLE_1)
	s_and_b32 vcc_lo, exec_lo, s7
	s_cbranch_vccz .LBB7_2533
; %bb.2530:
	s_cmp_eq_u32 s12, 29
	s_cbranch_scc0 .LBB7_2532
; %bb.2531:
	global_load_b64 v[10:11], v[18:19], off
	s_mov_b32 s0, 0
	s_mov_b32 s6, -1
	s_branch .LBB7_2533
.LBB7_2532:
	s_mov_b32 s0, -1
                                        ; implicit-def: $vgpr10
.LBB7_2533:
	s_mov_b32 s7, 0
.LBB7_2534:
	s_delay_alu instid0(SALU_CYCLE_1)
	s_and_b32 vcc_lo, exec_lo, s7
	s_cbranch_vccz .LBB7_2550
; %bb.2535:
	s_cmp_lt_i32 s12, 27
	s_cbranch_scc1 .LBB7_2538
; %bb.2536:
	s_cmp_gt_i32 s12, 27
	s_cbranch_scc0 .LBB7_2539
; %bb.2537:
	s_wait_loadcnt 0x0
	global_load_b32 v10, v[18:19], off
	s_mov_b32 s6, 0
	s_branch .LBB7_2540
.LBB7_2538:
	s_mov_b32 s6, -1
                                        ; implicit-def: $vgpr10
	s_branch .LBB7_2543
.LBB7_2539:
	s_mov_b32 s6, -1
                                        ; implicit-def: $vgpr10
.LBB7_2540:
	s_delay_alu instid0(SALU_CYCLE_1)
	s_and_not1_b32 vcc_lo, exec_lo, s6
	s_cbranch_vccnz .LBB7_2542
; %bb.2541:
	s_wait_loadcnt 0x0
	global_load_u16 v10, v[18:19], off
.LBB7_2542:
	s_mov_b32 s6, 0
.LBB7_2543:
	s_delay_alu instid0(SALU_CYCLE_1)
	s_and_not1_b32 vcc_lo, exec_lo, s6
	s_cbranch_vccnz .LBB7_2549
; %bb.2544:
	global_load_u8 v1, v[18:19], off
	s_mov_b32 s7, 0
	s_mov_b32 s6, exec_lo
	s_wait_loadcnt 0x0
	v_cmpx_lt_i16_e32 0x7f, v1
	s_xor_b32 s6, exec_lo, s6
	s_cbranch_execz .LBB7_2561
; %bb.2545:
	v_cmp_ne_u16_e32 vcc_lo, 0x80, v1
	s_and_b32 s7, vcc_lo, exec_lo
	s_and_not1_saveexec_b32 s6, s6
	s_cbranch_execnz .LBB7_2562
.LBB7_2546:
	s_or_b32 exec_lo, exec_lo, s6
	v_mov_b32_e32 v10, 0
	s_and_saveexec_b32 s6, s7
	s_cbranch_execz .LBB7_2548
.LBB7_2547:
	v_and_b32_e32 v3, 0xffff, v1
	s_delay_alu instid0(VALU_DEP_1) | instskip(SKIP_1) | instid1(VALU_DEP_2)
	v_dual_lshlrev_b32 v1, 24, v1 :: v_dual_bitop2_b32 v5, 7, v3 bitop3:0x40
	v_bfe_u32 v10, v3, 3, 4
	v_and_b32_e32 v1, 0x80000000, v1
	s_delay_alu instid0(VALU_DEP_3) | instskip(NEXT) | instid1(VALU_DEP_3)
	v_clz_i32_u32_e32 v7, v5
	v_cmp_eq_u32_e32 vcc_lo, 0, v10
	s_delay_alu instid0(VALU_DEP_2) | instskip(NEXT) | instid1(VALU_DEP_1)
	v_min_u32_e32 v7, 32, v7
	v_subrev_nc_u32_e32 v9, 28, v7
	v_sub_nc_u32_e32 v7, 29, v7
	s_delay_alu instid0(VALU_DEP_2) | instskip(NEXT) | instid1(VALU_DEP_2)
	v_lshlrev_b32_e32 v3, v9, v3
	v_cndmask_b32_e32 v7, v10, v7, vcc_lo
	s_delay_alu instid0(VALU_DEP_2) | instskip(NEXT) | instid1(VALU_DEP_1)
	v_and_b32_e32 v3, 7, v3
	v_cndmask_b32_e32 v3, v5, v3, vcc_lo
	s_delay_alu instid0(VALU_DEP_3) | instskip(NEXT) | instid1(VALU_DEP_2)
	v_lshl_add_u32 v5, v7, 23, 0x3b800000
	v_lshlrev_b32_e32 v3, 20, v3
	s_delay_alu instid0(VALU_DEP_1) | instskip(NEXT) | instid1(VALU_DEP_1)
	v_or3_b32 v1, v1, v5, v3
	v_trunc_f32_e32 v1, v1
	s_delay_alu instid0(VALU_DEP_1) | instskip(NEXT) | instid1(VALU_DEP_1)
	v_mul_f32_e64 v3, 0x2f800000, |v1|
	v_floor_f32_e32 v3, v3
	s_delay_alu instid0(VALU_DEP_1) | instskip(SKIP_1) | instid1(VALU_DEP_2)
	v_fma_f32 v3, 0xcf800000, v3, |v1|
	v_ashrrev_i32_e32 v1, 31, v1
	v_cvt_u32_f32_e32 v3, v3
	s_delay_alu instid0(VALU_DEP_1) | instskip(NEXT) | instid1(VALU_DEP_1)
	v_xor_b32_e32 v3, v3, v1
	v_sub_nc_u32_e32 v10, v3, v1
.LBB7_2548:
	s_or_b32 exec_lo, exec_lo, s6
.LBB7_2549:
	s_mov_b32 s6, -1
.LBB7_2550:
	s_mov_b32 s7, 0
.LBB7_2551:
	s_delay_alu instid0(SALU_CYCLE_1)
	s_and_b32 vcc_lo, exec_lo, s7
	s_cbranch_vccz .LBB7_2582
; %bb.2552:
	s_cmp_gt_i32 s12, 22
	s_cbranch_scc0 .LBB7_2560
; %bb.2553:
	s_cmp_lt_i32 s12, 24
	s_cbranch_scc1 .LBB7_2563
; %bb.2554:
	s_cmp_gt_i32 s12, 24
	s_cbranch_scc0 .LBB7_2564
; %bb.2555:
	global_load_u8 v1, v[18:19], off
	s_mov_b32 s6, 0
	s_mov_b32 s1, exec_lo
	s_wait_loadcnt 0x0
	v_cmpx_lt_i16_e32 0x7f, v1
	s_xor_b32 s1, exec_lo, s1
	s_cbranch_execz .LBB7_2576
; %bb.2556:
	v_cmp_ne_u16_e32 vcc_lo, 0x80, v1
	s_and_b32 s6, vcc_lo, exec_lo
	s_and_not1_saveexec_b32 s1, s1
	s_cbranch_execnz .LBB7_2577
.LBB7_2557:
	s_or_b32 exec_lo, exec_lo, s1
	v_mov_b32_e32 v10, 0
	s_and_saveexec_b32 s1, s6
	s_cbranch_execz .LBB7_2559
.LBB7_2558:
	v_and_b32_e32 v3, 0xffff, v1
	s_delay_alu instid0(VALU_DEP_1) | instskip(SKIP_1) | instid1(VALU_DEP_2)
	v_dual_lshlrev_b32 v1, 24, v1 :: v_dual_bitop2_b32 v5, 3, v3 bitop3:0x40
	v_bfe_u32 v10, v3, 2, 5
	v_and_b32_e32 v1, 0x80000000, v1
	s_delay_alu instid0(VALU_DEP_3) | instskip(NEXT) | instid1(VALU_DEP_3)
	v_clz_i32_u32_e32 v7, v5
	v_cmp_eq_u32_e32 vcc_lo, 0, v10
	s_delay_alu instid0(VALU_DEP_2) | instskip(NEXT) | instid1(VALU_DEP_1)
	v_min_u32_e32 v7, 32, v7
	v_subrev_nc_u32_e32 v9, 29, v7
	v_sub_nc_u32_e32 v7, 30, v7
	s_delay_alu instid0(VALU_DEP_2) | instskip(NEXT) | instid1(VALU_DEP_2)
	v_lshlrev_b32_e32 v3, v9, v3
	v_cndmask_b32_e32 v7, v10, v7, vcc_lo
	s_delay_alu instid0(VALU_DEP_2) | instskip(NEXT) | instid1(VALU_DEP_1)
	v_and_b32_e32 v3, 3, v3
	v_cndmask_b32_e32 v3, v5, v3, vcc_lo
	s_delay_alu instid0(VALU_DEP_3) | instskip(NEXT) | instid1(VALU_DEP_2)
	v_lshl_add_u32 v5, v7, 23, 0x37800000
	v_lshlrev_b32_e32 v3, 21, v3
	s_delay_alu instid0(VALU_DEP_1) | instskip(NEXT) | instid1(VALU_DEP_1)
	v_or3_b32 v1, v1, v5, v3
	v_trunc_f32_e32 v1, v1
	s_delay_alu instid0(VALU_DEP_1) | instskip(NEXT) | instid1(VALU_DEP_1)
	v_mul_f32_e64 v3, 0x2f800000, |v1|
	v_floor_f32_e32 v3, v3
	s_delay_alu instid0(VALU_DEP_1) | instskip(SKIP_1) | instid1(VALU_DEP_2)
	v_fma_f32 v3, 0xcf800000, v3, |v1|
	v_ashrrev_i32_e32 v1, 31, v1
	v_cvt_u32_f32_e32 v3, v3
	s_delay_alu instid0(VALU_DEP_1) | instskip(NEXT) | instid1(VALU_DEP_1)
	v_xor_b32_e32 v3, v3, v1
	v_sub_nc_u32_e32 v10, v3, v1
.LBB7_2559:
	s_or_b32 exec_lo, exec_lo, s1
	s_mov_b32 s1, 0
	s_branch .LBB7_2565
.LBB7_2560:
	s_mov_b32 s1, -1
                                        ; implicit-def: $vgpr10
	s_branch .LBB7_2571
.LBB7_2561:
	s_and_not1_saveexec_b32 s6, s6
	s_cbranch_execz .LBB7_2546
.LBB7_2562:
	v_cmp_ne_u16_e32 vcc_lo, 0, v1
	s_and_not1_b32 s7, s7, exec_lo
	s_and_b32 s11, vcc_lo, exec_lo
	s_delay_alu instid0(SALU_CYCLE_1)
	s_or_b32 s7, s7, s11
	s_or_b32 exec_lo, exec_lo, s6
	v_mov_b32_e32 v10, 0
	s_and_saveexec_b32 s6, s7
	s_cbranch_execnz .LBB7_2547
	s_branch .LBB7_2548
.LBB7_2563:
	s_mov_b32 s1, -1
                                        ; implicit-def: $vgpr10
	s_branch .LBB7_2568
.LBB7_2564:
	s_mov_b32 s1, -1
                                        ; implicit-def: $vgpr10
.LBB7_2565:
	s_delay_alu instid0(SALU_CYCLE_1)
	s_and_b32 vcc_lo, exec_lo, s1
	s_cbranch_vccz .LBB7_2567
; %bb.2566:
	global_load_u8 v1, v[18:19], off
	s_wait_loadcnt 0x0
	v_lshlrev_b32_e32 v1, 24, v1
	s_delay_alu instid0(VALU_DEP_1) | instskip(NEXT) | instid1(VALU_DEP_1)
	v_and_b32_e32 v3, 0x7f000000, v1
	v_clz_i32_u32_e32 v5, v3
	v_add_nc_u32_e32 v9, 0x1000000, v3
	v_cmp_ne_u32_e32 vcc_lo, 0, v3
	s_delay_alu instid0(VALU_DEP_3) | instskip(NEXT) | instid1(VALU_DEP_1)
	v_min_u32_e32 v5, 32, v5
	v_sub_nc_u32_e64 v5, v5, 4 clamp
	s_delay_alu instid0(VALU_DEP_1) | instskip(NEXT) | instid1(VALU_DEP_1)
	v_dual_lshlrev_b32 v7, v5, v3 :: v_dual_lshlrev_b32 v5, 23, v5
	v_lshrrev_b32_e32 v7, 4, v7
	s_delay_alu instid0(VALU_DEP_1) | instskip(SKIP_1) | instid1(VALU_DEP_2)
	v_sub_nc_u32_e32 v5, v7, v5
	v_ashrrev_i32_e32 v7, 8, v9
	v_add_nc_u32_e32 v5, 0x3c000000, v5
	s_delay_alu instid0(VALU_DEP_1) | instskip(NEXT) | instid1(VALU_DEP_1)
	v_and_or_b32 v5, 0x7f800000, v7, v5
	v_cndmask_b32_e32 v3, 0, v5, vcc_lo
	s_delay_alu instid0(VALU_DEP_1) | instskip(NEXT) | instid1(VALU_DEP_1)
	v_and_or_b32 v1, 0x80000000, v1, v3
	v_trunc_f32_e32 v1, v1
	s_delay_alu instid0(VALU_DEP_1) | instskip(NEXT) | instid1(VALU_DEP_1)
	v_mul_f32_e64 v3, 0x2f800000, |v1|
	v_floor_f32_e32 v3, v3
	s_delay_alu instid0(VALU_DEP_1) | instskip(SKIP_1) | instid1(VALU_DEP_2)
	v_fma_f32 v3, 0xcf800000, v3, |v1|
	v_ashrrev_i32_e32 v1, 31, v1
	v_cvt_u32_f32_e32 v3, v3
	s_delay_alu instid0(VALU_DEP_1) | instskip(NEXT) | instid1(VALU_DEP_1)
	v_xor_b32_e32 v3, v3, v1
	v_sub_nc_u32_e32 v10, v3, v1
.LBB7_2567:
	s_mov_b32 s1, 0
.LBB7_2568:
	s_delay_alu instid0(SALU_CYCLE_1)
	s_and_not1_b32 vcc_lo, exec_lo, s1
	s_cbranch_vccnz .LBB7_2570
; %bb.2569:
	global_load_u8 v1, v[18:19], off
	s_wait_loadcnt 0x0
	v_lshlrev_b32_e32 v3, 25, v1
	v_lshlrev_b16 v1, 8, v1
	s_delay_alu instid0(VALU_DEP_1) | instskip(SKIP_1) | instid1(VALU_DEP_2)
	v_and_or_b32 v7, 0x7f00, v1, 0.5
	v_bfe_i32 v1, v1, 0, 16
	v_add_f32_e32 v7, -0.5, v7
	v_lshrrev_b32_e32 v5, 4, v3
	v_cmp_gt_u32_e32 vcc_lo, 0x8000000, v3
	s_delay_alu instid0(VALU_DEP_2) | instskip(NEXT) | instid1(VALU_DEP_1)
	v_or_b32_e32 v5, 0x70000000, v5
	v_mul_f32_e32 v5, 0x7800000, v5
	s_delay_alu instid0(VALU_DEP_1) | instskip(NEXT) | instid1(VALU_DEP_1)
	v_cndmask_b32_e32 v3, v5, v7, vcc_lo
	v_and_or_b32 v1, 0x80000000, v1, v3
	s_delay_alu instid0(VALU_DEP_1) | instskip(NEXT) | instid1(VALU_DEP_1)
	v_trunc_f32_e32 v1, v1
	v_mul_f32_e64 v3, 0x2f800000, |v1|
	s_delay_alu instid0(VALU_DEP_1) | instskip(NEXT) | instid1(VALU_DEP_1)
	v_floor_f32_e32 v3, v3
	v_fma_f32 v3, 0xcf800000, v3, |v1|
	v_ashrrev_i32_e32 v1, 31, v1
	s_delay_alu instid0(VALU_DEP_2) | instskip(NEXT) | instid1(VALU_DEP_1)
	v_cvt_u32_f32_e32 v3, v3
	v_xor_b32_e32 v3, v3, v1
	s_delay_alu instid0(VALU_DEP_1)
	v_sub_nc_u32_e32 v10, v3, v1
.LBB7_2570:
	s_mov_b32 s1, 0
	s_mov_b32 s6, -1
.LBB7_2571:
	s_and_not1_b32 vcc_lo, exec_lo, s1
	s_mov_b32 s1, 0
	s_cbranch_vccnz .LBB7_2582
; %bb.2572:
	s_cmp_gt_i32 s12, 14
	s_cbranch_scc0 .LBB7_2575
; %bb.2573:
	s_cmp_eq_u32 s12, 15
	s_cbranch_scc0 .LBB7_2578
; %bb.2574:
	global_load_u16 v1, v[18:19], off
	s_mov_b32 s0, 0
	s_mov_b32 s6, -1
	s_wait_loadcnt 0x0
	v_lshlrev_b32_e32 v1, 16, v1
	s_delay_alu instid0(VALU_DEP_1) | instskip(NEXT) | instid1(VALU_DEP_1)
	v_trunc_f32_e32 v1, v1
	v_mul_f32_e64 v3, 0x2f800000, |v1|
	s_delay_alu instid0(VALU_DEP_1) | instskip(NEXT) | instid1(VALU_DEP_1)
	v_floor_f32_e32 v3, v3
	v_fma_f32 v3, 0xcf800000, v3, |v1|
	v_ashrrev_i32_e32 v1, 31, v1
	s_delay_alu instid0(VALU_DEP_2) | instskip(NEXT) | instid1(VALU_DEP_1)
	v_cvt_u32_f32_e32 v3, v3
	v_xor_b32_e32 v3, v3, v1
	s_delay_alu instid0(VALU_DEP_1)
	v_sub_nc_u32_e32 v10, v3, v1
	s_branch .LBB7_2580
.LBB7_2575:
	s_mov_b32 s1, -1
	s_branch .LBB7_2579
.LBB7_2576:
	s_and_not1_saveexec_b32 s1, s1
	s_cbranch_execz .LBB7_2557
.LBB7_2577:
	v_cmp_ne_u16_e32 vcc_lo, 0, v1
	s_and_not1_b32 s6, s6, exec_lo
	s_and_b32 s7, vcc_lo, exec_lo
	s_delay_alu instid0(SALU_CYCLE_1)
	s_or_b32 s6, s6, s7
	s_or_b32 exec_lo, exec_lo, s1
	v_mov_b32_e32 v10, 0
	s_and_saveexec_b32 s1, s6
	s_cbranch_execnz .LBB7_2558
	s_branch .LBB7_2559
.LBB7_2578:
	s_mov_b32 s0, -1
.LBB7_2579:
                                        ; implicit-def: $vgpr10
.LBB7_2580:
	s_and_b32 vcc_lo, exec_lo, s1
	s_mov_b32 s1, 0
	s_cbranch_vccz .LBB7_2582
; %bb.2581:
	s_cmp_lg_u32 s12, 11
	s_mov_b32 s1, -1
	s_cselect_b32 s0, -1, 0
.LBB7_2582:
	s_delay_alu instid0(SALU_CYCLE_1)
	s_and_b32 vcc_lo, exec_lo, s0
	s_cbranch_vccnz .LBB7_3119
; %bb.2583:
	s_and_not1_b32 vcc_lo, exec_lo, s1
	s_cbranch_vccnz .LBB7_2585
.LBB7_2584:
	global_load_u8 v1, v[18:19], off
	s_mov_b32 s6, -1
	s_wait_loadcnt 0x0
	v_cmp_ne_u16_e32 vcc_lo, 0, v1
	v_cndmask_b32_e64 v10, 0, 1, vcc_lo
.LBB7_2585:
	s_mov_b32 s0, 0
.LBB7_2586:
	s_delay_alu instid0(SALU_CYCLE_1)
	s_and_b32 vcc_lo, exec_lo, s0
	s_cbranch_vccz .LBB7_2635
; %bb.2587:
	s_cmp_lt_i32 s12, 5
	s_cbranch_scc1 .LBB7_2592
; %bb.2588:
	s_cmp_lt_i32 s12, 8
	s_cbranch_scc1 .LBB7_2593
	;; [unrolled: 3-line block ×3, first 2 shown]
; %bb.2590:
	s_cmp_gt_i32 s12, 9
	s_cbranch_scc0 .LBB7_2595
; %bb.2591:
	s_wait_loadcnt 0x0
	global_load_b64 v[10:11], v[18:19], off
	s_mov_b32 s0, 0
	s_wait_loadcnt 0x0
	v_trunc_f64_e32 v[10:11], v[10:11]
	s_delay_alu instid0(VALU_DEP_1) | instskip(NEXT) | instid1(VALU_DEP_1)
	v_ldexp_f64 v[20:21], v[10:11], 0xffffffe0
	v_floor_f64_e32 v[20:21], v[20:21]
	s_delay_alu instid0(VALU_DEP_1) | instskip(NEXT) | instid1(VALU_DEP_1)
	v_fmamk_f64 v[10:11], v[20:21], 0xc1f00000, v[10:11]
	v_cvt_u32_f64_e32 v10, v[10:11]
	s_branch .LBB7_2596
.LBB7_2592:
	s_mov_b32 s0, -1
                                        ; implicit-def: $vgpr10
	s_branch .LBB7_2614
.LBB7_2593:
	s_mov_b32 s0, -1
                                        ; implicit-def: $vgpr10
	s_branch .LBB7_2602
.LBB7_2594:
	s_mov_b32 s0, -1
                                        ; implicit-def: $vgpr10
	s_branch .LBB7_2599
.LBB7_2595:
	s_mov_b32 s0, -1
                                        ; implicit-def: $vgpr10
.LBB7_2596:
	s_delay_alu instid0(SALU_CYCLE_1)
	s_and_not1_b32 vcc_lo, exec_lo, s0
	s_cbranch_vccnz .LBB7_2598
; %bb.2597:
	global_load_b32 v1, v[18:19], off
	s_wait_loadcnt 0x0
	v_trunc_f32_e32 v1, v1
	s_delay_alu instid0(VALU_DEP_1) | instskip(NEXT) | instid1(VALU_DEP_1)
	v_mul_f32_e64 v3, 0x2f800000, |v1|
	v_floor_f32_e32 v3, v3
	s_delay_alu instid0(VALU_DEP_1) | instskip(SKIP_1) | instid1(VALU_DEP_2)
	v_fma_f32 v3, 0xcf800000, v3, |v1|
	v_ashrrev_i32_e32 v1, 31, v1
	v_cvt_u32_f32_e32 v3, v3
	s_delay_alu instid0(VALU_DEP_1) | instskip(NEXT) | instid1(VALU_DEP_1)
	v_xor_b32_e32 v3, v3, v1
	v_sub_nc_u32_e32 v10, v3, v1
.LBB7_2598:
	s_mov_b32 s0, 0
.LBB7_2599:
	s_delay_alu instid0(SALU_CYCLE_1)
	s_and_not1_b32 vcc_lo, exec_lo, s0
	s_cbranch_vccnz .LBB7_2601
; %bb.2600:
	global_load_b32 v1, v[18:19], off
	s_wait_loadcnt 0x0
	v_cvt_f32_f16_e32 v1, v1
	s_delay_alu instid0(VALU_DEP_1)
	v_cvt_i32_f32_e32 v10, v1
.LBB7_2601:
	s_mov_b32 s0, 0
.LBB7_2602:
	s_delay_alu instid0(SALU_CYCLE_1)
	s_and_not1_b32 vcc_lo, exec_lo, s0
	s_cbranch_vccnz .LBB7_2613
; %bb.2603:
	s_cmp_lt_i32 s12, 6
	s_cbranch_scc1 .LBB7_2606
; %bb.2604:
	s_cmp_gt_i32 s12, 6
	s_cbranch_scc0 .LBB7_2607
; %bb.2605:
	s_wait_loadcnt 0x0
	global_load_b64 v[10:11], v[18:19], off
	s_mov_b32 s0, 0
	s_wait_loadcnt 0x0
	v_trunc_f64_e32 v[10:11], v[10:11]
	s_delay_alu instid0(VALU_DEP_1) | instskip(NEXT) | instid1(VALU_DEP_1)
	v_ldexp_f64 v[20:21], v[10:11], 0xffffffe0
	v_floor_f64_e32 v[20:21], v[20:21]
	s_delay_alu instid0(VALU_DEP_1) | instskip(NEXT) | instid1(VALU_DEP_1)
	v_fmamk_f64 v[10:11], v[20:21], 0xc1f00000, v[10:11]
	v_cvt_u32_f64_e32 v10, v[10:11]
	s_branch .LBB7_2608
.LBB7_2606:
	s_mov_b32 s0, -1
                                        ; implicit-def: $vgpr10
	s_branch .LBB7_2611
.LBB7_2607:
	s_mov_b32 s0, -1
                                        ; implicit-def: $vgpr10
.LBB7_2608:
	s_delay_alu instid0(SALU_CYCLE_1)
	s_and_not1_b32 vcc_lo, exec_lo, s0
	s_cbranch_vccnz .LBB7_2610
; %bb.2609:
	global_load_b32 v1, v[18:19], off
	s_wait_loadcnt 0x0
	v_trunc_f32_e32 v1, v1
	s_delay_alu instid0(VALU_DEP_1) | instskip(NEXT) | instid1(VALU_DEP_1)
	v_mul_f32_e64 v3, 0x2f800000, |v1|
	v_floor_f32_e32 v3, v3
	s_delay_alu instid0(VALU_DEP_1) | instskip(SKIP_1) | instid1(VALU_DEP_2)
	v_fma_f32 v3, 0xcf800000, v3, |v1|
	v_ashrrev_i32_e32 v1, 31, v1
	v_cvt_u32_f32_e32 v3, v3
	s_delay_alu instid0(VALU_DEP_1) | instskip(NEXT) | instid1(VALU_DEP_1)
	v_xor_b32_e32 v3, v3, v1
	v_sub_nc_u32_e32 v10, v3, v1
.LBB7_2610:
	s_mov_b32 s0, 0
.LBB7_2611:
	s_delay_alu instid0(SALU_CYCLE_1)
	s_and_not1_b32 vcc_lo, exec_lo, s0
	s_cbranch_vccnz .LBB7_2613
; %bb.2612:
	global_load_u16 v1, v[18:19], off
	s_wait_loadcnt 0x0
	v_cvt_f32_f16_e32 v1, v1
	s_delay_alu instid0(VALU_DEP_1)
	v_cvt_i32_f32_e32 v10, v1
.LBB7_2613:
	s_mov_b32 s0, 0
.LBB7_2614:
	s_delay_alu instid0(SALU_CYCLE_1)
	s_and_not1_b32 vcc_lo, exec_lo, s0
	s_cbranch_vccnz .LBB7_2634
; %bb.2615:
	s_cmp_lt_i32 s12, 2
	s_cbranch_scc1 .LBB7_2619
; %bb.2616:
	s_cmp_lt_i32 s12, 3
	s_cbranch_scc1 .LBB7_2620
; %bb.2617:
	s_cmp_gt_i32 s12, 3
	s_cbranch_scc0 .LBB7_2621
; %bb.2618:
	s_wait_loadcnt 0x0
	global_load_b64 v[10:11], v[18:19], off
	s_mov_b32 s0, 0
	s_branch .LBB7_2622
.LBB7_2619:
	s_mov_b32 s0, -1
                                        ; implicit-def: $vgpr10
	s_branch .LBB7_2628
.LBB7_2620:
	s_mov_b32 s0, -1
                                        ; implicit-def: $vgpr10
	s_branch .LBB7_2625
.LBB7_2621:
	s_mov_b32 s0, -1
                                        ; implicit-def: $vgpr10
.LBB7_2622:
	s_delay_alu instid0(SALU_CYCLE_1)
	s_and_not1_b32 vcc_lo, exec_lo, s0
	s_cbranch_vccnz .LBB7_2624
; %bb.2623:
	s_wait_loadcnt 0x0
	global_load_b32 v10, v[18:19], off
.LBB7_2624:
	s_mov_b32 s0, 0
.LBB7_2625:
	s_delay_alu instid0(SALU_CYCLE_1)
	s_and_not1_b32 vcc_lo, exec_lo, s0
	s_cbranch_vccnz .LBB7_2627
; %bb.2626:
	s_wait_loadcnt 0x0
	global_load_u16 v10, v[18:19], off
.LBB7_2627:
	s_mov_b32 s0, 0
.LBB7_2628:
	s_delay_alu instid0(SALU_CYCLE_1)
	s_and_not1_b32 vcc_lo, exec_lo, s0
	s_cbranch_vccnz .LBB7_2634
; %bb.2629:
	s_cmp_gt_i32 s12, 0
	s_mov_b32 s0, 0
	s_cbranch_scc0 .LBB7_2631
; %bb.2630:
	s_wait_loadcnt 0x0
	global_load_u8 v10, v[18:19], off
	s_branch .LBB7_2632
.LBB7_2631:
	s_mov_b32 s0, -1
                                        ; implicit-def: $vgpr10
.LBB7_2632:
	s_delay_alu instid0(SALU_CYCLE_1)
	s_and_not1_b32 vcc_lo, exec_lo, s0
	s_cbranch_vccnz .LBB7_2634
; %bb.2633:
	s_wait_loadcnt 0x0
	global_load_u8 v10, v[18:19], off
.LBB7_2634:
	s_mov_b32 s6, -1
.LBB7_2635:
	s_delay_alu instid0(SALU_CYCLE_1)
	s_and_not1_b32 vcc_lo, exec_lo, s6
	s_cbranch_vccnz .LBB7_2717
; %bb.2636:
	s_wait_loadcnt 0x0
	s_delay_alu instid0(VALU_DEP_3) | instskip(SKIP_3) | instid1(VALU_DEP_1)
	v_and_b32_e32 v1, 0xff, v14
	s_mov_b32 s1, 0
	s_mov_b32 s0, exec_lo
	s_wait_xcnt 0x0
	v_cmpx_ne_u16_e32 0, v1
	s_cbranch_execz .LBB7_2639
.LBB7_2637:                             ; =>This Inner Loop Header: Depth=1
	s_delay_alu instid0(VALU_DEP_3) | instskip(SKIP_1) | instid1(VALU_DEP_1)
	v_cvt_f32_ubyte0_e32 v7, v10
	v_mov_b32_e32 v1, v14
	v_cvt_f32_ubyte0_e32 v3, v1
	s_delay_alu instid0(VALU_DEP_1) | instskip(SKIP_1) | instid1(TRANS32_DEP_1)
	v_rcp_iflag_f32_e32 v5, v3
	v_nop
	v_mul_f32_e32 v5, v7, v5
	s_delay_alu instid0(VALU_DEP_1) | instskip(NEXT) | instid1(VALU_DEP_1)
	v_trunc_f32_e32 v5, v5
	v_fma_f32 v7, -v5, v3, v7
	v_cvt_u32_f32_e32 v5, v5
	s_delay_alu instid0(VALU_DEP_2) | instskip(NEXT) | instid1(VALU_DEP_1)
	v_cmp_ge_f32_e64 vcc_lo, |v7|, v3
	v_add_co_ci_u32_e64 v3, null, 0, v5, vcc_lo
	s_delay_alu instid0(VALU_DEP_1) | instskip(NEXT) | instid1(VALU_DEP_1)
	v_mul_lo_u32 v3, v3, v1
	v_dual_mov_b32 v10, v1 :: v_dual_sub_nc_u32 v3, v10, v3
	s_delay_alu instid0(VALU_DEP_1) | instskip(NEXT) | instid1(VALU_DEP_1)
	v_and_b32_e32 v14, 0xff, v3
	v_cmp_eq_u16_e32 vcc_lo, 0, v14
	s_or_b32 s1, vcc_lo, s1
	s_delay_alu instid0(SALU_CYCLE_1)
	s_and_not1_b32 exec_lo, exec_lo, s1
	s_cbranch_execnz .LBB7_2637
; %bb.2638:
	s_or_b32 exec_lo, exec_lo, s1
	v_mov_b32_e32 v10, v1
.LBB7_2639:
	s_or_b32 exec_lo, exec_lo, s0
	v_mov_b32_e32 v7, 0
	global_load_u8 v1, v7, s[2:3] offset:417
	s_wait_xcnt 0x0
	v_add_nc_u64_e32 v[6:7], s[4:5], v[6:7]
	s_wait_loadcnt 0x0
	v_and_b32_e32 v3, 0xffff, v1
	v_readfirstlane_b32 s1, v1
	s_delay_alu instid0(VALU_DEP_2)
	v_cmp_gt_i32_e32 vcc_lo, 11, v3
	s_cbranch_vccnz .LBB7_2762
; %bb.2640:
	s_and_b32 s2, 0xffff, s1
	s_mov_b32 s7, -1
	s_mov_b32 s3, 0
	s_cmp_gt_i32 s2, 25
	s_mov_b32 s6, 0
	s_mov_b32 s0, 0
	s_cbranch_scc0 .LBB7_2673
; %bb.2641:
	s_cmp_gt_i32 s2, 28
	s_cbranch_scc0 .LBB7_2656
; %bb.2642:
	s_cmp_gt_i32 s2, 43
	;; [unrolled: 3-line block ×3, first 2 shown]
	s_cbranch_scc0 .LBB7_2646
; %bb.2644:
	s_mov_b32 s0, -1
	s_mov_b32 s7, 0
	s_cmp_eq_u32 s2, 46
	s_cbranch_scc0 .LBB7_2646
; %bb.2645:
	v_cvt_f32_ubyte0_e32 v1, v8
	s_mov_b32 s0, 0
	s_mov_b32 s6, -1
	s_delay_alu instid0(VALU_DEP_1) | instskip(NEXT) | instid1(VALU_DEP_1)
	v_bfe_u32 v3, v1, 16, 1
	v_add3_u32 v1, v1, v3, 0x7fff
	s_delay_alu instid0(VALU_DEP_1)
	v_lshrrev_b32_e32 v1, 16, v1
	global_store_b32 v[6:7], v1, off
.LBB7_2646:
	s_and_b32 vcc_lo, exec_lo, s7
	s_cbranch_vccz .LBB7_2651
; %bb.2647:
	s_cmp_eq_u32 s2, 44
	s_mov_b32 s0, -1
	s_cbranch_scc0 .LBB7_2651
; %bb.2648:
	v_cvt_f32_ubyte0_e32 v5, v8
	v_mov_b32_e32 v3, 0xff
	s_mov_b32 s6, exec_lo
	s_wait_xcnt 0x0
	s_delay_alu instid0(VALU_DEP_2) | instskip(NEXT) | instid1(VALU_DEP_1)
	v_lshrrev_b32_e32 v1, 23, v5
	v_cmpx_ne_u32_e32 0xff, v1
; %bb.2649:
	v_and_b32_e32 v3, 0x400000, v5
	v_and_or_b32 v5, 0x3fffff, v5, v1
	s_delay_alu instid0(VALU_DEP_2) | instskip(NEXT) | instid1(VALU_DEP_2)
	v_cmp_ne_u32_e32 vcc_lo, 0, v3
	v_cmp_ne_u32_e64 s0, 0, v5
	s_and_b32 s0, vcc_lo, s0
	s_delay_alu instid0(SALU_CYCLE_1) | instskip(NEXT) | instid1(VALU_DEP_1)
	v_cndmask_b32_e64 v3, 0, 1, s0
	v_add_nc_u32_e32 v3, v1, v3
; %bb.2650:
	s_or_b32 exec_lo, exec_lo, s6
	s_mov_b32 s0, 0
	s_mov_b32 s6, -1
	global_store_b8 v[6:7], v3, off
.LBB7_2651:
	s_mov_b32 s7, 0
.LBB7_2652:
	s_delay_alu instid0(SALU_CYCLE_1)
	s_and_b32 vcc_lo, exec_lo, s7
	s_cbranch_vccz .LBB7_2655
; %bb.2653:
	s_cmp_eq_u32 s2, 29
	s_mov_b32 s0, -1
	s_cbranch_scc0 .LBB7_2655
; %bb.2654:
	v_and_b32_e32 v14, 0xff, v8
	v_mov_b32_e32 v15, 0
	s_mov_b32 s0, 0
	s_mov_b32 s6, -1
	global_store_b64 v[6:7], v[14:15], off
.LBB7_2655:
	s_mov_b32 s7, 0
.LBB7_2656:
	s_delay_alu instid0(SALU_CYCLE_1)
	s_and_b32 vcc_lo, exec_lo, s7
	s_cbranch_vccz .LBB7_2672
; %bb.2657:
	s_cmp_lt_i32 s2, 27
	s_mov_b32 s6, -1
	s_cbranch_scc1 .LBB7_2663
; %bb.2658:
	s_cmp_gt_i32 s2, 27
	s_cbranch_scc0 .LBB7_2660
; %bb.2659:
	s_wait_xcnt 0x0
	v_and_b32_e32 v1, 0xff, v8
	s_mov_b32 s6, 0
	global_store_b32 v[6:7], v1, off
.LBB7_2660:
	s_and_not1_b32 vcc_lo, exec_lo, s6
	s_cbranch_vccnz .LBB7_2662
; %bb.2661:
	s_wait_xcnt 0x0
	v_and_b32_e32 v1, 0xff, v8
	global_store_b16 v[6:7], v1, off
.LBB7_2662:
	s_mov_b32 s6, 0
.LBB7_2663:
	s_delay_alu instid0(SALU_CYCLE_1)
	s_and_not1_b32 vcc_lo, exec_lo, s6
	s_cbranch_vccnz .LBB7_2671
; %bb.2664:
	s_wait_xcnt 0x0
	v_cvt_f32_ubyte0_e32 v3, v8
	v_mov_b32_e32 v5, 0x80
	s_mov_b32 s6, exec_lo
	s_delay_alu instid0(VALU_DEP_2)
	v_cmpx_gt_u32_e32 0x43800000, v3
	s_cbranch_execz .LBB7_2670
; %bb.2665:
	s_mov_b32 s7, 0
	s_mov_b32 s11, exec_lo
                                        ; implicit-def: $vgpr1
	v_cmpx_lt_u32_e32 0x3bffffff, v3
	s_xor_b32 s11, exec_lo, s11
	s_cbranch_execz .LBB7_3120
; %bb.2666:
	v_bfe_u32 v1, v3, 20, 1
	s_mov_b32 s7, exec_lo
	s_delay_alu instid0(VALU_DEP_1) | instskip(NEXT) | instid1(VALU_DEP_1)
	v_add3_u32 v1, v3, v1, 0x487ffff
                                        ; implicit-def: $vgpr3
	v_lshrrev_b32_e32 v1, 20, v1
	s_and_not1_saveexec_b32 s11, s11
	s_cbranch_execnz .LBB7_3121
.LBB7_2667:
	s_or_b32 exec_lo, exec_lo, s11
	v_mov_b32_e32 v5, 0
	s_and_saveexec_b32 s11, s7
.LBB7_2668:
	v_mov_b32_e32 v5, v1
.LBB7_2669:
	s_or_b32 exec_lo, exec_lo, s11
.LBB7_2670:
	s_delay_alu instid0(SALU_CYCLE_1)
	s_or_b32 exec_lo, exec_lo, s6
	global_store_b8 v[6:7], v5, off
.LBB7_2671:
	s_mov_b32 s6, -1
.LBB7_2672:
	s_mov_b32 s7, 0
.LBB7_2673:
	s_delay_alu instid0(SALU_CYCLE_1)
	s_and_b32 vcc_lo, exec_lo, s7
	s_cbranch_vccz .LBB7_2713
; %bb.2674:
	s_cmp_gt_i32 s2, 22
	s_mov_b32 s3, -1
	s_cbranch_scc0 .LBB7_2706
; %bb.2675:
	s_cmp_lt_i32 s2, 24
	s_cbranch_scc1 .LBB7_2695
; %bb.2676:
	s_cmp_gt_i32 s2, 24
	s_cbranch_scc0 .LBB7_2684
; %bb.2677:
	s_wait_xcnt 0x0
	v_cvt_f32_ubyte0_e32 v3, v8
	v_mov_b32_e32 v5, 0x80
	s_mov_b32 s3, exec_lo
	s_delay_alu instid0(VALU_DEP_2)
	v_cmpx_gt_u32_e32 0x47800000, v3
	s_cbranch_execz .LBB7_2683
; %bb.2678:
	s_mov_b32 s6, 0
	s_mov_b32 s7, exec_lo
                                        ; implicit-def: $vgpr1
	v_cmpx_lt_u32_e32 0x37ffffff, v3
	s_xor_b32 s7, exec_lo, s7
	s_cbranch_execz .LBB7_3123
; %bb.2679:
	v_bfe_u32 v1, v3, 21, 1
	s_mov_b32 s6, exec_lo
	s_delay_alu instid0(VALU_DEP_1) | instskip(NEXT) | instid1(VALU_DEP_1)
	v_add3_u32 v1, v3, v1, 0x88fffff
                                        ; implicit-def: $vgpr3
	v_lshrrev_b32_e32 v1, 21, v1
	s_and_not1_saveexec_b32 s7, s7
	s_cbranch_execnz .LBB7_3124
.LBB7_2680:
	s_or_b32 exec_lo, exec_lo, s7
	v_mov_b32_e32 v5, 0
	s_and_saveexec_b32 s7, s6
.LBB7_2681:
	v_mov_b32_e32 v5, v1
.LBB7_2682:
	s_or_b32 exec_lo, exec_lo, s7
.LBB7_2683:
	s_delay_alu instid0(SALU_CYCLE_1)
	s_or_b32 exec_lo, exec_lo, s3
	s_mov_b32 s3, 0
	global_store_b8 v[6:7], v5, off
.LBB7_2684:
	s_and_b32 vcc_lo, exec_lo, s3
	s_cbranch_vccz .LBB7_2694
; %bb.2685:
	s_wait_xcnt 0x0
	v_cvt_f32_ubyte0_e32 v3, v8
	s_mov_b32 s3, exec_lo
                                        ; implicit-def: $vgpr1
	s_delay_alu instid0(VALU_DEP_1)
	v_cmpx_gt_u32_e32 0x43f00000, v3
	s_xor_b32 s3, exec_lo, s3
	s_cbranch_execz .LBB7_2691
; %bb.2686:
	s_mov_b32 s6, exec_lo
                                        ; implicit-def: $vgpr1
	v_cmpx_lt_u32_e32 0x3c7fffff, v3
	s_xor_b32 s6, exec_lo, s6
; %bb.2687:
	v_bfe_u32 v1, v3, 20, 1
	s_delay_alu instid0(VALU_DEP_1) | instskip(NEXT) | instid1(VALU_DEP_1)
	v_add3_u32 v1, v3, v1, 0x407ffff
	v_and_b32_e32 v3, 0xff00000, v1
	v_lshrrev_b32_e32 v1, 20, v1
	s_delay_alu instid0(VALU_DEP_2) | instskip(NEXT) | instid1(VALU_DEP_2)
	v_cmp_ne_u32_e32 vcc_lo, 0x7f00000, v3
                                        ; implicit-def: $vgpr3
	v_cndmask_b32_e32 v1, 0x7e, v1, vcc_lo
; %bb.2688:
	s_and_not1_saveexec_b32 s6, s6
; %bb.2689:
	v_add_f32_e32 v1, 0x46800000, v3
; %bb.2690:
	s_or_b32 exec_lo, exec_lo, s6
                                        ; implicit-def: $vgpr3
.LBB7_2691:
	s_and_not1_saveexec_b32 s3, s3
; %bb.2692:
	v_mov_b32_e32 v1, 0x7f
	v_cmp_lt_u32_e32 vcc_lo, 0x7f800000, v3
	s_delay_alu instid0(VALU_DEP_2)
	v_cndmask_b32_e32 v1, 0x7e, v1, vcc_lo
; %bb.2693:
	s_or_b32 exec_lo, exec_lo, s3
	global_store_b8 v[6:7], v1, off
.LBB7_2694:
	s_mov_b32 s3, 0
.LBB7_2695:
	s_delay_alu instid0(SALU_CYCLE_1)
	s_and_not1_b32 vcc_lo, exec_lo, s3
	s_cbranch_vccnz .LBB7_2705
; %bb.2696:
	s_wait_xcnt 0x0
	v_cvt_f32_ubyte0_e32 v3, v8
	s_mov_b32 s3, exec_lo
                                        ; implicit-def: $vgpr1
	s_delay_alu instid0(VALU_DEP_1)
	v_cmpx_gt_u32_e32 0x47800000, v3
	s_xor_b32 s3, exec_lo, s3
	s_cbranch_execz .LBB7_2702
; %bb.2697:
	s_mov_b32 s6, exec_lo
                                        ; implicit-def: $vgpr1
	v_cmpx_lt_u32_e32 0x387fffff, v3
	s_xor_b32 s6, exec_lo, s6
; %bb.2698:
	v_bfe_u32 v1, v3, 21, 1
	s_delay_alu instid0(VALU_DEP_1) | instskip(NEXT) | instid1(VALU_DEP_1)
	v_add3_u32 v1, v3, v1, 0x80fffff
                                        ; implicit-def: $vgpr3
	v_lshrrev_b32_e32 v1, 21, v1
; %bb.2699:
	s_and_not1_saveexec_b32 s6, s6
; %bb.2700:
	v_add_f32_e32 v1, 0x43000000, v3
; %bb.2701:
	s_or_b32 exec_lo, exec_lo, s6
                                        ; implicit-def: $vgpr3
.LBB7_2702:
	s_and_not1_saveexec_b32 s3, s3
; %bb.2703:
	v_mov_b32_e32 v1, 0x7f
	v_cmp_lt_u32_e32 vcc_lo, 0x7f800000, v3
	s_delay_alu instid0(VALU_DEP_2)
	v_cndmask_b32_e32 v1, 0x7c, v1, vcc_lo
; %bb.2704:
	s_or_b32 exec_lo, exec_lo, s3
	global_store_b8 v[6:7], v1, off
.LBB7_2705:
	s_mov_b32 s3, 0
	s_mov_b32 s6, -1
.LBB7_2706:
	s_and_not1_b32 vcc_lo, exec_lo, s3
	s_mov_b32 s3, 0
	s_cbranch_vccnz .LBB7_2713
; %bb.2707:
	s_cmp_gt_i32 s2, 14
	s_mov_b32 s3, -1
	s_cbranch_scc0 .LBB7_2711
; %bb.2708:
	s_cmp_eq_u32 s2, 15
	s_mov_b32 s0, -1
	s_cbranch_scc0 .LBB7_2710
; %bb.2709:
	s_wait_xcnt 0x0
	v_cvt_f32_ubyte0_e32 v1, v8
	s_mov_b32 s0, 0
	s_mov_b32 s6, -1
	s_delay_alu instid0(VALU_DEP_1) | instskip(NEXT) | instid1(VALU_DEP_1)
	v_bfe_u32 v3, v1, 16, 1
	v_add3_u32 v1, v1, v3, 0x7fff
	global_store_d16_hi_b16 v[6:7], v1, off
.LBB7_2710:
	s_mov_b32 s3, 0
.LBB7_2711:
	s_delay_alu instid0(SALU_CYCLE_1)
	s_and_b32 vcc_lo, exec_lo, s3
	s_mov_b32 s3, 0
	s_cbranch_vccz .LBB7_2713
; %bb.2712:
	s_cmp_lg_u32 s2, 11
	s_mov_b32 s3, -1
	s_cselect_b32 s0, -1, 0
.LBB7_2713:
	s_delay_alu instid0(SALU_CYCLE_1)
	s_and_b32 vcc_lo, exec_lo, s0
	s_cbranch_vccnz .LBB7_3122
; %bb.2714:
	s_and_not1_b32 vcc_lo, exec_lo, s3
	s_cbranch_vccnz .LBB7_2716
.LBB7_2715:
	s_wait_xcnt 0x0
	v_and_b32_e32 v1, 0xff, v8
	s_mov_b32 s6, -1
	s_delay_alu instid0(VALU_DEP_1)
	v_cmp_ne_u16_e32 vcc_lo, 0, v1
	v_cndmask_b32_e64 v1, 0, 1, vcc_lo
	global_store_b8 v[6:7], v1, off
.LBB7_2716:
	s_mov_b32 s0, 0
	s_branch .LBB7_2763
.LBB7_2717:
	s_mov_b32 s0, 0
	s_wait_xcnt 0x0
	s_mov_b32 s3, 0
                                        ; implicit-def: $vgpr2_vgpr3
                                        ; implicit-def: $sgpr1
                                        ; implicit-def: $vgpr10
.LBB7_2718:
	s_and_not1_b32 s2, s8, exec_lo
	s_and_b32 s4, s10, exec_lo
	s_and_b32 s0, s0, exec_lo
	s_and_b32 s28, s3, exec_lo
	s_or_b32 s8, s2, s4
.LBB7_2719:
	s_wait_xcnt 0x0
	s_or_b32 exec_lo, exec_lo, s9
	s_and_saveexec_b32 s2, s8
	s_cbranch_execz .LBB7_2722
; %bb.2720:
	; divergent unreachable
	s_or_b32 exec_lo, exec_lo, s2
	s_and_saveexec_b32 s2, s28
	s_delay_alu instid0(SALU_CYCLE_1)
	s_xor_b32 s2, exec_lo, s2
	s_cbranch_execnz .LBB7_2723
.LBB7_2721:
	s_or_b32 exec_lo, exec_lo, s2
	s_and_saveexec_b32 s2, s0
	s_cbranch_execnz .LBB7_2724
	s_branch .LBB7_2761
.LBB7_2722:
	s_or_b32 exec_lo, exec_lo, s2
	s_and_saveexec_b32 s2, s28
	s_delay_alu instid0(SALU_CYCLE_1)
	s_xor_b32 s2, exec_lo, s2
	s_cbranch_execz .LBB7_2721
.LBB7_2723:
	s_wait_loadcnt 0x0
	s_delay_alu instid0(VALU_DEP_1) | instskip(NEXT) | instid1(VALU_DEP_1)
	v_and_b32_e32 v0, 0xff, v10
	v_cmp_ne_u16_e32 vcc_lo, 0, v0
	v_cndmask_b32_e64 v0, 0, 1, vcc_lo
	global_store_b8 v[2:3], v0, off
	s_wait_xcnt 0x0
	s_or_b32 exec_lo, exec_lo, s2
	s_and_saveexec_b32 s2, s0
	s_cbranch_execz .LBB7_2761
.LBB7_2724:
	s_sext_i32_i16 s2, s1
	s_mov_b32 s0, -1
	s_cmp_lt_i32 s2, 5
	s_cbranch_scc1 .LBB7_2745
; %bb.2725:
	s_cmp_lt_i32 s2, 8
	s_cbranch_scc1 .LBB7_2735
; %bb.2726:
	;; [unrolled: 3-line block ×3, first 2 shown]
	s_cmp_gt_i32 s2, 9
	s_cbranch_scc0 .LBB7_2729
; %bb.2728:
	s_wait_loadcnt 0x0
	v_and_b32_e32 v0, 0xff, v10
	v_mov_b32_e32 v6, 0
	s_mov_b32 s0, 0
	s_delay_alu instid0(VALU_DEP_2) | instskip(NEXT) | instid1(VALU_DEP_2)
	v_and_b32_e32 v0, 0xffff, v0
	v_mov_b32_e32 v7, v6
	s_delay_alu instid0(VALU_DEP_2)
	v_cvt_f64_u32_e32 v[4:5], v0
	global_store_b128 v[2:3], v[4:7], off
.LBB7_2729:
	s_and_not1_b32 vcc_lo, exec_lo, s0
	s_cbranch_vccnz .LBB7_2731
; %bb.2730:
	s_wait_loadcnt 0x0
	v_cvt_f32_ubyte0_e32 v0, v10
	v_mov_b32_e32 v1, 0
	global_store_b64 v[2:3], v[0:1], off
.LBB7_2731:
	s_mov_b32 s0, 0
.LBB7_2732:
	s_delay_alu instid0(SALU_CYCLE_1)
	s_and_not1_b32 vcc_lo, exec_lo, s0
	s_cbranch_vccnz .LBB7_2734
; %bb.2733:
	s_wait_loadcnt 0x0
	v_and_b32_e32 v0, 0xff, v10
	s_delay_alu instid0(VALU_DEP_1) | instskip(NEXT) | instid1(VALU_DEP_1)
	v_cvt_f16_u16_e32 v0, v0
	v_and_b32_e32 v0, 0xffff, v0
	global_store_b32 v[2:3], v0, off
.LBB7_2734:
	s_mov_b32 s0, 0
.LBB7_2735:
	s_delay_alu instid0(SALU_CYCLE_1)
	s_and_not1_b32 vcc_lo, exec_lo, s0
	s_cbranch_vccnz .LBB7_2744
; %bb.2736:
	s_sext_i32_i16 s2, s1
	s_mov_b32 s0, -1
	s_cmp_lt_i32 s2, 6
	s_cbranch_scc1 .LBB7_2742
; %bb.2737:
	s_cmp_gt_i32 s2, 6
	s_cbranch_scc0 .LBB7_2739
; %bb.2738:
	s_wait_loadcnt 0x0
	v_and_b32_e32 v0, 0xff, v10
	s_mov_b32 s0, 0
	s_delay_alu instid0(VALU_DEP_1) | instskip(NEXT) | instid1(VALU_DEP_1)
	v_and_b32_e32 v0, 0xffff, v0
	v_cvt_f64_u32_e32 v[0:1], v0
	global_store_b64 v[2:3], v[0:1], off
.LBB7_2739:
	s_and_not1_b32 vcc_lo, exec_lo, s0
	s_cbranch_vccnz .LBB7_2741
; %bb.2740:
	s_wait_loadcnt 0x0
	v_cvt_f32_ubyte0_e32 v0, v10
	global_store_b32 v[2:3], v0, off
.LBB7_2741:
	s_mov_b32 s0, 0
.LBB7_2742:
	s_delay_alu instid0(SALU_CYCLE_1)
	s_and_not1_b32 vcc_lo, exec_lo, s0
	s_cbranch_vccnz .LBB7_2744
; %bb.2743:
	s_wait_loadcnt 0x0
	v_and_b32_e32 v0, 0xff, v10
	s_delay_alu instid0(VALU_DEP_1)
	v_cvt_f16_u16_e32 v0, v0
	global_store_b16 v[2:3], v0, off
.LBB7_2744:
	s_mov_b32 s0, 0
.LBB7_2745:
	s_delay_alu instid0(SALU_CYCLE_1)
	s_and_not1_b32 vcc_lo, exec_lo, s0
	s_cbranch_vccnz .LBB7_2761
; %bb.2746:
	s_sext_i32_i16 s2, s1
	s_mov_b32 s0, -1
	s_cmp_lt_i32 s2, 2
	s_cbranch_scc1 .LBB7_2756
; %bb.2747:
	s_cmp_lt_i32 s2, 3
	s_cbranch_scc1 .LBB7_2753
; %bb.2748:
	s_wait_loadcnt 0x0
	v_and_b32_e32 v0, 0xff, v10
	s_cmp_gt_i32 s2, 3
	s_cbranch_scc0 .LBB7_2750
; %bb.2749:
	v_mov_b32_e32 v1, 0
	s_mov_b32 s0, 0
	global_store_b64 v[2:3], v[0:1], off
.LBB7_2750:
	s_and_not1_b32 vcc_lo, exec_lo, s0
	s_cbranch_vccnz .LBB7_2752
; %bb.2751:
	global_store_b32 v[2:3], v0, off
.LBB7_2752:
	s_mov_b32 s0, 0
.LBB7_2753:
	s_delay_alu instid0(SALU_CYCLE_1)
	s_and_not1_b32 vcc_lo, exec_lo, s0
	s_cbranch_vccnz .LBB7_2755
; %bb.2754:
	s_wait_loadcnt 0x0
	v_and_b32_e32 v0, 0xff, v10
	global_store_b16 v[2:3], v0, off
.LBB7_2755:
	s_mov_b32 s0, 0
.LBB7_2756:
	s_delay_alu instid0(SALU_CYCLE_1)
	s_and_not1_b32 vcc_lo, exec_lo, s0
	s_cbranch_vccnz .LBB7_2761
; %bb.2757:
	s_sext_i32_i16 s0, s1
	s_delay_alu instid0(SALU_CYCLE_1)
	s_cmp_gt_i32 s0, 0
	s_mov_b32 s0, -1
	s_cbranch_scc0 .LBB7_2759
; %bb.2758:
	s_mov_b32 s0, 0
	s_wait_loadcnt 0x0
	global_store_b8 v[2:3], v10, off
.LBB7_2759:
	s_and_not1_b32 vcc_lo, exec_lo, s0
	s_cbranch_vccnz .LBB7_2761
; %bb.2760:
	s_wait_loadcnt 0x0
	global_store_b8 v[2:3], v10, off
	s_endpgm
.LBB7_2761:
	s_endpgm
.LBB7_2762:
	s_mov_b32 s0, -1
	s_mov_b32 s6, 0
.LBB7_2763:
	s_and_b32 vcc_lo, exec_lo, s0
	s_cbranch_vccz .LBB7_2802
; %bb.2764:
	s_and_b32 s0, 0xffff, s1
	s_mov_b32 s2, -1
	s_cmp_lt_i32 s0, 5
	s_cbranch_scc1 .LBB7_2785
; %bb.2765:
	s_cmp_lt_i32 s0, 8
	s_cbranch_scc1 .LBB7_2775
; %bb.2766:
	s_cmp_lt_i32 s0, 9
	s_cbranch_scc1 .LBB7_2772
; %bb.2767:
	s_cmp_gt_i32 s0, 9
	s_cbranch_scc0 .LBB7_2769
; %bb.2768:
	s_wait_xcnt 0x0
	v_and_b32_e32 v1, 0xff, v8
	v_mov_b32_e32 v20, 0
	s_mov_b32 s2, 0
	s_delay_alu instid0(VALU_DEP_2) | instskip(NEXT) | instid1(VALU_DEP_2)
	v_and_b32_e32 v1, 0xffff, v1
	v_mov_b32_e32 v21, v20
	s_delay_alu instid0(VALU_DEP_2)
	v_cvt_f64_u32_e32 v[18:19], v1
	global_store_b128 v[6:7], v[18:21], off
.LBB7_2769:
	s_and_not1_b32 vcc_lo, exec_lo, s2
	s_cbranch_vccnz .LBB7_2771
; %bb.2770:
	s_wait_xcnt 0x0
	v_cvt_f32_ubyte0_e32 v14, v8
	v_mov_b32_e32 v15, 0
	global_store_b64 v[6:7], v[14:15], off
.LBB7_2771:
	s_mov_b32 s2, 0
.LBB7_2772:
	s_delay_alu instid0(SALU_CYCLE_1)
	s_and_not1_b32 vcc_lo, exec_lo, s2
	s_cbranch_vccnz .LBB7_2774
; %bb.2773:
	s_wait_xcnt 0x0
	v_and_b32_e32 v1, 0xff, v8
	s_delay_alu instid0(VALU_DEP_1) | instskip(NEXT) | instid1(VALU_DEP_1)
	v_cvt_f16_u16_e32 v1, v1
	v_and_b32_e32 v1, 0xffff, v1
	global_store_b32 v[6:7], v1, off
.LBB7_2774:
	s_mov_b32 s2, 0
.LBB7_2775:
	s_delay_alu instid0(SALU_CYCLE_1)
	s_and_not1_b32 vcc_lo, exec_lo, s2
	s_cbranch_vccnz .LBB7_2784
; %bb.2776:
	s_cmp_lt_i32 s0, 6
	s_mov_b32 s2, -1
	s_cbranch_scc1 .LBB7_2782
; %bb.2777:
	s_cmp_gt_i32 s0, 6
	s_cbranch_scc0 .LBB7_2779
; %bb.2778:
	s_wait_xcnt 0x0
	v_and_b32_e32 v1, 0xff, v8
	s_mov_b32 s2, 0
	s_delay_alu instid0(VALU_DEP_1) | instskip(NEXT) | instid1(VALU_DEP_1)
	v_and_b32_e32 v1, 0xffff, v1
	v_cvt_f64_u32_e32 v[14:15], v1
	global_store_b64 v[6:7], v[14:15], off
.LBB7_2779:
	s_and_not1_b32 vcc_lo, exec_lo, s2
	s_cbranch_vccnz .LBB7_2781
; %bb.2780:
	s_wait_xcnt 0x0
	v_cvt_f32_ubyte0_e32 v1, v8
	global_store_b32 v[6:7], v1, off
.LBB7_2781:
	s_mov_b32 s2, 0
.LBB7_2782:
	s_delay_alu instid0(SALU_CYCLE_1)
	s_and_not1_b32 vcc_lo, exec_lo, s2
	s_cbranch_vccnz .LBB7_2784
; %bb.2783:
	s_wait_xcnt 0x0
	v_and_b32_e32 v1, 0xff, v8
	s_delay_alu instid0(VALU_DEP_1)
	v_cvt_f16_u16_e32 v1, v1
	global_store_b16 v[6:7], v1, off
.LBB7_2784:
	s_mov_b32 s2, 0
.LBB7_2785:
	s_delay_alu instid0(SALU_CYCLE_1)
	s_and_not1_b32 vcc_lo, exec_lo, s2
	s_cbranch_vccnz .LBB7_2801
; %bb.2786:
	s_cmp_lt_i32 s0, 2
	s_mov_b32 s2, -1
	s_cbranch_scc1 .LBB7_2796
; %bb.2787:
	s_cmp_lt_i32 s0, 3
	s_cbranch_scc1 .LBB7_2793
; %bb.2788:
	s_cmp_gt_i32 s0, 3
	s_cbranch_scc0 .LBB7_2790
; %bb.2789:
	s_wait_xcnt 0x0
	v_and_b32_e32 v14, 0xff, v8
	v_mov_b32_e32 v15, 0
	s_mov_b32 s2, 0
	global_store_b64 v[6:7], v[14:15], off
.LBB7_2790:
	s_and_not1_b32 vcc_lo, exec_lo, s2
	s_cbranch_vccnz .LBB7_2792
; %bb.2791:
	s_wait_xcnt 0x0
	v_and_b32_e32 v1, 0xff, v8
	global_store_b32 v[6:7], v1, off
.LBB7_2792:
	s_mov_b32 s2, 0
.LBB7_2793:
	s_delay_alu instid0(SALU_CYCLE_1)
	s_and_not1_b32 vcc_lo, exec_lo, s2
	s_cbranch_vccnz .LBB7_2795
; %bb.2794:
	s_wait_xcnt 0x0
	v_and_b32_e32 v1, 0xff, v8
	global_store_b16 v[6:7], v1, off
.LBB7_2795:
	s_mov_b32 s2, 0
.LBB7_2796:
	s_delay_alu instid0(SALU_CYCLE_1)
	s_and_not1_b32 vcc_lo, exec_lo, s2
	s_cbranch_vccnz .LBB7_2801
; %bb.2797:
	s_cmp_gt_i32 s0, 0
	s_mov_b32 s0, -1
	s_cbranch_scc0 .LBB7_2799
; %bb.2798:
	s_mov_b32 s0, 0
	global_store_b8 v[6:7], v8, off
.LBB7_2799:
	s_and_not1_b32 vcc_lo, exec_lo, s0
	s_cbranch_vccnz .LBB7_2801
; %bb.2800:
	global_store_b8 v[6:7], v8, off
.LBB7_2801:
	s_mov_b32 s6, -1
.LBB7_2802:
	s_delay_alu instid0(SALU_CYCLE_1)
	s_and_not1_b32 vcc_lo, exec_lo, s6
	s_cbranch_vccnz .LBB7_3117
; %bb.2803:
	s_wait_xcnt 0x0
	v_mov_b32_e32 v5, 0
	s_and_b32 s2, 0xffff, s1
	s_delay_alu instid0(SALU_CYCLE_1) | instskip(NEXT) | instid1(VALU_DEP_1)
	s_cmp_lt_i32 s2, 11
	v_add_nc_u64_e32 v[4:5], s[4:5], v[4:5]
	s_cbranch_scc1 .LBB7_2881
; %bb.2804:
	s_mov_b32 s7, -1
	s_mov_b32 s3, 0
	s_cmp_gt_i32 s2, 25
	s_mov_b32 s6, 0
	s_mov_b32 s0, 0
	s_cbranch_scc0 .LBB7_2837
; %bb.2805:
	s_cmp_gt_i32 s2, 28
	s_cbranch_scc0 .LBB7_2820
; %bb.2806:
	s_cmp_gt_i32 s2, 43
	;; [unrolled: 3-line block ×3, first 2 shown]
	s_cbranch_scc0 .LBB7_2810
; %bb.2808:
	s_mov_b32 s0, -1
	s_mov_b32 s7, 0
	s_cmp_eq_u32 s2, 46
	s_cbranch_scc0 .LBB7_2810
; %bb.2809:
	v_cvt_f32_ubyte0_e32 v1, v12
	s_mov_b32 s0, 0
	s_mov_b32 s6, -1
	s_delay_alu instid0(VALU_DEP_1) | instskip(NEXT) | instid1(VALU_DEP_1)
	v_bfe_u32 v3, v1, 16, 1
	v_add3_u32 v1, v1, v3, 0x7fff
	s_delay_alu instid0(VALU_DEP_1)
	v_lshrrev_b32_e32 v1, 16, v1
	global_store_b32 v[4:5], v1, off
.LBB7_2810:
	s_and_b32 vcc_lo, exec_lo, s7
	s_cbranch_vccz .LBB7_2815
; %bb.2811:
	s_cmp_eq_u32 s2, 44
	s_mov_b32 s0, -1
	s_cbranch_scc0 .LBB7_2815
; %bb.2812:
	v_cvt_f32_ubyte0_e32 v6, v12
	v_mov_b32_e32 v3, 0xff
	s_mov_b32 s6, exec_lo
	s_wait_xcnt 0x0
	s_delay_alu instid0(VALU_DEP_2) | instskip(NEXT) | instid1(VALU_DEP_1)
	v_lshrrev_b32_e32 v1, 23, v6
	v_cmpx_ne_u32_e32 0xff, v1
; %bb.2813:
	v_and_b32_e32 v3, 0x400000, v6
	v_and_or_b32 v6, 0x3fffff, v6, v1
	s_delay_alu instid0(VALU_DEP_2) | instskip(NEXT) | instid1(VALU_DEP_2)
	v_cmp_ne_u32_e32 vcc_lo, 0, v3
	v_cmp_ne_u32_e64 s0, 0, v6
	s_and_b32 s0, vcc_lo, s0
	s_delay_alu instid0(SALU_CYCLE_1) | instskip(NEXT) | instid1(VALU_DEP_1)
	v_cndmask_b32_e64 v3, 0, 1, s0
	v_add_nc_u32_e32 v3, v1, v3
; %bb.2814:
	s_or_b32 exec_lo, exec_lo, s6
	s_mov_b32 s0, 0
	s_mov_b32 s6, -1
	global_store_b8 v[4:5], v3, off
.LBB7_2815:
	s_mov_b32 s7, 0
.LBB7_2816:
	s_delay_alu instid0(SALU_CYCLE_1)
	s_and_b32 vcc_lo, exec_lo, s7
	s_cbranch_vccz .LBB7_2819
; %bb.2817:
	s_cmp_eq_u32 s2, 29
	s_mov_b32 s0, -1
	s_cbranch_scc0 .LBB7_2819
; %bb.2818:
	v_and_b32_e32 v6, 0xff, v12
	v_mov_b32_e32 v7, 0
	s_mov_b32 s0, 0
	s_mov_b32 s6, -1
	global_store_b64 v[4:5], v[6:7], off
.LBB7_2819:
	s_mov_b32 s7, 0
.LBB7_2820:
	s_delay_alu instid0(SALU_CYCLE_1)
	s_and_b32 vcc_lo, exec_lo, s7
	s_cbranch_vccz .LBB7_2836
; %bb.2821:
	s_cmp_lt_i32 s2, 27
	s_mov_b32 s6, -1
	s_cbranch_scc1 .LBB7_2827
; %bb.2822:
	s_cmp_gt_i32 s2, 27
	s_cbranch_scc0 .LBB7_2824
; %bb.2823:
	s_wait_xcnt 0x0
	v_and_b32_e32 v1, 0xff, v12
	s_mov_b32 s6, 0
	global_store_b32 v[4:5], v1, off
.LBB7_2824:
	s_and_not1_b32 vcc_lo, exec_lo, s6
	s_cbranch_vccnz .LBB7_2826
; %bb.2825:
	s_wait_xcnt 0x0
	v_and_b32_e32 v1, 0xff, v12
	global_store_b16 v[4:5], v1, off
.LBB7_2826:
	s_mov_b32 s6, 0
.LBB7_2827:
	s_delay_alu instid0(SALU_CYCLE_1)
	s_and_not1_b32 vcc_lo, exec_lo, s6
	s_cbranch_vccnz .LBB7_2835
; %bb.2828:
	s_wait_xcnt 0x0
	v_cvt_f32_ubyte0_e32 v3, v12
	v_mov_b32_e32 v6, 0x80
	s_mov_b32 s6, exec_lo
	s_delay_alu instid0(VALU_DEP_2)
	v_cmpx_gt_u32_e32 0x43800000, v3
	s_cbranch_execz .LBB7_2834
; %bb.2829:
	s_mov_b32 s7, 0
	s_mov_b32 s11, exec_lo
                                        ; implicit-def: $vgpr1
	v_cmpx_lt_u32_e32 0x3bffffff, v3
	s_xor_b32 s11, exec_lo, s11
	s_cbranch_execz .LBB7_3125
; %bb.2830:
	v_bfe_u32 v1, v3, 20, 1
	s_mov_b32 s7, exec_lo
	s_delay_alu instid0(VALU_DEP_1) | instskip(NEXT) | instid1(VALU_DEP_1)
	v_add3_u32 v1, v3, v1, 0x487ffff
                                        ; implicit-def: $vgpr3
	v_lshrrev_b32_e32 v1, 20, v1
	s_and_not1_saveexec_b32 s11, s11
	s_cbranch_execnz .LBB7_3126
.LBB7_2831:
	s_or_b32 exec_lo, exec_lo, s11
	v_mov_b32_e32 v6, 0
	s_and_saveexec_b32 s11, s7
.LBB7_2832:
	v_mov_b32_e32 v6, v1
.LBB7_2833:
	s_or_b32 exec_lo, exec_lo, s11
.LBB7_2834:
	s_delay_alu instid0(SALU_CYCLE_1)
	s_or_b32 exec_lo, exec_lo, s6
	global_store_b8 v[4:5], v6, off
.LBB7_2835:
	s_mov_b32 s6, -1
.LBB7_2836:
	s_mov_b32 s7, 0
.LBB7_2837:
	s_delay_alu instid0(SALU_CYCLE_1)
	s_and_b32 vcc_lo, exec_lo, s7
	s_cbranch_vccz .LBB7_2877
; %bb.2838:
	s_cmp_gt_i32 s2, 22
	s_mov_b32 s3, -1
	s_cbranch_scc0 .LBB7_2870
; %bb.2839:
	s_cmp_lt_i32 s2, 24
	s_cbranch_scc1 .LBB7_2859
; %bb.2840:
	s_cmp_gt_i32 s2, 24
	s_cbranch_scc0 .LBB7_2848
; %bb.2841:
	s_wait_xcnt 0x0
	v_cvt_f32_ubyte0_e32 v3, v12
	v_mov_b32_e32 v6, 0x80
	s_mov_b32 s3, exec_lo
	s_delay_alu instid0(VALU_DEP_2)
	v_cmpx_gt_u32_e32 0x47800000, v3
	s_cbranch_execz .LBB7_2847
; %bb.2842:
	s_mov_b32 s6, 0
	s_mov_b32 s7, exec_lo
                                        ; implicit-def: $vgpr1
	v_cmpx_lt_u32_e32 0x37ffffff, v3
	s_xor_b32 s7, exec_lo, s7
	s_cbranch_execz .LBB7_3128
; %bb.2843:
	v_bfe_u32 v1, v3, 21, 1
	s_mov_b32 s6, exec_lo
	s_delay_alu instid0(VALU_DEP_1) | instskip(NEXT) | instid1(VALU_DEP_1)
	v_add3_u32 v1, v3, v1, 0x88fffff
                                        ; implicit-def: $vgpr3
	v_lshrrev_b32_e32 v1, 21, v1
	s_and_not1_saveexec_b32 s7, s7
	s_cbranch_execnz .LBB7_3129
.LBB7_2844:
	s_or_b32 exec_lo, exec_lo, s7
	v_mov_b32_e32 v6, 0
	s_and_saveexec_b32 s7, s6
.LBB7_2845:
	v_mov_b32_e32 v6, v1
.LBB7_2846:
	s_or_b32 exec_lo, exec_lo, s7
.LBB7_2847:
	s_delay_alu instid0(SALU_CYCLE_1)
	s_or_b32 exec_lo, exec_lo, s3
	s_mov_b32 s3, 0
	global_store_b8 v[4:5], v6, off
.LBB7_2848:
	s_and_b32 vcc_lo, exec_lo, s3
	s_cbranch_vccz .LBB7_2858
; %bb.2849:
	s_wait_xcnt 0x0
	v_cvt_f32_ubyte0_e32 v3, v12
	s_mov_b32 s3, exec_lo
                                        ; implicit-def: $vgpr1
	s_delay_alu instid0(VALU_DEP_1)
	v_cmpx_gt_u32_e32 0x43f00000, v3
	s_xor_b32 s3, exec_lo, s3
	s_cbranch_execz .LBB7_2855
; %bb.2850:
	s_mov_b32 s6, exec_lo
                                        ; implicit-def: $vgpr1
	v_cmpx_lt_u32_e32 0x3c7fffff, v3
	s_xor_b32 s6, exec_lo, s6
; %bb.2851:
	v_bfe_u32 v1, v3, 20, 1
	s_delay_alu instid0(VALU_DEP_1) | instskip(NEXT) | instid1(VALU_DEP_1)
	v_add3_u32 v1, v3, v1, 0x407ffff
	v_and_b32_e32 v3, 0xff00000, v1
	v_lshrrev_b32_e32 v1, 20, v1
	s_delay_alu instid0(VALU_DEP_2) | instskip(NEXT) | instid1(VALU_DEP_2)
	v_cmp_ne_u32_e32 vcc_lo, 0x7f00000, v3
                                        ; implicit-def: $vgpr3
	v_cndmask_b32_e32 v1, 0x7e, v1, vcc_lo
; %bb.2852:
	s_and_not1_saveexec_b32 s6, s6
; %bb.2853:
	v_add_f32_e32 v1, 0x46800000, v3
; %bb.2854:
	s_or_b32 exec_lo, exec_lo, s6
                                        ; implicit-def: $vgpr3
.LBB7_2855:
	s_and_not1_saveexec_b32 s3, s3
; %bb.2856:
	v_mov_b32_e32 v1, 0x7f
	v_cmp_lt_u32_e32 vcc_lo, 0x7f800000, v3
	s_delay_alu instid0(VALU_DEP_2)
	v_cndmask_b32_e32 v1, 0x7e, v1, vcc_lo
; %bb.2857:
	s_or_b32 exec_lo, exec_lo, s3
	global_store_b8 v[4:5], v1, off
.LBB7_2858:
	s_mov_b32 s3, 0
.LBB7_2859:
	s_delay_alu instid0(SALU_CYCLE_1)
	s_and_not1_b32 vcc_lo, exec_lo, s3
	s_cbranch_vccnz .LBB7_2869
; %bb.2860:
	s_wait_xcnt 0x0
	v_cvt_f32_ubyte0_e32 v3, v12
	s_mov_b32 s3, exec_lo
                                        ; implicit-def: $vgpr1
	s_delay_alu instid0(VALU_DEP_1)
	v_cmpx_gt_u32_e32 0x47800000, v3
	s_xor_b32 s3, exec_lo, s3
	s_cbranch_execz .LBB7_2866
; %bb.2861:
	s_mov_b32 s6, exec_lo
                                        ; implicit-def: $vgpr1
	v_cmpx_lt_u32_e32 0x387fffff, v3
	s_xor_b32 s6, exec_lo, s6
; %bb.2862:
	v_bfe_u32 v1, v3, 21, 1
	s_delay_alu instid0(VALU_DEP_1) | instskip(NEXT) | instid1(VALU_DEP_1)
	v_add3_u32 v1, v3, v1, 0x80fffff
                                        ; implicit-def: $vgpr3
	v_lshrrev_b32_e32 v1, 21, v1
; %bb.2863:
	s_and_not1_saveexec_b32 s6, s6
; %bb.2864:
	v_add_f32_e32 v1, 0x43000000, v3
; %bb.2865:
	s_or_b32 exec_lo, exec_lo, s6
                                        ; implicit-def: $vgpr3
.LBB7_2866:
	s_and_not1_saveexec_b32 s3, s3
; %bb.2867:
	v_mov_b32_e32 v1, 0x7f
	v_cmp_lt_u32_e32 vcc_lo, 0x7f800000, v3
	s_delay_alu instid0(VALU_DEP_2)
	v_cndmask_b32_e32 v1, 0x7c, v1, vcc_lo
; %bb.2868:
	s_or_b32 exec_lo, exec_lo, s3
	global_store_b8 v[4:5], v1, off
.LBB7_2869:
	s_mov_b32 s3, 0
	s_mov_b32 s6, -1
.LBB7_2870:
	s_and_not1_b32 vcc_lo, exec_lo, s3
	s_mov_b32 s3, 0
	s_cbranch_vccnz .LBB7_2877
; %bb.2871:
	s_cmp_gt_i32 s2, 14
	s_mov_b32 s3, -1
	s_cbranch_scc0 .LBB7_2875
; %bb.2872:
	s_cmp_eq_u32 s2, 15
	s_mov_b32 s0, -1
	s_cbranch_scc0 .LBB7_2874
; %bb.2873:
	s_wait_xcnt 0x0
	v_cvt_f32_ubyte0_e32 v1, v12
	s_mov_b32 s0, 0
	s_mov_b32 s6, -1
	s_delay_alu instid0(VALU_DEP_1) | instskip(NEXT) | instid1(VALU_DEP_1)
	v_bfe_u32 v3, v1, 16, 1
	v_add3_u32 v1, v1, v3, 0x7fff
	global_store_d16_hi_b16 v[4:5], v1, off
.LBB7_2874:
	s_mov_b32 s3, 0
.LBB7_2875:
	s_delay_alu instid0(SALU_CYCLE_1)
	s_and_b32 vcc_lo, exec_lo, s3
	s_mov_b32 s3, 0
	s_cbranch_vccz .LBB7_2877
; %bb.2876:
	s_cmp_lg_u32 s2, 11
	s_mov_b32 s3, -1
	s_cselect_b32 s0, -1, 0
.LBB7_2877:
	s_delay_alu instid0(SALU_CYCLE_1)
	s_and_b32 vcc_lo, exec_lo, s0
	s_cbranch_vccnz .LBB7_3127
; %bb.2878:
	s_and_not1_b32 vcc_lo, exec_lo, s3
	s_cbranch_vccnz .LBB7_2880
.LBB7_2879:
	s_wait_xcnt 0x0
	v_and_b32_e32 v1, 0xff, v12
	s_mov_b32 s6, -1
	s_delay_alu instid0(VALU_DEP_1)
	v_cmp_ne_u16_e32 vcc_lo, 0, v1
	v_cndmask_b32_e64 v1, 0, 1, vcc_lo
	global_store_b8 v[4:5], v1, off
.LBB7_2880:
	s_mov_b32 s0, 0
	s_branch .LBB7_2882
.LBB7_2881:
	s_mov_b32 s0, -1
	s_mov_b32 s6, 0
.LBB7_2882:
	s_and_b32 vcc_lo, exec_lo, s0
	s_cbranch_vccz .LBB7_2921
; %bb.2883:
	s_cmp_lt_i32 s2, 5
	s_mov_b32 s0, -1
	s_cbranch_scc1 .LBB7_2904
; %bb.2884:
	s_cmp_lt_i32 s2, 8
	s_cbranch_scc1 .LBB7_2894
; %bb.2885:
	s_cmp_lt_i32 s2, 9
	s_cbranch_scc1 .LBB7_2891
; %bb.2886:
	s_cmp_gt_i32 s2, 9
	s_cbranch_scc0 .LBB7_2888
; %bb.2887:
	s_wait_xcnt 0x0
	v_and_b32_e32 v1, 0xff, v12
	v_mov_b32_e32 v8, 0
	s_mov_b32 s0, 0
	s_delay_alu instid0(VALU_DEP_2) | instskip(NEXT) | instid1(VALU_DEP_2)
	v_and_b32_e32 v1, 0xffff, v1
	v_mov_b32_e32 v9, v8
	s_delay_alu instid0(VALU_DEP_2)
	v_cvt_f64_u32_e32 v[6:7], v1
	global_store_b128 v[4:5], v[6:9], off
.LBB7_2888:
	s_and_not1_b32 vcc_lo, exec_lo, s0
	s_cbranch_vccnz .LBB7_2890
; %bb.2889:
	s_wait_xcnt 0x0
	v_cvt_f32_ubyte0_e32 v6, v12
	v_mov_b32_e32 v7, 0
	global_store_b64 v[4:5], v[6:7], off
.LBB7_2890:
	s_mov_b32 s0, 0
.LBB7_2891:
	s_delay_alu instid0(SALU_CYCLE_1)
	s_and_not1_b32 vcc_lo, exec_lo, s0
	s_cbranch_vccnz .LBB7_2893
; %bb.2892:
	s_wait_xcnt 0x0
	v_and_b32_e32 v1, 0xff, v12
	s_delay_alu instid0(VALU_DEP_1) | instskip(NEXT) | instid1(VALU_DEP_1)
	v_cvt_f16_u16_e32 v1, v1
	v_and_b32_e32 v1, 0xffff, v1
	global_store_b32 v[4:5], v1, off
.LBB7_2893:
	s_mov_b32 s0, 0
.LBB7_2894:
	s_delay_alu instid0(SALU_CYCLE_1)
	s_and_not1_b32 vcc_lo, exec_lo, s0
	s_cbranch_vccnz .LBB7_2903
; %bb.2895:
	s_cmp_lt_i32 s2, 6
	s_mov_b32 s0, -1
	s_cbranch_scc1 .LBB7_2901
; %bb.2896:
	s_cmp_gt_i32 s2, 6
	s_cbranch_scc0 .LBB7_2898
; %bb.2897:
	s_wait_xcnt 0x0
	v_and_b32_e32 v1, 0xff, v12
	s_mov_b32 s0, 0
	s_delay_alu instid0(VALU_DEP_1) | instskip(NEXT) | instid1(VALU_DEP_1)
	v_and_b32_e32 v1, 0xffff, v1
	v_cvt_f64_u32_e32 v[6:7], v1
	global_store_b64 v[4:5], v[6:7], off
.LBB7_2898:
	s_and_not1_b32 vcc_lo, exec_lo, s0
	s_cbranch_vccnz .LBB7_2900
; %bb.2899:
	s_wait_xcnt 0x0
	v_cvt_f32_ubyte0_e32 v1, v12
	global_store_b32 v[4:5], v1, off
.LBB7_2900:
	s_mov_b32 s0, 0
.LBB7_2901:
	s_delay_alu instid0(SALU_CYCLE_1)
	s_and_not1_b32 vcc_lo, exec_lo, s0
	s_cbranch_vccnz .LBB7_2903
; %bb.2902:
	s_wait_xcnt 0x0
	v_and_b32_e32 v1, 0xff, v12
	s_delay_alu instid0(VALU_DEP_1)
	v_cvt_f16_u16_e32 v1, v1
	global_store_b16 v[4:5], v1, off
.LBB7_2903:
	s_mov_b32 s0, 0
.LBB7_2904:
	s_delay_alu instid0(SALU_CYCLE_1)
	s_and_not1_b32 vcc_lo, exec_lo, s0
	s_cbranch_vccnz .LBB7_2920
; %bb.2905:
	s_cmp_lt_i32 s2, 2
	s_mov_b32 s0, -1
	s_cbranch_scc1 .LBB7_2915
; %bb.2906:
	s_cmp_lt_i32 s2, 3
	s_cbranch_scc1 .LBB7_2912
; %bb.2907:
	s_cmp_gt_i32 s2, 3
	s_cbranch_scc0 .LBB7_2909
; %bb.2908:
	s_wait_xcnt 0x0
	v_and_b32_e32 v6, 0xff, v12
	v_mov_b32_e32 v7, 0
	s_mov_b32 s0, 0
	global_store_b64 v[4:5], v[6:7], off
.LBB7_2909:
	s_and_not1_b32 vcc_lo, exec_lo, s0
	s_cbranch_vccnz .LBB7_2911
; %bb.2910:
	s_wait_xcnt 0x0
	v_and_b32_e32 v1, 0xff, v12
	global_store_b32 v[4:5], v1, off
.LBB7_2911:
	s_mov_b32 s0, 0
.LBB7_2912:
	s_delay_alu instid0(SALU_CYCLE_1)
	s_and_not1_b32 vcc_lo, exec_lo, s0
	s_cbranch_vccnz .LBB7_2914
; %bb.2913:
	s_wait_xcnt 0x0
	v_and_b32_e32 v1, 0xff, v12
	global_store_b16 v[4:5], v1, off
.LBB7_2914:
	s_mov_b32 s0, 0
.LBB7_2915:
	s_delay_alu instid0(SALU_CYCLE_1)
	s_and_not1_b32 vcc_lo, exec_lo, s0
	s_cbranch_vccnz .LBB7_2920
; %bb.2916:
	s_cmp_gt_i32 s2, 0
	s_mov_b32 s0, -1
	s_cbranch_scc0 .LBB7_2918
; %bb.2917:
	s_mov_b32 s0, 0
	global_store_b8 v[4:5], v12, off
.LBB7_2918:
	s_and_not1_b32 vcc_lo, exec_lo, s0
	s_cbranch_vccnz .LBB7_2920
; %bb.2919:
	global_store_b8 v[4:5], v12, off
.LBB7_2920:
	s_mov_b32 s6, -1
.LBB7_2921:
	s_delay_alu instid0(SALU_CYCLE_1)
	s_and_not1_b32 vcc_lo, exec_lo, s6
	s_cbranch_vccnz .LBB7_3117
; %bb.2922:
	s_wait_xcnt 0x0
	v_mov_b32_e32 v3, 0
	s_cmp_lt_i32 s2, 11
	s_delay_alu instid0(VALU_DEP_1)
	v_add_nc_u64_e32 v[2:3], s[4:5], v[2:3]
	s_cbranch_scc1 .LBB7_3000
; %bb.2923:
	s_mov_b32 s7, -1
	s_mov_b32 s3, 0
	s_cmp_gt_i32 s2, 25
	s_mov_b32 s6, 0
	s_mov_b32 s0, 0
	s_cbranch_scc0 .LBB7_2956
; %bb.2924:
	s_cmp_gt_i32 s2, 28
	s_cbranch_scc0 .LBB7_2939
; %bb.2925:
	s_cmp_gt_i32 s2, 43
	;; [unrolled: 3-line block ×3, first 2 shown]
	s_cbranch_scc0 .LBB7_2929
; %bb.2927:
	s_mov_b32 s0, -1
	s_mov_b32 s7, 0
	s_cmp_eq_u32 s2, 46
	s_cbranch_scc0 .LBB7_2929
; %bb.2928:
	v_cvt_f32_ubyte0_e32 v1, v16
	s_mov_b32 s0, 0
	s_mov_b32 s6, -1
	s_delay_alu instid0(VALU_DEP_1) | instskip(NEXT) | instid1(VALU_DEP_1)
	v_bfe_u32 v4, v1, 16, 1
	v_add3_u32 v1, v1, v4, 0x7fff
	s_delay_alu instid0(VALU_DEP_1)
	v_lshrrev_b32_e32 v1, 16, v1
	global_store_b32 v[2:3], v1, off
.LBB7_2929:
	s_and_b32 vcc_lo, exec_lo, s7
	s_cbranch_vccz .LBB7_2934
; %bb.2930:
	s_cmp_eq_u32 s2, 44
	s_mov_b32 s0, -1
	s_cbranch_scc0 .LBB7_2934
; %bb.2931:
	v_cvt_f32_ubyte0_e32 v5, v16
	s_mov_b32 s6, exec_lo
	s_wait_xcnt 0x0
	s_delay_alu instid0(VALU_DEP_1) | instskip(NEXT) | instid1(VALU_DEP_1)
	v_dual_mov_b32 v4, 0xff :: v_dual_lshrrev_b32 v1, 23, v5
	v_cmpx_ne_u32_e32 0xff, v1
; %bb.2932:
	v_and_b32_e32 v4, 0x400000, v5
	v_and_or_b32 v5, 0x3fffff, v5, v1
	s_delay_alu instid0(VALU_DEP_2) | instskip(NEXT) | instid1(VALU_DEP_2)
	v_cmp_ne_u32_e32 vcc_lo, 0, v4
	v_cmp_ne_u32_e64 s0, 0, v5
	s_and_b32 s0, vcc_lo, s0
	s_delay_alu instid0(SALU_CYCLE_1) | instskip(NEXT) | instid1(VALU_DEP_1)
	v_cndmask_b32_e64 v4, 0, 1, s0
	v_add_nc_u32_e32 v4, v1, v4
; %bb.2933:
	s_or_b32 exec_lo, exec_lo, s6
	s_mov_b32 s0, 0
	s_mov_b32 s6, -1
	global_store_b8 v[2:3], v4, off
.LBB7_2934:
	s_mov_b32 s7, 0
.LBB7_2935:
	s_delay_alu instid0(SALU_CYCLE_1)
	s_and_b32 vcc_lo, exec_lo, s7
	s_cbranch_vccz .LBB7_2938
; %bb.2936:
	s_cmp_eq_u32 s2, 29
	s_mov_b32 s0, -1
	s_cbranch_scc0 .LBB7_2938
; %bb.2937:
	s_wait_xcnt 0x0
	v_and_b32_e32 v4, 0xff, v16
	v_mov_b32_e32 v5, 0
	s_mov_b32 s0, 0
	s_mov_b32 s6, -1
	global_store_b64 v[2:3], v[4:5], off
.LBB7_2938:
	s_mov_b32 s7, 0
.LBB7_2939:
	s_delay_alu instid0(SALU_CYCLE_1)
	s_and_b32 vcc_lo, exec_lo, s7
	s_cbranch_vccz .LBB7_2955
; %bb.2940:
	s_cmp_lt_i32 s2, 27
	s_mov_b32 s6, -1
	s_cbranch_scc1 .LBB7_2946
; %bb.2941:
	s_cmp_gt_i32 s2, 27
	s_cbranch_scc0 .LBB7_2943
; %bb.2942:
	s_wait_xcnt 0x0
	v_and_b32_e32 v1, 0xff, v16
	s_mov_b32 s6, 0
	global_store_b32 v[2:3], v1, off
.LBB7_2943:
	s_and_not1_b32 vcc_lo, exec_lo, s6
	s_cbranch_vccnz .LBB7_2945
; %bb.2944:
	s_wait_xcnt 0x0
	v_and_b32_e32 v1, 0xff, v16
	global_store_b16 v[2:3], v1, off
.LBB7_2945:
	s_mov_b32 s6, 0
.LBB7_2946:
	s_delay_alu instid0(SALU_CYCLE_1)
	s_and_not1_b32 vcc_lo, exec_lo, s6
	s_cbranch_vccnz .LBB7_2954
; %bb.2947:
	s_wait_xcnt 0x0
	v_cvt_f32_ubyte0_e32 v4, v16
	v_mov_b32_e32 v5, 0x80
	s_mov_b32 s6, exec_lo
	s_delay_alu instid0(VALU_DEP_2)
	v_cmpx_gt_u32_e32 0x43800000, v4
	s_cbranch_execz .LBB7_2953
; %bb.2948:
	s_mov_b32 s7, 0
	s_mov_b32 s11, exec_lo
                                        ; implicit-def: $vgpr1
	v_cmpx_lt_u32_e32 0x3bffffff, v4
	s_xor_b32 s11, exec_lo, s11
	s_cbranch_execz .LBB7_3130
; %bb.2949:
	v_bfe_u32 v1, v4, 20, 1
	s_mov_b32 s7, exec_lo
	s_delay_alu instid0(VALU_DEP_1) | instskip(NEXT) | instid1(VALU_DEP_1)
	v_add3_u32 v1, v4, v1, 0x487ffff
                                        ; implicit-def: $vgpr4
	v_lshrrev_b32_e32 v1, 20, v1
	s_and_not1_saveexec_b32 s11, s11
	s_cbranch_execnz .LBB7_3131
.LBB7_2950:
	s_or_b32 exec_lo, exec_lo, s11
	v_mov_b32_e32 v5, 0
	s_and_saveexec_b32 s11, s7
.LBB7_2951:
	v_mov_b32_e32 v5, v1
.LBB7_2952:
	s_or_b32 exec_lo, exec_lo, s11
.LBB7_2953:
	s_delay_alu instid0(SALU_CYCLE_1)
	s_or_b32 exec_lo, exec_lo, s6
	global_store_b8 v[2:3], v5, off
.LBB7_2954:
	s_mov_b32 s6, -1
.LBB7_2955:
	s_mov_b32 s7, 0
.LBB7_2956:
	s_delay_alu instid0(SALU_CYCLE_1)
	s_and_b32 vcc_lo, exec_lo, s7
	s_cbranch_vccz .LBB7_2996
; %bb.2957:
	s_cmp_gt_i32 s2, 22
	s_mov_b32 s3, -1
	s_cbranch_scc0 .LBB7_2989
; %bb.2958:
	s_cmp_lt_i32 s2, 24
	s_cbranch_scc1 .LBB7_2978
; %bb.2959:
	s_cmp_gt_i32 s2, 24
	s_cbranch_scc0 .LBB7_2967
; %bb.2960:
	s_wait_xcnt 0x0
	v_cvt_f32_ubyte0_e32 v4, v16
	v_mov_b32_e32 v5, 0x80
	s_mov_b32 s3, exec_lo
	s_delay_alu instid0(VALU_DEP_2)
	v_cmpx_gt_u32_e32 0x47800000, v4
	s_cbranch_execz .LBB7_2966
; %bb.2961:
	s_mov_b32 s6, 0
	s_mov_b32 s7, exec_lo
                                        ; implicit-def: $vgpr1
	v_cmpx_lt_u32_e32 0x37ffffff, v4
	s_xor_b32 s7, exec_lo, s7
	s_cbranch_execz .LBB7_3133
; %bb.2962:
	v_bfe_u32 v1, v4, 21, 1
	s_mov_b32 s6, exec_lo
	s_delay_alu instid0(VALU_DEP_1) | instskip(NEXT) | instid1(VALU_DEP_1)
	v_add3_u32 v1, v4, v1, 0x88fffff
                                        ; implicit-def: $vgpr4
	v_lshrrev_b32_e32 v1, 21, v1
	s_and_not1_saveexec_b32 s7, s7
	s_cbranch_execnz .LBB7_3134
.LBB7_2963:
	s_or_b32 exec_lo, exec_lo, s7
	v_mov_b32_e32 v5, 0
	s_and_saveexec_b32 s7, s6
.LBB7_2964:
	v_mov_b32_e32 v5, v1
.LBB7_2965:
	s_or_b32 exec_lo, exec_lo, s7
.LBB7_2966:
	s_delay_alu instid0(SALU_CYCLE_1)
	s_or_b32 exec_lo, exec_lo, s3
	s_mov_b32 s3, 0
	global_store_b8 v[2:3], v5, off
.LBB7_2967:
	s_and_b32 vcc_lo, exec_lo, s3
	s_cbranch_vccz .LBB7_2977
; %bb.2968:
	s_wait_xcnt 0x0
	v_cvt_f32_ubyte0_e32 v4, v16
	s_mov_b32 s3, exec_lo
                                        ; implicit-def: $vgpr1
	s_delay_alu instid0(VALU_DEP_1)
	v_cmpx_gt_u32_e32 0x43f00000, v4
	s_xor_b32 s3, exec_lo, s3
	s_cbranch_execz .LBB7_2974
; %bb.2969:
	s_mov_b32 s6, exec_lo
                                        ; implicit-def: $vgpr1
	v_cmpx_lt_u32_e32 0x3c7fffff, v4
	s_xor_b32 s6, exec_lo, s6
; %bb.2970:
	v_bfe_u32 v1, v4, 20, 1
	s_delay_alu instid0(VALU_DEP_1) | instskip(NEXT) | instid1(VALU_DEP_1)
	v_add3_u32 v1, v4, v1, 0x407ffff
	v_and_b32_e32 v4, 0xff00000, v1
	v_lshrrev_b32_e32 v1, 20, v1
	s_delay_alu instid0(VALU_DEP_2) | instskip(NEXT) | instid1(VALU_DEP_2)
	v_cmp_ne_u32_e32 vcc_lo, 0x7f00000, v4
                                        ; implicit-def: $vgpr4
	v_cndmask_b32_e32 v1, 0x7e, v1, vcc_lo
; %bb.2971:
	s_and_not1_saveexec_b32 s6, s6
; %bb.2972:
	v_add_f32_e32 v1, 0x46800000, v4
; %bb.2973:
	s_or_b32 exec_lo, exec_lo, s6
                                        ; implicit-def: $vgpr4
.LBB7_2974:
	s_and_not1_saveexec_b32 s3, s3
; %bb.2975:
	v_mov_b32_e32 v1, 0x7f
	v_cmp_lt_u32_e32 vcc_lo, 0x7f800000, v4
	s_delay_alu instid0(VALU_DEP_2)
	v_cndmask_b32_e32 v1, 0x7e, v1, vcc_lo
; %bb.2976:
	s_or_b32 exec_lo, exec_lo, s3
	global_store_b8 v[2:3], v1, off
.LBB7_2977:
	s_mov_b32 s3, 0
.LBB7_2978:
	s_delay_alu instid0(SALU_CYCLE_1)
	s_and_not1_b32 vcc_lo, exec_lo, s3
	s_cbranch_vccnz .LBB7_2988
; %bb.2979:
	s_wait_xcnt 0x0
	v_cvt_f32_ubyte0_e32 v4, v16
	s_mov_b32 s3, exec_lo
                                        ; implicit-def: $vgpr1
	s_delay_alu instid0(VALU_DEP_1)
	v_cmpx_gt_u32_e32 0x47800000, v4
	s_xor_b32 s3, exec_lo, s3
	s_cbranch_execz .LBB7_2985
; %bb.2980:
	s_mov_b32 s6, exec_lo
                                        ; implicit-def: $vgpr1
	v_cmpx_lt_u32_e32 0x387fffff, v4
	s_xor_b32 s6, exec_lo, s6
; %bb.2981:
	v_bfe_u32 v1, v4, 21, 1
	s_delay_alu instid0(VALU_DEP_1) | instskip(NEXT) | instid1(VALU_DEP_1)
	v_add3_u32 v1, v4, v1, 0x80fffff
                                        ; implicit-def: $vgpr4
	v_lshrrev_b32_e32 v1, 21, v1
; %bb.2982:
	s_and_not1_saveexec_b32 s6, s6
; %bb.2983:
	v_add_f32_e32 v1, 0x43000000, v4
; %bb.2984:
	s_or_b32 exec_lo, exec_lo, s6
                                        ; implicit-def: $vgpr4
.LBB7_2985:
	s_and_not1_saveexec_b32 s3, s3
; %bb.2986:
	v_mov_b32_e32 v1, 0x7f
	v_cmp_lt_u32_e32 vcc_lo, 0x7f800000, v4
	s_delay_alu instid0(VALU_DEP_2)
	v_cndmask_b32_e32 v1, 0x7c, v1, vcc_lo
; %bb.2987:
	s_or_b32 exec_lo, exec_lo, s3
	global_store_b8 v[2:3], v1, off
.LBB7_2988:
	s_mov_b32 s3, 0
	s_mov_b32 s6, -1
.LBB7_2989:
	s_and_not1_b32 vcc_lo, exec_lo, s3
	s_mov_b32 s3, 0
	s_cbranch_vccnz .LBB7_2996
; %bb.2990:
	s_cmp_gt_i32 s2, 14
	s_mov_b32 s3, -1
	s_cbranch_scc0 .LBB7_2994
; %bb.2991:
	s_cmp_eq_u32 s2, 15
	s_mov_b32 s0, -1
	s_cbranch_scc0 .LBB7_2993
; %bb.2992:
	s_wait_xcnt 0x0
	v_cvt_f32_ubyte0_e32 v1, v16
	s_mov_b32 s0, 0
	s_mov_b32 s6, -1
	s_delay_alu instid0(VALU_DEP_1) | instskip(NEXT) | instid1(VALU_DEP_1)
	v_bfe_u32 v4, v1, 16, 1
	v_add3_u32 v1, v1, v4, 0x7fff
	global_store_d16_hi_b16 v[2:3], v1, off
.LBB7_2993:
	s_mov_b32 s3, 0
.LBB7_2994:
	s_delay_alu instid0(SALU_CYCLE_1)
	s_and_b32 vcc_lo, exec_lo, s3
	s_mov_b32 s3, 0
	s_cbranch_vccz .LBB7_2996
; %bb.2995:
	s_cmp_lg_u32 s2, 11
	s_mov_b32 s3, -1
	s_cselect_b32 s0, -1, 0
.LBB7_2996:
	s_delay_alu instid0(SALU_CYCLE_1)
	s_and_b32 vcc_lo, exec_lo, s0
	s_cbranch_vccnz .LBB7_3132
; %bb.2997:
	s_and_not1_b32 vcc_lo, exec_lo, s3
	s_cbranch_vccnz .LBB7_2999
.LBB7_2998:
	s_wait_xcnt 0x0
	v_and_b32_e32 v1, 0xff, v16
	s_mov_b32 s6, -1
	s_delay_alu instid0(VALU_DEP_1)
	v_cmp_ne_u16_e32 vcc_lo, 0, v1
	v_cndmask_b32_e64 v1, 0, 1, vcc_lo
	global_store_b8 v[2:3], v1, off
.LBB7_2999:
	s_mov_b32 s0, 0
	s_branch .LBB7_3001
.LBB7_3000:
	s_mov_b32 s0, -1
	s_mov_b32 s6, 0
.LBB7_3001:
	s_and_b32 vcc_lo, exec_lo, s0
	s_cbranch_vccz .LBB7_3040
; %bb.3002:
	s_cmp_lt_i32 s2, 5
	s_mov_b32 s0, -1
	s_cbranch_scc1 .LBB7_3023
; %bb.3003:
	s_cmp_lt_i32 s2, 8
	s_cbranch_scc1 .LBB7_3013
; %bb.3004:
	s_cmp_lt_i32 s2, 9
	s_cbranch_scc1 .LBB7_3010
; %bb.3005:
	s_cmp_gt_i32 s2, 9
	s_cbranch_scc0 .LBB7_3007
; %bb.3006:
	s_wait_xcnt 0x0
	v_and_b32_e32 v1, 0xff, v16
	v_mov_b32_e32 v6, 0
	s_mov_b32 s0, 0
	s_delay_alu instid0(VALU_DEP_2) | instskip(NEXT) | instid1(VALU_DEP_2)
	v_and_b32_e32 v1, 0xffff, v1
	v_mov_b32_e32 v7, v6
	s_delay_alu instid0(VALU_DEP_2)
	v_cvt_f64_u32_e32 v[4:5], v1
	global_store_b128 v[2:3], v[4:7], off
.LBB7_3007:
	s_and_not1_b32 vcc_lo, exec_lo, s0
	s_cbranch_vccnz .LBB7_3009
; %bb.3008:
	s_wait_xcnt 0x0
	v_cvt_f32_ubyte0_e32 v4, v16
	v_mov_b32_e32 v5, 0
	global_store_b64 v[2:3], v[4:5], off
.LBB7_3009:
	s_mov_b32 s0, 0
.LBB7_3010:
	s_delay_alu instid0(SALU_CYCLE_1)
	s_and_not1_b32 vcc_lo, exec_lo, s0
	s_cbranch_vccnz .LBB7_3012
; %bb.3011:
	s_wait_xcnt 0x0
	v_and_b32_e32 v1, 0xff, v16
	s_delay_alu instid0(VALU_DEP_1) | instskip(NEXT) | instid1(VALU_DEP_1)
	v_cvt_f16_u16_e32 v1, v1
	v_and_b32_e32 v1, 0xffff, v1
	global_store_b32 v[2:3], v1, off
.LBB7_3012:
	s_mov_b32 s0, 0
.LBB7_3013:
	s_delay_alu instid0(SALU_CYCLE_1)
	s_and_not1_b32 vcc_lo, exec_lo, s0
	s_cbranch_vccnz .LBB7_3022
; %bb.3014:
	s_cmp_lt_i32 s2, 6
	s_mov_b32 s0, -1
	s_cbranch_scc1 .LBB7_3020
; %bb.3015:
	s_cmp_gt_i32 s2, 6
	s_cbranch_scc0 .LBB7_3017
; %bb.3016:
	s_wait_xcnt 0x0
	v_and_b32_e32 v1, 0xff, v16
	s_mov_b32 s0, 0
	s_delay_alu instid0(VALU_DEP_1) | instskip(NEXT) | instid1(VALU_DEP_1)
	v_and_b32_e32 v1, 0xffff, v1
	v_cvt_f64_u32_e32 v[4:5], v1
	global_store_b64 v[2:3], v[4:5], off
.LBB7_3017:
	s_and_not1_b32 vcc_lo, exec_lo, s0
	s_cbranch_vccnz .LBB7_3019
; %bb.3018:
	s_wait_xcnt 0x0
	v_cvt_f32_ubyte0_e32 v1, v16
	global_store_b32 v[2:3], v1, off
.LBB7_3019:
	s_mov_b32 s0, 0
.LBB7_3020:
	s_delay_alu instid0(SALU_CYCLE_1)
	s_and_not1_b32 vcc_lo, exec_lo, s0
	s_cbranch_vccnz .LBB7_3022
; %bb.3021:
	s_wait_xcnt 0x0
	v_and_b32_e32 v1, 0xff, v16
	s_delay_alu instid0(VALU_DEP_1)
	v_cvt_f16_u16_e32 v1, v1
	global_store_b16 v[2:3], v1, off
.LBB7_3022:
	s_mov_b32 s0, 0
.LBB7_3023:
	s_delay_alu instid0(SALU_CYCLE_1)
	s_and_not1_b32 vcc_lo, exec_lo, s0
	s_cbranch_vccnz .LBB7_3039
; %bb.3024:
	s_cmp_lt_i32 s2, 2
	s_mov_b32 s0, -1
	s_cbranch_scc1 .LBB7_3034
; %bb.3025:
	s_cmp_lt_i32 s2, 3
	s_cbranch_scc1 .LBB7_3031
; %bb.3026:
	s_cmp_gt_i32 s2, 3
	s_cbranch_scc0 .LBB7_3028
; %bb.3027:
	s_wait_xcnt 0x0
	v_and_b32_e32 v4, 0xff, v16
	v_mov_b32_e32 v5, 0
	s_mov_b32 s0, 0
	global_store_b64 v[2:3], v[4:5], off
.LBB7_3028:
	s_and_not1_b32 vcc_lo, exec_lo, s0
	s_cbranch_vccnz .LBB7_3030
; %bb.3029:
	s_wait_xcnt 0x0
	v_and_b32_e32 v1, 0xff, v16
	global_store_b32 v[2:3], v1, off
.LBB7_3030:
	s_mov_b32 s0, 0
.LBB7_3031:
	s_delay_alu instid0(SALU_CYCLE_1)
	s_and_not1_b32 vcc_lo, exec_lo, s0
	s_cbranch_vccnz .LBB7_3033
; %bb.3032:
	s_wait_xcnt 0x0
	v_and_b32_e32 v1, 0xff, v16
	global_store_b16 v[2:3], v1, off
.LBB7_3033:
	s_mov_b32 s0, 0
.LBB7_3034:
	s_delay_alu instid0(SALU_CYCLE_1)
	s_and_not1_b32 vcc_lo, exec_lo, s0
	s_cbranch_vccnz .LBB7_3039
; %bb.3035:
	s_cmp_gt_i32 s2, 0
	s_mov_b32 s0, -1
	s_cbranch_scc0 .LBB7_3037
; %bb.3036:
	s_mov_b32 s0, 0
	global_store_b8 v[2:3], v16, off
.LBB7_3037:
	s_and_not1_b32 vcc_lo, exec_lo, s0
	s_cbranch_vccnz .LBB7_3039
; %bb.3038:
	global_store_b8 v[2:3], v16, off
.LBB7_3039:
	s_mov_b32 s6, -1
.LBB7_3040:
	s_delay_alu instid0(SALU_CYCLE_1)
	s_and_not1_b32 vcc_lo, exec_lo, s6
	s_cbranch_vccnz .LBB7_3117
; %bb.3041:
	s_wait_xcnt 0x0
	v_mov_b32_e32 v1, 0
	s_cmp_lt_i32 s2, 11
	s_delay_alu instid0(VALU_DEP_1)
	v_add_nc_u64_e32 v[2:3], s[4:5], v[0:1]
	s_cbranch_scc1 .LBB7_3118
; %bb.3042:
	s_mov_b32 s4, -1
	s_mov_b32 s3, 0
	s_cmp_gt_i32 s2, 25
	s_mov_b32 s0, 0
	s_cbranch_scc0 .LBB7_3075
; %bb.3043:
	s_cmp_gt_i32 s2, 28
	s_cbranch_scc0 .LBB7_3059
; %bb.3044:
	s_cmp_gt_i32 s2, 43
	;; [unrolled: 3-line block ×3, first 2 shown]
	s_cbranch_scc0 .LBB7_3049
; %bb.3046:
	s_cmp_eq_u32 s2, 46
	s_mov_b32 s0, -1
	s_cbranch_scc0 .LBB7_3048
; %bb.3047:
	v_cvt_f32_ubyte0_e32 v0, v10
	s_mov_b32 s0, 0
	s_delay_alu instid0(VALU_DEP_1) | instskip(NEXT) | instid1(VALU_DEP_1)
	v_bfe_u32 v1, v0, 16, 1
	v_add3_u32 v0, v0, v1, 0x7fff
	s_delay_alu instid0(VALU_DEP_1)
	v_lshrrev_b32_e32 v0, 16, v0
	global_store_b32 v[2:3], v0, off
.LBB7_3048:
	s_mov_b32 s4, 0
.LBB7_3049:
	s_delay_alu instid0(SALU_CYCLE_1)
	s_and_b32 vcc_lo, exec_lo, s4
	s_cbranch_vccz .LBB7_3054
; %bb.3050:
	s_cmp_eq_u32 s2, 44
	s_mov_b32 s0, -1
	s_cbranch_scc0 .LBB7_3054
; %bb.3051:
	v_cvt_f32_ubyte0_e32 v4, v10
	s_mov_b32 s4, exec_lo
	s_wait_xcnt 0x0
	s_delay_alu instid0(VALU_DEP_1) | instskip(NEXT) | instid1(VALU_DEP_1)
	v_dual_mov_b32 v1, 0xff :: v_dual_lshrrev_b32 v0, 23, v4
	v_cmpx_ne_u32_e32 0xff, v0
; %bb.3052:
	v_and_b32_e32 v1, 0x400000, v4
	v_and_or_b32 v4, 0x3fffff, v4, v0
	s_delay_alu instid0(VALU_DEP_2) | instskip(NEXT) | instid1(VALU_DEP_2)
	v_cmp_ne_u32_e32 vcc_lo, 0, v1
	v_cmp_ne_u32_e64 s0, 0, v4
	s_and_b32 s0, vcc_lo, s0
	s_delay_alu instid0(SALU_CYCLE_1) | instskip(NEXT) | instid1(VALU_DEP_1)
	v_cndmask_b32_e64 v1, 0, 1, s0
	v_add_nc_u32_e32 v1, v0, v1
; %bb.3053:
	s_or_b32 exec_lo, exec_lo, s4
	s_mov_b32 s0, 0
	global_store_b8 v[2:3], v1, off
.LBB7_3054:
	s_mov_b32 s4, 0
.LBB7_3055:
	s_delay_alu instid0(SALU_CYCLE_1)
	s_and_b32 vcc_lo, exec_lo, s4
	s_cbranch_vccz .LBB7_3058
; %bb.3056:
	s_cmp_eq_u32 s2, 29
	s_mov_b32 s0, -1
	s_cbranch_scc0 .LBB7_3058
; %bb.3057:
	s_wait_xcnt 0x0
	v_and_b32_e32 v0, 0xff, v10
	v_mov_b32_e32 v1, 0
	s_mov_b32 s0, 0
	global_store_b64 v[2:3], v[0:1], off
.LBB7_3058:
	s_mov_b32 s4, 0
.LBB7_3059:
	s_delay_alu instid0(SALU_CYCLE_1)
	s_and_b32 vcc_lo, exec_lo, s4
	s_cbranch_vccz .LBB7_3074
; %bb.3060:
	s_cmp_lt_i32 s2, 27
	s_mov_b32 s4, -1
	s_cbranch_scc1 .LBB7_3066
; %bb.3061:
	s_wait_xcnt 0x0
	v_and_b32_e32 v0, 0xff, v10
	s_cmp_gt_i32 s2, 27
	s_cbranch_scc0 .LBB7_3063
; %bb.3062:
	s_mov_b32 s4, 0
	global_store_b32 v[2:3], v0, off
.LBB7_3063:
	s_and_not1_b32 vcc_lo, exec_lo, s4
	s_cbranch_vccnz .LBB7_3065
; %bb.3064:
	global_store_b16 v[2:3], v0, off
.LBB7_3065:
	s_mov_b32 s4, 0
.LBB7_3066:
	s_delay_alu instid0(SALU_CYCLE_1)
	s_and_not1_b32 vcc_lo, exec_lo, s4
	s_cbranch_vccnz .LBB7_3074
; %bb.3067:
	s_wait_xcnt 0x0
	v_cvt_f32_ubyte0_e32 v1, v10
	v_mov_b32_e32 v4, 0x80
	s_mov_b32 s4, exec_lo
	s_delay_alu instid0(VALU_DEP_2)
	v_cmpx_gt_u32_e32 0x43800000, v1
	s_cbranch_execz .LBB7_3073
; %bb.3068:
	s_mov_b32 s5, 0
	s_mov_b32 s6, exec_lo
                                        ; implicit-def: $vgpr0
	v_cmpx_lt_u32_e32 0x3bffffff, v1
	s_xor_b32 s6, exec_lo, s6
	s_cbranch_execz .LBB7_3135
; %bb.3069:
	v_bfe_u32 v0, v1, 20, 1
	s_mov_b32 s5, exec_lo
	s_delay_alu instid0(VALU_DEP_1) | instskip(NEXT) | instid1(VALU_DEP_1)
	v_add3_u32 v0, v1, v0, 0x487ffff
                                        ; implicit-def: $vgpr1
	v_lshrrev_b32_e32 v0, 20, v0
	s_and_not1_saveexec_b32 s6, s6
	s_cbranch_execnz .LBB7_3136
.LBB7_3070:
	s_or_b32 exec_lo, exec_lo, s6
	v_mov_b32_e32 v4, 0
	s_and_saveexec_b32 s6, s5
.LBB7_3071:
	v_mov_b32_e32 v4, v0
.LBB7_3072:
	s_or_b32 exec_lo, exec_lo, s6
.LBB7_3073:
	s_delay_alu instid0(SALU_CYCLE_1)
	s_or_b32 exec_lo, exec_lo, s4
	global_store_b8 v[2:3], v4, off
.LBB7_3074:
	s_mov_b32 s4, 0
.LBB7_3075:
	s_delay_alu instid0(SALU_CYCLE_1)
	s_and_b32 vcc_lo, exec_lo, s4
	s_cbranch_vccz .LBB7_3115
; %bb.3076:
	s_cmp_gt_i32 s2, 22
	s_mov_b32 s3, -1
	s_cbranch_scc0 .LBB7_3108
; %bb.3077:
	s_cmp_lt_i32 s2, 24
	s_cbranch_scc1 .LBB7_3097
; %bb.3078:
	s_cmp_gt_i32 s2, 24
	s_cbranch_scc0 .LBB7_3086
; %bb.3079:
	s_wait_xcnt 0x0
	v_cvt_f32_ubyte0_e32 v1, v10
	v_mov_b32_e32 v4, 0x80
	s_mov_b32 s3, exec_lo
	s_delay_alu instid0(VALU_DEP_2)
	v_cmpx_gt_u32_e32 0x47800000, v1
	s_cbranch_execz .LBB7_3085
; %bb.3080:
	s_mov_b32 s4, 0
	s_mov_b32 s5, exec_lo
                                        ; implicit-def: $vgpr0
	v_cmpx_lt_u32_e32 0x37ffffff, v1
	s_xor_b32 s5, exec_lo, s5
	s_cbranch_execz .LBB7_3138
; %bb.3081:
	v_bfe_u32 v0, v1, 21, 1
	s_mov_b32 s4, exec_lo
	s_delay_alu instid0(VALU_DEP_1) | instskip(NEXT) | instid1(VALU_DEP_1)
	v_add3_u32 v0, v1, v0, 0x88fffff
                                        ; implicit-def: $vgpr1
	v_lshrrev_b32_e32 v0, 21, v0
	s_and_not1_saveexec_b32 s5, s5
	s_cbranch_execnz .LBB7_3139
.LBB7_3082:
	s_or_b32 exec_lo, exec_lo, s5
	v_mov_b32_e32 v4, 0
	s_and_saveexec_b32 s5, s4
.LBB7_3083:
	v_mov_b32_e32 v4, v0
.LBB7_3084:
	s_or_b32 exec_lo, exec_lo, s5
.LBB7_3085:
	s_delay_alu instid0(SALU_CYCLE_1)
	s_or_b32 exec_lo, exec_lo, s3
	s_mov_b32 s3, 0
	global_store_b8 v[2:3], v4, off
.LBB7_3086:
	s_and_b32 vcc_lo, exec_lo, s3
	s_cbranch_vccz .LBB7_3096
; %bb.3087:
	s_wait_xcnt 0x0
	v_cvt_f32_ubyte0_e32 v1, v10
	s_mov_b32 s3, exec_lo
                                        ; implicit-def: $vgpr0
	s_delay_alu instid0(VALU_DEP_1)
	v_cmpx_gt_u32_e32 0x43f00000, v1
	s_xor_b32 s3, exec_lo, s3
	s_cbranch_execz .LBB7_3093
; %bb.3088:
	s_mov_b32 s4, exec_lo
                                        ; implicit-def: $vgpr0
	v_cmpx_lt_u32_e32 0x3c7fffff, v1
	s_xor_b32 s4, exec_lo, s4
; %bb.3089:
	v_bfe_u32 v0, v1, 20, 1
	s_delay_alu instid0(VALU_DEP_1) | instskip(NEXT) | instid1(VALU_DEP_1)
	v_add3_u32 v0, v1, v0, 0x407ffff
	v_and_b32_e32 v1, 0xff00000, v0
	v_lshrrev_b32_e32 v0, 20, v0
	s_delay_alu instid0(VALU_DEP_2) | instskip(NEXT) | instid1(VALU_DEP_2)
	v_cmp_ne_u32_e32 vcc_lo, 0x7f00000, v1
                                        ; implicit-def: $vgpr1
	v_cndmask_b32_e32 v0, 0x7e, v0, vcc_lo
; %bb.3090:
	s_and_not1_saveexec_b32 s4, s4
; %bb.3091:
	v_add_f32_e32 v0, 0x46800000, v1
; %bb.3092:
	s_or_b32 exec_lo, exec_lo, s4
                                        ; implicit-def: $vgpr1
.LBB7_3093:
	s_and_not1_saveexec_b32 s3, s3
; %bb.3094:
	v_mov_b32_e32 v0, 0x7f
	v_cmp_lt_u32_e32 vcc_lo, 0x7f800000, v1
	s_delay_alu instid0(VALU_DEP_2)
	v_cndmask_b32_e32 v0, 0x7e, v0, vcc_lo
; %bb.3095:
	s_or_b32 exec_lo, exec_lo, s3
	global_store_b8 v[2:3], v0, off
.LBB7_3096:
	s_mov_b32 s3, 0
.LBB7_3097:
	s_delay_alu instid0(SALU_CYCLE_1)
	s_and_not1_b32 vcc_lo, exec_lo, s3
	s_cbranch_vccnz .LBB7_3107
; %bb.3098:
	s_wait_xcnt 0x0
	v_cvt_f32_ubyte0_e32 v1, v10
	s_mov_b32 s3, exec_lo
                                        ; implicit-def: $vgpr0
	s_delay_alu instid0(VALU_DEP_1)
	v_cmpx_gt_u32_e32 0x47800000, v1
	s_xor_b32 s3, exec_lo, s3
	s_cbranch_execz .LBB7_3104
; %bb.3099:
	s_mov_b32 s4, exec_lo
                                        ; implicit-def: $vgpr0
	v_cmpx_lt_u32_e32 0x387fffff, v1
	s_xor_b32 s4, exec_lo, s4
; %bb.3100:
	v_bfe_u32 v0, v1, 21, 1
	s_delay_alu instid0(VALU_DEP_1) | instskip(NEXT) | instid1(VALU_DEP_1)
	v_add3_u32 v0, v1, v0, 0x80fffff
                                        ; implicit-def: $vgpr1
	v_lshrrev_b32_e32 v0, 21, v0
; %bb.3101:
	s_and_not1_saveexec_b32 s4, s4
; %bb.3102:
	v_add_f32_e32 v0, 0x43000000, v1
; %bb.3103:
	s_or_b32 exec_lo, exec_lo, s4
                                        ; implicit-def: $vgpr1
.LBB7_3104:
	s_and_not1_saveexec_b32 s3, s3
; %bb.3105:
	v_mov_b32_e32 v0, 0x7f
	v_cmp_lt_u32_e32 vcc_lo, 0x7f800000, v1
	s_delay_alu instid0(VALU_DEP_2)
	v_cndmask_b32_e32 v0, 0x7c, v0, vcc_lo
; %bb.3106:
	s_or_b32 exec_lo, exec_lo, s3
	global_store_b8 v[2:3], v0, off
.LBB7_3107:
	s_mov_b32 s3, 0
.LBB7_3108:
	s_delay_alu instid0(SALU_CYCLE_1)
	s_and_not1_b32 vcc_lo, exec_lo, s3
	s_mov_b32 s3, 0
	s_cbranch_vccnz .LBB7_3115
; %bb.3109:
	s_cmp_gt_i32 s2, 14
	s_mov_b32 s3, -1
	s_cbranch_scc0 .LBB7_3113
; %bb.3110:
	s_cmp_eq_u32 s2, 15
	s_mov_b32 s0, -1
	s_cbranch_scc0 .LBB7_3112
; %bb.3111:
	s_wait_xcnt 0x0
	v_cvt_f32_ubyte0_e32 v0, v10
	s_mov_b32 s0, 0
	s_delay_alu instid0(VALU_DEP_1) | instskip(NEXT) | instid1(VALU_DEP_1)
	v_bfe_u32 v1, v0, 16, 1
	v_add3_u32 v0, v0, v1, 0x7fff
	global_store_d16_hi_b16 v[2:3], v0, off
.LBB7_3112:
	s_mov_b32 s3, 0
.LBB7_3113:
	s_delay_alu instid0(SALU_CYCLE_1)
	s_and_b32 vcc_lo, exec_lo, s3
	s_mov_b32 s3, 0
	s_cbranch_vccz .LBB7_3115
; %bb.3114:
	s_cmp_lg_u32 s2, 11
	s_mov_b32 s3, -1
	s_cselect_b32 s0, -1, 0
.LBB7_3115:
	s_delay_alu instid0(SALU_CYCLE_1)
	s_and_b32 vcc_lo, exec_lo, s0
	s_cbranch_vccnz .LBB7_3137
.LBB7_3116:
	s_mov_b32 s0, 0
	s_branch .LBB7_2718
.LBB7_3117:
	s_mov_b32 s0, 0
	s_mov_b32 s3, 0
                                        ; implicit-def: $vgpr2_vgpr3
                                        ; implicit-def: $sgpr1
	s_branch .LBB7_2718
.LBB7_3118:
	s_mov_b32 s3, 0
	s_mov_b32 s0, -1
	s_branch .LBB7_2718
.LBB7_3119:
	s_or_b32 s10, s10, exec_lo
	s_trap 2
	s_cbranch_execz .LBB7_2584
	s_branch .LBB7_2585
.LBB7_3120:
	s_and_not1_saveexec_b32 s11, s11
	s_cbranch_execz .LBB7_2667
.LBB7_3121:
	v_add_f32_e32 v1, 0x46000000, v3
	s_and_not1_b32 s7, s7, exec_lo
	s_delay_alu instid0(VALU_DEP_1) | instskip(NEXT) | instid1(VALU_DEP_1)
	v_and_b32_e32 v1, 0xff, v1
	v_cmp_ne_u32_e32 vcc_lo, 0, v1
	s_and_b32 s12, vcc_lo, exec_lo
	s_delay_alu instid0(SALU_CYCLE_1)
	s_or_b32 s7, s7, s12
	s_or_b32 exec_lo, exec_lo, s11
	v_mov_b32_e32 v5, 0
	s_and_saveexec_b32 s11, s7
	s_cbranch_execnz .LBB7_2668
	s_branch .LBB7_2669
.LBB7_3122:
	s_or_b32 s10, s10, exec_lo
	s_trap 2
	s_cbranch_execz .LBB7_2715
	s_branch .LBB7_2716
.LBB7_3123:
	s_and_not1_saveexec_b32 s7, s7
	s_cbranch_execz .LBB7_2680
.LBB7_3124:
	v_add_f32_e32 v1, 0x42800000, v3
	s_and_not1_b32 s6, s6, exec_lo
	s_delay_alu instid0(VALU_DEP_1) | instskip(NEXT) | instid1(VALU_DEP_1)
	v_and_b32_e32 v1, 0xff, v1
	v_cmp_ne_u32_e32 vcc_lo, 0, v1
	s_and_b32 s11, vcc_lo, exec_lo
	s_delay_alu instid0(SALU_CYCLE_1)
	s_or_b32 s6, s6, s11
	s_or_b32 exec_lo, exec_lo, s7
	v_mov_b32_e32 v5, 0
	s_and_saveexec_b32 s7, s6
	s_cbranch_execnz .LBB7_2681
	s_branch .LBB7_2682
.LBB7_3125:
	s_and_not1_saveexec_b32 s11, s11
	s_cbranch_execz .LBB7_2831
.LBB7_3126:
	v_add_f32_e32 v1, 0x46000000, v3
	s_and_not1_b32 s7, s7, exec_lo
	s_delay_alu instid0(VALU_DEP_1) | instskip(NEXT) | instid1(VALU_DEP_1)
	v_and_b32_e32 v1, 0xff, v1
	v_cmp_ne_u32_e32 vcc_lo, 0, v1
	s_and_b32 s12, vcc_lo, exec_lo
	s_delay_alu instid0(SALU_CYCLE_1)
	s_or_b32 s7, s7, s12
	s_or_b32 exec_lo, exec_lo, s11
	v_mov_b32_e32 v6, 0
	s_and_saveexec_b32 s11, s7
	s_cbranch_execnz .LBB7_2832
	s_branch .LBB7_2833
.LBB7_3127:
	s_or_b32 s10, s10, exec_lo
	s_trap 2
	s_cbranch_execz .LBB7_2879
	s_branch .LBB7_2880
.LBB7_3128:
	s_and_not1_saveexec_b32 s7, s7
	s_cbranch_execz .LBB7_2844
.LBB7_3129:
	v_add_f32_e32 v1, 0x42800000, v3
	s_and_not1_b32 s6, s6, exec_lo
	s_delay_alu instid0(VALU_DEP_1) | instskip(NEXT) | instid1(VALU_DEP_1)
	v_and_b32_e32 v1, 0xff, v1
	v_cmp_ne_u32_e32 vcc_lo, 0, v1
	s_and_b32 s11, vcc_lo, exec_lo
	s_delay_alu instid0(SALU_CYCLE_1)
	s_or_b32 s6, s6, s11
	s_or_b32 exec_lo, exec_lo, s7
	v_mov_b32_e32 v6, 0
	s_and_saveexec_b32 s7, s6
	s_cbranch_execnz .LBB7_2845
	s_branch .LBB7_2846
.LBB7_3130:
	s_and_not1_saveexec_b32 s11, s11
	s_cbranch_execz .LBB7_2950
.LBB7_3131:
	v_add_f32_e32 v1, 0x46000000, v4
	s_and_not1_b32 s7, s7, exec_lo
	s_delay_alu instid0(VALU_DEP_1) | instskip(NEXT) | instid1(VALU_DEP_1)
	v_and_b32_e32 v1, 0xff, v1
	v_cmp_ne_u32_e32 vcc_lo, 0, v1
	s_and_b32 s12, vcc_lo, exec_lo
	s_delay_alu instid0(SALU_CYCLE_1)
	s_or_b32 s7, s7, s12
	s_or_b32 exec_lo, exec_lo, s11
	v_mov_b32_e32 v5, 0
	s_and_saveexec_b32 s11, s7
	s_cbranch_execnz .LBB7_2951
	s_branch .LBB7_2952
.LBB7_3132:
	s_or_b32 s10, s10, exec_lo
	s_trap 2
	s_cbranch_execz .LBB7_2998
	s_branch .LBB7_2999
.LBB7_3133:
	s_and_not1_saveexec_b32 s7, s7
	s_cbranch_execz .LBB7_2963
.LBB7_3134:
	v_add_f32_e32 v1, 0x42800000, v4
	s_and_not1_b32 s6, s6, exec_lo
	s_delay_alu instid0(VALU_DEP_1) | instskip(NEXT) | instid1(VALU_DEP_1)
	v_and_b32_e32 v1, 0xff, v1
	v_cmp_ne_u32_e32 vcc_lo, 0, v1
	s_and_b32 s11, vcc_lo, exec_lo
	s_delay_alu instid0(SALU_CYCLE_1)
	s_or_b32 s6, s6, s11
	s_or_b32 exec_lo, exec_lo, s7
	v_mov_b32_e32 v5, 0
	s_and_saveexec_b32 s7, s6
	s_cbranch_execnz .LBB7_2964
	s_branch .LBB7_2965
.LBB7_3135:
	s_and_not1_saveexec_b32 s6, s6
	s_cbranch_execz .LBB7_3070
.LBB7_3136:
	v_add_f32_e32 v0, 0x46000000, v1
	s_and_not1_b32 s5, s5, exec_lo
	s_delay_alu instid0(VALU_DEP_1) | instskip(NEXT) | instid1(VALU_DEP_1)
	v_and_b32_e32 v0, 0xff, v0
	v_cmp_ne_u32_e32 vcc_lo, 0, v0
	s_and_b32 s7, vcc_lo, exec_lo
	s_delay_alu instid0(SALU_CYCLE_1)
	s_or_b32 s5, s5, s7
	s_or_b32 exec_lo, exec_lo, s6
	v_mov_b32_e32 v4, 0
	s_and_saveexec_b32 s6, s5
	s_cbranch_execnz .LBB7_3071
	s_branch .LBB7_3072
.LBB7_3137:
	s_mov_b32 s3, 0
	s_or_b32 s10, s10, exec_lo
	s_trap 2
	s_branch .LBB7_3116
.LBB7_3138:
	s_and_not1_saveexec_b32 s5, s5
	s_cbranch_execz .LBB7_3082
.LBB7_3139:
	v_add_f32_e32 v0, 0x42800000, v1
	s_and_not1_b32 s4, s4, exec_lo
	s_delay_alu instid0(VALU_DEP_1) | instskip(NEXT) | instid1(VALU_DEP_1)
	v_and_b32_e32 v0, 0xff, v0
	v_cmp_ne_u32_e32 vcc_lo, 0, v0
	s_and_b32 s6, vcc_lo, exec_lo
	s_delay_alu instid0(SALU_CYCLE_1)
	s_or_b32 s4, s4, s6
	s_or_b32 exec_lo, exec_lo, s5
	v_mov_b32_e32 v4, 0
	s_and_saveexec_b32 s5, s4
	s_cbranch_execnz .LBB7_3083
	s_branch .LBB7_3084
	.section	.rodata,"a",@progbits
	.p2align	6, 0x0
	.amdhsa_kernel _ZN2at6native32elementwise_kernel_manual_unrollILi128ELi4EZNS0_15gpu_kernel_implIZZZNS0_15gcd_kernel_cudaERNS_18TensorIteratorBaseEENKUlvE_clEvENKUlvE_clEvEUlhhE_EEvS4_RKT_EUlibE0_EEviT1_
		.amdhsa_group_segment_fixed_size 0
		.amdhsa_private_segment_fixed_size 0
		.amdhsa_kernarg_size 432
		.amdhsa_user_sgpr_count 2
		.amdhsa_user_sgpr_dispatch_ptr 0
		.amdhsa_user_sgpr_queue_ptr 0
		.amdhsa_user_sgpr_kernarg_segment_ptr 1
		.amdhsa_user_sgpr_dispatch_id 0
		.amdhsa_user_sgpr_kernarg_preload_length 0
		.amdhsa_user_sgpr_kernarg_preload_offset 0
		.amdhsa_user_sgpr_private_segment_size 0
		.amdhsa_wavefront_size32 1
		.amdhsa_uses_dynamic_stack 0
		.amdhsa_enable_private_segment 0
		.amdhsa_system_sgpr_workgroup_id_x 1
		.amdhsa_system_sgpr_workgroup_id_y 0
		.amdhsa_system_sgpr_workgroup_id_z 0
		.amdhsa_system_sgpr_workgroup_info 0
		.amdhsa_system_vgpr_workitem_id 0
		.amdhsa_next_free_vgpr 28
		.amdhsa_next_free_sgpr 60
		.amdhsa_named_barrier_count 0
		.amdhsa_reserve_vcc 1
		.amdhsa_float_round_mode_32 0
		.amdhsa_float_round_mode_16_64 0
		.amdhsa_float_denorm_mode_32 3
		.amdhsa_float_denorm_mode_16_64 3
		.amdhsa_fp16_overflow 0
		.amdhsa_memory_ordered 1
		.amdhsa_forward_progress 1
		.amdhsa_inst_pref_size 255
		.amdhsa_round_robin_scheduling 0
		.amdhsa_exception_fp_ieee_invalid_op 0
		.amdhsa_exception_fp_denorm_src 0
		.amdhsa_exception_fp_ieee_div_zero 0
		.amdhsa_exception_fp_ieee_overflow 0
		.amdhsa_exception_fp_ieee_underflow 0
		.amdhsa_exception_fp_ieee_inexact 0
		.amdhsa_exception_int_div_zero 0
	.end_amdhsa_kernel
	.section	.text._ZN2at6native32elementwise_kernel_manual_unrollILi128ELi4EZNS0_15gpu_kernel_implIZZZNS0_15gcd_kernel_cudaERNS_18TensorIteratorBaseEENKUlvE_clEvENKUlvE_clEvEUlhhE_EEvS4_RKT_EUlibE0_EEviT1_,"axG",@progbits,_ZN2at6native32elementwise_kernel_manual_unrollILi128ELi4EZNS0_15gpu_kernel_implIZZZNS0_15gcd_kernel_cudaERNS_18TensorIteratorBaseEENKUlvE_clEvENKUlvE_clEvEUlhhE_EEvS4_RKT_EUlibE0_EEviT1_,comdat
.Lfunc_end7:
	.size	_ZN2at6native32elementwise_kernel_manual_unrollILi128ELi4EZNS0_15gpu_kernel_implIZZZNS0_15gcd_kernel_cudaERNS_18TensorIteratorBaseEENKUlvE_clEvENKUlvE_clEvEUlhhE_EEvS4_RKT_EUlibE0_EEviT1_, .Lfunc_end7-_ZN2at6native32elementwise_kernel_manual_unrollILi128ELi4EZNS0_15gpu_kernel_implIZZZNS0_15gcd_kernel_cudaERNS_18TensorIteratorBaseEENKUlvE_clEvENKUlvE_clEvEUlhhE_EEvS4_RKT_EUlibE0_EEviT1_
                                        ; -- End function
	.set _ZN2at6native32elementwise_kernel_manual_unrollILi128ELi4EZNS0_15gpu_kernel_implIZZZNS0_15gcd_kernel_cudaERNS_18TensorIteratorBaseEENKUlvE_clEvENKUlvE_clEvEUlhhE_EEvS4_RKT_EUlibE0_EEviT1_.num_vgpr, 28
	.set _ZN2at6native32elementwise_kernel_manual_unrollILi128ELi4EZNS0_15gpu_kernel_implIZZZNS0_15gcd_kernel_cudaERNS_18TensorIteratorBaseEENKUlvE_clEvENKUlvE_clEvEUlhhE_EEvS4_RKT_EUlibE0_EEviT1_.num_agpr, 0
	.set _ZN2at6native32elementwise_kernel_manual_unrollILi128ELi4EZNS0_15gpu_kernel_implIZZZNS0_15gcd_kernel_cudaERNS_18TensorIteratorBaseEENKUlvE_clEvENKUlvE_clEvEUlhhE_EEvS4_RKT_EUlibE0_EEviT1_.numbered_sgpr, 60
	.set _ZN2at6native32elementwise_kernel_manual_unrollILi128ELi4EZNS0_15gpu_kernel_implIZZZNS0_15gcd_kernel_cudaERNS_18TensorIteratorBaseEENKUlvE_clEvENKUlvE_clEvEUlhhE_EEvS4_RKT_EUlibE0_EEviT1_.num_named_barrier, 0
	.set _ZN2at6native32elementwise_kernel_manual_unrollILi128ELi4EZNS0_15gpu_kernel_implIZZZNS0_15gcd_kernel_cudaERNS_18TensorIteratorBaseEENKUlvE_clEvENKUlvE_clEvEUlhhE_EEvS4_RKT_EUlibE0_EEviT1_.private_seg_size, 0
	.set _ZN2at6native32elementwise_kernel_manual_unrollILi128ELi4EZNS0_15gpu_kernel_implIZZZNS0_15gcd_kernel_cudaERNS_18TensorIteratorBaseEENKUlvE_clEvENKUlvE_clEvEUlhhE_EEvS4_RKT_EUlibE0_EEviT1_.uses_vcc, 1
	.set _ZN2at6native32elementwise_kernel_manual_unrollILi128ELi4EZNS0_15gpu_kernel_implIZZZNS0_15gcd_kernel_cudaERNS_18TensorIteratorBaseEENKUlvE_clEvENKUlvE_clEvEUlhhE_EEvS4_RKT_EUlibE0_EEviT1_.uses_flat_scratch, 0
	.set _ZN2at6native32elementwise_kernel_manual_unrollILi128ELi4EZNS0_15gpu_kernel_implIZZZNS0_15gcd_kernel_cudaERNS_18TensorIteratorBaseEENKUlvE_clEvENKUlvE_clEvEUlhhE_EEvS4_RKT_EUlibE0_EEviT1_.has_dyn_sized_stack, 0
	.set _ZN2at6native32elementwise_kernel_manual_unrollILi128ELi4EZNS0_15gpu_kernel_implIZZZNS0_15gcd_kernel_cudaERNS_18TensorIteratorBaseEENKUlvE_clEvENKUlvE_clEvEUlhhE_EEvS4_RKT_EUlibE0_EEviT1_.has_recursion, 0
	.set _ZN2at6native32elementwise_kernel_manual_unrollILi128ELi4EZNS0_15gpu_kernel_implIZZZNS0_15gcd_kernel_cudaERNS_18TensorIteratorBaseEENKUlvE_clEvENKUlvE_clEvEUlhhE_EEvS4_RKT_EUlibE0_EEviT1_.has_indirect_call, 0
	.section	.AMDGPU.csdata,"",@progbits
; Kernel info:
; codeLenInByte = 66236
; TotalNumSgprs: 62
; NumVgprs: 28
; ScratchSize: 0
; MemoryBound: 1
; FloatMode: 240
; IeeeMode: 1
; LDSByteSize: 0 bytes/workgroup (compile time only)
; SGPRBlocks: 0
; VGPRBlocks: 1
; NumSGPRsForWavesPerEU: 62
; NumVGPRsForWavesPerEU: 28
; NamedBarCnt: 0
; Occupancy: 16
; WaveLimiterHint : 1
; COMPUTE_PGM_RSRC2:SCRATCH_EN: 0
; COMPUTE_PGM_RSRC2:USER_SGPR: 2
; COMPUTE_PGM_RSRC2:TRAP_HANDLER: 0
; COMPUTE_PGM_RSRC2:TGID_X_EN: 1
; COMPUTE_PGM_RSRC2:TGID_Y_EN: 0
; COMPUTE_PGM_RSRC2:TGID_Z_EN: 0
; COMPUTE_PGM_RSRC2:TIDIG_COMP_CNT: 0
	.section	.text._ZN2at6native29vectorized_elementwise_kernelILi16EZZZNS0_15gcd_kernel_cudaERNS_18TensorIteratorBaseEENKUlvE_clEvENKUlvE0_clEvEUlaaE_St5arrayIPcLm3EEEEviT0_T1_,"axG",@progbits,_ZN2at6native29vectorized_elementwise_kernelILi16EZZZNS0_15gcd_kernel_cudaERNS_18TensorIteratorBaseEENKUlvE_clEvENKUlvE0_clEvEUlaaE_St5arrayIPcLm3EEEEviT0_T1_,comdat
	.globl	_ZN2at6native29vectorized_elementwise_kernelILi16EZZZNS0_15gcd_kernel_cudaERNS_18TensorIteratorBaseEENKUlvE_clEvENKUlvE0_clEvEUlaaE_St5arrayIPcLm3EEEEviT0_T1_ ; -- Begin function _ZN2at6native29vectorized_elementwise_kernelILi16EZZZNS0_15gcd_kernel_cudaERNS_18TensorIteratorBaseEENKUlvE_clEvENKUlvE0_clEvEUlaaE_St5arrayIPcLm3EEEEviT0_T1_
	.p2align	8
	.type	_ZN2at6native29vectorized_elementwise_kernelILi16EZZZNS0_15gcd_kernel_cudaERNS_18TensorIteratorBaseEENKUlvE_clEvENKUlvE0_clEvEUlaaE_St5arrayIPcLm3EEEEviT0_T1_,@function
_ZN2at6native29vectorized_elementwise_kernelILi16EZZZNS0_15gcd_kernel_cudaERNS_18TensorIteratorBaseEENKUlvE_clEvENKUlvE0_clEvEUlaaE_St5arrayIPcLm3EEEEviT0_T1_: ; @_ZN2at6native29vectorized_elementwise_kernelILi16EZZZNS0_15gcd_kernel_cudaERNS_18TensorIteratorBaseEENKUlvE_clEvENKUlvE0_clEvEUlaaE_St5arrayIPcLm3EEEEviT0_T1_
; %bb.0:
	s_clause 0x2
	s_load_b32 s3, s[0:1], 0x0
	s_load_b128 s[4:7], s[0:1], 0x8
	s_load_b64 s[8:9], s[0:1], 0x18
	s_wait_xcnt 0x0
	s_bfe_u32 s0, ttmp6, 0x4000c
	s_and_b32 s1, ttmp6, 15
	s_add_co_i32 s0, s0, 1
	s_getreg_b32 s2, hwreg(HW_REG_IB_STS2, 6, 4)
	s_mul_i32 s0, ttmp9, s0
	s_delay_alu instid0(SALU_CYCLE_1) | instskip(SKIP_2) | instid1(SALU_CYCLE_1)
	s_add_co_i32 s1, s1, s0
	s_cmp_eq_u32 s2, 0
	s_cselect_b32 s0, ttmp9, s1
	s_lshl_b32 s2, s0, 12
	s_mov_b32 s0, -1
	s_wait_kmcnt 0x0
	s_sub_co_i32 s1, s3, s2
	s_delay_alu instid0(SALU_CYCLE_1)
	s_cmp_gt_i32 s1, 0xfff
	s_cbranch_scc0 .LBB8_66
; %bb.1:
	s_ashr_i32 s3, s2, 31
	s_mov_b32 s0, exec_lo
	s_add_nc_u64 s[10:11], s[8:9], s[2:3]
	global_load_b128 v[6:9], v0, s[10:11] scale_offset
	s_wait_xcnt 0x0
	s_add_nc_u64 s[10:11], s[6:7], s[2:3]
	global_load_b128 v[2:5], v0, s[10:11] scale_offset
	s_wait_loadcnt 0x1
	v_bfe_i32 v1, v6, 0, 8
	s_wait_loadcnt 0x0
	v_and_b32_e32 v11, 0xff, v2
	s_delay_alu instid0(VALU_DEP_2) | instskip(NEXT) | instid1(VALU_DEP_1)
	v_sub_nc_u16 v10, 0, v1
	v_max_i16 v1, v1, v10
	s_delay_alu instid0(VALU_DEP_3)
	v_cmpx_ne_u16_e32 0, v11
	s_cbranch_execz .LBB8_5
; %bb.2:
	v_bfe_i32 v10, v2, 0, 8
	s_mov_b32 s10, 0
	s_delay_alu instid0(VALU_DEP_1) | instskip(NEXT) | instid1(VALU_DEP_1)
	v_sub_nc_u16 v11, 0, v10
	v_max_i16 v11, v10, v11
	v_and_b32_e32 v10, 0xff, v1
	s_delay_alu instid0(VALU_DEP_2)
	v_and_b32_e32 v11, 0xffff, v11
.LBB8_3:                                ; =>This Inner Loop Header: Depth=1
	s_delay_alu instid0(VALU_DEP_2) | instskip(NEXT) | instid1(VALU_DEP_2)
	v_bfe_i32 v13, v10, 0, 8
	v_mov_b32_e32 v1, v11
	s_delay_alu instid0(VALU_DEP_2) | instskip(NEXT) | instid1(VALU_DEP_2)
	v_cvt_f32_i32_e32 v15, v13
	v_bfe_i32 v11, v1, 0, 8
	s_delay_alu instid0(VALU_DEP_1) | instskip(SKIP_1) | instid1(VALU_DEP_2)
	v_cvt_f32_i32_e32 v12, v11
	v_xor_b32_e32 v11, v13, v11
	v_rcp_iflag_f32_e32 v14, v12
	v_nop
	s_delay_alu instid0(TRANS32_DEP_1) | instskip(NEXT) | instid1(VALU_DEP_1)
	v_dual_ashrrev_i32 v11, 30, v11 :: v_dual_mul_f32 v13, v15, v14
	v_trunc_f32_e32 v13, v13
	s_delay_alu instid0(VALU_DEP_1) | instskip(SKIP_1) | instid1(VALU_DEP_2)
	v_dual_fma_f32 v14, -v13, v12, v15 :: v_dual_bitop2_b32 v11, 1, v11 bitop3:0x54
	v_cvt_i32_f32_e32 v13, v13
	v_cmp_ge_f32_e64 vcc_lo, |v14|, |v12|
	s_delay_alu instid0(VALU_DEP_3) | instskip(NEXT) | instid1(VALU_DEP_1)
	v_cndmask_b32_e32 v11, 0, v11, vcc_lo
	v_add_nc_u32_e32 v11, v13, v11
	s_delay_alu instid0(VALU_DEP_1) | instskip(NEXT) | instid1(VALU_DEP_1)
	v_mul_lo_u32 v11, v11, v1
	v_sub_nc_u32_e32 v10, v10, v11
	s_delay_alu instid0(VALU_DEP_1) | instskip(SKIP_1) | instid1(VALU_DEP_2)
	v_bfe_i32 v11, v10, 0, 8
	v_mov_b32_e32 v10, v1
	v_cmp_eq_u16_e32 vcc_lo, 0, v11
	v_and_b32_e32 v11, 0xffff, v11
	s_or_b32 s10, vcc_lo, s10
	s_delay_alu instid0(SALU_CYCLE_1)
	s_and_not1_b32 exec_lo, exec_lo, s10
	s_cbranch_execnz .LBB8_3
; %bb.4:
	s_or_b32 exec_lo, exec_lo, s10
.LBB8_5:
	s_delay_alu instid0(SALU_CYCLE_1) | instskip(SKIP_3) | instid1(VALU_DEP_1)
	s_or_b32 exec_lo, exec_lo, s0
	v_lshrrev_b32_e32 v10, 8, v6
	s_mov_b32 s10, 0
	s_mov_b32 s0, exec_lo
	v_bfe_i32 v11, v10, 0, 8
	v_lshrrev_b32_e32 v10, 8, v2
	s_delay_alu instid0(VALU_DEP_2) | instskip(NEXT) | instid1(VALU_DEP_2)
	v_sub_nc_u16 v12, 0, v11
	v_and_b32_e32 v13, 0xff, v10
	s_delay_alu instid0(VALU_DEP_2) | instskip(NEXT) | instid1(VALU_DEP_2)
	v_max_i16 v12, v11, v12
	v_cmpx_ne_u16_e32 0, v13
	s_cbranch_execz .LBB8_9
; %bb.6:
	v_bfe_i32 v10, v10, 0, 8
	s_delay_alu instid0(VALU_DEP_1) | instskip(NEXT) | instid1(VALU_DEP_1)
	v_sub_nc_u16 v11, 0, v10
	v_max_i16 v11, v10, v11
	v_and_b32_e32 v10, 0xff, v12
	s_delay_alu instid0(VALU_DEP_2)
	v_and_b32_e32 v11, 0xffff, v11
.LBB8_7:                                ; =>This Inner Loop Header: Depth=1
	s_delay_alu instid0(VALU_DEP_2) | instskip(NEXT) | instid1(VALU_DEP_2)
	v_bfe_i32 v14, v10, 0, 8
	v_mov_b32_e32 v12, v11
	s_delay_alu instid0(VALU_DEP_2) | instskip(NEXT) | instid1(VALU_DEP_2)
	v_cvt_f32_i32_e32 v16, v14
	v_bfe_i32 v11, v12, 0, 8
	s_delay_alu instid0(VALU_DEP_1) | instskip(SKIP_1) | instid1(VALU_DEP_2)
	v_cvt_f32_i32_e32 v13, v11
	v_xor_b32_e32 v11, v14, v11
	v_rcp_iflag_f32_e32 v15, v13
	v_nop
	s_delay_alu instid0(TRANS32_DEP_1) | instskip(NEXT) | instid1(VALU_DEP_1)
	v_mul_f32_e32 v14, v16, v15
	v_trunc_f32_e32 v14, v14
	s_delay_alu instid0(VALU_DEP_1) | instskip(NEXT) | instid1(VALU_DEP_1)
	v_dual_ashrrev_i32 v11, 30, v11 :: v_dual_fma_f32 v15, -v14, v13, v16
	v_or_b32_e32 v11, 1, v11
	v_cvt_i32_f32_e32 v14, v14
	s_delay_alu instid0(VALU_DEP_3) | instskip(NEXT) | instid1(VALU_DEP_3)
	v_cmp_ge_f32_e64 vcc_lo, |v15|, |v13|
	v_cndmask_b32_e32 v11, 0, v11, vcc_lo
	s_delay_alu instid0(VALU_DEP_1) | instskip(NEXT) | instid1(VALU_DEP_1)
	v_add_nc_u32_e32 v11, v14, v11
	v_mul_lo_u32 v11, v11, v12
	s_delay_alu instid0(VALU_DEP_1) | instskip(NEXT) | instid1(VALU_DEP_1)
	v_sub_nc_u32_e32 v10, v10, v11
	v_bfe_i32 v11, v10, 0, 8
	v_mov_b32_e32 v10, v12
	s_delay_alu instid0(VALU_DEP_2) | instskip(SKIP_2) | instid1(SALU_CYCLE_1)
	v_cmp_eq_u16_e32 vcc_lo, 0, v11
	v_and_b32_e32 v11, 0xffff, v11
	s_or_b32 s10, vcc_lo, s10
	s_and_not1_b32 exec_lo, exec_lo, s10
	s_cbranch_execnz .LBB8_7
; %bb.8:
	s_or_b32 exec_lo, exec_lo, s10
.LBB8_9:
	s_delay_alu instid0(SALU_CYCLE_1) | instskip(SKIP_3) | instid1(VALU_DEP_1)
	s_or_b32 exec_lo, exec_lo, s0
	v_lshrrev_b32_e32 v10, 16, v6
	s_mov_b32 s10, 0
	s_mov_b32 s0, exec_lo
	v_bfe_i32 v11, v10, 0, 8
	v_lshrrev_b32_e32 v10, 16, v2
	s_delay_alu instid0(VALU_DEP_2) | instskip(NEXT) | instid1(VALU_DEP_2)
	v_sub_nc_u16 v13, 0, v11
	v_and_b32_e32 v14, 0xff, v10
	s_delay_alu instid0(VALU_DEP_2) | instskip(NEXT) | instid1(VALU_DEP_2)
	v_max_i16 v13, v11, v13
	v_cmpx_ne_u16_e32 0, v14
	s_cbranch_execz .LBB8_13
; %bb.10:
	v_bfe_i32 v10, v10, 0, 8
	s_delay_alu instid0(VALU_DEP_1) | instskip(NEXT) | instid1(VALU_DEP_1)
	v_sub_nc_u16 v11, 0, v10
	v_max_i16 v11, v10, v11
	v_and_b32_e32 v10, 0xff, v13
	s_delay_alu instid0(VALU_DEP_2)
	v_and_b32_e32 v11, 0xffff, v11
.LBB8_11:                               ; =>This Inner Loop Header: Depth=1
	s_delay_alu instid0(VALU_DEP_2) | instskip(NEXT) | instid1(VALU_DEP_1)
	v_bfe_i32 v15, v10, 0, 8
	v_cvt_f32_i32_e32 v17, v15
	s_delay_alu instid0(VALU_DEP_3) | instskip(NEXT) | instid1(VALU_DEP_1)
	v_mov_b32_e32 v13, v11
	v_bfe_i32 v11, v13, 0, 8
	s_delay_alu instid0(VALU_DEP_1) | instskip(SKIP_1) | instid1(VALU_DEP_2)
	v_cvt_f32_i32_e32 v14, v11
	v_xor_b32_e32 v11, v15, v11
	v_rcp_iflag_f32_e32 v16, v14
	v_nop
	s_delay_alu instid0(TRANS32_DEP_1) | instskip(NEXT) | instid1(VALU_DEP_1)
	v_mul_f32_e32 v15, v17, v16
	v_trunc_f32_e32 v15, v15
	s_delay_alu instid0(VALU_DEP_1) | instskip(SKIP_1) | instid1(VALU_DEP_2)
	v_dual_fma_f32 v16, -v15, v14, v17 :: v_dual_ashrrev_i32 v11, 30, v11
	v_cvt_i32_f32_e32 v15, v15
	v_cmp_ge_f32_e64 vcc_lo, |v16|, |v14|
	s_delay_alu instid0(VALU_DEP_3) | instskip(NEXT) | instid1(VALU_DEP_1)
	v_or_b32_e32 v11, 1, v11
	v_cndmask_b32_e32 v11, 0, v11, vcc_lo
	s_delay_alu instid0(VALU_DEP_1) | instskip(NEXT) | instid1(VALU_DEP_1)
	v_add_nc_u32_e32 v11, v15, v11
	v_mul_lo_u32 v11, v11, v13
	s_delay_alu instid0(VALU_DEP_1) | instskip(NEXT) | instid1(VALU_DEP_1)
	v_sub_nc_u32_e32 v10, v10, v11
	v_bfe_i32 v11, v10, 0, 8
	v_mov_b32_e32 v10, v13
	s_delay_alu instid0(VALU_DEP_2) | instskip(SKIP_2) | instid1(SALU_CYCLE_1)
	v_cmp_eq_u16_e32 vcc_lo, 0, v11
	v_and_b32_e32 v11, 0xffff, v11
	s_or_b32 s10, vcc_lo, s10
	s_and_not1_b32 exec_lo, exec_lo, s10
	s_cbranch_execnz .LBB8_11
; %bb.12:
	s_or_b32 exec_lo, exec_lo, s10
.LBB8_13:
	s_delay_alu instid0(SALU_CYCLE_1) | instskip(SKIP_4) | instid1(VALU_DEP_2)
	s_or_b32 exec_lo, exec_lo, s0
	v_lshrrev_b32_e32 v6, 24, v6
	v_lshrrev_b64 v[10:11], 24, v[2:3]
	s_mov_b32 s10, 0
	s_mov_b32 s0, exec_lo
	v_bfe_i32 v2, v6, 0, 8
	s_delay_alu instid0(VALU_DEP_2) | instskip(NEXT) | instid1(VALU_DEP_2)
	v_and_b32_e32 v11, 0xff, v10
	v_sub_nc_u16 v6, 0, v2
	s_delay_alu instid0(VALU_DEP_1) | instskip(NEXT) | instid1(VALU_DEP_3)
	v_max_i16 v6, v2, v6
	v_cmpx_ne_u16_e32 0, v11
	s_cbranch_execz .LBB8_17
; %bb.14:
	v_bfe_i32 v2, v10, 0, 8
	s_delay_alu instid0(VALU_DEP_1) | instskip(NEXT) | instid1(VALU_DEP_1)
	v_sub_nc_u16 v10, 0, v2
	v_max_i16 v10, v2, v10
	v_and_b32_e32 v2, 0xff, v6
	s_delay_alu instid0(VALU_DEP_2)
	v_and_b32_e32 v10, 0xffff, v10
.LBB8_15:                               ; =>This Inner Loop Header: Depth=1
	s_delay_alu instid0(VALU_DEP_2) | instskip(NEXT) | instid1(VALU_DEP_1)
	v_bfe_i32 v14, v2, 0, 8
	v_cvt_f32_i32_e32 v16, v14
	s_delay_alu instid0(VALU_DEP_3) | instskip(NEXT) | instid1(VALU_DEP_1)
	v_mov_b32_e32 v6, v10
	v_bfe_i32 v10, v6, 0, 8
	s_delay_alu instid0(VALU_DEP_1) | instskip(SKIP_1) | instid1(VALU_DEP_2)
	v_cvt_f32_i32_e32 v11, v10
	v_xor_b32_e32 v10, v14, v10
	v_rcp_iflag_f32_e32 v15, v11
	v_nop
	s_delay_alu instid0(TRANS32_DEP_1) | instskip(NEXT) | instid1(VALU_DEP_1)
	v_mul_f32_e32 v14, v16, v15
	v_trunc_f32_e32 v14, v14
	s_delay_alu instid0(VALU_DEP_1) | instskip(SKIP_1) | instid1(VALU_DEP_2)
	v_dual_fma_f32 v15, -v14, v11, v16 :: v_dual_ashrrev_i32 v10, 30, v10
	v_cvt_i32_f32_e32 v14, v14
	v_cmp_ge_f32_e64 vcc_lo, |v15|, |v11|
	s_delay_alu instid0(VALU_DEP_3) | instskip(NEXT) | instid1(VALU_DEP_1)
	v_or_b32_e32 v10, 1, v10
	v_cndmask_b32_e32 v10, 0, v10, vcc_lo
	s_delay_alu instid0(VALU_DEP_1) | instskip(NEXT) | instid1(VALU_DEP_1)
	v_add_nc_u32_e32 v10, v14, v10
	v_mul_lo_u32 v10, v10, v6
	s_delay_alu instid0(VALU_DEP_1) | instskip(NEXT) | instid1(VALU_DEP_1)
	v_sub_nc_u32_e32 v2, v2, v10
	v_bfe_i32 v10, v2, 0, 8
	v_mov_b32_e32 v2, v6
	s_delay_alu instid0(VALU_DEP_2) | instskip(SKIP_2) | instid1(SALU_CYCLE_1)
	v_cmp_eq_u16_e32 vcc_lo, 0, v10
	v_and_b32_e32 v10, 0xffff, v10
	s_or_b32 s10, vcc_lo, s10
	s_and_not1_b32 exec_lo, exec_lo, s10
	s_cbranch_execnz .LBB8_15
; %bb.16:
	s_or_b32 exec_lo, exec_lo, s10
.LBB8_17:
	s_delay_alu instid0(SALU_CYCLE_1) | instskip(SKIP_4) | instid1(VALU_DEP_2)
	s_or_b32 exec_lo, exec_lo, s0
	v_bfe_i32 v2, v7, 0, 8
	v_and_b32_e32 v11, 0xff, v3
	s_mov_b32 s10, 0
	s_mov_b32 s0, exec_lo
	v_sub_nc_u16 v10, 0, v2
	s_delay_alu instid0(VALU_DEP_1)
	v_max_i16 v10, v2, v10
	v_cmpx_ne_u16_e32 0, v11
	s_cbranch_execz .LBB8_21
; %bb.18:
	v_bfe_i32 v2, v3, 0, 8
	s_delay_alu instid0(VALU_DEP_1) | instskip(NEXT) | instid1(VALU_DEP_1)
	v_sub_nc_u16 v11, 0, v2
	v_max_i16 v11, v2, v11
	v_and_b32_e32 v2, 0xff, v10
	s_delay_alu instid0(VALU_DEP_2)
	v_and_b32_e32 v11, 0xffff, v11
.LBB8_19:                               ; =>This Inner Loop Header: Depth=1
	s_delay_alu instid0(VALU_DEP_2) | instskip(NEXT) | instid1(VALU_DEP_1)
	v_bfe_i32 v15, v2, 0, 8
	v_cvt_f32_i32_e32 v17, v15
	s_delay_alu instid0(VALU_DEP_3) | instskip(NEXT) | instid1(VALU_DEP_1)
	v_mov_b32_e32 v10, v11
	v_bfe_i32 v11, v10, 0, 8
	s_delay_alu instid0(VALU_DEP_1) | instskip(SKIP_1) | instid1(VALU_DEP_2)
	v_cvt_f32_i32_e32 v14, v11
	v_xor_b32_e32 v11, v15, v11
	v_rcp_iflag_f32_e32 v16, v14
	v_nop
	s_delay_alu instid0(TRANS32_DEP_1) | instskip(NEXT) | instid1(VALU_DEP_1)
	v_mul_f32_e32 v15, v17, v16
	v_trunc_f32_e32 v15, v15
	s_delay_alu instid0(VALU_DEP_1) | instskip(SKIP_1) | instid1(VALU_DEP_2)
	v_dual_fma_f32 v16, -v15, v14, v17 :: v_dual_ashrrev_i32 v11, 30, v11
	v_cvt_i32_f32_e32 v15, v15
	v_cmp_ge_f32_e64 vcc_lo, |v16|, |v14|
	s_delay_alu instid0(VALU_DEP_3) | instskip(NEXT) | instid1(VALU_DEP_1)
	v_or_b32_e32 v11, 1, v11
	v_cndmask_b32_e32 v11, 0, v11, vcc_lo
	s_delay_alu instid0(VALU_DEP_1) | instskip(NEXT) | instid1(VALU_DEP_1)
	v_add_nc_u32_e32 v11, v15, v11
	v_mul_lo_u32 v11, v11, v10
	s_delay_alu instid0(VALU_DEP_1) | instskip(NEXT) | instid1(VALU_DEP_1)
	v_sub_nc_u32_e32 v2, v2, v11
	v_bfe_i32 v11, v2, 0, 8
	v_mov_b32_e32 v2, v10
	s_delay_alu instid0(VALU_DEP_2) | instskip(SKIP_2) | instid1(SALU_CYCLE_1)
	v_cmp_eq_u16_e32 vcc_lo, 0, v11
	v_and_b32_e32 v11, 0xffff, v11
	s_or_b32 s10, vcc_lo, s10
	s_and_not1_b32 exec_lo, exec_lo, s10
	s_cbranch_execnz .LBB8_19
; %bb.20:
	s_or_b32 exec_lo, exec_lo, s10
.LBB8_21:
	s_delay_alu instid0(SALU_CYCLE_1) | instskip(SKIP_3) | instid1(VALU_DEP_1)
	s_or_b32 exec_lo, exec_lo, s0
	v_lshrrev_b32_e32 v2, 8, v7
	s_mov_b32 s10, 0
	s_mov_b32 s0, exec_lo
	v_bfe_i32 v11, v2, 0, 8
	v_lshrrev_b32_e32 v2, 8, v3
	s_delay_alu instid0(VALU_DEP_2) | instskip(NEXT) | instid1(VALU_DEP_2)
	v_sub_nc_u16 v14, 0, v11
	v_and_b32_e32 v15, 0xff, v2
	s_delay_alu instid0(VALU_DEP_2) | instskip(NEXT) | instid1(VALU_DEP_2)
	v_max_i16 v11, v11, v14
	v_cmpx_ne_u16_e32 0, v15
	s_cbranch_execz .LBB8_25
; %bb.22:
	v_bfe_i32 v2, v2, 0, 8
	s_delay_alu instid0(VALU_DEP_1) | instskip(NEXT) | instid1(VALU_DEP_1)
	v_sub_nc_u16 v14, 0, v2
	v_max_i16 v14, v2, v14
	v_and_b32_e32 v2, 0xff, v11
	s_delay_alu instid0(VALU_DEP_2)
	v_and_b32_e32 v14, 0xffff, v14
.LBB8_23:                               ; =>This Inner Loop Header: Depth=1
	s_delay_alu instid0(VALU_DEP_2) | instskip(NEXT) | instid1(VALU_DEP_2)
	v_bfe_i32 v16, v2, 0, 8
	v_mov_b32_e32 v11, v14
	s_delay_alu instid0(VALU_DEP_2) | instskip(NEXT) | instid1(VALU_DEP_2)
	v_cvt_f32_i32_e32 v18, v16
	v_bfe_i32 v14, v11, 0, 8
	s_delay_alu instid0(VALU_DEP_1) | instskip(SKIP_1) | instid1(VALU_DEP_2)
	v_cvt_f32_i32_e32 v15, v14
	v_xor_b32_e32 v14, v16, v14
	v_rcp_iflag_f32_e32 v17, v15
	v_nop
	s_delay_alu instid0(TRANS32_DEP_1) | instskip(NEXT) | instid1(VALU_DEP_1)
	v_dual_ashrrev_i32 v14, 30, v14 :: v_dual_mul_f32 v16, v18, v17
	v_trunc_f32_e32 v16, v16
	s_delay_alu instid0(VALU_DEP_1) | instskip(SKIP_1) | instid1(VALU_DEP_2)
	v_dual_fma_f32 v17, -v16, v15, v18 :: v_dual_bitop2_b32 v14, 1, v14 bitop3:0x54
	v_cvt_i32_f32_e32 v16, v16
	v_cmp_ge_f32_e64 vcc_lo, |v17|, |v15|
	s_delay_alu instid0(VALU_DEP_3) | instskip(NEXT) | instid1(VALU_DEP_1)
	v_cndmask_b32_e32 v14, 0, v14, vcc_lo
	v_add_nc_u32_e32 v14, v16, v14
	s_delay_alu instid0(VALU_DEP_1) | instskip(NEXT) | instid1(VALU_DEP_1)
	v_mul_lo_u32 v14, v14, v11
	v_sub_nc_u32_e32 v2, v2, v14
	s_delay_alu instid0(VALU_DEP_1) | instskip(SKIP_1) | instid1(VALU_DEP_2)
	v_bfe_i32 v14, v2, 0, 8
	v_mov_b32_e32 v2, v11
	v_cmp_eq_u16_e32 vcc_lo, 0, v14
	v_and_b32_e32 v14, 0xffff, v14
	s_or_b32 s10, vcc_lo, s10
	s_delay_alu instid0(SALU_CYCLE_1)
	s_and_not1_b32 exec_lo, exec_lo, s10
	s_cbranch_execnz .LBB8_23
; %bb.24:
	s_or_b32 exec_lo, exec_lo, s10
.LBB8_25:
	s_delay_alu instid0(SALU_CYCLE_1) | instskip(SKIP_3) | instid1(VALU_DEP_1)
	s_or_b32 exec_lo, exec_lo, s0
	v_lshrrev_b32_e32 v2, 16, v7
	s_mov_b32 s10, 0
	s_mov_b32 s0, exec_lo
	v_bfe_i32 v14, v2, 0, 8
	v_lshrrev_b32_e32 v2, 16, v3
	s_delay_alu instid0(VALU_DEP_2) | instskip(NEXT) | instid1(VALU_DEP_2)
	v_sub_nc_u16 v15, 0, v14
	v_and_b32_e32 v16, 0xff, v2
	s_delay_alu instid0(VALU_DEP_2) | instskip(NEXT) | instid1(VALU_DEP_2)
	v_max_i16 v14, v14, v15
	v_cmpx_ne_u16_e32 0, v16
	s_cbranch_execz .LBB8_29
; %bb.26:
	v_bfe_i32 v2, v2, 0, 8
	s_delay_alu instid0(VALU_DEP_1) | instskip(NEXT) | instid1(VALU_DEP_1)
	v_sub_nc_u16 v15, 0, v2
	v_max_i16 v15, v2, v15
	v_and_b32_e32 v2, 0xff, v14
	s_delay_alu instid0(VALU_DEP_2)
	v_and_b32_e32 v15, 0xffff, v15
.LBB8_27:                               ; =>This Inner Loop Header: Depth=1
	s_delay_alu instid0(VALU_DEP_2) | instskip(NEXT) | instid1(VALU_DEP_2)
	v_bfe_i32 v17, v2, 0, 8
	v_mov_b32_e32 v14, v15
	s_delay_alu instid0(VALU_DEP_2) | instskip(NEXT) | instid1(VALU_DEP_2)
	v_cvt_f32_i32_e32 v19, v17
	v_bfe_i32 v15, v14, 0, 8
	s_delay_alu instid0(VALU_DEP_1) | instskip(SKIP_1) | instid1(VALU_DEP_2)
	v_cvt_f32_i32_e32 v16, v15
	v_xor_b32_e32 v15, v17, v15
	v_rcp_iflag_f32_e32 v18, v16
	v_nop
	s_delay_alu instid0(TRANS32_DEP_1) | instskip(NEXT) | instid1(VALU_DEP_1)
	v_dual_ashrrev_i32 v15, 30, v15 :: v_dual_mul_f32 v17, v19, v18
	v_trunc_f32_e32 v17, v17
	s_delay_alu instid0(VALU_DEP_1) | instskip(SKIP_1) | instid1(VALU_DEP_2)
	v_dual_fma_f32 v18, -v17, v16, v19 :: v_dual_bitop2_b32 v15, 1, v15 bitop3:0x54
	v_cvt_i32_f32_e32 v17, v17
	v_cmp_ge_f32_e64 vcc_lo, |v18|, |v16|
	s_delay_alu instid0(VALU_DEP_3) | instskip(NEXT) | instid1(VALU_DEP_1)
	v_cndmask_b32_e32 v15, 0, v15, vcc_lo
	v_add_nc_u32_e32 v15, v17, v15
	s_delay_alu instid0(VALU_DEP_1) | instskip(NEXT) | instid1(VALU_DEP_1)
	v_mul_lo_u32 v15, v15, v14
	v_sub_nc_u32_e32 v2, v2, v15
	s_delay_alu instid0(VALU_DEP_1) | instskip(SKIP_1) | instid1(VALU_DEP_2)
	v_bfe_i32 v15, v2, 0, 8
	v_mov_b32_e32 v2, v14
	v_cmp_eq_u16_e32 vcc_lo, 0, v15
	v_and_b32_e32 v15, 0xffff, v15
	s_or_b32 s10, vcc_lo, s10
	s_delay_alu instid0(SALU_CYCLE_1)
	s_and_not1_b32 exec_lo, exec_lo, s10
	s_cbranch_execnz .LBB8_27
; %bb.28:
	s_or_b32 exec_lo, exec_lo, s10
.LBB8_29:
	s_delay_alu instid0(SALU_CYCLE_1) | instskip(SKIP_3) | instid1(VALU_DEP_1)
	s_or_b32 exec_lo, exec_lo, s0
	v_lshrrev_b32_e32 v2, 24, v7
	s_mov_b32 s10, 0
	s_mov_b32 s0, exec_lo
	v_bfe_i32 v7, v2, 0, 8
	v_lshrrev_b32_e32 v2, 24, v3
	s_delay_alu instid0(VALU_DEP_2) | instskip(NEXT) | instid1(VALU_DEP_1)
	v_sub_nc_u16 v15, 0, v7
	v_max_i16 v7, v7, v15
	s_delay_alu instid0(VALU_DEP_3)
	v_cmpx_ne_u16_e32 0, v2
	s_cbranch_execz .LBB8_33
; %bb.30:
	v_bfe_i32 v2, v2, 0, 8
	s_delay_alu instid0(VALU_DEP_1) | instskip(NEXT) | instid1(VALU_DEP_1)
	v_sub_nc_u16 v3, 0, v2
	v_max_i16 v3, v2, v3
	v_and_b32_e32 v2, 0xff, v7
	s_delay_alu instid0(VALU_DEP_2)
	v_and_b32_e32 v3, 0xffff, v3
.LBB8_31:                               ; =>This Inner Loop Header: Depth=1
	s_delay_alu instid0(VALU_DEP_2) | instskip(NEXT) | instid1(VALU_DEP_2)
	v_bfe_i32 v16, v2, 0, 8
	v_mov_b32_e32 v7, v3
	s_delay_alu instid0(VALU_DEP_2) | instskip(NEXT) | instid1(VALU_DEP_2)
	v_cvt_f32_i32_e32 v18, v16
	v_bfe_i32 v3, v7, 0, 8
	s_delay_alu instid0(VALU_DEP_1) | instskip(SKIP_1) | instid1(VALU_DEP_2)
	v_cvt_f32_i32_e32 v15, v3
	v_xor_b32_e32 v3, v16, v3
	v_rcp_iflag_f32_e32 v17, v15
	s_delay_alu instid0(VALU_DEP_1)
	v_ashrrev_i32_e32 v3, 30, v3
	s_delay_alu instid0(TRANS32_DEP_1) | instid1(VALU_DEP_1)
	v_dual_mul_f32 v16, v18, v17 :: v_dual_bitop2_b32 v3, 1, v3 bitop3:0x54
	s_delay_alu instid0(VALU_DEP_1) | instskip(NEXT) | instid1(VALU_DEP_1)
	v_trunc_f32_e32 v16, v16
	v_fma_f32 v17, -v16, v15, v18
	v_cvt_i32_f32_e32 v16, v16
	s_delay_alu instid0(VALU_DEP_2) | instskip(SKIP_1) | instid1(VALU_DEP_1)
	v_cmp_ge_f32_e64 vcc_lo, |v17|, |v15|
	v_cndmask_b32_e32 v3, 0, v3, vcc_lo
	v_add_nc_u32_e32 v3, v16, v3
	s_delay_alu instid0(VALU_DEP_1) | instskip(NEXT) | instid1(VALU_DEP_1)
	v_mul_lo_u32 v3, v3, v7
	v_sub_nc_u32_e32 v2, v2, v3
	s_delay_alu instid0(VALU_DEP_1) | instskip(SKIP_1) | instid1(VALU_DEP_2)
	v_bfe_i32 v3, v2, 0, 8
	v_mov_b32_e32 v2, v7
	v_cmp_eq_u16_e32 vcc_lo, 0, v3
	v_and_b32_e32 v3, 0xffff, v3
	s_or_b32 s10, vcc_lo, s10
	s_delay_alu instid0(SALU_CYCLE_1)
	s_and_not1_b32 exec_lo, exec_lo, s10
	s_cbranch_execnz .LBB8_31
; %bb.32:
	s_or_b32 exec_lo, exec_lo, s10
.LBB8_33:
	s_delay_alu instid0(SALU_CYCLE_1) | instskip(SKIP_4) | instid1(VALU_DEP_2)
	s_or_b32 exec_lo, exec_lo, s0
	v_bfe_i32 v2, v8, 0, 8
	v_and_b32_e32 v16, 0xff, v4
	s_mov_b32 s10, 0
	s_mov_b32 s0, exec_lo
	v_sub_nc_u16 v3, 0, v2
	s_delay_alu instid0(VALU_DEP_1)
	v_max_i16 v15, v2, v3
	v_cmpx_ne_u16_e32 0, v16
	s_cbranch_execz .LBB8_37
; %bb.34:
	v_bfe_i32 v2, v4, 0, 8
	s_delay_alu instid0(VALU_DEP_1) | instskip(NEXT) | instid1(VALU_DEP_1)
	v_sub_nc_u16 v3, 0, v2
	v_max_i16 v3, v2, v3
	v_and_b32_e32 v2, 0xff, v15
	s_delay_alu instid0(VALU_DEP_2)
	v_and_b32_e32 v3, 0xffff, v3
.LBB8_35:                               ; =>This Inner Loop Header: Depth=1
	s_delay_alu instid0(VALU_DEP_2) | instskip(NEXT) | instid1(VALU_DEP_2)
	v_bfe_i32 v17, v2, 0, 8
	v_mov_b32_e32 v15, v3
	s_delay_alu instid0(VALU_DEP_2) | instskip(NEXT) | instid1(VALU_DEP_2)
	v_cvt_f32_i32_e32 v19, v17
	v_bfe_i32 v3, v15, 0, 8
	s_delay_alu instid0(VALU_DEP_1) | instskip(SKIP_1) | instid1(VALU_DEP_2)
	v_cvt_f32_i32_e32 v16, v3
	v_xor_b32_e32 v3, v17, v3
	v_rcp_iflag_f32_e32 v18, v16
	v_nop
	s_delay_alu instid0(TRANS32_DEP_1) | instskip(NEXT) | instid1(VALU_DEP_1)
	v_dual_ashrrev_i32 v3, 30, v3 :: v_dual_mul_f32 v17, v19, v18
	v_trunc_f32_e32 v17, v17
	s_delay_alu instid0(VALU_DEP_1) | instskip(SKIP_1) | instid1(VALU_DEP_2)
	v_dual_fma_f32 v18, -v17, v16, v19 :: v_dual_bitop2_b32 v3, 1, v3 bitop3:0x54
	v_cvt_i32_f32_e32 v17, v17
	v_cmp_ge_f32_e64 vcc_lo, |v18|, |v16|
	s_delay_alu instid0(VALU_DEP_3) | instskip(NEXT) | instid1(VALU_DEP_1)
	v_cndmask_b32_e32 v3, 0, v3, vcc_lo
	v_add_nc_u32_e32 v3, v17, v3
	s_delay_alu instid0(VALU_DEP_1) | instskip(NEXT) | instid1(VALU_DEP_1)
	v_mul_lo_u32 v3, v3, v15
	v_sub_nc_u32_e32 v2, v2, v3
	s_delay_alu instid0(VALU_DEP_1) | instskip(SKIP_1) | instid1(VALU_DEP_2)
	v_bfe_i32 v3, v2, 0, 8
	v_mov_b32_e32 v2, v15
	v_cmp_eq_u16_e32 vcc_lo, 0, v3
	v_and_b32_e32 v3, 0xffff, v3
	s_or_b32 s10, vcc_lo, s10
	s_delay_alu instid0(SALU_CYCLE_1)
	s_and_not1_b32 exec_lo, exec_lo, s10
	s_cbranch_execnz .LBB8_35
; %bb.36:
	s_or_b32 exec_lo, exec_lo, s10
.LBB8_37:
	s_delay_alu instid0(SALU_CYCLE_1) | instskip(SKIP_3) | instid1(VALU_DEP_1)
	s_or_b32 exec_lo, exec_lo, s0
	v_lshrrev_b32_e32 v2, 8, v8
	s_mov_b32 s10, 0
	s_mov_b32 s0, exec_lo
	v_bfe_i32 v3, v2, 0, 8
	v_lshrrev_b32_e32 v2, 8, v4
	s_delay_alu instid0(VALU_DEP_2) | instskip(NEXT) | instid1(VALU_DEP_2)
	v_sub_nc_u16 v16, 0, v3
	v_and_b32_e32 v17, 0xff, v2
	s_delay_alu instid0(VALU_DEP_2) | instskip(NEXT) | instid1(VALU_DEP_2)
	v_max_i16 v16, v3, v16
	v_cmpx_ne_u16_e32 0, v17
	s_cbranch_execz .LBB8_41
; %bb.38:
	v_bfe_i32 v2, v2, 0, 8
	s_delay_alu instid0(VALU_DEP_1) | instskip(NEXT) | instid1(VALU_DEP_1)
	v_sub_nc_u16 v3, 0, v2
	v_max_i16 v3, v2, v3
	v_and_b32_e32 v2, 0xff, v16
	s_delay_alu instid0(VALU_DEP_2)
	v_and_b32_e32 v3, 0xffff, v3
.LBB8_39:                               ; =>This Inner Loop Header: Depth=1
	s_delay_alu instid0(VALU_DEP_2) | instskip(NEXT) | instid1(VALU_DEP_2)
	v_bfe_i32 v18, v2, 0, 8
	v_mov_b32_e32 v16, v3
	s_delay_alu instid0(VALU_DEP_2) | instskip(NEXT) | instid1(VALU_DEP_2)
	v_cvt_f32_i32_e32 v20, v18
	v_bfe_i32 v3, v16, 0, 8
	s_delay_alu instid0(VALU_DEP_1) | instskip(SKIP_1) | instid1(VALU_DEP_2)
	v_cvt_f32_i32_e32 v17, v3
	v_xor_b32_e32 v3, v18, v3
	v_rcp_iflag_f32_e32 v19, v17
	v_nop
	s_delay_alu instid0(TRANS32_DEP_1) | instskip(NEXT) | instid1(VALU_DEP_1)
	v_mul_f32_e32 v18, v20, v19
	v_trunc_f32_e32 v18, v18
	s_delay_alu instid0(VALU_DEP_1) | instskip(NEXT) | instid1(VALU_DEP_1)
	v_dual_ashrrev_i32 v3, 30, v3 :: v_dual_fma_f32 v19, -v18, v17, v20
	v_or_b32_e32 v3, 1, v3
	v_cvt_i32_f32_e32 v18, v18
	s_delay_alu instid0(VALU_DEP_3) | instskip(NEXT) | instid1(VALU_DEP_3)
	v_cmp_ge_f32_e64 vcc_lo, |v19|, |v17|
	v_cndmask_b32_e32 v3, 0, v3, vcc_lo
	s_delay_alu instid0(VALU_DEP_1) | instskip(NEXT) | instid1(VALU_DEP_1)
	v_add_nc_u32_e32 v3, v18, v3
	v_mul_lo_u32 v3, v3, v16
	s_delay_alu instid0(VALU_DEP_1) | instskip(NEXT) | instid1(VALU_DEP_1)
	v_sub_nc_u32_e32 v2, v2, v3
	v_bfe_i32 v3, v2, 0, 8
	v_mov_b32_e32 v2, v16
	s_delay_alu instid0(VALU_DEP_2) | instskip(SKIP_2) | instid1(SALU_CYCLE_1)
	v_cmp_eq_u16_e32 vcc_lo, 0, v3
	v_and_b32_e32 v3, 0xffff, v3
	s_or_b32 s10, vcc_lo, s10
	s_and_not1_b32 exec_lo, exec_lo, s10
	s_cbranch_execnz .LBB8_39
; %bb.40:
	s_or_b32 exec_lo, exec_lo, s10
.LBB8_41:
	s_delay_alu instid0(SALU_CYCLE_1) | instskip(SKIP_3) | instid1(VALU_DEP_1)
	s_or_b32 exec_lo, exec_lo, s0
	v_lshrrev_b32_e32 v2, 16, v8
	s_mov_b32 s10, 0
	s_mov_b32 s0, exec_lo
	v_bfe_i32 v3, v2, 0, 8
	v_lshrrev_b32_e32 v2, 16, v4
	s_delay_alu instid0(VALU_DEP_2) | instskip(NEXT) | instid1(VALU_DEP_2)
	v_sub_nc_u16 v17, 0, v3
	v_and_b32_e32 v18, 0xff, v2
	s_delay_alu instid0(VALU_DEP_2) | instskip(NEXT) | instid1(VALU_DEP_2)
	v_max_i16 v17, v3, v17
	v_cmpx_ne_u16_e32 0, v18
	s_cbranch_execz .LBB8_45
; %bb.42:
	v_bfe_i32 v2, v2, 0, 8
	s_delay_alu instid0(VALU_DEP_1) | instskip(NEXT) | instid1(VALU_DEP_1)
	v_sub_nc_u16 v3, 0, v2
	v_max_i16 v3, v2, v3
	v_and_b32_e32 v2, 0xff, v17
	s_delay_alu instid0(VALU_DEP_2)
	v_and_b32_e32 v3, 0xffff, v3
.LBB8_43:                               ; =>This Inner Loop Header: Depth=1
	s_delay_alu instid0(VALU_DEP_2) | instskip(NEXT) | instid1(VALU_DEP_1)
	v_bfe_i32 v19, v2, 0, 8
	v_cvt_f32_i32_e32 v21, v19
	s_delay_alu instid0(VALU_DEP_3) | instskip(NEXT) | instid1(VALU_DEP_1)
	v_mov_b32_e32 v17, v3
	v_bfe_i32 v3, v17, 0, 8
	s_delay_alu instid0(VALU_DEP_1) | instskip(SKIP_1) | instid1(VALU_DEP_2)
	v_cvt_f32_i32_e32 v18, v3
	v_xor_b32_e32 v3, v19, v3
	v_rcp_iflag_f32_e32 v20, v18
	v_nop
	s_delay_alu instid0(TRANS32_DEP_1) | instskip(NEXT) | instid1(VALU_DEP_1)
	v_mul_f32_e32 v19, v21, v20
	v_trunc_f32_e32 v19, v19
	s_delay_alu instid0(VALU_DEP_1) | instskip(SKIP_1) | instid1(VALU_DEP_2)
	v_dual_fma_f32 v20, -v19, v18, v21 :: v_dual_ashrrev_i32 v3, 30, v3
	v_cvt_i32_f32_e32 v19, v19
	v_cmp_ge_f32_e64 vcc_lo, |v20|, |v18|
	s_delay_alu instid0(VALU_DEP_3) | instskip(NEXT) | instid1(VALU_DEP_1)
	v_or_b32_e32 v3, 1, v3
	v_cndmask_b32_e32 v3, 0, v3, vcc_lo
	s_delay_alu instid0(VALU_DEP_1) | instskip(NEXT) | instid1(VALU_DEP_1)
	v_add_nc_u32_e32 v3, v19, v3
	v_mul_lo_u32 v3, v3, v17
	s_delay_alu instid0(VALU_DEP_1) | instskip(NEXT) | instid1(VALU_DEP_1)
	v_sub_nc_u32_e32 v2, v2, v3
	v_bfe_i32 v3, v2, 0, 8
	v_mov_b32_e32 v2, v17
	s_delay_alu instid0(VALU_DEP_2) | instskip(SKIP_2) | instid1(SALU_CYCLE_1)
	v_cmp_eq_u16_e32 vcc_lo, 0, v3
	v_and_b32_e32 v3, 0xffff, v3
	s_or_b32 s10, vcc_lo, s10
	s_and_not1_b32 exec_lo, exec_lo, s10
	s_cbranch_execnz .LBB8_43
; %bb.44:
	s_or_b32 exec_lo, exec_lo, s10
.LBB8_45:
	s_delay_alu instid0(SALU_CYCLE_1) | instskip(SKIP_4) | instid1(VALU_DEP_2)
	s_or_b32 exec_lo, exec_lo, s0
	v_lshrrev_b32_e32 v8, 24, v8
	v_lshrrev_b64 v[2:3], 24, v[4:5]
	s_mov_b32 s10, 0
	s_mov_b32 s0, exec_lo
	v_bfe_i32 v3, v8, 0, 8
	s_delay_alu instid0(VALU_DEP_2) | instskip(NEXT) | instid1(VALU_DEP_2)
	v_and_b32_e32 v8, 0xff, v2
	v_sub_nc_u16 v4, 0, v3
	s_delay_alu instid0(VALU_DEP_1) | instskip(NEXT) | instid1(VALU_DEP_3)
	v_max_i16 v3, v3, v4
	v_cmpx_ne_u16_e32 0, v8
	s_cbranch_execz .LBB8_49
; %bb.46:
	v_bfe_i32 v2, v2, 0, 8
	s_delay_alu instid0(VALU_DEP_1) | instskip(NEXT) | instid1(VALU_DEP_1)
	v_sub_nc_u16 v4, 0, v2
	v_max_i16 v4, v2, v4
	v_and_b32_e32 v2, 0xff, v3
	s_delay_alu instid0(VALU_DEP_2)
	v_and_b32_e32 v4, 0xffff, v4
.LBB8_47:                               ; =>This Inner Loop Header: Depth=1
	s_delay_alu instid0(VALU_DEP_2) | instskip(NEXT) | instid1(VALU_DEP_2)
	v_bfe_i32 v18, v2, 0, 8
	v_mov_b32_e32 v3, v4
	s_delay_alu instid0(VALU_DEP_2) | instskip(NEXT) | instid1(VALU_DEP_2)
	v_cvt_f32_i32_e32 v20, v18
	v_bfe_i32 v4, v3, 0, 8
	s_delay_alu instid0(VALU_DEP_1) | instskip(SKIP_1) | instid1(VALU_DEP_2)
	v_cvt_f32_i32_e32 v8, v4
	v_xor_b32_e32 v4, v18, v4
	v_rcp_iflag_f32_e32 v19, v8
	s_delay_alu instid0(VALU_DEP_1)
	v_ashrrev_i32_e32 v4, 30, v4
	s_delay_alu instid0(TRANS32_DEP_1) | instid1(VALU_DEP_1)
	v_dual_mul_f32 v18, v20, v19 :: v_dual_bitop2_b32 v4, 1, v4 bitop3:0x54
	s_delay_alu instid0(VALU_DEP_1) | instskip(NEXT) | instid1(VALU_DEP_1)
	v_trunc_f32_e32 v18, v18
	v_fma_f32 v19, -v18, v8, v20
	v_cvt_i32_f32_e32 v18, v18
	s_delay_alu instid0(VALU_DEP_2) | instskip(SKIP_1) | instid1(VALU_DEP_1)
	v_cmp_ge_f32_e64 vcc_lo, |v19|, |v8|
	v_cndmask_b32_e32 v4, 0, v4, vcc_lo
	v_add_nc_u32_e32 v4, v18, v4
	s_delay_alu instid0(VALU_DEP_1) | instskip(NEXT) | instid1(VALU_DEP_1)
	v_mul_lo_u32 v4, v4, v3
	v_sub_nc_u32_e32 v2, v2, v4
	s_delay_alu instid0(VALU_DEP_1) | instskip(SKIP_1) | instid1(VALU_DEP_2)
	v_bfe_i32 v4, v2, 0, 8
	v_mov_b32_e32 v2, v3
	v_cmp_eq_u16_e32 vcc_lo, 0, v4
	v_and_b32_e32 v4, 0xffff, v4
	s_or_b32 s10, vcc_lo, s10
	s_delay_alu instid0(SALU_CYCLE_1)
	s_and_not1_b32 exec_lo, exec_lo, s10
	s_cbranch_execnz .LBB8_47
; %bb.48:
	s_or_b32 exec_lo, exec_lo, s10
.LBB8_49:
	s_delay_alu instid0(SALU_CYCLE_1) | instskip(SKIP_4) | instid1(VALU_DEP_2)
	s_or_b32 exec_lo, exec_lo, s0
	v_bfe_i32 v2, v9, 0, 8
	v_and_b32_e32 v8, 0xff, v5
	s_mov_b32 s10, 0
	s_mov_b32 s0, exec_lo
	v_sub_nc_u16 v4, 0, v2
	s_delay_alu instid0(VALU_DEP_1)
	v_max_i16 v2, v2, v4
	v_cmpx_ne_u16_e32 0, v8
	s_cbranch_execz .LBB8_53
; %bb.50:
	v_bfe_i32 v4, v5, 0, 8
	s_delay_alu instid0(VALU_DEP_1) | instskip(NEXT) | instid1(VALU_DEP_1)
	v_sub_nc_u16 v8, 0, v4
	v_max_i16 v8, v4, v8
	v_and_b32_e32 v4, 0xff, v2
	s_delay_alu instid0(VALU_DEP_2)
	v_and_b32_e32 v8, 0xffff, v8
.LBB8_51:                               ; =>This Inner Loop Header: Depth=1
	s_delay_alu instid0(VALU_DEP_2) | instskip(NEXT) | instid1(VALU_DEP_2)
	v_bfe_i32 v19, v4, 0, 8
	v_mov_b32_e32 v2, v8
	s_delay_alu instid0(VALU_DEP_2) | instskip(NEXT) | instid1(VALU_DEP_2)
	v_cvt_f32_i32_e32 v21, v19
	v_bfe_i32 v8, v2, 0, 8
	s_delay_alu instid0(VALU_DEP_1) | instskip(SKIP_1) | instid1(VALU_DEP_2)
	v_cvt_f32_i32_e32 v18, v8
	v_xor_b32_e32 v8, v19, v8
	v_rcp_iflag_f32_e32 v20, v18
	v_nop
	s_delay_alu instid0(TRANS32_DEP_1) | instskip(NEXT) | instid1(VALU_DEP_1)
	v_mul_f32_e32 v19, v21, v20
	v_trunc_f32_e32 v19, v19
	s_delay_alu instid0(VALU_DEP_1) | instskip(NEXT) | instid1(VALU_DEP_1)
	v_dual_ashrrev_i32 v8, 30, v8 :: v_dual_fma_f32 v20, -v19, v18, v21
	v_or_b32_e32 v8, 1, v8
	v_cvt_i32_f32_e32 v19, v19
	s_delay_alu instid0(VALU_DEP_3) | instskip(NEXT) | instid1(VALU_DEP_3)
	v_cmp_ge_f32_e64 vcc_lo, |v20|, |v18|
	v_cndmask_b32_e32 v8, 0, v8, vcc_lo
	s_delay_alu instid0(VALU_DEP_1) | instskip(NEXT) | instid1(VALU_DEP_1)
	v_add_nc_u32_e32 v8, v19, v8
	v_mul_lo_u32 v8, v8, v2
	s_delay_alu instid0(VALU_DEP_1) | instskip(NEXT) | instid1(VALU_DEP_1)
	v_sub_nc_u32_e32 v4, v4, v8
	v_bfe_i32 v8, v4, 0, 8
	v_mov_b32_e32 v4, v2
	s_delay_alu instid0(VALU_DEP_2) | instskip(SKIP_2) | instid1(SALU_CYCLE_1)
	v_cmp_eq_u16_e32 vcc_lo, 0, v8
	v_and_b32_e32 v8, 0xffff, v8
	s_or_b32 s10, vcc_lo, s10
	s_and_not1_b32 exec_lo, exec_lo, s10
	s_cbranch_execnz .LBB8_51
; %bb.52:
	s_or_b32 exec_lo, exec_lo, s10
.LBB8_53:
	s_delay_alu instid0(SALU_CYCLE_1) | instskip(SKIP_4) | instid1(VALU_DEP_2)
	s_or_b32 exec_lo, exec_lo, s0
	v_lshrrev_b32_e32 v4, 8, v9
	v_lshrrev_b32_e32 v8, 8, v5
	s_mov_b32 s10, 0
	s_mov_b32 s0, exec_lo
	v_bfe_i32 v4, v4, 0, 8
	s_delay_alu instid0(VALU_DEP_2) | instskip(NEXT) | instid1(VALU_DEP_2)
	v_and_b32_e32 v19, 0xff, v8
	v_sub_nc_u16 v18, 0, v4
	s_delay_alu instid0(VALU_DEP_1) | instskip(NEXT) | instid1(VALU_DEP_3)
	v_max_i16 v4, v4, v18
	v_cmpx_ne_u16_e32 0, v19
	s_cbranch_execz .LBB8_57
; %bb.54:
	v_bfe_i32 v8, v8, 0, 8
	s_delay_alu instid0(VALU_DEP_1) | instskip(NEXT) | instid1(VALU_DEP_1)
	v_sub_nc_u16 v18, 0, v8
	v_max_i16 v18, v8, v18
	v_and_b32_e32 v8, 0xff, v4
	s_delay_alu instid0(VALU_DEP_2)
	v_and_b32_e32 v18, 0xffff, v18
.LBB8_55:                               ; =>This Inner Loop Header: Depth=1
	s_delay_alu instid0(VALU_DEP_2) | instskip(NEXT) | instid1(VALU_DEP_2)
	v_bfe_i32 v20, v8, 0, 8
	v_mov_b32_e32 v4, v18
	s_delay_alu instid0(VALU_DEP_2) | instskip(NEXT) | instid1(VALU_DEP_2)
	v_cvt_f32_i32_e32 v22, v20
	v_bfe_i32 v18, v4, 0, 8
	s_delay_alu instid0(VALU_DEP_1) | instskip(SKIP_1) | instid1(VALU_DEP_2)
	v_cvt_f32_i32_e32 v19, v18
	v_xor_b32_e32 v18, v20, v18
	v_rcp_iflag_f32_e32 v21, v19
	v_nop
	s_delay_alu instid0(TRANS32_DEP_1) | instskip(NEXT) | instid1(VALU_DEP_1)
	v_dual_ashrrev_i32 v18, 30, v18 :: v_dual_mul_f32 v20, v22, v21
	v_trunc_f32_e32 v20, v20
	s_delay_alu instid0(VALU_DEP_1) | instskip(SKIP_1) | instid1(VALU_DEP_2)
	v_dual_fma_f32 v21, -v20, v19, v22 :: v_dual_bitop2_b32 v18, 1, v18 bitop3:0x54
	v_cvt_i32_f32_e32 v20, v20
	v_cmp_ge_f32_e64 vcc_lo, |v21|, |v19|
	s_delay_alu instid0(VALU_DEP_3) | instskip(NEXT) | instid1(VALU_DEP_1)
	v_cndmask_b32_e32 v18, 0, v18, vcc_lo
	v_add_nc_u32_e32 v18, v20, v18
	s_delay_alu instid0(VALU_DEP_1) | instskip(NEXT) | instid1(VALU_DEP_1)
	v_mul_lo_u32 v18, v18, v4
	v_sub_nc_u32_e32 v8, v8, v18
	s_delay_alu instid0(VALU_DEP_1) | instskip(SKIP_1) | instid1(VALU_DEP_2)
	v_bfe_i32 v18, v8, 0, 8
	v_mov_b32_e32 v8, v4
	v_cmp_eq_u16_e32 vcc_lo, 0, v18
	v_and_b32_e32 v18, 0xffff, v18
	s_or_b32 s10, vcc_lo, s10
	s_delay_alu instid0(SALU_CYCLE_1)
	s_and_not1_b32 exec_lo, exec_lo, s10
	s_cbranch_execnz .LBB8_55
; %bb.56:
	s_or_b32 exec_lo, exec_lo, s10
.LBB8_57:
	s_delay_alu instid0(SALU_CYCLE_1) | instskip(SKIP_4) | instid1(VALU_DEP_2)
	s_or_b32 exec_lo, exec_lo, s0
	v_lshrrev_b32_e32 v8, 16, v9
	v_lshrrev_b32_e32 v18, 16, v5
	s_mov_b32 s10, 0
	s_mov_b32 s0, exec_lo
	v_bfe_i32 v8, v8, 0, 8
	s_delay_alu instid0(VALU_DEP_2) | instskip(NEXT) | instid1(VALU_DEP_2)
	v_and_b32_e32 v20, 0xff, v18
	v_sub_nc_u16 v19, 0, v8
	s_delay_alu instid0(VALU_DEP_1) | instskip(NEXT) | instid1(VALU_DEP_3)
	v_max_i16 v8, v8, v19
	v_cmpx_ne_u16_e32 0, v20
	s_cbranch_execz .LBB8_61
; %bb.58:
	v_bfe_i32 v18, v18, 0, 8
	s_delay_alu instid0(VALU_DEP_1) | instskip(NEXT) | instid1(VALU_DEP_1)
	v_sub_nc_u16 v19, 0, v18
	v_max_i16 v19, v18, v19
	v_and_b32_e32 v18, 0xff, v8
	s_delay_alu instid0(VALU_DEP_2)
	v_and_b32_e32 v19, 0xffff, v19
.LBB8_59:                               ; =>This Inner Loop Header: Depth=1
	s_delay_alu instid0(VALU_DEP_2) | instskip(NEXT) | instid1(VALU_DEP_2)
	v_bfe_i32 v21, v18, 0, 8
	v_mov_b32_e32 v8, v19
	s_delay_alu instid0(VALU_DEP_2) | instskip(NEXT) | instid1(VALU_DEP_2)
	v_cvt_f32_i32_e32 v23, v21
	v_bfe_i32 v19, v8, 0, 8
	s_delay_alu instid0(VALU_DEP_1) | instskip(SKIP_1) | instid1(VALU_DEP_2)
	v_cvt_f32_i32_e32 v20, v19
	v_xor_b32_e32 v19, v21, v19
	v_rcp_iflag_f32_e32 v22, v20
	v_nop
	s_delay_alu instid0(TRANS32_DEP_1) | instskip(NEXT) | instid1(VALU_DEP_1)
	v_dual_ashrrev_i32 v19, 30, v19 :: v_dual_mul_f32 v21, v23, v22
	v_trunc_f32_e32 v21, v21
	s_delay_alu instid0(VALU_DEP_1) | instskip(SKIP_1) | instid1(VALU_DEP_2)
	v_dual_fma_f32 v22, -v21, v20, v23 :: v_dual_bitop2_b32 v19, 1, v19 bitop3:0x54
	v_cvt_i32_f32_e32 v21, v21
	v_cmp_ge_f32_e64 vcc_lo, |v22|, |v20|
	s_delay_alu instid0(VALU_DEP_3) | instskip(NEXT) | instid1(VALU_DEP_1)
	v_cndmask_b32_e32 v19, 0, v19, vcc_lo
	v_add_nc_u32_e32 v19, v21, v19
	s_delay_alu instid0(VALU_DEP_1) | instskip(NEXT) | instid1(VALU_DEP_1)
	v_mul_lo_u32 v19, v19, v8
	v_sub_nc_u32_e32 v18, v18, v19
	s_delay_alu instid0(VALU_DEP_1) | instskip(SKIP_1) | instid1(VALU_DEP_2)
	v_bfe_i32 v19, v18, 0, 8
	v_mov_b32_e32 v18, v8
	v_cmp_eq_u16_e32 vcc_lo, 0, v19
	v_and_b32_e32 v19, 0xffff, v19
	s_or_b32 s10, vcc_lo, s10
	s_delay_alu instid0(SALU_CYCLE_1)
	s_and_not1_b32 exec_lo, exec_lo, s10
	s_cbranch_execnz .LBB8_59
; %bb.60:
	s_or_b32 exec_lo, exec_lo, s10
.LBB8_61:
	s_delay_alu instid0(SALU_CYCLE_1) | instskip(SKIP_3) | instid1(VALU_DEP_1)
	s_or_b32 exec_lo, exec_lo, s0
	v_lshrrev_b32_e32 v9, 24, v9
	s_mov_b32 s10, 0
	s_mov_b32 s0, exec_lo
	v_bfe_i32 v18, v9, 0, 8
	v_lshrrev_b32_e32 v9, 24, v5
	s_delay_alu instid0(VALU_DEP_2) | instskip(NEXT) | instid1(VALU_DEP_1)
	v_sub_nc_u16 v19, 0, v18
	v_max_i16 v5, v18, v19
	s_delay_alu instid0(VALU_DEP_3)
	v_cmpx_ne_u16_e32 0, v9
	s_cbranch_execz .LBB8_65
; %bb.62:
	v_bfe_i32 v9, v9, 0, 8
	s_delay_alu instid0(VALU_DEP_1) | instskip(NEXT) | instid1(VALU_DEP_1)
	v_sub_nc_u16 v18, 0, v9
	v_max_i16 v18, v9, v18
	v_and_b32_e32 v9, 0xff, v5
	s_delay_alu instid0(VALU_DEP_2)
	v_and_b32_e32 v18, 0xffff, v18
.LBB8_63:                               ; =>This Inner Loop Header: Depth=1
	s_delay_alu instid0(VALU_DEP_2) | instskip(NEXT) | instid1(VALU_DEP_2)
	v_bfe_i32 v20, v9, 0, 8
	v_mov_b32_e32 v5, v18
	s_delay_alu instid0(VALU_DEP_2) | instskip(NEXT) | instid1(VALU_DEP_2)
	v_cvt_f32_i32_e32 v22, v20
	v_bfe_i32 v18, v5, 0, 8
	s_delay_alu instid0(VALU_DEP_1) | instskip(SKIP_1) | instid1(VALU_DEP_2)
	v_cvt_f32_i32_e32 v19, v18
	v_xor_b32_e32 v18, v20, v18
	v_rcp_iflag_f32_e32 v21, v19
	v_nop
	s_delay_alu instid0(TRANS32_DEP_1) | instskip(NEXT) | instid1(VALU_DEP_1)
	v_dual_ashrrev_i32 v18, 30, v18 :: v_dual_mul_f32 v20, v22, v21
	v_trunc_f32_e32 v20, v20
	s_delay_alu instid0(VALU_DEP_1) | instskip(SKIP_1) | instid1(VALU_DEP_2)
	v_dual_fma_f32 v21, -v20, v19, v22 :: v_dual_bitop2_b32 v18, 1, v18 bitop3:0x54
	v_cvt_i32_f32_e32 v20, v20
	v_cmp_ge_f32_e64 vcc_lo, |v21|, |v19|
	s_delay_alu instid0(VALU_DEP_3) | instskip(NEXT) | instid1(VALU_DEP_1)
	v_cndmask_b32_e32 v18, 0, v18, vcc_lo
	v_add_nc_u32_e32 v18, v20, v18
	s_delay_alu instid0(VALU_DEP_1) | instskip(NEXT) | instid1(VALU_DEP_1)
	v_mul_lo_u32 v18, v18, v5
	v_sub_nc_u32_e32 v9, v9, v18
	s_delay_alu instid0(VALU_DEP_1) | instskip(SKIP_1) | instid1(VALU_DEP_2)
	v_bfe_i32 v18, v9, 0, 8
	v_mov_b32_e32 v9, v5
	v_cmp_eq_u16_e32 vcc_lo, 0, v18
	v_and_b32_e32 v18, 0xffff, v18
	s_or_b32 s10, vcc_lo, s10
	s_delay_alu instid0(SALU_CYCLE_1)
	s_and_not1_b32 exec_lo, exec_lo, s10
	s_cbranch_execnz .LBB8_63
; %bb.64:
	s_or_b32 exec_lo, exec_lo, s10
.LBB8_65:
	s_delay_alu instid0(SALU_CYCLE_1)
	s_or_b32 exec_lo, exec_lo, s0
	v_perm_b32 v2, v2, v4, 0xc0c0004
	v_perm_b32 v4, v8, v5, 0xc0c0004
	v_perm_b32 v8, v15, v16, 0xc0c0004
	v_perm_b32 v3, v17, v3, 0xc0c0004
	v_perm_b32 v9, v10, v11, 0xc0c0004
	v_perm_b32 v7, v14, v7, 0xc0c0004
	v_perm_b32 v1, v1, v12, 0xc0c0004
	v_perm_b32 v6, v13, v6, 0xc0c0004
	v_lshl_or_b32 v5, v4, 16, v2
	v_lshl_or_b32 v4, v3, 16, v8
	;; [unrolled: 1-line block ×3, first 2 shown]
	s_add_nc_u64 s[10:11], s[4:5], s[2:3]
	v_lshl_or_b32 v2, v6, 16, v1
	s_mov_b32 s0, 0
	global_store_b128 v0, v[2:5], s[10:11] scale_offset
.LBB8_66:
	s_and_b32 vcc_lo, exec_lo, s0
	s_cbranch_vccz .LBB8_207
; %bb.67:
	v_cmp_gt_i32_e32 vcc_lo, s1, v0
	s_wait_xcnt 0x0
	v_dual_mov_b32 v2, 0 :: v_dual_bitop2_b32 v10, s2, v0 bitop3:0x54
	v_or_b32_e32 v11, 0x100, v0
	v_dual_mov_b32 v13, 0 :: v_dual_mov_b32 v12, 0
	v_dual_mov_b32 v14, 0 :: v_dual_mov_b32 v15, 0
	;; [unrolled: 1-line block ×16, first 2 shown]
	s_and_saveexec_b32 s3, vcc_lo
	s_cbranch_execz .LBB8_99
; %bb.68:
	s_clause 0x1
	global_load_u8 v40, v10, s[6:7]
	global_load_u8 v41, v10, s[8:9]
	v_or_b32_e32 v1, 0x100, v0
	v_dual_mov_b32 v39, 0 :: v_dual_mov_b32 v38, 0
	v_dual_mov_b32 v5, 0 :: v_dual_mov_b32 v37, 0
	s_delay_alu instid0(VALU_DEP_3)
	v_cmp_gt_u32_e64 s0, s1, v1
	v_dual_mov_b32 v6, 0 :: v_dual_mov_b32 v36, 0
	v_dual_mov_b32 v35, 0 :: v_dual_mov_b32 v34, 0
	;; [unrolled: 1-line block ×13, first 2 shown]
	s_wait_xcnt 0x0
	s_and_saveexec_b32 s10, s0
	s_cbranch_execz .LBB8_98
; %bb.69:
	v_dual_mov_b32 v5, 0 :: v_dual_add_nc_u32 v4, s2, v0
	v_or_b32_e32 v1, 0x200, v0
	v_dual_mov_b32 v37, 0 :: v_dual_mov_b32 v6, 0
	s_clause 0x1
	global_load_u8 v38, v4, s[6:7] offset:256
	global_load_u8 v39, v4, s[8:9] offset:256
	v_dual_mov_b32 v36, 0 :: v_dual_mov_b32 v35, 0
	v_cmp_gt_u32_e64 s0, s1, v1
	v_dual_mov_b32 v34, 0 :: v_dual_mov_b32 v33, 0
	v_dual_mov_b32 v32, 0 :: v_dual_mov_b32 v31, 0
	v_dual_mov_b32 v30, 0 :: v_dual_mov_b32 v29, 0
	v_dual_mov_b32 v28, 0 :: v_dual_mov_b32 v27, 0
	v_dual_mov_b32 v26, 0 :: v_dual_mov_b32 v25, 0
	v_dual_mov_b32 v24, 0 :: v_dual_mov_b32 v23, 0
	v_dual_mov_b32 v22, 0 :: v_dual_mov_b32 v21, 0
	v_dual_mov_b32 v20, 0 :: v_dual_mov_b32 v19, 0
	v_dual_mov_b32 v18, 0 :: v_dual_mov_b32 v17, 0
	v_dual_mov_b32 v16, 0 :: v_dual_mov_b32 v15, 0
	v_dual_mov_b32 v14, 0 :: v_dual_mov_b32 v12, 0
	v_mov_b32_e32 v13, 0
	s_wait_xcnt 0x0
	s_and_saveexec_b32 s11, s0
	s_cbranch_execz .LBB8_97
; %bb.70:
	v_add_nc_u64_e32 v[6:7], s[6:7], v[4:5]
	v_add_nc_u64_e32 v[8:9], s[8:9], v[4:5]
	v_or_b32_e32 v3, 0x300, v0
	v_dual_mov_b32 v36, 0 :: v_dual_mov_b32 v35, 0
	v_dual_mov_b32 v34, 0 :: v_dual_mov_b32 v33, 0
	global_load_u8 v37, v[6:7], off offset:512
	global_load_u8 v1, v[8:9], off offset:512
	v_cmp_gt_u32_e64 s0, s1, v3
	v_dual_mov_b32 v32, 0 :: v_dual_mov_b32 v31, 0
	v_dual_mov_b32 v30, 0 :: v_dual_mov_b32 v29, 0
	;; [unrolled: 1-line block ×10, first 2 shown]
	v_mov_b32_e32 v13, 0
	s_wait_xcnt 0x0
	s_and_saveexec_b32 s6, s0
	s_cbranch_execz .LBB8_96
; %bb.71:
	global_load_u8 v36, v[6:7], off offset:768
	global_load_u8 v5, v[8:9], off offset:768
	v_or_b32_e32 v3, 0x400, v0
	v_dual_mov_b32 v35, 0 :: v_dual_mov_b32 v34, 0
	v_dual_mov_b32 v33, 0 :: v_dual_mov_b32 v32, 0
	s_delay_alu instid0(VALU_DEP_3)
	v_cmp_gt_u32_e64 s0, s1, v3
	v_dual_mov_b32 v31, 0 :: v_dual_mov_b32 v30, 0
	v_dual_mov_b32 v29, 0 :: v_dual_mov_b32 v28, 0
	;; [unrolled: 1-line block ×10, first 2 shown]
	s_wait_xcnt 0x0
	s_and_saveexec_b32 s7, s0
	s_cbranch_execz .LBB8_95
; %bb.72:
	global_load_u8 v34, v[6:7], off offset:1024
	global_load_u8 v35, v[8:9], off offset:1024
	v_or_b32_e32 v3, 0x500, v0
	v_dual_mov_b32 v33, 0 :: v_dual_mov_b32 v32, 0
	v_dual_mov_b32 v31, 0 :: v_dual_mov_b32 v30, 0
	s_delay_alu instid0(VALU_DEP_3)
	v_cmp_gt_u32_e64 s0, s1, v3
	v_dual_mov_b32 v29, 0 :: v_dual_mov_b32 v28, 0
	v_dual_mov_b32 v27, 0 :: v_dual_mov_b32 v26, 0
	;; [unrolled: 1-line block ×9, first 2 shown]
	s_wait_xcnt 0x0
	s_and_saveexec_b32 s8, s0
	s_cbranch_execz .LBB8_94
; %bb.73:
	global_load_u8 v32, v[6:7], off offset:1280
	global_load_u8 v33, v[8:9], off offset:1280
	v_or_b32_e32 v3, 0x600, v0
	v_dual_mov_b32 v31, 0 :: v_dual_mov_b32 v30, 0
	v_dual_mov_b32 v29, 0 :: v_dual_mov_b32 v28, 0
	s_delay_alu instid0(VALU_DEP_3)
	v_cmp_gt_u32_e64 s0, s1, v3
	v_dual_mov_b32 v27, 0 :: v_dual_mov_b32 v26, 0
	v_dual_mov_b32 v25, 0 :: v_dual_mov_b32 v24, 0
	;; [unrolled: 1-line block ×8, first 2 shown]
	s_wait_xcnt 0x0
	s_and_saveexec_b32 s9, s0
	s_cbranch_execz .LBB8_93
; %bb.74:
	global_load_u8 v30, v[6:7], off offset:1536
	global_load_u8 v31, v[8:9], off offset:1536
	v_or_b32_e32 v3, 0x700, v0
	v_dual_mov_b32 v29, 0 :: v_dual_mov_b32 v28, 0
	v_dual_mov_b32 v27, 0 :: v_dual_mov_b32 v26, 0
	;; [unrolled: 1-line block ×9, first 2 shown]
	s_mov_b32 s12, exec_lo
	s_wait_xcnt 0x0
	v_cmpx_gt_u32_e64 s1, v3
	s_cbranch_execz .LBB8_92
; %bb.75:
	global_load_u8 v28, v[6:7], off offset:1792
	global_load_u8 v29, v[8:9], off offset:1792
	v_or_b32_e32 v3, 0x800, v0
	v_dual_mov_b32 v27, 0 :: v_dual_mov_b32 v26, 0
	v_dual_mov_b32 v25, 0 :: v_dual_mov_b32 v24, 0
	;; [unrolled: 1-line block ×8, first 2 shown]
	s_mov_b32 s13, exec_lo
	s_wait_xcnt 0x0
	v_cmpx_gt_u32_e64 s1, v3
	s_cbranch_execz .LBB8_91
; %bb.76:
	global_load_u8 v26, v[6:7], off offset:2048
	global_load_u8 v27, v[8:9], off offset:2048
	v_or_b32_e32 v3, 0x900, v0
	v_dual_mov_b32 v25, 0 :: v_dual_mov_b32 v24, 0
	v_dual_mov_b32 v23, 0 :: v_dual_mov_b32 v22, 0
	v_dual_mov_b32 v21, 0 :: v_dual_mov_b32 v20, 0
	v_dual_mov_b32 v19, 0 :: v_dual_mov_b32 v18, 0
	v_dual_mov_b32 v17, 0 :: v_dual_mov_b32 v16, 0
	v_dual_mov_b32 v15, 0 :: v_dual_mov_b32 v14, 0
	v_dual_mov_b32 v12, 0 :: v_dual_mov_b32 v13, 0
	s_mov_b32 s14, exec_lo
	s_wait_xcnt 0x0
	v_cmpx_gt_u32_e64 s1, v3
	s_cbranch_execz .LBB8_90
; %bb.77:
	global_load_u8 v24, v[6:7], off offset:2304
	global_load_u8 v25, v[8:9], off offset:2304
	v_or_b32_e32 v3, 0xa00, v0
	v_dual_mov_b32 v23, 0 :: v_dual_mov_b32 v22, 0
	v_dual_mov_b32 v21, 0 :: v_dual_mov_b32 v20, 0
	v_dual_mov_b32 v19, 0 :: v_dual_mov_b32 v18, 0
	v_dual_mov_b32 v17, 0 :: v_dual_mov_b32 v16, 0
	v_dual_mov_b32 v15, 0 :: v_dual_mov_b32 v14, 0
	v_dual_mov_b32 v12, 0 :: v_dual_mov_b32 v13, 0
	s_mov_b32 s15, exec_lo
	s_wait_xcnt 0x0
	v_cmpx_gt_u32_e64 s1, v3
	s_cbranch_execz .LBB8_89
; %bb.78:
	global_load_u8 v22, v[6:7], off offset:2560
	global_load_u8 v23, v[8:9], off offset:2560
	v_or_b32_e32 v3, 0xb00, v0
	v_dual_mov_b32 v21, 0 :: v_dual_mov_b32 v20, 0
	v_dual_mov_b32 v19, 0 :: v_dual_mov_b32 v18, 0
	;; [unrolled: 1-line block ×5, first 2 shown]
	s_mov_b32 s16, exec_lo
	s_wait_xcnt 0x0
	v_cmpx_gt_u32_e64 s1, v3
	s_cbranch_execz .LBB8_88
; %bb.79:
	global_load_u8 v20, v[6:7], off offset:2816
	global_load_u8 v21, v[8:9], off offset:2816
	v_or_b32_e32 v3, 0xc00, v0
	v_dual_mov_b32 v19, 0 :: v_dual_mov_b32 v18, 0
	v_dual_mov_b32 v17, 0 :: v_dual_mov_b32 v16, 0
	;; [unrolled: 1-line block ×4, first 2 shown]
	s_mov_b32 s17, exec_lo
	s_wait_xcnt 0x0
	v_cmpx_gt_u32_e64 s1, v3
	s_cbranch_execz .LBB8_87
; %bb.80:
	global_load_u8 v18, v[6:7], off offset:3072
	global_load_u8 v19, v[8:9], off offset:3072
	v_or_b32_e32 v3, 0xd00, v0
	v_dual_mov_b32 v17, 0 :: v_dual_mov_b32 v16, 0
	v_dual_mov_b32 v15, 0 :: v_dual_mov_b32 v14, 0
	;; [unrolled: 1-line block ×3, first 2 shown]
	s_mov_b32 s18, exec_lo
	s_wait_xcnt 0x0
	v_cmpx_gt_u32_e64 s1, v3
	s_cbranch_execz .LBB8_86
; %bb.81:
	global_load_u8 v16, v[6:7], off offset:3328
	global_load_u8 v17, v[8:9], off offset:3328
	v_or_b32_e32 v3, 0xe00, v0
	v_dual_mov_b32 v15, 0 :: v_dual_mov_b32 v14, 0
	v_dual_mov_b32 v12, 0 :: v_dual_mov_b32 v13, 0
	s_mov_b32 s19, exec_lo
	s_wait_xcnt 0x0
	v_cmpx_gt_u32_e64 s1, v3
	s_cbranch_execz .LBB8_85
; %bb.82:
	global_load_u8 v14, v[6:7], off offset:3584
	global_load_u8 v15, v[8:9], off offset:3584
	v_or_b32_e32 v3, 0xf00, v0
	v_dual_mov_b32 v12, 0 :: v_dual_mov_b32 v13, 0
	s_mov_b32 s20, exec_lo
	s_wait_xcnt 0x0
	s_delay_alu instid0(VALU_DEP_2)
	v_cmpx_gt_u32_e64 s1, v3
	s_cbranch_execz .LBB8_84
; %bb.83:
	global_load_i8 v3, v[8:9], off offset:3840
	global_load_u8 v13, v[6:7], off offset:3840
	s_wait_loadcnt 0x1
	v_sub_nc_u16 v4, 0, v3
	s_delay_alu instid0(VALU_DEP_1)
	v_max_i16 v12, v3, v4
.LBB8_84:
	s_wait_xcnt 0x0
	s_or_b32 exec_lo, exec_lo, s20
.LBB8_85:
	s_delay_alu instid0(SALU_CYCLE_1)
	s_or_b32 exec_lo, exec_lo, s19
.LBB8_86:
	s_delay_alu instid0(SALU_CYCLE_1)
	s_or_b32 exec_lo, exec_lo, s18
.LBB8_87:
	s_delay_alu instid0(SALU_CYCLE_1)
	s_or_b32 exec_lo, exec_lo, s17
.LBB8_88:
	s_delay_alu instid0(SALU_CYCLE_1)
	s_or_b32 exec_lo, exec_lo, s16
.LBB8_89:
	s_delay_alu instid0(SALU_CYCLE_1)
	s_or_b32 exec_lo, exec_lo, s15
.LBB8_90:
	s_delay_alu instid0(SALU_CYCLE_1)
	s_or_b32 exec_lo, exec_lo, s14
.LBB8_91:
	s_delay_alu instid0(SALU_CYCLE_1)
	s_or_b32 exec_lo, exec_lo, s13
.LBB8_92:
	s_delay_alu instid0(SALU_CYCLE_1)
	s_or_b32 exec_lo, exec_lo, s12
.LBB8_93:
	s_delay_alu instid0(SALU_CYCLE_1)
	s_or_b32 exec_lo, exec_lo, s9
.LBB8_94:
	s_delay_alu instid0(SALU_CYCLE_1)
	s_or_b32 exec_lo, exec_lo, s8
.LBB8_95:
	s_delay_alu instid0(SALU_CYCLE_1)
	s_or_b32 exec_lo, exec_lo, s7
.LBB8_96:
	s_delay_alu instid0(SALU_CYCLE_1)
	s_or_b32 exec_lo, exec_lo, s6
	s_wait_loadcnt 0x0
	v_dual_mov_b32 v6, v5 :: v_dual_mov_b32 v5, v1
.LBB8_97:
	s_or_b32 exec_lo, exec_lo, s11
.LBB8_98:
	s_delay_alu instid0(SALU_CYCLE_1)
	s_or_b32 exec_lo, exec_lo, s10
.LBB8_99:
	s_delay_alu instid0(SALU_CYCLE_1)
	s_or_b32 exec_lo, exec_lo, s3
	v_dual_mov_b32 v1, v2 :: v_dual_mov_b32 v4, v2
	v_mov_b32_e32 v3, v2
	s_and_saveexec_b32 s3, vcc_lo
	s_cbranch_execz .LBB8_105
; %bb.100:
	s_wait_loadcnt 0x0
	v_bfe_i32 v1, v41, 0, 8
	v_and_b32_e32 v3, 0xff, v40
	s_mov_b32 s6, exec_lo
	s_delay_alu instid0(VALU_DEP_2) | instskip(NEXT) | instid1(VALU_DEP_1)
	v_sub_nc_u16 v2, 0, v1
	v_max_i16 v1, v1, v2
	s_delay_alu instid0(VALU_DEP_3)
	v_cmpx_ne_u16_e32 0, v3
	s_cbranch_execz .LBB8_104
; %bb.101:
	v_bfe_i32 v2, v40, 0, 8
	s_mov_b32 s7, 0
	s_delay_alu instid0(VALU_DEP_1) | instskip(NEXT) | instid1(VALU_DEP_1)
	v_sub_nc_u16 v3, 0, v2
	v_max_i16 v3, v2, v3
	v_and_b32_e32 v2, 0xff, v1
	s_delay_alu instid0(VALU_DEP_2)
	v_and_b32_e32 v3, 0xffff, v3
.LBB8_102:                              ; =>This Inner Loop Header: Depth=1
	s_delay_alu instid0(VALU_DEP_2) | instskip(NEXT) | instid1(VALU_DEP_1)
	v_bfe_i32 v7, v2, 0, 8
	v_cvt_f32_i32_e32 v9, v7
	s_delay_alu instid0(VALU_DEP_3) | instskip(NEXT) | instid1(VALU_DEP_1)
	v_mov_b32_e32 v1, v3
	v_bfe_i32 v3, v1, 0, 8
	s_delay_alu instid0(VALU_DEP_1) | instskip(SKIP_1) | instid1(VALU_DEP_2)
	v_cvt_f32_i32_e32 v4, v3
	v_xor_b32_e32 v3, v7, v3
	v_rcp_iflag_f32_e32 v8, v4
	v_nop
	s_delay_alu instid0(TRANS32_DEP_1) | instskip(NEXT) | instid1(VALU_DEP_1)
	v_mul_f32_e32 v7, v9, v8
	v_trunc_f32_e32 v7, v7
	s_delay_alu instid0(VALU_DEP_1) | instskip(SKIP_1) | instid1(VALU_DEP_2)
	v_dual_fma_f32 v8, -v7, v4, v9 :: v_dual_ashrrev_i32 v3, 30, v3
	v_cvt_i32_f32_e32 v7, v7
	v_cmp_ge_f32_e64 s0, |v8|, |v4|
	s_delay_alu instid0(VALU_DEP_3) | instskip(NEXT) | instid1(VALU_DEP_1)
	v_or_b32_e32 v3, 1, v3
	v_cndmask_b32_e64 v3, 0, v3, s0
	s_delay_alu instid0(VALU_DEP_1) | instskip(NEXT) | instid1(VALU_DEP_1)
	v_add_nc_u32_e32 v3, v7, v3
	v_mul_lo_u32 v3, v3, v1
	s_delay_alu instid0(VALU_DEP_1) | instskip(NEXT) | instid1(VALU_DEP_1)
	v_sub_nc_u32_e32 v2, v2, v3
	v_bfe_i32 v3, v2, 0, 8
	v_mov_b32_e32 v2, v1
	s_delay_alu instid0(VALU_DEP_2) | instskip(SKIP_2) | instid1(SALU_CYCLE_1)
	v_cmp_eq_u16_e64 s0, 0, v3
	v_and_b32_e32 v3, 0xffff, v3
	s_or_b32 s7, s0, s7
	s_and_not1_b32 exec_lo, exec_lo, s7
	s_cbranch_execnz .LBB8_102
; %bb.103:
	s_or_b32 exec_lo, exec_lo, s7
.LBB8_104:
	s_delay_alu instid0(SALU_CYCLE_1) | instskip(NEXT) | instid1(VALU_DEP_2)
	s_or_b32 exec_lo, exec_lo, s6
	v_and_b32_e32 v2, 0xff, v1
	v_mov_b32_e32 v1, 0
	s_delay_alu instid0(VALU_DEP_2) | instskip(NEXT) | instid1(VALU_DEP_2)
	v_and_b32_e32 v2, 0xffff, v2
	v_dual_mov_b32 v4, v1 :: v_dual_mov_b32 v3, v1
.LBB8_105:
	s_or_b32 exec_lo, exec_lo, s3
	s_delay_alu instid0(SALU_CYCLE_1)
	s_mov_b32 s3, exec_lo
	v_cmpx_gt_i32_e64 s1, v11
	s_cbranch_execz .LBB8_111
; %bb.106:
	s_wait_loadcnt 0x0
	v_bfe_i32 v7, v39, 0, 8
	v_and_b32_e32 v9, 0xff, v38
	s_mov_b32 s7, 0
	s_mov_b32 s6, exec_lo
	s_delay_alu instid0(VALU_DEP_2) | instskip(NEXT) | instid1(VALU_DEP_1)
	v_sub_nc_u16 v8, 0, v7
	v_max_i16 v7, v7, v8
	v_cmpx_ne_u16_e32 0, v9
	s_cbranch_execz .LBB8_110
; %bb.107:
	v_bfe_i32 v8, v38, 0, 8
	s_delay_alu instid0(VALU_DEP_1) | instskip(NEXT) | instid1(VALU_DEP_1)
	v_sub_nc_u16 v9, 0, v8
	v_max_i16 v9, v8, v9
	v_and_b32_e32 v8, 0xff, v7
	s_delay_alu instid0(VALU_DEP_2)
	v_and_b32_e32 v9, 0xffff, v9
.LBB8_108:                              ; =>This Inner Loop Header: Depth=1
	s_delay_alu instid0(VALU_DEP_2) | instskip(NEXT) | instid1(VALU_DEP_2)
	v_bfe_i32 v39, v8, 0, 8
	v_mov_b32_e32 v7, v9
	s_delay_alu instid0(VALU_DEP_2) | instskip(NEXT) | instid1(VALU_DEP_2)
	v_cvt_f32_i32_e32 v41, v39
	v_bfe_i32 v9, v7, 0, 8
	s_delay_alu instid0(VALU_DEP_1) | instskip(SKIP_1) | instid1(VALU_DEP_2)
	v_cvt_f32_i32_e32 v38, v9
	v_xor_b32_e32 v9, v39, v9
	v_rcp_iflag_f32_e32 v40, v38
	v_nop
	s_delay_alu instid0(TRANS32_DEP_1) | instskip(NEXT) | instid1(VALU_DEP_1)
	v_dual_ashrrev_i32 v9, 30, v9 :: v_dual_mul_f32 v39, v41, v40
	v_trunc_f32_e32 v39, v39
	s_delay_alu instid0(VALU_DEP_1) | instskip(SKIP_1) | instid1(VALU_DEP_2)
	v_dual_fma_f32 v40, -v39, v38, v41 :: v_dual_bitop2_b32 v9, 1, v9 bitop3:0x54
	v_cvt_i32_f32_e32 v39, v39
	v_cmp_ge_f32_e64 s0, |v40|, |v38|
	s_delay_alu instid0(VALU_DEP_1) | instskip(NEXT) | instid1(VALU_DEP_1)
	v_cndmask_b32_e64 v9, 0, v9, s0
	v_add_nc_u32_e32 v9, v39, v9
	s_delay_alu instid0(VALU_DEP_1) | instskip(NEXT) | instid1(VALU_DEP_1)
	v_mul_lo_u32 v9, v9, v7
	v_sub_nc_u32_e32 v8, v8, v9
	s_delay_alu instid0(VALU_DEP_1) | instskip(SKIP_1) | instid1(VALU_DEP_2)
	v_bfe_i32 v9, v8, 0, 8
	v_mov_b32_e32 v8, v7
	v_cmp_eq_u16_e64 s0, 0, v9
	v_and_b32_e32 v9, 0xffff, v9
	s_or_b32 s7, s0, s7
	s_delay_alu instid0(SALU_CYCLE_1)
	s_and_not1_b32 exec_lo, exec_lo, s7
	s_cbranch_execnz .LBB8_108
; %bb.109:
	s_or_b32 exec_lo, exec_lo, s7
.LBB8_110:
	s_delay_alu instid0(SALU_CYCLE_1) | instskip(NEXT) | instid1(VALU_DEP_2)
	s_or_b32 exec_lo, exec_lo, s6
	v_perm_b32 v2, v2, v7, 0x7060004
.LBB8_111:
	s_or_b32 exec_lo, exec_lo, s3
	v_or_b32_e32 v7, 0x200, v0
	s_mov_b32 s3, exec_lo
	s_delay_alu instid0(VALU_DEP_1)
	v_cmpx_gt_i32_e64 s1, v7
	s_cbranch_execz .LBB8_117
; %bb.112:
	v_bfe_i32 v5, v5, 0, 8
	v_and_b32_e32 v8, 0xff, v37
	s_mov_b32 s7, 0
	s_mov_b32 s6, exec_lo
	s_delay_alu instid0(VALU_DEP_2) | instskip(NEXT) | instid1(VALU_DEP_1)
	v_sub_nc_u16 v7, 0, v5
	v_max_i16 v5, v5, v7
	v_cmpx_ne_u16_e32 0, v8
	s_cbranch_execz .LBB8_116
; %bb.113:
	v_bfe_i32 v7, v37, 0, 8
	s_delay_alu instid0(VALU_DEP_1) | instskip(NEXT) | instid1(VALU_DEP_1)
	v_sub_nc_u16 v8, 0, v7
	v_max_i16 v8, v7, v8
	v_and_b32_e32 v7, 0xff, v5
	s_delay_alu instid0(VALU_DEP_2)
	v_and_b32_e32 v8, 0xffff, v8
.LBB8_114:                              ; =>This Inner Loop Header: Depth=1
	s_delay_alu instid0(VALU_DEP_2) | instskip(NEXT) | instid1(VALU_DEP_2)
	v_bfe_i32 v37, v7, 0, 8
	v_mov_b32_e32 v5, v8
	s_wait_loadcnt 0x0
	s_delay_alu instid0(VALU_DEP_2) | instskip(NEXT) | instid1(VALU_DEP_2)
	v_cvt_f32_i32_e32 v39, v37
	v_bfe_i32 v8, v5, 0, 8
	s_delay_alu instid0(VALU_DEP_1) | instskip(SKIP_1) | instid1(VALU_DEP_2)
	v_cvt_f32_i32_e32 v9, v8
	v_xor_b32_e32 v8, v37, v8
	v_rcp_iflag_f32_e32 v38, v9
	v_nop
	s_delay_alu instid0(TRANS32_DEP_1) | instskip(NEXT) | instid1(VALU_DEP_1)
	v_dual_mul_f32 v37, v39, v38 :: v_dual_ashrrev_i32 v8, 30, v8
	v_trunc_f32_e32 v37, v37
	s_delay_alu instid0(VALU_DEP_1) | instskip(SKIP_1) | instid1(VALU_DEP_2)
	v_dual_fma_f32 v38, -v37, v9, v39 :: v_dual_bitop2_b32 v8, 1, v8 bitop3:0x54
	v_cvt_i32_f32_e32 v37, v37
	v_cmp_ge_f32_e64 s0, |v38|, |v9|
	s_delay_alu instid0(VALU_DEP_1) | instskip(NEXT) | instid1(VALU_DEP_1)
	v_cndmask_b32_e64 v8, 0, v8, s0
	v_add_nc_u32_e32 v8, v37, v8
	s_delay_alu instid0(VALU_DEP_1) | instskip(NEXT) | instid1(VALU_DEP_1)
	v_mul_lo_u32 v8, v8, v5
	v_sub_nc_u32_e32 v7, v7, v8
	s_delay_alu instid0(VALU_DEP_1) | instskip(SKIP_1) | instid1(VALU_DEP_2)
	v_bfe_i32 v8, v7, 0, 8
	v_mov_b32_e32 v7, v5
	v_cmp_eq_u16_e64 s0, 0, v8
	v_and_b32_e32 v8, 0xffff, v8
	s_or_b32 s7, s0, s7
	s_delay_alu instid0(SALU_CYCLE_1)
	s_and_not1_b32 exec_lo, exec_lo, s7
	s_cbranch_execnz .LBB8_114
; %bb.115:
	s_or_b32 exec_lo, exec_lo, s7
.LBB8_116:
	s_delay_alu instid0(SALU_CYCLE_1) | instskip(NEXT) | instid1(VALU_DEP_2)
	s_or_b32 exec_lo, exec_lo, s6
	v_perm_b32 v2, v2, v5, 0x7000504
.LBB8_117:
	s_or_b32 exec_lo, exec_lo, s3
	v_or_b32_e32 v5, 0x300, v0
	s_mov_b32 s3, exec_lo
	s_delay_alu instid0(VALU_DEP_1)
	v_cmpx_gt_i32_e64 s1, v5
	s_cbranch_execz .LBB8_123
; %bb.118:
	v_bfe_i32 v5, v6, 0, 8
	v_and_b32_e32 v7, 0xff, v36
	s_mov_b32 s7, 0
	s_mov_b32 s6, exec_lo
	s_delay_alu instid0(VALU_DEP_2) | instskip(NEXT) | instid1(VALU_DEP_1)
	v_sub_nc_u16 v6, 0, v5
	v_max_i16 v5, v5, v6
	v_cmpx_ne_u16_e32 0, v7
	s_cbranch_execz .LBB8_122
; %bb.119:
	v_bfe_i32 v6, v36, 0, 8
	s_delay_alu instid0(VALU_DEP_1) | instskip(NEXT) | instid1(VALU_DEP_1)
	v_sub_nc_u16 v7, 0, v6
	v_max_i16 v7, v6, v7
	v_and_b32_e32 v6, 0xff, v5
	s_delay_alu instid0(VALU_DEP_2)
	v_and_b32_e32 v7, 0xffff, v7
.LBB8_120:                              ; =>This Inner Loop Header: Depth=1
	s_delay_alu instid0(VALU_DEP_2) | instskip(NEXT) | instid1(VALU_DEP_2)
	v_bfe_i32 v9, v6, 0, 8
	v_mov_b32_e32 v5, v7
	s_delay_alu instid0(VALU_DEP_2) | instskip(NEXT) | instid1(VALU_DEP_2)
	v_cvt_f32_i32_e32 v37, v9
	v_bfe_i32 v7, v5, 0, 8
	s_delay_alu instid0(VALU_DEP_1) | instskip(SKIP_1) | instid1(VALU_DEP_2)
	v_cvt_f32_i32_e32 v8, v7
	v_xor_b32_e32 v7, v9, v7
	v_rcp_iflag_f32_e32 v36, v8
	v_nop
	s_delay_alu instid0(TRANS32_DEP_1) | instskip(NEXT) | instid1(VALU_DEP_1)
	v_dual_ashrrev_i32 v7, 30, v7 :: v_dual_mul_f32 v9, v37, v36
	v_trunc_f32_e32 v9, v9
	s_delay_alu instid0(VALU_DEP_1) | instskip(SKIP_1) | instid1(VALU_DEP_2)
	v_dual_fma_f32 v36, -v9, v8, v37 :: v_dual_bitop2_b32 v7, 1, v7 bitop3:0x54
	v_cvt_i32_f32_e32 v9, v9
	v_cmp_ge_f32_e64 s0, |v36|, |v8|
	s_delay_alu instid0(VALU_DEP_1) | instskip(NEXT) | instid1(VALU_DEP_1)
	v_cndmask_b32_e64 v7, 0, v7, s0
	v_add_nc_u32_e32 v7, v9, v7
	s_delay_alu instid0(VALU_DEP_1) | instskip(NEXT) | instid1(VALU_DEP_1)
	v_mul_lo_u32 v7, v7, v5
	v_sub_nc_u32_e32 v6, v6, v7
	s_delay_alu instid0(VALU_DEP_1) | instskip(SKIP_1) | instid1(VALU_DEP_2)
	v_bfe_i32 v7, v6, 0, 8
	v_mov_b32_e32 v6, v5
	v_cmp_eq_u16_e64 s0, 0, v7
	v_and_b32_e32 v7, 0xffff, v7
	s_or_b32 s7, s0, s7
	s_delay_alu instid0(SALU_CYCLE_1)
	s_and_not1_b32 exec_lo, exec_lo, s7
	s_cbranch_execnz .LBB8_120
; %bb.121:
	s_or_b32 exec_lo, exec_lo, s7
.LBB8_122:
	s_delay_alu instid0(SALU_CYCLE_1) | instskip(NEXT) | instid1(VALU_DEP_2)
	s_or_b32 exec_lo, exec_lo, s6
	v_perm_b32 v2, v2, v5, 0x60504
.LBB8_123:
	s_or_b32 exec_lo, exec_lo, s3
	v_or_b32_e32 v5, 0x400, v0
	s_mov_b32 s3, exec_lo
	s_delay_alu instid0(VALU_DEP_1)
	v_cmpx_gt_i32_e64 s1, v5
	s_cbranch_execz .LBB8_129
; %bb.124:
	v_bfe_i32 v5, v35, 0, 8
	v_and_b32_e32 v7, 0xff, v34
	s_mov_b32 s7, 0
	s_mov_b32 s6, exec_lo
	s_delay_alu instid0(VALU_DEP_2) | instskip(NEXT) | instid1(VALU_DEP_1)
	v_sub_nc_u16 v6, 0, v5
	v_max_i16 v5, v5, v6
	v_cmpx_ne_u16_e32 0, v7
	s_cbranch_execz .LBB8_128
; %bb.125:
	v_bfe_i32 v6, v34, 0, 8
	s_delay_alu instid0(VALU_DEP_1) | instskip(NEXT) | instid1(VALU_DEP_1)
	v_sub_nc_u16 v7, 0, v6
	v_max_i16 v7, v6, v7
	v_and_b32_e32 v6, 0xff, v5
	s_delay_alu instid0(VALU_DEP_2)
	v_and_b32_e32 v7, 0xffff, v7
.LBB8_126:                              ; =>This Inner Loop Header: Depth=1
	s_delay_alu instid0(VALU_DEP_2) | instskip(NEXT) | instid1(VALU_DEP_2)
	v_bfe_i32 v9, v6, 0, 8
	v_mov_b32_e32 v5, v7
	s_delay_alu instid0(VALU_DEP_2) | instskip(NEXT) | instid1(VALU_DEP_2)
	v_cvt_f32_i32_e32 v35, v9
	v_bfe_i32 v7, v5, 0, 8
	s_delay_alu instid0(VALU_DEP_1) | instskip(SKIP_1) | instid1(VALU_DEP_2)
	v_cvt_f32_i32_e32 v8, v7
	v_xor_b32_e32 v7, v9, v7
	v_rcp_iflag_f32_e32 v34, v8
	v_nop
	s_delay_alu instid0(TRANS32_DEP_1) | instskip(NEXT) | instid1(VALU_DEP_1)
	v_dual_ashrrev_i32 v7, 30, v7 :: v_dual_mul_f32 v9, v35, v34
	v_trunc_f32_e32 v9, v9
	s_delay_alu instid0(VALU_DEP_1) | instskip(SKIP_1) | instid1(VALU_DEP_2)
	v_dual_fma_f32 v34, -v9, v8, v35 :: v_dual_bitop2_b32 v7, 1, v7 bitop3:0x54
	v_cvt_i32_f32_e32 v9, v9
	v_cmp_ge_f32_e64 s0, |v34|, |v8|
	s_delay_alu instid0(VALU_DEP_1) | instskip(NEXT) | instid1(VALU_DEP_1)
	v_cndmask_b32_e64 v7, 0, v7, s0
	v_add_nc_u32_e32 v7, v9, v7
	s_delay_alu instid0(VALU_DEP_1) | instskip(NEXT) | instid1(VALU_DEP_1)
	v_mul_lo_u32 v7, v7, v5
	v_sub_nc_u32_e32 v6, v6, v7
	s_delay_alu instid0(VALU_DEP_1) | instskip(SKIP_1) | instid1(VALU_DEP_2)
	v_bfe_i32 v7, v6, 0, 8
	v_mov_b32_e32 v6, v5
	v_cmp_eq_u16_e64 s0, 0, v7
	v_and_b32_e32 v7, 0xffff, v7
	s_or_b32 s7, s0, s7
	s_delay_alu instid0(SALU_CYCLE_1)
	s_and_not1_b32 exec_lo, exec_lo, s7
	s_cbranch_execnz .LBB8_126
; %bb.127:
	s_or_b32 exec_lo, exec_lo, s7
.LBB8_128:
	s_delay_alu instid0(SALU_CYCLE_1) | instskip(NEXT) | instid1(VALU_DEP_2)
	s_or_b32 exec_lo, exec_lo, s6
	v_perm_b32 v1, v5, v1, 0x3020104
.LBB8_129:
	s_or_b32 exec_lo, exec_lo, s3
	v_or_b32_e32 v5, 0x500, v0
	s_mov_b32 s3, exec_lo
	s_delay_alu instid0(VALU_DEP_1)
	v_cmpx_gt_i32_e64 s1, v5
	s_cbranch_execz .LBB8_135
; %bb.130:
	v_bfe_i32 v5, v33, 0, 8
	v_and_b32_e32 v7, 0xff, v32
	s_mov_b32 s7, 0
	s_mov_b32 s6, exec_lo
	s_delay_alu instid0(VALU_DEP_2) | instskip(NEXT) | instid1(VALU_DEP_1)
	v_sub_nc_u16 v6, 0, v5
	v_max_i16 v5, v5, v6
	v_cmpx_ne_u16_e32 0, v7
	s_cbranch_execz .LBB8_134
; %bb.131:
	v_bfe_i32 v6, v32, 0, 8
	s_delay_alu instid0(VALU_DEP_1) | instskip(NEXT) | instid1(VALU_DEP_1)
	v_sub_nc_u16 v7, 0, v6
	v_max_i16 v7, v6, v7
	v_and_b32_e32 v6, 0xff, v5
	s_delay_alu instid0(VALU_DEP_2)
	v_and_b32_e32 v7, 0xffff, v7
.LBB8_132:                              ; =>This Inner Loop Header: Depth=1
	s_delay_alu instid0(VALU_DEP_2) | instskip(NEXT) | instid1(VALU_DEP_2)
	v_bfe_i32 v9, v6, 0, 8
	v_mov_b32_e32 v5, v7
	s_delay_alu instid0(VALU_DEP_2) | instskip(NEXT) | instid1(VALU_DEP_2)
	v_cvt_f32_i32_e32 v33, v9
	v_bfe_i32 v7, v5, 0, 8
	s_delay_alu instid0(VALU_DEP_1) | instskip(SKIP_1) | instid1(VALU_DEP_2)
	v_cvt_f32_i32_e32 v8, v7
	v_xor_b32_e32 v7, v9, v7
	v_rcp_iflag_f32_e32 v32, v8
	v_nop
	s_delay_alu instid0(TRANS32_DEP_1) | instskip(NEXT) | instid1(VALU_DEP_1)
	v_dual_ashrrev_i32 v7, 30, v7 :: v_dual_mul_f32 v9, v33, v32
	v_trunc_f32_e32 v9, v9
	s_delay_alu instid0(VALU_DEP_1) | instskip(SKIP_1) | instid1(VALU_DEP_2)
	v_dual_fma_f32 v32, -v9, v8, v33 :: v_dual_bitop2_b32 v7, 1, v7 bitop3:0x54
	v_cvt_i32_f32_e32 v9, v9
	v_cmp_ge_f32_e64 s0, |v32|, |v8|
	s_delay_alu instid0(VALU_DEP_1) | instskip(NEXT) | instid1(VALU_DEP_1)
	v_cndmask_b32_e64 v7, 0, v7, s0
	v_add_nc_u32_e32 v7, v9, v7
	s_delay_alu instid0(VALU_DEP_1) | instskip(NEXT) | instid1(VALU_DEP_1)
	v_mul_lo_u32 v7, v7, v5
	v_sub_nc_u32_e32 v6, v6, v7
	s_delay_alu instid0(VALU_DEP_1) | instskip(SKIP_1) | instid1(VALU_DEP_2)
	v_bfe_i32 v7, v6, 0, 8
	v_mov_b32_e32 v6, v5
	v_cmp_eq_u16_e64 s0, 0, v7
	v_and_b32_e32 v7, 0xffff, v7
	s_or_b32 s7, s0, s7
	s_delay_alu instid0(SALU_CYCLE_1)
	s_and_not1_b32 exec_lo, exec_lo, s7
	s_cbranch_execnz .LBB8_132
; %bb.133:
	s_or_b32 exec_lo, exec_lo, s7
.LBB8_134:
	s_delay_alu instid0(SALU_CYCLE_1) | instskip(NEXT) | instid1(VALU_DEP_2)
	s_or_b32 exec_lo, exec_lo, s6
	v_perm_b32 v1, v1, v5, 0x7060004
.LBB8_135:
	s_or_b32 exec_lo, exec_lo, s3
	v_or_b32_e32 v5, 0x600, v0
	s_mov_b32 s3, exec_lo
	s_delay_alu instid0(VALU_DEP_1)
	v_cmpx_gt_i32_e64 s1, v5
	s_cbranch_execz .LBB8_141
; %bb.136:
	v_bfe_i32 v5, v31, 0, 8
	v_and_b32_e32 v7, 0xff, v30
	s_mov_b32 s7, 0
	s_mov_b32 s6, exec_lo
	s_delay_alu instid0(VALU_DEP_2) | instskip(NEXT) | instid1(VALU_DEP_1)
	v_sub_nc_u16 v6, 0, v5
	v_max_i16 v5, v5, v6
	v_cmpx_ne_u16_e32 0, v7
	s_cbranch_execz .LBB8_140
; %bb.137:
	v_bfe_i32 v6, v30, 0, 8
	s_delay_alu instid0(VALU_DEP_1) | instskip(NEXT) | instid1(VALU_DEP_1)
	v_sub_nc_u16 v7, 0, v6
	v_max_i16 v7, v6, v7
	v_and_b32_e32 v6, 0xff, v5
	s_delay_alu instid0(VALU_DEP_2)
	v_and_b32_e32 v7, 0xffff, v7
.LBB8_138:                              ; =>This Inner Loop Header: Depth=1
	s_delay_alu instid0(VALU_DEP_2) | instskip(NEXT) | instid1(VALU_DEP_2)
	v_bfe_i32 v9, v6, 0, 8
	v_mov_b32_e32 v5, v7
	s_delay_alu instid0(VALU_DEP_2) | instskip(NEXT) | instid1(VALU_DEP_2)
	v_cvt_f32_i32_e32 v31, v9
	v_bfe_i32 v7, v5, 0, 8
	s_delay_alu instid0(VALU_DEP_1) | instskip(SKIP_1) | instid1(VALU_DEP_2)
	v_cvt_f32_i32_e32 v8, v7
	v_xor_b32_e32 v7, v9, v7
	v_rcp_iflag_f32_e32 v30, v8
	v_nop
	s_delay_alu instid0(TRANS32_DEP_1) | instskip(NEXT) | instid1(VALU_DEP_1)
	v_dual_ashrrev_i32 v7, 30, v7 :: v_dual_mul_f32 v9, v31, v30
	v_trunc_f32_e32 v9, v9
	s_delay_alu instid0(VALU_DEP_1) | instskip(SKIP_1) | instid1(VALU_DEP_2)
	v_dual_fma_f32 v30, -v9, v8, v31 :: v_dual_bitop2_b32 v7, 1, v7 bitop3:0x54
	v_cvt_i32_f32_e32 v9, v9
	v_cmp_ge_f32_e64 s0, |v30|, |v8|
	s_delay_alu instid0(VALU_DEP_1) | instskip(NEXT) | instid1(VALU_DEP_1)
	v_cndmask_b32_e64 v7, 0, v7, s0
	v_add_nc_u32_e32 v7, v9, v7
	s_delay_alu instid0(VALU_DEP_1) | instskip(NEXT) | instid1(VALU_DEP_1)
	v_mul_lo_u32 v7, v7, v5
	v_sub_nc_u32_e32 v6, v6, v7
	s_delay_alu instid0(VALU_DEP_1) | instskip(SKIP_1) | instid1(VALU_DEP_2)
	v_bfe_i32 v7, v6, 0, 8
	v_mov_b32_e32 v6, v5
	v_cmp_eq_u16_e64 s0, 0, v7
	v_and_b32_e32 v7, 0xffff, v7
	s_or_b32 s7, s0, s7
	s_delay_alu instid0(SALU_CYCLE_1)
	s_and_not1_b32 exec_lo, exec_lo, s7
	s_cbranch_execnz .LBB8_138
; %bb.139:
	s_or_b32 exec_lo, exec_lo, s7
.LBB8_140:
	s_delay_alu instid0(SALU_CYCLE_1) | instskip(NEXT) | instid1(VALU_DEP_2)
	s_or_b32 exec_lo, exec_lo, s6
	v_perm_b32 v1, v1, v5, 0x7000504
.LBB8_141:
	s_or_b32 exec_lo, exec_lo, s3
	v_or_b32_e32 v5, 0x700, v0
	s_mov_b32 s3, exec_lo
	s_delay_alu instid0(VALU_DEP_1)
	v_cmpx_gt_i32_e64 s1, v5
	s_cbranch_execz .LBB8_147
; %bb.142:
	v_bfe_i32 v5, v29, 0, 8
	v_and_b32_e32 v7, 0xff, v28
	s_mov_b32 s7, 0
	s_mov_b32 s6, exec_lo
	s_delay_alu instid0(VALU_DEP_2) | instskip(NEXT) | instid1(VALU_DEP_1)
	v_sub_nc_u16 v6, 0, v5
	v_max_i16 v5, v5, v6
	v_cmpx_ne_u16_e32 0, v7
	s_cbranch_execz .LBB8_146
; %bb.143:
	v_bfe_i32 v6, v28, 0, 8
	s_delay_alu instid0(VALU_DEP_1) | instskip(NEXT) | instid1(VALU_DEP_1)
	v_sub_nc_u16 v7, 0, v6
	v_max_i16 v7, v6, v7
	v_and_b32_e32 v6, 0xff, v5
	s_delay_alu instid0(VALU_DEP_2)
	v_and_b32_e32 v7, 0xffff, v7
.LBB8_144:                              ; =>This Inner Loop Header: Depth=1
	s_delay_alu instid0(VALU_DEP_2) | instskip(NEXT) | instid1(VALU_DEP_2)
	v_bfe_i32 v9, v6, 0, 8
	v_mov_b32_e32 v5, v7
	s_delay_alu instid0(VALU_DEP_2) | instskip(NEXT) | instid1(VALU_DEP_2)
	v_cvt_f32_i32_e32 v29, v9
	v_bfe_i32 v7, v5, 0, 8
	s_delay_alu instid0(VALU_DEP_1) | instskip(SKIP_1) | instid1(VALU_DEP_2)
	v_cvt_f32_i32_e32 v8, v7
	v_xor_b32_e32 v7, v9, v7
	v_rcp_iflag_f32_e32 v28, v8
	v_nop
	s_delay_alu instid0(TRANS32_DEP_1) | instskip(NEXT) | instid1(VALU_DEP_1)
	v_dual_ashrrev_i32 v7, 30, v7 :: v_dual_mul_f32 v9, v29, v28
	v_trunc_f32_e32 v9, v9
	s_delay_alu instid0(VALU_DEP_1) | instskip(SKIP_1) | instid1(VALU_DEP_2)
	v_dual_fma_f32 v28, -v9, v8, v29 :: v_dual_bitop2_b32 v7, 1, v7 bitop3:0x54
	v_cvt_i32_f32_e32 v9, v9
	v_cmp_ge_f32_e64 s0, |v28|, |v8|
	s_delay_alu instid0(VALU_DEP_1) | instskip(NEXT) | instid1(VALU_DEP_1)
	v_cndmask_b32_e64 v7, 0, v7, s0
	v_add_nc_u32_e32 v7, v9, v7
	s_delay_alu instid0(VALU_DEP_1) | instskip(NEXT) | instid1(VALU_DEP_1)
	v_mul_lo_u32 v7, v7, v5
	v_sub_nc_u32_e32 v6, v6, v7
	s_delay_alu instid0(VALU_DEP_1) | instskip(SKIP_1) | instid1(VALU_DEP_2)
	v_bfe_i32 v7, v6, 0, 8
	v_mov_b32_e32 v6, v5
	v_cmp_eq_u16_e64 s0, 0, v7
	v_and_b32_e32 v7, 0xffff, v7
	s_or_b32 s7, s0, s7
	s_delay_alu instid0(SALU_CYCLE_1)
	s_and_not1_b32 exec_lo, exec_lo, s7
	s_cbranch_execnz .LBB8_144
; %bb.145:
	s_or_b32 exec_lo, exec_lo, s7
.LBB8_146:
	s_delay_alu instid0(SALU_CYCLE_1) | instskip(NEXT) | instid1(VALU_DEP_2)
	s_or_b32 exec_lo, exec_lo, s6
	v_perm_b32 v1, v1, v5, 0x60504
.LBB8_147:
	s_or_b32 exec_lo, exec_lo, s3
	v_or_b32_e32 v5, 0x800, v0
	s_mov_b32 s3, exec_lo
	s_delay_alu instid0(VALU_DEP_1)
	v_cmpx_gt_i32_e64 s1, v5
	s_cbranch_execz .LBB8_153
; %bb.148:
	v_bfe_i32 v5, v27, 0, 8
	v_and_b32_e32 v7, 0xff, v26
	s_mov_b32 s7, 0
	s_mov_b32 s6, exec_lo
	s_delay_alu instid0(VALU_DEP_2) | instskip(NEXT) | instid1(VALU_DEP_1)
	v_sub_nc_u16 v6, 0, v5
	v_max_i16 v5, v5, v6
	v_cmpx_ne_u16_e32 0, v7
	s_cbranch_execz .LBB8_152
; %bb.149:
	v_bfe_i32 v6, v26, 0, 8
	s_delay_alu instid0(VALU_DEP_1) | instskip(NEXT) | instid1(VALU_DEP_1)
	v_sub_nc_u16 v7, 0, v6
	v_max_i16 v7, v6, v7
	v_and_b32_e32 v6, 0xff, v5
	s_delay_alu instid0(VALU_DEP_2)
	v_and_b32_e32 v7, 0xffff, v7
.LBB8_150:                              ; =>This Inner Loop Header: Depth=1
	s_delay_alu instid0(VALU_DEP_2) | instskip(NEXT) | instid1(VALU_DEP_2)
	v_bfe_i32 v9, v6, 0, 8
	v_mov_b32_e32 v5, v7
	s_delay_alu instid0(VALU_DEP_2) | instskip(NEXT) | instid1(VALU_DEP_2)
	v_cvt_f32_i32_e32 v27, v9
	v_bfe_i32 v7, v5, 0, 8
	s_delay_alu instid0(VALU_DEP_1) | instskip(SKIP_1) | instid1(VALU_DEP_2)
	v_cvt_f32_i32_e32 v8, v7
	v_xor_b32_e32 v7, v9, v7
	v_rcp_iflag_f32_e32 v26, v8
	v_nop
	s_delay_alu instid0(TRANS32_DEP_1) | instskip(NEXT) | instid1(VALU_DEP_1)
	v_dual_ashrrev_i32 v7, 30, v7 :: v_dual_mul_f32 v9, v27, v26
	v_trunc_f32_e32 v9, v9
	s_delay_alu instid0(VALU_DEP_1) | instskip(SKIP_1) | instid1(VALU_DEP_2)
	v_dual_fma_f32 v26, -v9, v8, v27 :: v_dual_bitop2_b32 v7, 1, v7 bitop3:0x54
	v_cvt_i32_f32_e32 v9, v9
	v_cmp_ge_f32_e64 s0, |v26|, |v8|
	s_delay_alu instid0(VALU_DEP_1) | instskip(NEXT) | instid1(VALU_DEP_1)
	v_cndmask_b32_e64 v7, 0, v7, s0
	v_add_nc_u32_e32 v7, v9, v7
	s_delay_alu instid0(VALU_DEP_1) | instskip(NEXT) | instid1(VALU_DEP_1)
	v_mul_lo_u32 v7, v7, v5
	v_sub_nc_u32_e32 v6, v6, v7
	s_delay_alu instid0(VALU_DEP_1) | instskip(SKIP_1) | instid1(VALU_DEP_2)
	v_bfe_i32 v7, v6, 0, 8
	v_mov_b32_e32 v6, v5
	v_cmp_eq_u16_e64 s0, 0, v7
	v_and_b32_e32 v7, 0xffff, v7
	s_or_b32 s7, s0, s7
	s_delay_alu instid0(SALU_CYCLE_1)
	s_and_not1_b32 exec_lo, exec_lo, s7
	s_cbranch_execnz .LBB8_150
; %bb.151:
	s_or_b32 exec_lo, exec_lo, s7
.LBB8_152:
	s_delay_alu instid0(SALU_CYCLE_1) | instskip(NEXT) | instid1(VALU_DEP_2)
	s_or_b32 exec_lo, exec_lo, s6
	v_perm_b32 v4, v5, v4, 0x3020104
.LBB8_153:
	s_or_b32 exec_lo, exec_lo, s3
	v_or_b32_e32 v5, 0x900, v0
	s_mov_b32 s3, exec_lo
	s_delay_alu instid0(VALU_DEP_1)
	v_cmpx_gt_i32_e64 s1, v5
	s_cbranch_execz .LBB8_159
; %bb.154:
	v_bfe_i32 v5, v25, 0, 8
	v_and_b32_e32 v7, 0xff, v24
	s_mov_b32 s7, 0
	s_mov_b32 s6, exec_lo
	s_delay_alu instid0(VALU_DEP_2) | instskip(NEXT) | instid1(VALU_DEP_1)
	v_sub_nc_u16 v6, 0, v5
	v_max_i16 v5, v5, v6
	v_cmpx_ne_u16_e32 0, v7
	s_cbranch_execz .LBB8_158
; %bb.155:
	v_bfe_i32 v6, v24, 0, 8
	s_delay_alu instid0(VALU_DEP_1) | instskip(NEXT) | instid1(VALU_DEP_1)
	v_sub_nc_u16 v7, 0, v6
	v_max_i16 v7, v6, v7
	v_and_b32_e32 v6, 0xff, v5
	s_delay_alu instid0(VALU_DEP_2)
	v_and_b32_e32 v7, 0xffff, v7
.LBB8_156:                              ; =>This Inner Loop Header: Depth=1
	s_delay_alu instid0(VALU_DEP_2) | instskip(NEXT) | instid1(VALU_DEP_2)
	v_bfe_i32 v9, v6, 0, 8
	v_mov_b32_e32 v5, v7
	s_delay_alu instid0(VALU_DEP_2) | instskip(NEXT) | instid1(VALU_DEP_2)
	v_cvt_f32_i32_e32 v25, v9
	v_bfe_i32 v7, v5, 0, 8
	s_delay_alu instid0(VALU_DEP_1) | instskip(SKIP_1) | instid1(VALU_DEP_2)
	v_cvt_f32_i32_e32 v8, v7
	v_xor_b32_e32 v7, v9, v7
	v_rcp_iflag_f32_e32 v24, v8
	v_nop
	s_delay_alu instid0(TRANS32_DEP_1) | instskip(NEXT) | instid1(VALU_DEP_1)
	v_dual_ashrrev_i32 v7, 30, v7 :: v_dual_mul_f32 v9, v25, v24
	v_trunc_f32_e32 v9, v9
	s_delay_alu instid0(VALU_DEP_1) | instskip(SKIP_1) | instid1(VALU_DEP_2)
	v_dual_fma_f32 v24, -v9, v8, v25 :: v_dual_bitop2_b32 v7, 1, v7 bitop3:0x54
	v_cvt_i32_f32_e32 v9, v9
	v_cmp_ge_f32_e64 s0, |v24|, |v8|
	s_delay_alu instid0(VALU_DEP_1) | instskip(NEXT) | instid1(VALU_DEP_1)
	v_cndmask_b32_e64 v7, 0, v7, s0
	v_add_nc_u32_e32 v7, v9, v7
	s_delay_alu instid0(VALU_DEP_1) | instskip(NEXT) | instid1(VALU_DEP_1)
	v_mul_lo_u32 v7, v7, v5
	v_sub_nc_u32_e32 v6, v6, v7
	s_delay_alu instid0(VALU_DEP_1) | instskip(SKIP_1) | instid1(VALU_DEP_2)
	v_bfe_i32 v7, v6, 0, 8
	v_mov_b32_e32 v6, v5
	v_cmp_eq_u16_e64 s0, 0, v7
	v_and_b32_e32 v7, 0xffff, v7
	s_or_b32 s7, s0, s7
	s_delay_alu instid0(SALU_CYCLE_1)
	s_and_not1_b32 exec_lo, exec_lo, s7
	s_cbranch_execnz .LBB8_156
; %bb.157:
	s_or_b32 exec_lo, exec_lo, s7
.LBB8_158:
	s_delay_alu instid0(SALU_CYCLE_1) | instskip(NEXT) | instid1(VALU_DEP_2)
	s_or_b32 exec_lo, exec_lo, s6
	v_perm_b32 v4, v4, v5, 0x7060004
.LBB8_159:
	s_or_b32 exec_lo, exec_lo, s3
	v_or_b32_e32 v5, 0xa00, v0
	s_mov_b32 s3, exec_lo
	s_delay_alu instid0(VALU_DEP_1)
	v_cmpx_gt_i32_e64 s1, v5
	s_cbranch_execz .LBB8_165
; %bb.160:
	v_bfe_i32 v5, v23, 0, 8
	v_and_b32_e32 v7, 0xff, v22
	s_mov_b32 s7, 0
	s_mov_b32 s6, exec_lo
	s_delay_alu instid0(VALU_DEP_2) | instskip(NEXT) | instid1(VALU_DEP_1)
	v_sub_nc_u16 v6, 0, v5
	v_max_i16 v5, v5, v6
	v_cmpx_ne_u16_e32 0, v7
	s_cbranch_execz .LBB8_164
; %bb.161:
	v_bfe_i32 v6, v22, 0, 8
	s_delay_alu instid0(VALU_DEP_1) | instskip(NEXT) | instid1(VALU_DEP_1)
	v_sub_nc_u16 v7, 0, v6
	v_max_i16 v7, v6, v7
	v_and_b32_e32 v6, 0xff, v5
	s_delay_alu instid0(VALU_DEP_2)
	v_and_b32_e32 v7, 0xffff, v7
.LBB8_162:                              ; =>This Inner Loop Header: Depth=1
	s_delay_alu instid0(VALU_DEP_2) | instskip(NEXT) | instid1(VALU_DEP_2)
	v_bfe_i32 v9, v6, 0, 8
	v_mov_b32_e32 v5, v7
	s_delay_alu instid0(VALU_DEP_2) | instskip(NEXT) | instid1(VALU_DEP_2)
	v_cvt_f32_i32_e32 v23, v9
	v_bfe_i32 v7, v5, 0, 8
	s_delay_alu instid0(VALU_DEP_1) | instskip(SKIP_1) | instid1(VALU_DEP_2)
	v_cvt_f32_i32_e32 v8, v7
	v_xor_b32_e32 v7, v9, v7
	v_rcp_iflag_f32_e32 v22, v8
	v_nop
	s_delay_alu instid0(TRANS32_DEP_1) | instskip(NEXT) | instid1(VALU_DEP_1)
	v_dual_ashrrev_i32 v7, 30, v7 :: v_dual_mul_f32 v9, v23, v22
	v_trunc_f32_e32 v9, v9
	s_delay_alu instid0(VALU_DEP_1) | instskip(SKIP_1) | instid1(VALU_DEP_2)
	v_dual_fma_f32 v22, -v9, v8, v23 :: v_dual_bitop2_b32 v7, 1, v7 bitop3:0x54
	v_cvt_i32_f32_e32 v9, v9
	v_cmp_ge_f32_e64 s0, |v22|, |v8|
	s_delay_alu instid0(VALU_DEP_1) | instskip(NEXT) | instid1(VALU_DEP_1)
	v_cndmask_b32_e64 v7, 0, v7, s0
	v_add_nc_u32_e32 v7, v9, v7
	s_delay_alu instid0(VALU_DEP_1) | instskip(NEXT) | instid1(VALU_DEP_1)
	v_mul_lo_u32 v7, v7, v5
	v_sub_nc_u32_e32 v6, v6, v7
	s_delay_alu instid0(VALU_DEP_1) | instskip(SKIP_1) | instid1(VALU_DEP_2)
	v_bfe_i32 v7, v6, 0, 8
	v_mov_b32_e32 v6, v5
	v_cmp_eq_u16_e64 s0, 0, v7
	v_and_b32_e32 v7, 0xffff, v7
	s_or_b32 s7, s0, s7
	s_delay_alu instid0(SALU_CYCLE_1)
	s_and_not1_b32 exec_lo, exec_lo, s7
	s_cbranch_execnz .LBB8_162
; %bb.163:
	s_or_b32 exec_lo, exec_lo, s7
.LBB8_164:
	s_delay_alu instid0(SALU_CYCLE_1) | instskip(NEXT) | instid1(VALU_DEP_2)
	s_or_b32 exec_lo, exec_lo, s6
	v_perm_b32 v4, v4, v5, 0x7000504
.LBB8_165:
	s_or_b32 exec_lo, exec_lo, s3
	v_or_b32_e32 v5, 0xb00, v0
	s_mov_b32 s3, exec_lo
	s_delay_alu instid0(VALU_DEP_1)
	v_cmpx_gt_i32_e64 s1, v5
	s_cbranch_execz .LBB8_171
; %bb.166:
	v_bfe_i32 v5, v21, 0, 8
	v_and_b32_e32 v7, 0xff, v20
	s_mov_b32 s7, 0
	s_mov_b32 s6, exec_lo
	s_delay_alu instid0(VALU_DEP_2) | instskip(NEXT) | instid1(VALU_DEP_1)
	v_sub_nc_u16 v6, 0, v5
	v_max_i16 v5, v5, v6
	v_cmpx_ne_u16_e32 0, v7
	s_cbranch_execz .LBB8_170
; %bb.167:
	v_bfe_i32 v6, v20, 0, 8
	s_delay_alu instid0(VALU_DEP_1) | instskip(NEXT) | instid1(VALU_DEP_1)
	v_sub_nc_u16 v7, 0, v6
	v_max_i16 v7, v6, v7
	v_and_b32_e32 v6, 0xff, v5
	s_delay_alu instid0(VALU_DEP_2)
	v_and_b32_e32 v7, 0xffff, v7
.LBB8_168:                              ; =>This Inner Loop Header: Depth=1
	s_delay_alu instid0(VALU_DEP_2) | instskip(NEXT) | instid1(VALU_DEP_2)
	v_bfe_i32 v9, v6, 0, 8
	v_mov_b32_e32 v5, v7
	s_delay_alu instid0(VALU_DEP_2) | instskip(NEXT) | instid1(VALU_DEP_2)
	v_cvt_f32_i32_e32 v21, v9
	v_bfe_i32 v7, v5, 0, 8
	s_delay_alu instid0(VALU_DEP_1) | instskip(SKIP_1) | instid1(VALU_DEP_2)
	v_cvt_f32_i32_e32 v8, v7
	v_xor_b32_e32 v7, v9, v7
	v_rcp_iflag_f32_e32 v20, v8
	v_nop
	s_delay_alu instid0(TRANS32_DEP_1) | instskip(NEXT) | instid1(VALU_DEP_1)
	v_dual_ashrrev_i32 v7, 30, v7 :: v_dual_mul_f32 v9, v21, v20
	v_trunc_f32_e32 v9, v9
	s_delay_alu instid0(VALU_DEP_1) | instskip(SKIP_1) | instid1(VALU_DEP_2)
	v_dual_fma_f32 v20, -v9, v8, v21 :: v_dual_bitop2_b32 v7, 1, v7 bitop3:0x54
	v_cvt_i32_f32_e32 v9, v9
	v_cmp_ge_f32_e64 s0, |v20|, |v8|
	s_delay_alu instid0(VALU_DEP_1) | instskip(NEXT) | instid1(VALU_DEP_1)
	v_cndmask_b32_e64 v7, 0, v7, s0
	v_add_nc_u32_e32 v7, v9, v7
	s_delay_alu instid0(VALU_DEP_1) | instskip(NEXT) | instid1(VALU_DEP_1)
	v_mul_lo_u32 v7, v7, v5
	v_sub_nc_u32_e32 v6, v6, v7
	s_delay_alu instid0(VALU_DEP_1) | instskip(SKIP_1) | instid1(VALU_DEP_2)
	v_bfe_i32 v7, v6, 0, 8
	v_mov_b32_e32 v6, v5
	v_cmp_eq_u16_e64 s0, 0, v7
	v_and_b32_e32 v7, 0xffff, v7
	s_or_b32 s7, s0, s7
	s_delay_alu instid0(SALU_CYCLE_1)
	s_and_not1_b32 exec_lo, exec_lo, s7
	s_cbranch_execnz .LBB8_168
; %bb.169:
	s_or_b32 exec_lo, exec_lo, s7
.LBB8_170:
	s_delay_alu instid0(SALU_CYCLE_1) | instskip(NEXT) | instid1(VALU_DEP_2)
	s_or_b32 exec_lo, exec_lo, s6
	v_perm_b32 v4, v4, v5, 0x60504
.LBB8_171:
	s_or_b32 exec_lo, exec_lo, s3
	v_or_b32_e32 v5, 0xc00, v0
	s_mov_b32 s3, exec_lo
	s_delay_alu instid0(VALU_DEP_1)
	v_cmpx_gt_i32_e64 s1, v5
	s_cbranch_execz .LBB8_177
; %bb.172:
	v_bfe_i32 v5, v19, 0, 8
	v_and_b32_e32 v7, 0xff, v18
	s_mov_b32 s7, 0
	s_mov_b32 s6, exec_lo
	s_delay_alu instid0(VALU_DEP_2) | instskip(NEXT) | instid1(VALU_DEP_1)
	v_sub_nc_u16 v6, 0, v5
	v_max_i16 v5, v5, v6
	v_cmpx_ne_u16_e32 0, v7
	s_cbranch_execz .LBB8_176
; %bb.173:
	v_bfe_i32 v6, v18, 0, 8
	s_delay_alu instid0(VALU_DEP_1) | instskip(NEXT) | instid1(VALU_DEP_1)
	v_sub_nc_u16 v7, 0, v6
	v_max_i16 v7, v6, v7
	v_and_b32_e32 v6, 0xff, v5
	s_delay_alu instid0(VALU_DEP_2)
	v_and_b32_e32 v7, 0xffff, v7
.LBB8_174:                              ; =>This Inner Loop Header: Depth=1
	s_delay_alu instid0(VALU_DEP_2) | instskip(NEXT) | instid1(VALU_DEP_2)
	v_bfe_i32 v9, v6, 0, 8
	v_mov_b32_e32 v5, v7
	s_delay_alu instid0(VALU_DEP_2) | instskip(NEXT) | instid1(VALU_DEP_2)
	v_cvt_f32_i32_e32 v19, v9
	v_bfe_i32 v7, v5, 0, 8
	s_delay_alu instid0(VALU_DEP_1) | instskip(SKIP_1) | instid1(VALU_DEP_2)
	v_cvt_f32_i32_e32 v8, v7
	v_xor_b32_e32 v7, v9, v7
	v_rcp_iflag_f32_e32 v18, v8
	v_nop
	s_delay_alu instid0(TRANS32_DEP_1) | instskip(NEXT) | instid1(VALU_DEP_1)
	v_dual_ashrrev_i32 v7, 30, v7 :: v_dual_mul_f32 v9, v19, v18
	v_trunc_f32_e32 v9, v9
	s_delay_alu instid0(VALU_DEP_1) | instskip(SKIP_1) | instid1(VALU_DEP_2)
	v_dual_fma_f32 v18, -v9, v8, v19 :: v_dual_bitop2_b32 v7, 1, v7 bitop3:0x54
	v_cvt_i32_f32_e32 v9, v9
	v_cmp_ge_f32_e64 s0, |v18|, |v8|
	s_delay_alu instid0(VALU_DEP_1) | instskip(NEXT) | instid1(VALU_DEP_1)
	v_cndmask_b32_e64 v7, 0, v7, s0
	v_add_nc_u32_e32 v7, v9, v7
	s_delay_alu instid0(VALU_DEP_1) | instskip(NEXT) | instid1(VALU_DEP_1)
	v_mul_lo_u32 v7, v7, v5
	v_sub_nc_u32_e32 v6, v6, v7
	s_delay_alu instid0(VALU_DEP_1) | instskip(SKIP_1) | instid1(VALU_DEP_2)
	v_bfe_i32 v7, v6, 0, 8
	v_mov_b32_e32 v6, v5
	v_cmp_eq_u16_e64 s0, 0, v7
	v_and_b32_e32 v7, 0xffff, v7
	s_or_b32 s7, s0, s7
	s_delay_alu instid0(SALU_CYCLE_1)
	s_and_not1_b32 exec_lo, exec_lo, s7
	s_cbranch_execnz .LBB8_174
; %bb.175:
	s_or_b32 exec_lo, exec_lo, s7
.LBB8_176:
	s_delay_alu instid0(SALU_CYCLE_1) | instskip(NEXT) | instid1(VALU_DEP_2)
	s_or_b32 exec_lo, exec_lo, s6
	v_perm_b32 v3, v5, v3, 0x3020104
.LBB8_177:
	s_or_b32 exec_lo, exec_lo, s3
	v_or_b32_e32 v5, 0xd00, v0
	s_mov_b32 s3, exec_lo
	s_delay_alu instid0(VALU_DEP_1)
	v_cmpx_gt_i32_e64 s1, v5
	s_cbranch_execz .LBB8_183
; %bb.178:
	v_bfe_i32 v5, v17, 0, 8
	v_and_b32_e32 v7, 0xff, v16
	s_mov_b32 s7, 0
	s_mov_b32 s6, exec_lo
	s_delay_alu instid0(VALU_DEP_2) | instskip(NEXT) | instid1(VALU_DEP_1)
	v_sub_nc_u16 v6, 0, v5
	v_max_i16 v5, v5, v6
	v_cmpx_ne_u16_e32 0, v7
	s_cbranch_execz .LBB8_182
; %bb.179:
	v_bfe_i32 v6, v16, 0, 8
	s_delay_alu instid0(VALU_DEP_1) | instskip(NEXT) | instid1(VALU_DEP_1)
	v_sub_nc_u16 v7, 0, v6
	v_max_i16 v7, v6, v7
	v_and_b32_e32 v6, 0xff, v5
	s_delay_alu instid0(VALU_DEP_2)
	v_and_b32_e32 v7, 0xffff, v7
.LBB8_180:                              ; =>This Inner Loop Header: Depth=1
	s_delay_alu instid0(VALU_DEP_2) | instskip(NEXT) | instid1(VALU_DEP_2)
	v_bfe_i32 v9, v6, 0, 8
	v_mov_b32_e32 v5, v7
	s_delay_alu instid0(VALU_DEP_2) | instskip(NEXT) | instid1(VALU_DEP_2)
	v_cvt_f32_i32_e32 v17, v9
	v_bfe_i32 v7, v5, 0, 8
	s_delay_alu instid0(VALU_DEP_1) | instskip(SKIP_1) | instid1(VALU_DEP_2)
	v_cvt_f32_i32_e32 v8, v7
	v_xor_b32_e32 v7, v9, v7
	v_rcp_iflag_f32_e32 v16, v8
	v_nop
	s_delay_alu instid0(TRANS32_DEP_1) | instskip(NEXT) | instid1(VALU_DEP_1)
	v_dual_ashrrev_i32 v7, 30, v7 :: v_dual_mul_f32 v9, v17, v16
	v_trunc_f32_e32 v9, v9
	s_delay_alu instid0(VALU_DEP_1) | instskip(SKIP_1) | instid1(VALU_DEP_2)
	v_dual_fma_f32 v16, -v9, v8, v17 :: v_dual_bitop2_b32 v7, 1, v7 bitop3:0x54
	v_cvt_i32_f32_e32 v9, v9
	v_cmp_ge_f32_e64 s0, |v16|, |v8|
	s_delay_alu instid0(VALU_DEP_1) | instskip(NEXT) | instid1(VALU_DEP_1)
	v_cndmask_b32_e64 v7, 0, v7, s0
	v_add_nc_u32_e32 v7, v9, v7
	s_delay_alu instid0(VALU_DEP_1) | instskip(NEXT) | instid1(VALU_DEP_1)
	v_mul_lo_u32 v7, v7, v5
	v_sub_nc_u32_e32 v6, v6, v7
	s_delay_alu instid0(VALU_DEP_1) | instskip(SKIP_1) | instid1(VALU_DEP_2)
	v_bfe_i32 v7, v6, 0, 8
	v_mov_b32_e32 v6, v5
	v_cmp_eq_u16_e64 s0, 0, v7
	v_and_b32_e32 v7, 0xffff, v7
	s_or_b32 s7, s0, s7
	s_delay_alu instid0(SALU_CYCLE_1)
	s_and_not1_b32 exec_lo, exec_lo, s7
	s_cbranch_execnz .LBB8_180
; %bb.181:
	s_or_b32 exec_lo, exec_lo, s7
.LBB8_182:
	s_delay_alu instid0(SALU_CYCLE_1) | instskip(NEXT) | instid1(VALU_DEP_2)
	s_or_b32 exec_lo, exec_lo, s6
	v_perm_b32 v3, v3, v5, 0x7060004
.LBB8_183:
	s_or_b32 exec_lo, exec_lo, s3
	v_or_b32_e32 v5, 0xe00, v0
	s_mov_b32 s3, exec_lo
	s_delay_alu instid0(VALU_DEP_1)
	v_cmpx_gt_i32_e64 s1, v5
	s_cbranch_execz .LBB8_189
; %bb.184:
	v_bfe_i32 v5, v15, 0, 8
	v_and_b32_e32 v7, 0xff, v14
	s_mov_b32 s7, 0
	s_mov_b32 s6, exec_lo
	s_delay_alu instid0(VALU_DEP_2) | instskip(NEXT) | instid1(VALU_DEP_1)
	v_sub_nc_u16 v6, 0, v5
	v_max_i16 v5, v5, v6
	v_cmpx_ne_u16_e32 0, v7
	s_cbranch_execz .LBB8_188
; %bb.185:
	v_bfe_i32 v6, v14, 0, 8
	s_delay_alu instid0(VALU_DEP_1) | instskip(NEXT) | instid1(VALU_DEP_1)
	v_sub_nc_u16 v7, 0, v6
	v_max_i16 v7, v6, v7
	v_and_b32_e32 v6, 0xff, v5
	s_delay_alu instid0(VALU_DEP_2)
	v_and_b32_e32 v7, 0xffff, v7
.LBB8_186:                              ; =>This Inner Loop Header: Depth=1
	s_delay_alu instid0(VALU_DEP_2) | instskip(NEXT) | instid1(VALU_DEP_2)
	v_bfe_i32 v9, v6, 0, 8
	v_mov_b32_e32 v5, v7
	s_delay_alu instid0(VALU_DEP_2) | instskip(NEXT) | instid1(VALU_DEP_2)
	v_cvt_f32_i32_e32 v15, v9
	v_bfe_i32 v7, v5, 0, 8
	s_delay_alu instid0(VALU_DEP_1) | instskip(SKIP_1) | instid1(VALU_DEP_2)
	v_cvt_f32_i32_e32 v8, v7
	v_xor_b32_e32 v7, v9, v7
	v_rcp_iflag_f32_e32 v14, v8
	v_nop
	s_delay_alu instid0(TRANS32_DEP_1) | instskip(NEXT) | instid1(VALU_DEP_1)
	v_dual_ashrrev_i32 v7, 30, v7 :: v_dual_mul_f32 v9, v15, v14
	v_trunc_f32_e32 v9, v9
	s_delay_alu instid0(VALU_DEP_1) | instskip(SKIP_1) | instid1(VALU_DEP_2)
	v_dual_fma_f32 v14, -v9, v8, v15 :: v_dual_bitop2_b32 v7, 1, v7 bitop3:0x54
	v_cvt_i32_f32_e32 v9, v9
	v_cmp_ge_f32_e64 s0, |v14|, |v8|
	s_delay_alu instid0(VALU_DEP_1) | instskip(NEXT) | instid1(VALU_DEP_1)
	v_cndmask_b32_e64 v7, 0, v7, s0
	v_add_nc_u32_e32 v7, v9, v7
	s_delay_alu instid0(VALU_DEP_1) | instskip(NEXT) | instid1(VALU_DEP_1)
	v_mul_lo_u32 v7, v7, v5
	v_sub_nc_u32_e32 v6, v6, v7
	s_delay_alu instid0(VALU_DEP_1) | instskip(SKIP_1) | instid1(VALU_DEP_2)
	v_bfe_i32 v7, v6, 0, 8
	v_mov_b32_e32 v6, v5
	v_cmp_eq_u16_e64 s0, 0, v7
	v_and_b32_e32 v7, 0xffff, v7
	s_or_b32 s7, s0, s7
	s_delay_alu instid0(SALU_CYCLE_1)
	s_and_not1_b32 exec_lo, exec_lo, s7
	s_cbranch_execnz .LBB8_186
; %bb.187:
	s_or_b32 exec_lo, exec_lo, s7
.LBB8_188:
	s_delay_alu instid0(SALU_CYCLE_1) | instskip(NEXT) | instid1(VALU_DEP_2)
	s_or_b32 exec_lo, exec_lo, s6
	v_perm_b32 v3, v3, v5, 0x7000504
.LBB8_189:
	s_or_b32 exec_lo, exec_lo, s3
	v_or_b32_e32 v5, 0xf00, v0
	s_mov_b32 s3, exec_lo
	s_delay_alu instid0(VALU_DEP_1)
	v_cmpx_gt_i32_e64 s1, v5
	s_cbranch_execnz .LBB8_208
; %bb.190:
	s_or_b32 exec_lo, exec_lo, s3
	s_and_saveexec_b32 s0, vcc_lo
	s_delay_alu instid0(SALU_CYCLE_1)
	s_xor_b32 s0, exec_lo, s0
	s_cbranch_execnz .LBB8_213
.LBB8_191:
	s_or_b32 exec_lo, exec_lo, s0
	s_delay_alu instid0(SALU_CYCLE_1)
	s_mov_b32 s0, exec_lo
	v_cmpx_gt_i32_e64 s1, v0
	s_cbranch_execnz .LBB8_214
.LBB8_192:
	s_or_b32 exec_lo, exec_lo, s0
	s_delay_alu instid0(SALU_CYCLE_1)
	s_mov_b32 s0, exec_lo
	v_cmpx_gt_i32_e64 s1, v0
	s_cbranch_execnz .LBB8_215
.LBB8_193:
	s_or_b32 exec_lo, exec_lo, s0
	s_delay_alu instid0(SALU_CYCLE_1)
	s_mov_b32 s0, exec_lo
	v_cmpx_gt_i32_e64 s1, v0
	s_cbranch_execnz .LBB8_216
.LBB8_194:
	s_or_b32 exec_lo, exec_lo, s0
	s_delay_alu instid0(SALU_CYCLE_1)
	s_mov_b32 s0, exec_lo
	v_cmpx_gt_i32_e64 s1, v0
	s_cbranch_execnz .LBB8_217
.LBB8_195:
	s_or_b32 exec_lo, exec_lo, s0
	s_delay_alu instid0(SALU_CYCLE_1)
	s_mov_b32 s0, exec_lo
	v_cmpx_gt_i32_e64 s1, v0
	s_cbranch_execnz .LBB8_218
.LBB8_196:
	s_or_b32 exec_lo, exec_lo, s0
	s_delay_alu instid0(SALU_CYCLE_1)
	s_mov_b32 s0, exec_lo
	v_cmpx_gt_i32_e64 s1, v0
	s_cbranch_execnz .LBB8_219
.LBB8_197:
	s_or_b32 exec_lo, exec_lo, s0
	s_delay_alu instid0(SALU_CYCLE_1)
	s_mov_b32 s0, exec_lo
	v_cmpx_gt_i32_e64 s1, v0
	s_cbranch_execnz .LBB8_220
.LBB8_198:
	s_or_b32 exec_lo, exec_lo, s0
	s_delay_alu instid0(SALU_CYCLE_1)
	s_mov_b32 s0, exec_lo
	v_cmpx_gt_i32_e64 s1, v0
	s_cbranch_execnz .LBB8_221
.LBB8_199:
	s_or_b32 exec_lo, exec_lo, s0
	s_delay_alu instid0(SALU_CYCLE_1)
	s_mov_b32 s0, exec_lo
	v_cmpx_gt_i32_e64 s1, v0
	s_cbranch_execnz .LBB8_222
.LBB8_200:
	s_or_b32 exec_lo, exec_lo, s0
	s_delay_alu instid0(SALU_CYCLE_1)
	s_mov_b32 s0, exec_lo
	v_cmpx_gt_i32_e64 s1, v0
	s_cbranch_execnz .LBB8_223
.LBB8_201:
	s_or_b32 exec_lo, exec_lo, s0
	s_delay_alu instid0(SALU_CYCLE_1)
	s_mov_b32 s0, exec_lo
	v_cmpx_gt_i32_e64 s1, v0
	s_cbranch_execnz .LBB8_224
.LBB8_202:
	s_or_b32 exec_lo, exec_lo, s0
	s_delay_alu instid0(SALU_CYCLE_1)
	s_mov_b32 s0, exec_lo
	v_cmpx_gt_i32_e64 s1, v0
	s_cbranch_execnz .LBB8_225
.LBB8_203:
	s_or_b32 exec_lo, exec_lo, s0
	s_delay_alu instid0(SALU_CYCLE_1)
	s_mov_b32 s0, exec_lo
	v_cmpx_gt_i32_e64 s1, v0
	s_cbranch_execnz .LBB8_226
.LBB8_204:
	s_or_b32 exec_lo, exec_lo, s0
	s_delay_alu instid0(SALU_CYCLE_1)
	s_mov_b32 s0, exec_lo
	v_cmpx_gt_i32_e64 s1, v0
	s_cbranch_execnz .LBB8_227
.LBB8_205:
	s_or_b32 exec_lo, exec_lo, s0
	s_delay_alu instid0(SALU_CYCLE_1)
	s_mov_b32 s0, exec_lo
	v_cmpx_gt_i32_e64 s1, v0
	s_cbranch_execz .LBB8_207
.LBB8_206:
	v_dual_lshrrev_b32 v1, 24, v3 :: v_dual_add_nc_u32 v0, s2, v0
	global_store_b8 v0, v1, s[4:5]
.LBB8_207:
	s_endpgm
.LBB8_208:
	v_and_b32_e32 v5, 0xff, v13
	s_mov_b32 s7, 0
	s_mov_b32 s6, exec_lo
	s_delay_alu instid0(VALU_DEP_1)
	v_cmpx_ne_u16_e32 0, v5
	s_cbranch_execz .LBB8_212
; %bb.209:
	v_bfe_i32 v5, v13, 0, 8
	s_delay_alu instid0(VALU_DEP_1) | instskip(NEXT) | instid1(VALU_DEP_1)
	v_sub_nc_u16 v6, 0, v5
	v_max_i16 v6, v5, v6
	v_and_b32_e32 v5, 0xff, v12
	s_delay_alu instid0(VALU_DEP_2)
	v_and_b32_e32 v6, 0xffff, v6
.LBB8_210:                              ; =>This Inner Loop Header: Depth=1
	s_delay_alu instid0(VALU_DEP_2) | instskip(NEXT) | instid1(VALU_DEP_2)
	v_bfe_i32 v8, v5, 0, 8
	v_mov_b32_e32 v12, v6
	s_delay_alu instid0(VALU_DEP_2) | instskip(NEXT) | instid1(VALU_DEP_2)
	v_cvt_f32_i32_e32 v13, v8
	v_bfe_i32 v6, v12, 0, 8
	s_delay_alu instid0(VALU_DEP_1) | instskip(SKIP_1) | instid1(VALU_DEP_2)
	v_cvt_f32_i32_e32 v7, v6
	v_xor_b32_e32 v6, v8, v6
	v_rcp_iflag_f32_e32 v9, v7
	v_nop
	s_delay_alu instid0(TRANS32_DEP_1) | instskip(NEXT) | instid1(VALU_DEP_1)
	v_dual_ashrrev_i32 v6, 30, v6 :: v_dual_mul_f32 v8, v13, v9
	v_trunc_f32_e32 v8, v8
	s_delay_alu instid0(VALU_DEP_1) | instskip(SKIP_1) | instid1(VALU_DEP_2)
	v_dual_fma_f32 v9, -v8, v7, v13 :: v_dual_bitop2_b32 v6, 1, v6 bitop3:0x54
	v_cvt_i32_f32_e32 v8, v8
	v_cmp_ge_f32_e64 s0, |v9|, |v7|
	s_delay_alu instid0(VALU_DEP_1) | instskip(NEXT) | instid1(VALU_DEP_1)
	v_cndmask_b32_e64 v6, 0, v6, s0
	v_add_nc_u32_e32 v6, v8, v6
	s_delay_alu instid0(VALU_DEP_1) | instskip(NEXT) | instid1(VALU_DEP_1)
	v_mul_lo_u32 v6, v6, v12
	v_sub_nc_u32_e32 v5, v5, v6
	s_delay_alu instid0(VALU_DEP_1) | instskip(SKIP_1) | instid1(VALU_DEP_2)
	v_bfe_i32 v6, v5, 0, 8
	v_mov_b32_e32 v5, v12
	v_cmp_eq_u16_e64 s0, 0, v6
	v_and_b32_e32 v6, 0xffff, v6
	s_or_b32 s7, s0, s7
	s_delay_alu instid0(SALU_CYCLE_1)
	s_and_not1_b32 exec_lo, exec_lo, s7
	s_cbranch_execnz .LBB8_210
; %bb.211:
	s_or_b32 exec_lo, exec_lo, s7
.LBB8_212:
	s_delay_alu instid0(SALU_CYCLE_1) | instskip(SKIP_3) | instid1(SALU_CYCLE_1)
	s_or_b32 exec_lo, exec_lo, s6
	v_perm_b32 v3, v3, v12, 0x60504
	s_or_b32 exec_lo, exec_lo, s3
	s_and_saveexec_b32 s0, vcc_lo
	s_xor_b32 s0, exec_lo, s0
	s_cbranch_execz .LBB8_191
.LBB8_213:
	v_mov_b32_e32 v0, v11
	global_store_b8 v10, v2, s[4:5]
	s_wait_xcnt 0x0
	s_or_b32 exec_lo, exec_lo, s0
	s_delay_alu instid0(SALU_CYCLE_1)
	s_mov_b32 s0, exec_lo
	v_cmpx_gt_i32_e64 s1, v0
	s_cbranch_execz .LBB8_192
.LBB8_214:
	v_dual_lshrrev_b32 v5, 8, v2 :: v_dual_add_nc_u32 v6, s2, v0
	v_add_nc_u32_e32 v0, 0x100, v0
	global_store_b8 v6, v5, s[4:5]
	s_wait_xcnt 0x0
	s_or_b32 exec_lo, exec_lo, s0
	s_delay_alu instid0(SALU_CYCLE_1)
	s_mov_b32 s0, exec_lo
	v_cmpx_gt_i32_e64 s1, v0
	s_cbranch_execz .LBB8_193
.LBB8_215:
	v_add_nc_u32_e32 v5, s2, v0
	v_add_nc_u32_e32 v0, 0x100, v0
	global_store_d16_hi_b8 v5, v2, s[4:5]
	s_wait_xcnt 0x0
	s_or_b32 exec_lo, exec_lo, s0
	s_delay_alu instid0(SALU_CYCLE_1)
	s_mov_b32 s0, exec_lo
	v_cmpx_gt_i32_e64 s1, v0
	s_cbranch_execz .LBB8_194
.LBB8_216:
	v_dual_lshrrev_b32 v2, 24, v2 :: v_dual_add_nc_u32 v5, s2, v0
	v_add_nc_u32_e32 v0, 0x100, v0
	global_store_b8 v5, v2, s[4:5]
	s_wait_xcnt 0x0
	s_or_b32 exec_lo, exec_lo, s0
	s_delay_alu instid0(SALU_CYCLE_1)
	s_mov_b32 s0, exec_lo
	v_cmpx_gt_i32_e64 s1, v0
	s_cbranch_execz .LBB8_195
.LBB8_217:
	v_add_nc_u32_e32 v2, s2, v0
	v_add_nc_u32_e32 v0, 0x100, v0
	global_store_b8 v2, v1, s[4:5]
	s_wait_xcnt 0x0
	s_or_b32 exec_lo, exec_lo, s0
	s_delay_alu instid0(SALU_CYCLE_1)
	s_mov_b32 s0, exec_lo
	v_cmpx_gt_i32_e64 s1, v0
	s_cbranch_execz .LBB8_196
.LBB8_218:
	v_dual_lshrrev_b32 v2, 8, v1 :: v_dual_add_nc_u32 v5, s2, v0
	v_add_nc_u32_e32 v0, 0x100, v0
	global_store_b8 v5, v2, s[4:5]
	s_wait_xcnt 0x0
	s_or_b32 exec_lo, exec_lo, s0
	s_delay_alu instid0(SALU_CYCLE_1)
	s_mov_b32 s0, exec_lo
	v_cmpx_gt_i32_e64 s1, v0
	s_cbranch_execz .LBB8_197
.LBB8_219:
	v_add_nc_u32_e32 v2, s2, v0
	v_add_nc_u32_e32 v0, 0x100, v0
	global_store_d16_hi_b8 v2, v1, s[4:5]
	s_wait_xcnt 0x0
	s_or_b32 exec_lo, exec_lo, s0
	s_delay_alu instid0(SALU_CYCLE_1)
	s_mov_b32 s0, exec_lo
	v_cmpx_gt_i32_e64 s1, v0
	s_cbranch_execz .LBB8_198
.LBB8_220:
	v_dual_lshrrev_b32 v1, 24, v1 :: v_dual_add_nc_u32 v2, s2, v0
	v_add_nc_u32_e32 v0, 0x100, v0
	global_store_b8 v2, v1, s[4:5]
	s_wait_xcnt 0x0
	s_or_b32 exec_lo, exec_lo, s0
	s_delay_alu instid0(SALU_CYCLE_1)
	s_mov_b32 s0, exec_lo
	v_cmpx_gt_i32_e64 s1, v0
	s_cbranch_execz .LBB8_199
.LBB8_221:
	v_add_nc_u32_e32 v1, s2, v0
	v_add_nc_u32_e32 v0, 0x100, v0
	global_store_b8 v1, v4, s[4:5]
	s_wait_xcnt 0x0
	s_or_b32 exec_lo, exec_lo, s0
	s_delay_alu instid0(SALU_CYCLE_1)
	s_mov_b32 s0, exec_lo
	v_cmpx_gt_i32_e64 s1, v0
	s_cbranch_execz .LBB8_200
.LBB8_222:
	v_lshrrev_b32_e32 v1, 8, v4
	v_add_nc_u32_e32 v2, s2, v0
	v_add_nc_u32_e32 v0, 0x100, v0
	global_store_b8 v2, v1, s[4:5]
	s_wait_xcnt 0x0
	s_or_b32 exec_lo, exec_lo, s0
	s_delay_alu instid0(SALU_CYCLE_1)
	s_mov_b32 s0, exec_lo
	v_cmpx_gt_i32_e64 s1, v0
	s_cbranch_execz .LBB8_201
.LBB8_223:
	v_add_nc_u32_e32 v1, s2, v0
	v_add_nc_u32_e32 v0, 0x100, v0
	global_store_d16_hi_b8 v1, v4, s[4:5]
	s_wait_xcnt 0x0
	s_or_b32 exec_lo, exec_lo, s0
	s_delay_alu instid0(SALU_CYCLE_1)
	s_mov_b32 s0, exec_lo
	v_cmpx_gt_i32_e64 s1, v0
	s_cbranch_execz .LBB8_202
.LBB8_224:
	v_lshrrev_b32_e32 v1, 24, v4
	v_add_nc_u32_e32 v2, s2, v0
	v_add_nc_u32_e32 v0, 0x100, v0
	global_store_b8 v2, v1, s[4:5]
	s_wait_xcnt 0x0
	s_or_b32 exec_lo, exec_lo, s0
	s_delay_alu instid0(SALU_CYCLE_1)
	s_mov_b32 s0, exec_lo
	v_cmpx_gt_i32_e64 s1, v0
	s_cbranch_execz .LBB8_203
.LBB8_225:
	v_add_nc_u32_e32 v1, s2, v0
	v_add_nc_u32_e32 v0, 0x100, v0
	global_store_b8 v1, v3, s[4:5]
	s_wait_xcnt 0x0
	s_or_b32 exec_lo, exec_lo, s0
	s_delay_alu instid0(SALU_CYCLE_1)
	s_mov_b32 s0, exec_lo
	v_cmpx_gt_i32_e64 s1, v0
	s_cbranch_execz .LBB8_204
.LBB8_226:
	v_dual_lshrrev_b32 v1, 8, v3 :: v_dual_add_nc_u32 v2, s2, v0
	v_add_nc_u32_e32 v0, 0x100, v0
	global_store_b8 v2, v1, s[4:5]
	s_wait_xcnt 0x0
	s_or_b32 exec_lo, exec_lo, s0
	s_delay_alu instid0(SALU_CYCLE_1)
	s_mov_b32 s0, exec_lo
	v_cmpx_gt_i32_e64 s1, v0
	s_cbranch_execz .LBB8_205
.LBB8_227:
	v_add_nc_u32_e32 v1, s2, v0
	v_add_nc_u32_e32 v0, 0x100, v0
	global_store_d16_hi_b8 v1, v3, s[4:5]
	s_wait_xcnt 0x0
	s_or_b32 exec_lo, exec_lo, s0
	s_delay_alu instid0(SALU_CYCLE_1)
	s_mov_b32 s0, exec_lo
	v_cmpx_gt_i32_e64 s1, v0
	s_cbranch_execnz .LBB8_206
	s_branch .LBB8_207
	.section	.rodata,"a",@progbits
	.p2align	6, 0x0
	.amdhsa_kernel _ZN2at6native29vectorized_elementwise_kernelILi16EZZZNS0_15gcd_kernel_cudaERNS_18TensorIteratorBaseEENKUlvE_clEvENKUlvE0_clEvEUlaaE_St5arrayIPcLm3EEEEviT0_T1_
		.amdhsa_group_segment_fixed_size 0
		.amdhsa_private_segment_fixed_size 0
		.amdhsa_kernarg_size 32
		.amdhsa_user_sgpr_count 2
		.amdhsa_user_sgpr_dispatch_ptr 0
		.amdhsa_user_sgpr_queue_ptr 0
		.amdhsa_user_sgpr_kernarg_segment_ptr 1
		.amdhsa_user_sgpr_dispatch_id 0
		.amdhsa_user_sgpr_kernarg_preload_length 0
		.amdhsa_user_sgpr_kernarg_preload_offset 0
		.amdhsa_user_sgpr_private_segment_size 0
		.amdhsa_wavefront_size32 1
		.amdhsa_uses_dynamic_stack 0
		.amdhsa_enable_private_segment 0
		.amdhsa_system_sgpr_workgroup_id_x 1
		.amdhsa_system_sgpr_workgroup_id_y 0
		.amdhsa_system_sgpr_workgroup_id_z 0
		.amdhsa_system_sgpr_workgroup_info 0
		.amdhsa_system_vgpr_workitem_id 0
		.amdhsa_next_free_vgpr 42
		.amdhsa_next_free_sgpr 21
		.amdhsa_named_barrier_count 0
		.amdhsa_reserve_vcc 1
		.amdhsa_float_round_mode_32 0
		.amdhsa_float_round_mode_16_64 0
		.amdhsa_float_denorm_mode_32 3
		.amdhsa_float_denorm_mode_16_64 3
		.amdhsa_fp16_overflow 0
		.amdhsa_memory_ordered 1
		.amdhsa_forward_progress 1
		.amdhsa_inst_pref_size 108
		.amdhsa_round_robin_scheduling 0
		.amdhsa_exception_fp_ieee_invalid_op 0
		.amdhsa_exception_fp_denorm_src 0
		.amdhsa_exception_fp_ieee_div_zero 0
		.amdhsa_exception_fp_ieee_overflow 0
		.amdhsa_exception_fp_ieee_underflow 0
		.amdhsa_exception_fp_ieee_inexact 0
		.amdhsa_exception_int_div_zero 0
	.end_amdhsa_kernel
	.section	.text._ZN2at6native29vectorized_elementwise_kernelILi16EZZZNS0_15gcd_kernel_cudaERNS_18TensorIteratorBaseEENKUlvE_clEvENKUlvE0_clEvEUlaaE_St5arrayIPcLm3EEEEviT0_T1_,"axG",@progbits,_ZN2at6native29vectorized_elementwise_kernelILi16EZZZNS0_15gcd_kernel_cudaERNS_18TensorIteratorBaseEENKUlvE_clEvENKUlvE0_clEvEUlaaE_St5arrayIPcLm3EEEEviT0_T1_,comdat
.Lfunc_end8:
	.size	_ZN2at6native29vectorized_elementwise_kernelILi16EZZZNS0_15gcd_kernel_cudaERNS_18TensorIteratorBaseEENKUlvE_clEvENKUlvE0_clEvEUlaaE_St5arrayIPcLm3EEEEviT0_T1_, .Lfunc_end8-_ZN2at6native29vectorized_elementwise_kernelILi16EZZZNS0_15gcd_kernel_cudaERNS_18TensorIteratorBaseEENKUlvE_clEvENKUlvE0_clEvEUlaaE_St5arrayIPcLm3EEEEviT0_T1_
                                        ; -- End function
	.set _ZN2at6native29vectorized_elementwise_kernelILi16EZZZNS0_15gcd_kernel_cudaERNS_18TensorIteratorBaseEENKUlvE_clEvENKUlvE0_clEvEUlaaE_St5arrayIPcLm3EEEEviT0_T1_.num_vgpr, 42
	.set _ZN2at6native29vectorized_elementwise_kernelILi16EZZZNS0_15gcd_kernel_cudaERNS_18TensorIteratorBaseEENKUlvE_clEvENKUlvE0_clEvEUlaaE_St5arrayIPcLm3EEEEviT0_T1_.num_agpr, 0
	.set _ZN2at6native29vectorized_elementwise_kernelILi16EZZZNS0_15gcd_kernel_cudaERNS_18TensorIteratorBaseEENKUlvE_clEvENKUlvE0_clEvEUlaaE_St5arrayIPcLm3EEEEviT0_T1_.numbered_sgpr, 21
	.set _ZN2at6native29vectorized_elementwise_kernelILi16EZZZNS0_15gcd_kernel_cudaERNS_18TensorIteratorBaseEENKUlvE_clEvENKUlvE0_clEvEUlaaE_St5arrayIPcLm3EEEEviT0_T1_.num_named_barrier, 0
	.set _ZN2at6native29vectorized_elementwise_kernelILi16EZZZNS0_15gcd_kernel_cudaERNS_18TensorIteratorBaseEENKUlvE_clEvENKUlvE0_clEvEUlaaE_St5arrayIPcLm3EEEEviT0_T1_.private_seg_size, 0
	.set _ZN2at6native29vectorized_elementwise_kernelILi16EZZZNS0_15gcd_kernel_cudaERNS_18TensorIteratorBaseEENKUlvE_clEvENKUlvE0_clEvEUlaaE_St5arrayIPcLm3EEEEviT0_T1_.uses_vcc, 1
	.set _ZN2at6native29vectorized_elementwise_kernelILi16EZZZNS0_15gcd_kernel_cudaERNS_18TensorIteratorBaseEENKUlvE_clEvENKUlvE0_clEvEUlaaE_St5arrayIPcLm3EEEEviT0_T1_.uses_flat_scratch, 0
	.set _ZN2at6native29vectorized_elementwise_kernelILi16EZZZNS0_15gcd_kernel_cudaERNS_18TensorIteratorBaseEENKUlvE_clEvENKUlvE0_clEvEUlaaE_St5arrayIPcLm3EEEEviT0_T1_.has_dyn_sized_stack, 0
	.set _ZN2at6native29vectorized_elementwise_kernelILi16EZZZNS0_15gcd_kernel_cudaERNS_18TensorIteratorBaseEENKUlvE_clEvENKUlvE0_clEvEUlaaE_St5arrayIPcLm3EEEEviT0_T1_.has_recursion, 0
	.set _ZN2at6native29vectorized_elementwise_kernelILi16EZZZNS0_15gcd_kernel_cudaERNS_18TensorIteratorBaseEENKUlvE_clEvENKUlvE0_clEvEUlaaE_St5arrayIPcLm3EEEEviT0_T1_.has_indirect_call, 0
	.section	.AMDGPU.csdata,"",@progbits
; Kernel info:
; codeLenInByte = 13720
; TotalNumSgprs: 23
; NumVgprs: 42
; ScratchSize: 0
; MemoryBound: 0
; FloatMode: 240
; IeeeMode: 1
; LDSByteSize: 0 bytes/workgroup (compile time only)
; SGPRBlocks: 0
; VGPRBlocks: 2
; NumSGPRsForWavesPerEU: 23
; NumVGPRsForWavesPerEU: 42
; NamedBarCnt: 0
; Occupancy: 16
; WaveLimiterHint : 0
; COMPUTE_PGM_RSRC2:SCRATCH_EN: 0
; COMPUTE_PGM_RSRC2:USER_SGPR: 2
; COMPUTE_PGM_RSRC2:TRAP_HANDLER: 0
; COMPUTE_PGM_RSRC2:TGID_X_EN: 1
; COMPUTE_PGM_RSRC2:TGID_Y_EN: 0
; COMPUTE_PGM_RSRC2:TGID_Z_EN: 0
; COMPUTE_PGM_RSRC2:TIDIG_COMP_CNT: 0
	.section	.text._ZN2at6native29vectorized_elementwise_kernelILi8EZZZNS0_15gcd_kernel_cudaERNS_18TensorIteratorBaseEENKUlvE_clEvENKUlvE0_clEvEUlaaE_St5arrayIPcLm3EEEEviT0_T1_,"axG",@progbits,_ZN2at6native29vectorized_elementwise_kernelILi8EZZZNS0_15gcd_kernel_cudaERNS_18TensorIteratorBaseEENKUlvE_clEvENKUlvE0_clEvEUlaaE_St5arrayIPcLm3EEEEviT0_T1_,comdat
	.globl	_ZN2at6native29vectorized_elementwise_kernelILi8EZZZNS0_15gcd_kernel_cudaERNS_18TensorIteratorBaseEENKUlvE_clEvENKUlvE0_clEvEUlaaE_St5arrayIPcLm3EEEEviT0_T1_ ; -- Begin function _ZN2at6native29vectorized_elementwise_kernelILi8EZZZNS0_15gcd_kernel_cudaERNS_18TensorIteratorBaseEENKUlvE_clEvENKUlvE0_clEvEUlaaE_St5arrayIPcLm3EEEEviT0_T1_
	.p2align	8
	.type	_ZN2at6native29vectorized_elementwise_kernelILi8EZZZNS0_15gcd_kernel_cudaERNS_18TensorIteratorBaseEENKUlvE_clEvENKUlvE0_clEvEUlaaE_St5arrayIPcLm3EEEEviT0_T1_,@function
_ZN2at6native29vectorized_elementwise_kernelILi8EZZZNS0_15gcd_kernel_cudaERNS_18TensorIteratorBaseEENKUlvE_clEvENKUlvE0_clEvEUlaaE_St5arrayIPcLm3EEEEviT0_T1_: ; @_ZN2at6native29vectorized_elementwise_kernelILi8EZZZNS0_15gcd_kernel_cudaERNS_18TensorIteratorBaseEENKUlvE_clEvENKUlvE0_clEvEUlaaE_St5arrayIPcLm3EEEEviT0_T1_
; %bb.0:
	s_clause 0x2
	s_load_b32 s3, s[0:1], 0x0
	s_load_b128 s[4:7], s[0:1], 0x8
	s_load_b64 s[8:9], s[0:1], 0x18
	s_wait_xcnt 0x0
	s_bfe_u32 s0, ttmp6, 0x4000c
	s_and_b32 s1, ttmp6, 15
	s_add_co_i32 s0, s0, 1
	s_getreg_b32 s2, hwreg(HW_REG_IB_STS2, 6, 4)
	s_mul_i32 s0, ttmp9, s0
	s_delay_alu instid0(SALU_CYCLE_1) | instskip(SKIP_2) | instid1(SALU_CYCLE_1)
	s_add_co_i32 s1, s1, s0
	s_cmp_eq_u32 s2, 0
	s_cselect_b32 s0, ttmp9, s1
	s_lshl_b32 s2, s0, 12
	s_mov_b32 s0, -1
	s_wait_kmcnt 0x0
	s_sub_co_i32 s1, s3, s2
	s_delay_alu instid0(SALU_CYCLE_1)
	s_cmp_gt_i32 s1, 0xfff
	s_cbranch_scc0 .LBB9_66
; %bb.1:
	s_ashr_i32 s3, s2, 31
	s_mov_b32 s0, exec_lo
	s_add_nc_u64 s[10:11], s[8:9], s[2:3]
	s_add_nc_u64 s[12:13], s[6:7], s[2:3]
	s_clause 0x3
	global_load_b64 v[8:9], v0, s[10:11] scale_offset
	global_load_b64 v[6:7], v0, s[12:13] scale_offset
	global_load_b64 v[2:3], v0, s[12:13] offset:2048 scale_offset
	global_load_b64 v[4:5], v0, s[10:11] offset:2048 scale_offset
	s_wait_loadcnt 0x2
	v_and_b32_e32 v11, 0xff, v6
	v_bfe_i32 v1, v8, 0, 8
	s_delay_alu instid0(VALU_DEP_1) | instskip(NEXT) | instid1(VALU_DEP_1)
	v_sub_nc_u16 v10, 0, v1
	v_max_i16 v1, v1, v10
	s_wait_xcnt 0x0
	v_cmpx_ne_u16_e32 0, v11
	s_cbranch_execz .LBB9_5
; %bb.2:
	v_bfe_i32 v10, v6, 0, 8
	s_mov_b32 s10, 0
	s_delay_alu instid0(VALU_DEP_1) | instskip(NEXT) | instid1(VALU_DEP_1)
	v_sub_nc_u16 v11, 0, v10
	v_max_i16 v11, v10, v11
	v_and_b32_e32 v10, 0xff, v1
	s_delay_alu instid0(VALU_DEP_2)
	v_and_b32_e32 v11, 0xffff, v11
.LBB9_3:                                ; =>This Inner Loop Header: Depth=1
	s_delay_alu instid0(VALU_DEP_2) | instskip(NEXT) | instid1(VALU_DEP_2)
	v_bfe_i32 v13, v10, 0, 8
	v_mov_b32_e32 v1, v11
	s_delay_alu instid0(VALU_DEP_2) | instskip(NEXT) | instid1(VALU_DEP_2)
	v_cvt_f32_i32_e32 v15, v13
	v_bfe_i32 v11, v1, 0, 8
	s_delay_alu instid0(VALU_DEP_1) | instskip(SKIP_1) | instid1(VALU_DEP_2)
	v_cvt_f32_i32_e32 v12, v11
	v_xor_b32_e32 v11, v13, v11
	v_rcp_iflag_f32_e32 v14, v12
	v_nop
	s_delay_alu instid0(TRANS32_DEP_1) | instskip(NEXT) | instid1(VALU_DEP_1)
	v_dual_ashrrev_i32 v11, 30, v11 :: v_dual_mul_f32 v13, v15, v14
	v_trunc_f32_e32 v13, v13
	s_delay_alu instid0(VALU_DEP_1) | instskip(SKIP_1) | instid1(VALU_DEP_2)
	v_dual_fma_f32 v14, -v13, v12, v15 :: v_dual_bitop2_b32 v11, 1, v11 bitop3:0x54
	v_cvt_i32_f32_e32 v13, v13
	v_cmp_ge_f32_e64 vcc_lo, |v14|, |v12|
	s_delay_alu instid0(VALU_DEP_3) | instskip(NEXT) | instid1(VALU_DEP_1)
	v_cndmask_b32_e32 v11, 0, v11, vcc_lo
	v_add_nc_u32_e32 v11, v13, v11
	s_delay_alu instid0(VALU_DEP_1) | instskip(NEXT) | instid1(VALU_DEP_1)
	v_mul_lo_u32 v11, v11, v1
	v_sub_nc_u32_e32 v10, v10, v11
	s_delay_alu instid0(VALU_DEP_1) | instskip(SKIP_1) | instid1(VALU_DEP_2)
	v_bfe_i32 v11, v10, 0, 8
	v_mov_b32_e32 v10, v1
	v_cmp_eq_u16_e32 vcc_lo, 0, v11
	v_and_b32_e32 v11, 0xffff, v11
	s_or_b32 s10, vcc_lo, s10
	s_delay_alu instid0(SALU_CYCLE_1)
	s_and_not1_b32 exec_lo, exec_lo, s10
	s_cbranch_execnz .LBB9_3
; %bb.4:
	s_or_b32 exec_lo, exec_lo, s10
.LBB9_5:
	s_delay_alu instid0(SALU_CYCLE_1) | instskip(SKIP_3) | instid1(VALU_DEP_1)
	s_or_b32 exec_lo, exec_lo, s0
	v_dual_lshrrev_b32 v10, 8, v8 :: v_dual_lshrrev_b32 v11, 8, v6
	s_mov_b32 s10, 0
	s_mov_b32 s0, exec_lo
	v_bfe_i32 v10, v10, 0, 8
	s_delay_alu instid0(VALU_DEP_2) | instskip(NEXT) | instid1(VALU_DEP_2)
	v_and_b32_e32 v11, 0xff, v11
	v_sub_nc_u16 v12, 0, v10
	s_delay_alu instid0(VALU_DEP_1) | instskip(NEXT) | instid1(VALU_DEP_3)
	v_max_i16 v10, v10, v12
	v_cmpx_ne_u16_e32 0, v11
	s_cbranch_execz .LBB9_9
; %bb.6:
	v_ashrrev_i16 v11, 8, v6
	s_delay_alu instid0(VALU_DEP_1) | instskip(NEXT) | instid1(VALU_DEP_1)
	v_sub_nc_u16 v12, 0, v11
	v_max_i16 v12, v11, v12
	v_and_b32_e32 v11, 0xff, v10
	s_delay_alu instid0(VALU_DEP_2)
	v_and_b32_e32 v12, 0xffff, v12
.LBB9_7:                                ; =>This Inner Loop Header: Depth=1
	s_delay_alu instid0(VALU_DEP_2) | instskip(NEXT) | instid1(VALU_DEP_2)
	v_bfe_i32 v14, v11, 0, 8
	v_mov_b32_e32 v10, v12
	s_delay_alu instid0(VALU_DEP_2) | instskip(NEXT) | instid1(VALU_DEP_2)
	v_cvt_f32_i32_e32 v16, v14
	v_bfe_i32 v12, v10, 0, 8
	s_delay_alu instid0(VALU_DEP_1) | instskip(SKIP_1) | instid1(VALU_DEP_2)
	v_cvt_f32_i32_e32 v13, v12
	v_xor_b32_e32 v12, v14, v12
	v_rcp_iflag_f32_e32 v15, v13
	v_nop
	s_delay_alu instid0(TRANS32_DEP_1) | instskip(NEXT) | instid1(VALU_DEP_1)
	v_dual_ashrrev_i32 v12, 30, v12 :: v_dual_mul_f32 v14, v16, v15
	v_trunc_f32_e32 v14, v14
	s_delay_alu instid0(VALU_DEP_1) | instskip(SKIP_1) | instid1(VALU_DEP_2)
	v_dual_fma_f32 v15, -v14, v13, v16 :: v_dual_bitop2_b32 v12, 1, v12 bitop3:0x54
	v_cvt_i32_f32_e32 v14, v14
	v_cmp_ge_f32_e64 vcc_lo, |v15|, |v13|
	s_delay_alu instid0(VALU_DEP_3) | instskip(NEXT) | instid1(VALU_DEP_1)
	v_cndmask_b32_e32 v12, 0, v12, vcc_lo
	v_add_nc_u32_e32 v12, v14, v12
	s_delay_alu instid0(VALU_DEP_1) | instskip(NEXT) | instid1(VALU_DEP_1)
	v_mul_lo_u32 v12, v12, v10
	v_sub_nc_u32_e32 v11, v11, v12
	s_delay_alu instid0(VALU_DEP_1) | instskip(SKIP_1) | instid1(VALU_DEP_2)
	v_bfe_i32 v12, v11, 0, 8
	v_mov_b32_e32 v11, v10
	v_cmp_eq_u16_e32 vcc_lo, 0, v12
	v_and_b32_e32 v12, 0xffff, v12
	s_or_b32 s10, vcc_lo, s10
	s_delay_alu instid0(SALU_CYCLE_1)
	s_and_not1_b32 exec_lo, exec_lo, s10
	s_cbranch_execnz .LBB9_7
; %bb.8:
	s_or_b32 exec_lo, exec_lo, s10
.LBB9_9:
	s_delay_alu instid0(SALU_CYCLE_1) | instskip(SKIP_3) | instid1(VALU_DEP_1)
	s_or_b32 exec_lo, exec_lo, s0
	v_dual_lshrrev_b32 v11, 16, v8 :: v_dual_lshrrev_b32 v12, 16, v6
	s_mov_b32 s10, 0
	s_mov_b32 s0, exec_lo
	v_bfe_i32 v11, v11, 0, 8
	s_delay_alu instid0(VALU_DEP_2) | instskip(NEXT) | instid1(VALU_DEP_2)
	v_and_b32_e32 v14, 0xff, v12
	v_sub_nc_u16 v13, 0, v11
	s_delay_alu instid0(VALU_DEP_1) | instskip(NEXT) | instid1(VALU_DEP_3)
	v_max_i16 v11, v11, v13
	v_cmpx_ne_u16_e32 0, v14
	s_cbranch_execz .LBB9_13
; %bb.10:
	v_bfe_i32 v12, v12, 0, 8
	s_delay_alu instid0(VALU_DEP_1) | instskip(NEXT) | instid1(VALU_DEP_1)
	v_sub_nc_u16 v13, 0, v12
	v_max_i16 v13, v12, v13
	v_and_b32_e32 v12, 0xff, v11
	s_delay_alu instid0(VALU_DEP_2)
	v_and_b32_e32 v13, 0xffff, v13
.LBB9_11:                               ; =>This Inner Loop Header: Depth=1
	s_delay_alu instid0(VALU_DEP_2) | instskip(NEXT) | instid1(VALU_DEP_2)
	v_bfe_i32 v15, v12, 0, 8
	v_mov_b32_e32 v11, v13
	s_delay_alu instid0(VALU_DEP_2) | instskip(NEXT) | instid1(VALU_DEP_2)
	v_cvt_f32_i32_e32 v17, v15
	v_bfe_i32 v13, v11, 0, 8
	s_delay_alu instid0(VALU_DEP_1) | instskip(SKIP_1) | instid1(VALU_DEP_2)
	v_cvt_f32_i32_e32 v14, v13
	v_xor_b32_e32 v13, v15, v13
	v_rcp_iflag_f32_e32 v16, v14
	v_nop
	s_delay_alu instid0(TRANS32_DEP_1) | instskip(NEXT) | instid1(VALU_DEP_1)
	v_dual_ashrrev_i32 v13, 30, v13 :: v_dual_mul_f32 v15, v17, v16
	v_trunc_f32_e32 v15, v15
	s_delay_alu instid0(VALU_DEP_1) | instskip(SKIP_1) | instid1(VALU_DEP_2)
	v_dual_fma_f32 v16, -v15, v14, v17 :: v_dual_bitop2_b32 v13, 1, v13 bitop3:0x54
	v_cvt_i32_f32_e32 v15, v15
	v_cmp_ge_f32_e64 vcc_lo, |v16|, |v14|
	s_delay_alu instid0(VALU_DEP_3) | instskip(NEXT) | instid1(VALU_DEP_1)
	v_cndmask_b32_e32 v13, 0, v13, vcc_lo
	v_add_nc_u32_e32 v13, v15, v13
	s_delay_alu instid0(VALU_DEP_1) | instskip(NEXT) | instid1(VALU_DEP_1)
	v_mul_lo_u32 v13, v13, v11
	v_sub_nc_u32_e32 v12, v12, v13
	s_delay_alu instid0(VALU_DEP_1) | instskip(SKIP_1) | instid1(VALU_DEP_2)
	v_bfe_i32 v13, v12, 0, 8
	v_mov_b32_e32 v12, v11
	v_cmp_eq_u16_e32 vcc_lo, 0, v13
	v_and_b32_e32 v13, 0xffff, v13
	s_or_b32 s10, vcc_lo, s10
	s_delay_alu instid0(SALU_CYCLE_1)
	s_and_not1_b32 exec_lo, exec_lo, s10
	s_cbranch_execnz .LBB9_11
; %bb.12:
	s_or_b32 exec_lo, exec_lo, s10
.LBB9_13:
	s_delay_alu instid0(SALU_CYCLE_1) | instskip(SKIP_3) | instid1(VALU_DEP_1)
	s_or_b32 exec_lo, exec_lo, s0
	v_lshrrev_b32_e32 v8, 24, v8
	s_mov_b32 s10, 0
	s_mov_b32 s0, exec_lo
	v_bfe_i32 v8, v8, 0, 8
	s_delay_alu instid0(VALU_DEP_1) | instskip(NEXT) | instid1(VALU_DEP_1)
	v_sub_nc_u16 v12, 0, v8
	v_max_i16 v8, v8, v12
	v_cmpx_lt_u32_e32 0xffffff, v6
	s_cbranch_execz .LBB9_17
; %bb.14:
	v_lshrrev_b32_e32 v6, 24, v6
	s_delay_alu instid0(VALU_DEP_1) | instskip(NEXT) | instid1(VALU_DEP_1)
	v_bfe_i32 v6, v6, 0, 8
	v_sub_nc_u16 v12, 0, v6
	s_delay_alu instid0(VALU_DEP_1) | instskip(SKIP_1) | instid1(VALU_DEP_2)
	v_max_i16 v12, v6, v12
	v_and_b32_e32 v6, 0xff, v8
	v_and_b32_e32 v12, 0xffff, v12
.LBB9_15:                               ; =>This Inner Loop Header: Depth=1
	s_delay_alu instid0(VALU_DEP_2) | instskip(NEXT) | instid1(VALU_DEP_2)
	v_bfe_i32 v14, v6, 0, 8
	v_mov_b32_e32 v8, v12
	s_delay_alu instid0(VALU_DEP_2) | instskip(NEXT) | instid1(VALU_DEP_2)
	v_cvt_f32_i32_e32 v16, v14
	v_bfe_i32 v12, v8, 0, 8
	s_delay_alu instid0(VALU_DEP_1) | instskip(SKIP_1) | instid1(VALU_DEP_2)
	v_cvt_f32_i32_e32 v13, v12
	v_xor_b32_e32 v12, v14, v12
	v_rcp_iflag_f32_e32 v15, v13
	v_nop
	s_delay_alu instid0(TRANS32_DEP_1) | instskip(NEXT) | instid1(VALU_DEP_1)
	v_dual_ashrrev_i32 v12, 30, v12 :: v_dual_mul_f32 v14, v16, v15
	v_trunc_f32_e32 v14, v14
	s_delay_alu instid0(VALU_DEP_1) | instskip(SKIP_1) | instid1(VALU_DEP_2)
	v_dual_fma_f32 v15, -v14, v13, v16 :: v_dual_bitop2_b32 v12, 1, v12 bitop3:0x54
	v_cvt_i32_f32_e32 v14, v14
	v_cmp_ge_f32_e64 vcc_lo, |v15|, |v13|
	s_delay_alu instid0(VALU_DEP_3) | instskip(NEXT) | instid1(VALU_DEP_1)
	v_cndmask_b32_e32 v12, 0, v12, vcc_lo
	v_add_nc_u32_e32 v12, v14, v12
	s_delay_alu instid0(VALU_DEP_1) | instskip(NEXT) | instid1(VALU_DEP_1)
	v_mul_lo_u32 v12, v12, v8
	v_sub_nc_u32_e32 v6, v6, v12
	s_delay_alu instid0(VALU_DEP_1) | instskip(SKIP_1) | instid1(VALU_DEP_2)
	v_bfe_i32 v12, v6, 0, 8
	v_mov_b32_e32 v6, v8
	v_cmp_eq_u16_e32 vcc_lo, 0, v12
	v_and_b32_e32 v12, 0xffff, v12
	s_or_b32 s10, vcc_lo, s10
	s_delay_alu instid0(SALU_CYCLE_1)
	s_and_not1_b32 exec_lo, exec_lo, s10
	s_cbranch_execnz .LBB9_15
; %bb.16:
	s_or_b32 exec_lo, exec_lo, s10
.LBB9_17:
	s_delay_alu instid0(SALU_CYCLE_1) | instskip(SKIP_4) | instid1(VALU_DEP_2)
	s_or_b32 exec_lo, exec_lo, s0
	v_bfe_i32 v6, v9, 0, 8
	v_and_b32_e32 v13, 0xff, v7
	s_mov_b32 s10, 0
	s_mov_b32 s0, exec_lo
	v_sub_nc_u16 v12, 0, v6
	s_delay_alu instid0(VALU_DEP_1)
	v_max_i16 v6, v6, v12
	v_cmpx_ne_u16_e32 0, v13
	s_cbranch_execz .LBB9_21
; %bb.18:
	v_bfe_i32 v12, v7, 0, 8
	s_delay_alu instid0(VALU_DEP_1) | instskip(NEXT) | instid1(VALU_DEP_1)
	v_sub_nc_u16 v13, 0, v12
	v_max_i16 v13, v12, v13
	v_and_b32_e32 v12, 0xff, v6
	s_delay_alu instid0(VALU_DEP_2)
	v_and_b32_e32 v13, 0xffff, v13
.LBB9_19:                               ; =>This Inner Loop Header: Depth=1
	s_delay_alu instid0(VALU_DEP_2) | instskip(NEXT) | instid1(VALU_DEP_2)
	v_bfe_i32 v15, v12, 0, 8
	v_mov_b32_e32 v6, v13
	s_delay_alu instid0(VALU_DEP_2) | instskip(NEXT) | instid1(VALU_DEP_2)
	v_cvt_f32_i32_e32 v17, v15
	v_bfe_i32 v13, v6, 0, 8
	s_delay_alu instid0(VALU_DEP_1) | instskip(SKIP_1) | instid1(VALU_DEP_2)
	v_cvt_f32_i32_e32 v14, v13
	v_xor_b32_e32 v13, v15, v13
	v_rcp_iflag_f32_e32 v16, v14
	v_nop
	s_delay_alu instid0(TRANS32_DEP_1) | instskip(NEXT) | instid1(VALU_DEP_1)
	v_dual_ashrrev_i32 v13, 30, v13 :: v_dual_mul_f32 v15, v17, v16
	v_trunc_f32_e32 v15, v15
	s_delay_alu instid0(VALU_DEP_1) | instskip(SKIP_1) | instid1(VALU_DEP_2)
	v_dual_fma_f32 v16, -v15, v14, v17 :: v_dual_bitop2_b32 v13, 1, v13 bitop3:0x54
	v_cvt_i32_f32_e32 v15, v15
	v_cmp_ge_f32_e64 vcc_lo, |v16|, |v14|
	s_delay_alu instid0(VALU_DEP_3) | instskip(NEXT) | instid1(VALU_DEP_1)
	v_cndmask_b32_e32 v13, 0, v13, vcc_lo
	v_add_nc_u32_e32 v13, v15, v13
	s_delay_alu instid0(VALU_DEP_1) | instskip(NEXT) | instid1(VALU_DEP_1)
	v_mul_lo_u32 v13, v13, v6
	v_sub_nc_u32_e32 v12, v12, v13
	s_delay_alu instid0(VALU_DEP_1) | instskip(SKIP_1) | instid1(VALU_DEP_2)
	v_bfe_i32 v13, v12, 0, 8
	v_mov_b32_e32 v12, v6
	v_cmp_eq_u16_e32 vcc_lo, 0, v13
	v_and_b32_e32 v13, 0xffff, v13
	s_or_b32 s10, vcc_lo, s10
	s_delay_alu instid0(SALU_CYCLE_1)
	s_and_not1_b32 exec_lo, exec_lo, s10
	s_cbranch_execnz .LBB9_19
; %bb.20:
	s_or_b32 exec_lo, exec_lo, s10
.LBB9_21:
	s_delay_alu instid0(SALU_CYCLE_1) | instskip(SKIP_3) | instid1(VALU_DEP_1)
	s_or_b32 exec_lo, exec_lo, s0
	v_dual_lshrrev_b32 v12, 8, v9 :: v_dual_lshrrev_b32 v13, 8, v7
	s_mov_b32 s10, 0
	s_mov_b32 s0, exec_lo
	v_bfe_i32 v12, v12, 0, 8
	s_delay_alu instid0(VALU_DEP_2) | instskip(NEXT) | instid1(VALU_DEP_2)
	v_and_b32_e32 v13, 0xff, v13
	v_sub_nc_u16 v14, 0, v12
	s_delay_alu instid0(VALU_DEP_1) | instskip(NEXT) | instid1(VALU_DEP_3)
	v_max_i16 v12, v12, v14
	v_cmpx_ne_u16_e32 0, v13
	s_cbranch_execz .LBB9_25
; %bb.22:
	v_ashrrev_i16 v13, 8, v7
	s_delay_alu instid0(VALU_DEP_1) | instskip(NEXT) | instid1(VALU_DEP_1)
	v_sub_nc_u16 v14, 0, v13
	v_max_i16 v14, v13, v14
	v_and_b32_e32 v13, 0xff, v12
	s_delay_alu instid0(VALU_DEP_2)
	v_and_b32_e32 v14, 0xffff, v14
.LBB9_23:                               ; =>This Inner Loop Header: Depth=1
	s_delay_alu instid0(VALU_DEP_2) | instskip(NEXT) | instid1(VALU_DEP_2)
	v_bfe_i32 v16, v13, 0, 8
	v_mov_b32_e32 v12, v14
	s_delay_alu instid0(VALU_DEP_2) | instskip(NEXT) | instid1(VALU_DEP_2)
	v_cvt_f32_i32_e32 v18, v16
	v_bfe_i32 v14, v12, 0, 8
	s_delay_alu instid0(VALU_DEP_1) | instskip(SKIP_1) | instid1(VALU_DEP_2)
	v_cvt_f32_i32_e32 v15, v14
	v_xor_b32_e32 v14, v16, v14
	v_rcp_iflag_f32_e32 v17, v15
	v_nop
	s_delay_alu instid0(TRANS32_DEP_1) | instskip(NEXT) | instid1(VALU_DEP_1)
	v_dual_ashrrev_i32 v14, 30, v14 :: v_dual_mul_f32 v16, v18, v17
	v_trunc_f32_e32 v16, v16
	s_delay_alu instid0(VALU_DEP_1) | instskip(SKIP_1) | instid1(VALU_DEP_2)
	v_dual_fma_f32 v17, -v16, v15, v18 :: v_dual_bitop2_b32 v14, 1, v14 bitop3:0x54
	v_cvt_i32_f32_e32 v16, v16
	v_cmp_ge_f32_e64 vcc_lo, |v17|, |v15|
	s_delay_alu instid0(VALU_DEP_3) | instskip(NEXT) | instid1(VALU_DEP_1)
	v_cndmask_b32_e32 v14, 0, v14, vcc_lo
	v_add_nc_u32_e32 v14, v16, v14
	s_delay_alu instid0(VALU_DEP_1) | instskip(NEXT) | instid1(VALU_DEP_1)
	v_mul_lo_u32 v14, v14, v12
	v_sub_nc_u32_e32 v13, v13, v14
	s_delay_alu instid0(VALU_DEP_1) | instskip(SKIP_1) | instid1(VALU_DEP_2)
	v_bfe_i32 v14, v13, 0, 8
	v_mov_b32_e32 v13, v12
	v_cmp_eq_u16_e32 vcc_lo, 0, v14
	v_and_b32_e32 v14, 0xffff, v14
	s_or_b32 s10, vcc_lo, s10
	s_delay_alu instid0(SALU_CYCLE_1)
	s_and_not1_b32 exec_lo, exec_lo, s10
	s_cbranch_execnz .LBB9_23
; %bb.24:
	s_or_b32 exec_lo, exec_lo, s10
.LBB9_25:
	s_delay_alu instid0(SALU_CYCLE_1) | instskip(SKIP_3) | instid1(VALU_DEP_1)
	s_or_b32 exec_lo, exec_lo, s0
	v_dual_lshrrev_b32 v13, 16, v9 :: v_dual_lshrrev_b32 v14, 16, v7
	s_mov_b32 s10, 0
	s_mov_b32 s0, exec_lo
	v_bfe_i32 v13, v13, 0, 8
	s_delay_alu instid0(VALU_DEP_2) | instskip(NEXT) | instid1(VALU_DEP_2)
	v_and_b32_e32 v16, 0xff, v14
	v_sub_nc_u16 v15, 0, v13
	s_delay_alu instid0(VALU_DEP_1) | instskip(NEXT) | instid1(VALU_DEP_3)
	v_max_i16 v13, v13, v15
	v_cmpx_ne_u16_e32 0, v16
	s_cbranch_execz .LBB9_29
; %bb.26:
	v_bfe_i32 v14, v14, 0, 8
	s_delay_alu instid0(VALU_DEP_1) | instskip(NEXT) | instid1(VALU_DEP_1)
	v_sub_nc_u16 v15, 0, v14
	v_max_i16 v15, v14, v15
	v_and_b32_e32 v14, 0xff, v13
	s_delay_alu instid0(VALU_DEP_2)
	v_and_b32_e32 v15, 0xffff, v15
.LBB9_27:                               ; =>This Inner Loop Header: Depth=1
	s_delay_alu instid0(VALU_DEP_2) | instskip(NEXT) | instid1(VALU_DEP_2)
	v_bfe_i32 v17, v14, 0, 8
	v_mov_b32_e32 v13, v15
	s_delay_alu instid0(VALU_DEP_2) | instskip(NEXT) | instid1(VALU_DEP_2)
	v_cvt_f32_i32_e32 v19, v17
	v_bfe_i32 v15, v13, 0, 8
	s_delay_alu instid0(VALU_DEP_1) | instskip(SKIP_1) | instid1(VALU_DEP_2)
	v_cvt_f32_i32_e32 v16, v15
	v_xor_b32_e32 v15, v17, v15
	v_rcp_iflag_f32_e32 v18, v16
	v_nop
	s_delay_alu instid0(TRANS32_DEP_1) | instskip(NEXT) | instid1(VALU_DEP_1)
	v_dual_ashrrev_i32 v15, 30, v15 :: v_dual_mul_f32 v17, v19, v18
	v_trunc_f32_e32 v17, v17
	s_delay_alu instid0(VALU_DEP_1) | instskip(SKIP_1) | instid1(VALU_DEP_2)
	v_dual_fma_f32 v18, -v17, v16, v19 :: v_dual_bitop2_b32 v15, 1, v15 bitop3:0x54
	v_cvt_i32_f32_e32 v17, v17
	v_cmp_ge_f32_e64 vcc_lo, |v18|, |v16|
	s_delay_alu instid0(VALU_DEP_3) | instskip(NEXT) | instid1(VALU_DEP_1)
	v_cndmask_b32_e32 v15, 0, v15, vcc_lo
	v_add_nc_u32_e32 v15, v17, v15
	s_delay_alu instid0(VALU_DEP_1) | instskip(NEXT) | instid1(VALU_DEP_1)
	v_mul_lo_u32 v15, v15, v13
	v_sub_nc_u32_e32 v14, v14, v15
	s_delay_alu instid0(VALU_DEP_1) | instskip(SKIP_1) | instid1(VALU_DEP_2)
	v_bfe_i32 v15, v14, 0, 8
	v_mov_b32_e32 v14, v13
	v_cmp_eq_u16_e32 vcc_lo, 0, v15
	v_and_b32_e32 v15, 0xffff, v15
	s_or_b32 s10, vcc_lo, s10
	s_delay_alu instid0(SALU_CYCLE_1)
	s_and_not1_b32 exec_lo, exec_lo, s10
	s_cbranch_execnz .LBB9_27
; %bb.28:
	s_or_b32 exec_lo, exec_lo, s10
.LBB9_29:
	s_delay_alu instid0(SALU_CYCLE_1) | instskip(SKIP_3) | instid1(VALU_DEP_1)
	s_or_b32 exec_lo, exec_lo, s0
	v_lshrrev_b32_e32 v9, 24, v9
	s_mov_b32 s10, 0
	s_mov_b32 s0, exec_lo
	v_bfe_i32 v9, v9, 0, 8
	s_delay_alu instid0(VALU_DEP_1) | instskip(NEXT) | instid1(VALU_DEP_1)
	v_sub_nc_u16 v14, 0, v9
	v_max_i16 v9, v9, v14
	v_cmpx_lt_u32_e32 0xffffff, v7
	s_cbranch_execz .LBB9_33
; %bb.30:
	v_lshrrev_b32_e32 v7, 24, v7
	s_delay_alu instid0(VALU_DEP_1) | instskip(NEXT) | instid1(VALU_DEP_1)
	v_bfe_i32 v7, v7, 0, 8
	v_sub_nc_u16 v14, 0, v7
	s_delay_alu instid0(VALU_DEP_1) | instskip(SKIP_1) | instid1(VALU_DEP_2)
	v_max_i16 v14, v7, v14
	v_and_b32_e32 v7, 0xff, v9
	v_and_b32_e32 v14, 0xffff, v14
.LBB9_31:                               ; =>This Inner Loop Header: Depth=1
	s_delay_alu instid0(VALU_DEP_2) | instskip(NEXT) | instid1(VALU_DEP_2)
	v_bfe_i32 v16, v7, 0, 8
	v_mov_b32_e32 v9, v14
	s_delay_alu instid0(VALU_DEP_2) | instskip(NEXT) | instid1(VALU_DEP_2)
	v_cvt_f32_i32_e32 v18, v16
	v_bfe_i32 v14, v9, 0, 8
	s_delay_alu instid0(VALU_DEP_1) | instskip(SKIP_1) | instid1(VALU_DEP_2)
	v_cvt_f32_i32_e32 v15, v14
	v_xor_b32_e32 v14, v16, v14
	v_rcp_iflag_f32_e32 v17, v15
	v_nop
	s_delay_alu instid0(TRANS32_DEP_1) | instskip(NEXT) | instid1(VALU_DEP_1)
	v_dual_ashrrev_i32 v14, 30, v14 :: v_dual_mul_f32 v16, v18, v17
	v_trunc_f32_e32 v16, v16
	s_delay_alu instid0(VALU_DEP_1) | instskip(SKIP_1) | instid1(VALU_DEP_2)
	v_dual_fma_f32 v17, -v16, v15, v18 :: v_dual_bitop2_b32 v14, 1, v14 bitop3:0x54
	v_cvt_i32_f32_e32 v16, v16
	v_cmp_ge_f32_e64 vcc_lo, |v17|, |v15|
	s_delay_alu instid0(VALU_DEP_3) | instskip(NEXT) | instid1(VALU_DEP_1)
	v_cndmask_b32_e32 v14, 0, v14, vcc_lo
	v_add_nc_u32_e32 v14, v16, v14
	s_delay_alu instid0(VALU_DEP_1) | instskip(NEXT) | instid1(VALU_DEP_1)
	v_mul_lo_u32 v14, v14, v9
	v_sub_nc_u32_e32 v7, v7, v14
	s_delay_alu instid0(VALU_DEP_1) | instskip(SKIP_1) | instid1(VALU_DEP_2)
	v_bfe_i32 v14, v7, 0, 8
	v_mov_b32_e32 v7, v9
	v_cmp_eq_u16_e32 vcc_lo, 0, v14
	v_and_b32_e32 v14, 0xffff, v14
	s_or_b32 s10, vcc_lo, s10
	s_delay_alu instid0(SALU_CYCLE_1)
	s_and_not1_b32 exec_lo, exec_lo, s10
	s_cbranch_execnz .LBB9_31
; %bb.32:
	s_or_b32 exec_lo, exec_lo, s10
.LBB9_33:
	s_delay_alu instid0(SALU_CYCLE_1)
	s_or_b32 exec_lo, exec_lo, s0
	s_wait_loadcnt 0x0
	v_bfe_i32 v7, v4, 0, 8
	v_and_b32_e32 v15, 0xff, v2
	s_mov_b32 s10, 0
	s_mov_b32 s0, exec_lo
	s_delay_alu instid0(VALU_DEP_2) | instskip(NEXT) | instid1(VALU_DEP_1)
	v_sub_nc_u16 v14, 0, v7
	v_max_i16 v7, v7, v14
	v_cmpx_ne_u16_e32 0, v15
	s_cbranch_execz .LBB9_37
; %bb.34:
	v_bfe_i32 v14, v2, 0, 8
	s_delay_alu instid0(VALU_DEP_1) | instskip(NEXT) | instid1(VALU_DEP_1)
	v_sub_nc_u16 v15, 0, v14
	v_max_i16 v15, v14, v15
	v_and_b32_e32 v14, 0xff, v7
	s_delay_alu instid0(VALU_DEP_2)
	v_and_b32_e32 v15, 0xffff, v15
.LBB9_35:                               ; =>This Inner Loop Header: Depth=1
	s_delay_alu instid0(VALU_DEP_2) | instskip(NEXT) | instid1(VALU_DEP_2)
	v_bfe_i32 v17, v14, 0, 8
	v_mov_b32_e32 v7, v15
	s_delay_alu instid0(VALU_DEP_2) | instskip(NEXT) | instid1(VALU_DEP_2)
	v_cvt_f32_i32_e32 v19, v17
	v_bfe_i32 v15, v7, 0, 8
	s_delay_alu instid0(VALU_DEP_1) | instskip(SKIP_1) | instid1(VALU_DEP_2)
	v_cvt_f32_i32_e32 v16, v15
	v_xor_b32_e32 v15, v17, v15
	v_rcp_iflag_f32_e32 v18, v16
	v_nop
	s_delay_alu instid0(TRANS32_DEP_1) | instskip(NEXT) | instid1(VALU_DEP_1)
	v_dual_ashrrev_i32 v15, 30, v15 :: v_dual_mul_f32 v17, v19, v18
	v_trunc_f32_e32 v17, v17
	s_delay_alu instid0(VALU_DEP_1) | instskip(SKIP_1) | instid1(VALU_DEP_2)
	v_dual_fma_f32 v18, -v17, v16, v19 :: v_dual_bitop2_b32 v15, 1, v15 bitop3:0x54
	v_cvt_i32_f32_e32 v17, v17
	v_cmp_ge_f32_e64 vcc_lo, |v18|, |v16|
	s_delay_alu instid0(VALU_DEP_3) | instskip(NEXT) | instid1(VALU_DEP_1)
	v_cndmask_b32_e32 v15, 0, v15, vcc_lo
	v_add_nc_u32_e32 v15, v17, v15
	s_delay_alu instid0(VALU_DEP_1) | instskip(NEXT) | instid1(VALU_DEP_1)
	v_mul_lo_u32 v15, v15, v7
	v_sub_nc_u32_e32 v14, v14, v15
	s_delay_alu instid0(VALU_DEP_1) | instskip(SKIP_1) | instid1(VALU_DEP_2)
	v_bfe_i32 v15, v14, 0, 8
	v_mov_b32_e32 v14, v7
	v_cmp_eq_u16_e32 vcc_lo, 0, v15
	v_and_b32_e32 v15, 0xffff, v15
	s_or_b32 s10, vcc_lo, s10
	s_delay_alu instid0(SALU_CYCLE_1)
	s_and_not1_b32 exec_lo, exec_lo, s10
	s_cbranch_execnz .LBB9_35
; %bb.36:
	s_or_b32 exec_lo, exec_lo, s10
.LBB9_37:
	s_delay_alu instid0(SALU_CYCLE_1) | instskip(SKIP_3) | instid1(VALU_DEP_1)
	s_or_b32 exec_lo, exec_lo, s0
	v_dual_lshrrev_b32 v14, 8, v4 :: v_dual_lshrrev_b32 v15, 8, v2
	s_mov_b32 s10, 0
	s_mov_b32 s0, exec_lo
	v_bfe_i32 v14, v14, 0, 8
	s_delay_alu instid0(VALU_DEP_2) | instskip(NEXT) | instid1(VALU_DEP_2)
	v_and_b32_e32 v15, 0xff, v15
	v_sub_nc_u16 v16, 0, v14
	s_delay_alu instid0(VALU_DEP_1) | instskip(NEXT) | instid1(VALU_DEP_3)
	v_max_i16 v14, v14, v16
	v_cmpx_ne_u16_e32 0, v15
	s_cbranch_execz .LBB9_41
; %bb.38:
	v_ashrrev_i16 v15, 8, v2
	s_delay_alu instid0(VALU_DEP_1) | instskip(NEXT) | instid1(VALU_DEP_1)
	v_sub_nc_u16 v16, 0, v15
	v_max_i16 v16, v15, v16
	v_and_b32_e32 v15, 0xff, v14
	s_delay_alu instid0(VALU_DEP_2)
	v_and_b32_e32 v16, 0xffff, v16
.LBB9_39:                               ; =>This Inner Loop Header: Depth=1
	s_delay_alu instid0(VALU_DEP_2) | instskip(NEXT) | instid1(VALU_DEP_2)
	v_bfe_i32 v18, v15, 0, 8
	v_mov_b32_e32 v14, v16
	s_delay_alu instid0(VALU_DEP_2) | instskip(NEXT) | instid1(VALU_DEP_2)
	v_cvt_f32_i32_e32 v20, v18
	v_bfe_i32 v16, v14, 0, 8
	s_delay_alu instid0(VALU_DEP_1) | instskip(SKIP_1) | instid1(VALU_DEP_2)
	v_cvt_f32_i32_e32 v17, v16
	v_xor_b32_e32 v16, v18, v16
	v_rcp_iflag_f32_e32 v19, v17
	v_nop
	s_delay_alu instid0(TRANS32_DEP_1) | instskip(NEXT) | instid1(VALU_DEP_1)
	v_dual_ashrrev_i32 v16, 30, v16 :: v_dual_mul_f32 v18, v20, v19
	v_trunc_f32_e32 v18, v18
	s_delay_alu instid0(VALU_DEP_1) | instskip(SKIP_1) | instid1(VALU_DEP_2)
	v_dual_fma_f32 v19, -v18, v17, v20 :: v_dual_bitop2_b32 v16, 1, v16 bitop3:0x54
	v_cvt_i32_f32_e32 v18, v18
	v_cmp_ge_f32_e64 vcc_lo, |v19|, |v17|
	s_delay_alu instid0(VALU_DEP_3) | instskip(NEXT) | instid1(VALU_DEP_1)
	v_cndmask_b32_e32 v16, 0, v16, vcc_lo
	v_add_nc_u32_e32 v16, v18, v16
	s_delay_alu instid0(VALU_DEP_1) | instskip(NEXT) | instid1(VALU_DEP_1)
	v_mul_lo_u32 v16, v16, v14
	v_sub_nc_u32_e32 v15, v15, v16
	s_delay_alu instid0(VALU_DEP_1) | instskip(SKIP_1) | instid1(VALU_DEP_2)
	v_bfe_i32 v16, v15, 0, 8
	v_mov_b32_e32 v15, v14
	v_cmp_eq_u16_e32 vcc_lo, 0, v16
	v_and_b32_e32 v16, 0xffff, v16
	s_or_b32 s10, vcc_lo, s10
	s_delay_alu instid0(SALU_CYCLE_1)
	s_and_not1_b32 exec_lo, exec_lo, s10
	s_cbranch_execnz .LBB9_39
; %bb.40:
	s_or_b32 exec_lo, exec_lo, s10
.LBB9_41:
	s_delay_alu instid0(SALU_CYCLE_1) | instskip(SKIP_3) | instid1(VALU_DEP_1)
	s_or_b32 exec_lo, exec_lo, s0
	v_dual_lshrrev_b32 v15, 16, v4 :: v_dual_lshrrev_b32 v16, 16, v2
	s_mov_b32 s10, 0
	s_mov_b32 s0, exec_lo
	v_bfe_i32 v15, v15, 0, 8
	s_delay_alu instid0(VALU_DEP_2) | instskip(NEXT) | instid1(VALU_DEP_2)
	v_and_b32_e32 v18, 0xff, v16
	v_sub_nc_u16 v17, 0, v15
	s_delay_alu instid0(VALU_DEP_1) | instskip(NEXT) | instid1(VALU_DEP_3)
	v_max_i16 v15, v15, v17
	v_cmpx_ne_u16_e32 0, v18
	s_cbranch_execz .LBB9_45
; %bb.42:
	v_bfe_i32 v16, v16, 0, 8
	s_delay_alu instid0(VALU_DEP_1) | instskip(NEXT) | instid1(VALU_DEP_1)
	v_sub_nc_u16 v17, 0, v16
	v_max_i16 v17, v16, v17
	v_and_b32_e32 v16, 0xff, v15
	s_delay_alu instid0(VALU_DEP_2)
	v_and_b32_e32 v17, 0xffff, v17
.LBB9_43:                               ; =>This Inner Loop Header: Depth=1
	s_delay_alu instid0(VALU_DEP_2) | instskip(NEXT) | instid1(VALU_DEP_2)
	v_bfe_i32 v19, v16, 0, 8
	v_mov_b32_e32 v15, v17
	s_delay_alu instid0(VALU_DEP_2) | instskip(NEXT) | instid1(VALU_DEP_2)
	v_cvt_f32_i32_e32 v21, v19
	v_bfe_i32 v17, v15, 0, 8
	s_delay_alu instid0(VALU_DEP_1) | instskip(SKIP_1) | instid1(VALU_DEP_2)
	v_cvt_f32_i32_e32 v18, v17
	v_xor_b32_e32 v17, v19, v17
	v_rcp_iflag_f32_e32 v20, v18
	v_nop
	s_delay_alu instid0(TRANS32_DEP_1) | instskip(NEXT) | instid1(VALU_DEP_1)
	v_dual_ashrrev_i32 v17, 30, v17 :: v_dual_mul_f32 v19, v21, v20
	v_trunc_f32_e32 v19, v19
	s_delay_alu instid0(VALU_DEP_1) | instskip(SKIP_1) | instid1(VALU_DEP_2)
	v_dual_fma_f32 v20, -v19, v18, v21 :: v_dual_bitop2_b32 v17, 1, v17 bitop3:0x54
	v_cvt_i32_f32_e32 v19, v19
	v_cmp_ge_f32_e64 vcc_lo, |v20|, |v18|
	s_delay_alu instid0(VALU_DEP_3) | instskip(NEXT) | instid1(VALU_DEP_1)
	v_cndmask_b32_e32 v17, 0, v17, vcc_lo
	v_add_nc_u32_e32 v17, v19, v17
	s_delay_alu instid0(VALU_DEP_1) | instskip(NEXT) | instid1(VALU_DEP_1)
	v_mul_lo_u32 v17, v17, v15
	v_sub_nc_u32_e32 v16, v16, v17
	s_delay_alu instid0(VALU_DEP_1) | instskip(SKIP_1) | instid1(VALU_DEP_2)
	v_bfe_i32 v17, v16, 0, 8
	v_mov_b32_e32 v16, v15
	v_cmp_eq_u16_e32 vcc_lo, 0, v17
	v_and_b32_e32 v17, 0xffff, v17
	s_or_b32 s10, vcc_lo, s10
	s_delay_alu instid0(SALU_CYCLE_1)
	s_and_not1_b32 exec_lo, exec_lo, s10
	s_cbranch_execnz .LBB9_43
; %bb.44:
	s_or_b32 exec_lo, exec_lo, s10
.LBB9_45:
	s_delay_alu instid0(SALU_CYCLE_1) | instskip(SKIP_3) | instid1(VALU_DEP_1)
	s_or_b32 exec_lo, exec_lo, s0
	v_lshrrev_b32_e32 v4, 24, v4
	s_mov_b32 s10, 0
	s_mov_b32 s0, exec_lo
	v_bfe_i32 v4, v4, 0, 8
	s_delay_alu instid0(VALU_DEP_1) | instskip(NEXT) | instid1(VALU_DEP_1)
	v_sub_nc_u16 v16, 0, v4
	v_max_i16 v4, v4, v16
	v_cmpx_lt_u32_e32 0xffffff, v2
	s_cbranch_execz .LBB9_49
; %bb.46:
	v_lshrrev_b32_e32 v2, 24, v2
	s_delay_alu instid0(VALU_DEP_1) | instskip(NEXT) | instid1(VALU_DEP_1)
	v_bfe_i32 v2, v2, 0, 8
	v_sub_nc_u16 v16, 0, v2
	s_delay_alu instid0(VALU_DEP_1) | instskip(SKIP_1) | instid1(VALU_DEP_2)
	v_max_i16 v16, v2, v16
	v_and_b32_e32 v2, 0xff, v4
	v_and_b32_e32 v16, 0xffff, v16
.LBB9_47:                               ; =>This Inner Loop Header: Depth=1
	s_delay_alu instid0(VALU_DEP_2) | instskip(NEXT) | instid1(VALU_DEP_2)
	v_bfe_i32 v18, v2, 0, 8
	v_mov_b32_e32 v4, v16
	s_delay_alu instid0(VALU_DEP_2) | instskip(NEXT) | instid1(VALU_DEP_2)
	v_cvt_f32_i32_e32 v20, v18
	v_bfe_i32 v16, v4, 0, 8
	s_delay_alu instid0(VALU_DEP_1) | instskip(SKIP_1) | instid1(VALU_DEP_2)
	v_cvt_f32_i32_e32 v17, v16
	v_xor_b32_e32 v16, v18, v16
	v_rcp_iflag_f32_e32 v19, v17
	v_nop
	s_delay_alu instid0(TRANS32_DEP_1) | instskip(NEXT) | instid1(VALU_DEP_1)
	v_dual_ashrrev_i32 v16, 30, v16 :: v_dual_mul_f32 v18, v20, v19
	v_trunc_f32_e32 v18, v18
	s_delay_alu instid0(VALU_DEP_1) | instskip(SKIP_1) | instid1(VALU_DEP_2)
	v_dual_fma_f32 v19, -v18, v17, v20 :: v_dual_bitop2_b32 v16, 1, v16 bitop3:0x54
	v_cvt_i32_f32_e32 v18, v18
	v_cmp_ge_f32_e64 vcc_lo, |v19|, |v17|
	s_delay_alu instid0(VALU_DEP_3) | instskip(NEXT) | instid1(VALU_DEP_1)
	v_cndmask_b32_e32 v16, 0, v16, vcc_lo
	v_add_nc_u32_e32 v16, v18, v16
	s_delay_alu instid0(VALU_DEP_1) | instskip(NEXT) | instid1(VALU_DEP_1)
	v_mul_lo_u32 v16, v16, v4
	v_sub_nc_u32_e32 v2, v2, v16
	s_delay_alu instid0(VALU_DEP_1) | instskip(SKIP_1) | instid1(VALU_DEP_2)
	v_bfe_i32 v16, v2, 0, 8
	v_mov_b32_e32 v2, v4
	v_cmp_eq_u16_e32 vcc_lo, 0, v16
	v_and_b32_e32 v16, 0xffff, v16
	s_or_b32 s10, vcc_lo, s10
	s_delay_alu instid0(SALU_CYCLE_1)
	s_and_not1_b32 exec_lo, exec_lo, s10
	s_cbranch_execnz .LBB9_47
; %bb.48:
	s_or_b32 exec_lo, exec_lo, s10
.LBB9_49:
	s_delay_alu instid0(SALU_CYCLE_1) | instskip(SKIP_4) | instid1(VALU_DEP_2)
	s_or_b32 exec_lo, exec_lo, s0
	v_bfe_i32 v2, v5, 0, 8
	v_and_b32_e32 v17, 0xff, v3
	s_mov_b32 s10, 0
	s_mov_b32 s0, exec_lo
	v_sub_nc_u16 v16, 0, v2
	s_delay_alu instid0(VALU_DEP_1)
	v_max_i16 v2, v2, v16
	v_cmpx_ne_u16_e32 0, v17
	s_cbranch_execz .LBB9_53
; %bb.50:
	v_bfe_i32 v16, v3, 0, 8
	s_delay_alu instid0(VALU_DEP_1) | instskip(NEXT) | instid1(VALU_DEP_1)
	v_sub_nc_u16 v17, 0, v16
	v_max_i16 v17, v16, v17
	v_and_b32_e32 v16, 0xff, v2
	s_delay_alu instid0(VALU_DEP_2)
	v_and_b32_e32 v17, 0xffff, v17
.LBB9_51:                               ; =>This Inner Loop Header: Depth=1
	s_delay_alu instid0(VALU_DEP_2) | instskip(NEXT) | instid1(VALU_DEP_2)
	v_bfe_i32 v19, v16, 0, 8
	v_mov_b32_e32 v2, v17
	s_delay_alu instid0(VALU_DEP_2) | instskip(NEXT) | instid1(VALU_DEP_2)
	v_cvt_f32_i32_e32 v21, v19
	v_bfe_i32 v17, v2, 0, 8
	s_delay_alu instid0(VALU_DEP_1) | instskip(SKIP_1) | instid1(VALU_DEP_2)
	v_cvt_f32_i32_e32 v18, v17
	v_xor_b32_e32 v17, v19, v17
	v_rcp_iflag_f32_e32 v20, v18
	v_nop
	s_delay_alu instid0(TRANS32_DEP_1) | instskip(NEXT) | instid1(VALU_DEP_1)
	v_dual_ashrrev_i32 v17, 30, v17 :: v_dual_mul_f32 v19, v21, v20
	v_trunc_f32_e32 v19, v19
	s_delay_alu instid0(VALU_DEP_1) | instskip(SKIP_1) | instid1(VALU_DEP_2)
	v_dual_fma_f32 v20, -v19, v18, v21 :: v_dual_bitop2_b32 v17, 1, v17 bitop3:0x54
	v_cvt_i32_f32_e32 v19, v19
	v_cmp_ge_f32_e64 vcc_lo, |v20|, |v18|
	s_delay_alu instid0(VALU_DEP_3) | instskip(NEXT) | instid1(VALU_DEP_1)
	v_cndmask_b32_e32 v17, 0, v17, vcc_lo
	v_add_nc_u32_e32 v17, v19, v17
	s_delay_alu instid0(VALU_DEP_1) | instskip(NEXT) | instid1(VALU_DEP_1)
	v_mul_lo_u32 v17, v17, v2
	v_sub_nc_u32_e32 v16, v16, v17
	s_delay_alu instid0(VALU_DEP_1) | instskip(SKIP_1) | instid1(VALU_DEP_2)
	v_bfe_i32 v17, v16, 0, 8
	v_mov_b32_e32 v16, v2
	v_cmp_eq_u16_e32 vcc_lo, 0, v17
	v_and_b32_e32 v17, 0xffff, v17
	s_or_b32 s10, vcc_lo, s10
	s_delay_alu instid0(SALU_CYCLE_1)
	s_and_not1_b32 exec_lo, exec_lo, s10
	s_cbranch_execnz .LBB9_51
; %bb.52:
	s_or_b32 exec_lo, exec_lo, s10
.LBB9_53:
	s_delay_alu instid0(SALU_CYCLE_1) | instskip(SKIP_3) | instid1(VALU_DEP_1)
	s_or_b32 exec_lo, exec_lo, s0
	v_dual_lshrrev_b32 v16, 8, v5 :: v_dual_lshrrev_b32 v17, 8, v3
	s_mov_b32 s10, 0
	s_mov_b32 s0, exec_lo
	v_bfe_i32 v16, v16, 0, 8
	s_delay_alu instid0(VALU_DEP_2) | instskip(NEXT) | instid1(VALU_DEP_2)
	v_and_b32_e32 v17, 0xff, v17
	v_sub_nc_u16 v18, 0, v16
	s_delay_alu instid0(VALU_DEP_1) | instskip(NEXT) | instid1(VALU_DEP_3)
	v_max_i16 v16, v16, v18
	v_cmpx_ne_u16_e32 0, v17
	s_cbranch_execz .LBB9_57
; %bb.54:
	v_ashrrev_i16 v17, 8, v3
	s_delay_alu instid0(VALU_DEP_1) | instskip(NEXT) | instid1(VALU_DEP_1)
	v_sub_nc_u16 v18, 0, v17
	v_max_i16 v18, v17, v18
	v_and_b32_e32 v17, 0xff, v16
	s_delay_alu instid0(VALU_DEP_2)
	v_and_b32_e32 v18, 0xffff, v18
.LBB9_55:                               ; =>This Inner Loop Header: Depth=1
	s_delay_alu instid0(VALU_DEP_2) | instskip(NEXT) | instid1(VALU_DEP_2)
	v_bfe_i32 v20, v17, 0, 8
	v_mov_b32_e32 v16, v18
	s_delay_alu instid0(VALU_DEP_2) | instskip(NEXT) | instid1(VALU_DEP_2)
	v_cvt_f32_i32_e32 v22, v20
	v_bfe_i32 v18, v16, 0, 8
	s_delay_alu instid0(VALU_DEP_1) | instskip(SKIP_1) | instid1(VALU_DEP_2)
	v_cvt_f32_i32_e32 v19, v18
	v_xor_b32_e32 v18, v20, v18
	v_rcp_iflag_f32_e32 v21, v19
	v_nop
	s_delay_alu instid0(TRANS32_DEP_1) | instskip(NEXT) | instid1(VALU_DEP_1)
	v_dual_ashrrev_i32 v18, 30, v18 :: v_dual_mul_f32 v20, v22, v21
	v_trunc_f32_e32 v20, v20
	s_delay_alu instid0(VALU_DEP_1) | instskip(SKIP_1) | instid1(VALU_DEP_2)
	v_dual_fma_f32 v21, -v20, v19, v22 :: v_dual_bitop2_b32 v18, 1, v18 bitop3:0x54
	v_cvt_i32_f32_e32 v20, v20
	v_cmp_ge_f32_e64 vcc_lo, |v21|, |v19|
	s_delay_alu instid0(VALU_DEP_3) | instskip(NEXT) | instid1(VALU_DEP_1)
	v_cndmask_b32_e32 v18, 0, v18, vcc_lo
	v_add_nc_u32_e32 v18, v20, v18
	s_delay_alu instid0(VALU_DEP_1) | instskip(NEXT) | instid1(VALU_DEP_1)
	v_mul_lo_u32 v18, v18, v16
	v_sub_nc_u32_e32 v17, v17, v18
	s_delay_alu instid0(VALU_DEP_1) | instskip(SKIP_1) | instid1(VALU_DEP_2)
	v_bfe_i32 v18, v17, 0, 8
	v_mov_b32_e32 v17, v16
	v_cmp_eq_u16_e32 vcc_lo, 0, v18
	v_and_b32_e32 v18, 0xffff, v18
	s_or_b32 s10, vcc_lo, s10
	s_delay_alu instid0(SALU_CYCLE_1)
	s_and_not1_b32 exec_lo, exec_lo, s10
	s_cbranch_execnz .LBB9_55
; %bb.56:
	s_or_b32 exec_lo, exec_lo, s10
.LBB9_57:
	s_delay_alu instid0(SALU_CYCLE_1) | instskip(SKIP_3) | instid1(VALU_DEP_1)
	s_or_b32 exec_lo, exec_lo, s0
	v_dual_lshrrev_b32 v17, 16, v5 :: v_dual_lshrrev_b32 v18, 16, v3
	s_mov_b32 s10, 0
	s_mov_b32 s0, exec_lo
	v_bfe_i32 v17, v17, 0, 8
	s_delay_alu instid0(VALU_DEP_2) | instskip(NEXT) | instid1(VALU_DEP_2)
	v_and_b32_e32 v20, 0xff, v18
	v_sub_nc_u16 v19, 0, v17
	s_delay_alu instid0(VALU_DEP_1) | instskip(NEXT) | instid1(VALU_DEP_3)
	v_max_i16 v17, v17, v19
	v_cmpx_ne_u16_e32 0, v20
	s_cbranch_execz .LBB9_61
; %bb.58:
	v_bfe_i32 v18, v18, 0, 8
	s_delay_alu instid0(VALU_DEP_1) | instskip(NEXT) | instid1(VALU_DEP_1)
	v_sub_nc_u16 v19, 0, v18
	v_max_i16 v19, v18, v19
	v_and_b32_e32 v18, 0xff, v17
	s_delay_alu instid0(VALU_DEP_2)
	v_and_b32_e32 v19, 0xffff, v19
.LBB9_59:                               ; =>This Inner Loop Header: Depth=1
	s_delay_alu instid0(VALU_DEP_2) | instskip(NEXT) | instid1(VALU_DEP_2)
	v_bfe_i32 v21, v18, 0, 8
	v_mov_b32_e32 v17, v19
	s_delay_alu instid0(VALU_DEP_2) | instskip(NEXT) | instid1(VALU_DEP_2)
	v_cvt_f32_i32_e32 v23, v21
	v_bfe_i32 v19, v17, 0, 8
	s_delay_alu instid0(VALU_DEP_1) | instskip(SKIP_1) | instid1(VALU_DEP_2)
	v_cvt_f32_i32_e32 v20, v19
	v_xor_b32_e32 v19, v21, v19
	v_rcp_iflag_f32_e32 v22, v20
	v_nop
	s_delay_alu instid0(TRANS32_DEP_1) | instskip(NEXT) | instid1(VALU_DEP_1)
	v_dual_ashrrev_i32 v19, 30, v19 :: v_dual_mul_f32 v21, v23, v22
	v_trunc_f32_e32 v21, v21
	s_delay_alu instid0(VALU_DEP_1) | instskip(SKIP_1) | instid1(VALU_DEP_2)
	v_dual_fma_f32 v22, -v21, v20, v23 :: v_dual_bitop2_b32 v19, 1, v19 bitop3:0x54
	v_cvt_i32_f32_e32 v21, v21
	v_cmp_ge_f32_e64 vcc_lo, |v22|, |v20|
	s_delay_alu instid0(VALU_DEP_3) | instskip(NEXT) | instid1(VALU_DEP_1)
	v_cndmask_b32_e32 v19, 0, v19, vcc_lo
	v_add_nc_u32_e32 v19, v21, v19
	s_delay_alu instid0(VALU_DEP_1) | instskip(NEXT) | instid1(VALU_DEP_1)
	v_mul_lo_u32 v19, v19, v17
	v_sub_nc_u32_e32 v18, v18, v19
	s_delay_alu instid0(VALU_DEP_1) | instskip(SKIP_1) | instid1(VALU_DEP_2)
	v_bfe_i32 v19, v18, 0, 8
	v_mov_b32_e32 v18, v17
	v_cmp_eq_u16_e32 vcc_lo, 0, v19
	v_and_b32_e32 v19, 0xffff, v19
	s_or_b32 s10, vcc_lo, s10
	s_delay_alu instid0(SALU_CYCLE_1)
	s_and_not1_b32 exec_lo, exec_lo, s10
	s_cbranch_execnz .LBB9_59
; %bb.60:
	s_or_b32 exec_lo, exec_lo, s10
.LBB9_61:
	s_delay_alu instid0(SALU_CYCLE_1) | instskip(SKIP_3) | instid1(VALU_DEP_1)
	s_or_b32 exec_lo, exec_lo, s0
	v_lshrrev_b32_e32 v5, 24, v5
	s_mov_b32 s10, 0
	s_mov_b32 s0, exec_lo
	v_bfe_i32 v5, v5, 0, 8
	s_delay_alu instid0(VALU_DEP_1) | instskip(NEXT) | instid1(VALU_DEP_1)
	v_sub_nc_u16 v18, 0, v5
	v_max_i16 v5, v5, v18
	v_cmpx_lt_u32_e32 0xffffff, v3
	s_cbranch_execz .LBB9_65
; %bb.62:
	v_lshrrev_b32_e32 v3, 24, v3
	s_delay_alu instid0(VALU_DEP_1) | instskip(NEXT) | instid1(VALU_DEP_1)
	v_bfe_i32 v3, v3, 0, 8
	v_sub_nc_u16 v18, 0, v3
	s_delay_alu instid0(VALU_DEP_1) | instskip(SKIP_1) | instid1(VALU_DEP_2)
	v_max_i16 v18, v3, v18
	v_and_b32_e32 v3, 0xff, v5
	v_and_b32_e32 v18, 0xffff, v18
.LBB9_63:                               ; =>This Inner Loop Header: Depth=1
	s_delay_alu instid0(VALU_DEP_2) | instskip(NEXT) | instid1(VALU_DEP_2)
	v_bfe_i32 v20, v3, 0, 8
	v_mov_b32_e32 v5, v18
	s_delay_alu instid0(VALU_DEP_2) | instskip(NEXT) | instid1(VALU_DEP_2)
	v_cvt_f32_i32_e32 v22, v20
	v_bfe_i32 v18, v5, 0, 8
	s_delay_alu instid0(VALU_DEP_1) | instskip(SKIP_1) | instid1(VALU_DEP_2)
	v_cvt_f32_i32_e32 v19, v18
	v_xor_b32_e32 v18, v20, v18
	v_rcp_iflag_f32_e32 v21, v19
	v_nop
	s_delay_alu instid0(TRANS32_DEP_1) | instskip(NEXT) | instid1(VALU_DEP_1)
	v_dual_ashrrev_i32 v18, 30, v18 :: v_dual_mul_f32 v20, v22, v21
	v_trunc_f32_e32 v20, v20
	s_delay_alu instid0(VALU_DEP_1) | instskip(SKIP_1) | instid1(VALU_DEP_2)
	v_dual_fma_f32 v21, -v20, v19, v22 :: v_dual_bitop2_b32 v18, 1, v18 bitop3:0x54
	v_cvt_i32_f32_e32 v20, v20
	v_cmp_ge_f32_e64 vcc_lo, |v21|, |v19|
	s_delay_alu instid0(VALU_DEP_3) | instskip(NEXT) | instid1(VALU_DEP_1)
	v_cndmask_b32_e32 v18, 0, v18, vcc_lo
	v_add_nc_u32_e32 v18, v20, v18
	s_delay_alu instid0(VALU_DEP_1) | instskip(NEXT) | instid1(VALU_DEP_1)
	v_mul_lo_u32 v18, v18, v5
	v_sub_nc_u32_e32 v3, v3, v18
	s_delay_alu instid0(VALU_DEP_1) | instskip(SKIP_1) | instid1(VALU_DEP_2)
	v_bfe_i32 v18, v3, 0, 8
	v_mov_b32_e32 v3, v5
	v_cmp_eq_u16_e32 vcc_lo, 0, v18
	v_and_b32_e32 v18, 0xffff, v18
	s_or_b32 s10, vcc_lo, s10
	s_delay_alu instid0(SALU_CYCLE_1)
	s_and_not1_b32 exec_lo, exec_lo, s10
	s_cbranch_execnz .LBB9_63
; %bb.64:
	s_or_b32 exec_lo, exec_lo, s10
.LBB9_65:
	s_delay_alu instid0(SALU_CYCLE_1) | instskip(NEXT) | instid1(VALU_DEP_2)
	s_or_b32 exec_lo, exec_lo, s0
	v_perm_b32 v3, v17, v5, 0xc0c0004
	v_perm_b32 v5, v6, v12, 0xc0c0004
	;; [unrolled: 1-line block ×8, first 2 shown]
	v_lshl_or_b32 v5, v6, 16, v5
	v_lshl_or_b32 v4, v8, 16, v1
	;; [unrolled: 1-line block ×3, first 2 shown]
	s_add_nc_u64 s[10:11], s[4:5], s[2:3]
	v_lshl_or_b32 v2, v9, 16, v7
	s_mov_b32 s0, 0
	s_clause 0x1
	global_store_b64 v0, v[4:5], s[10:11] scale_offset
	global_store_b64 v0, v[2:3], s[10:11] offset:2048 scale_offset
.LBB9_66:
	s_and_b32 vcc_lo, exec_lo, s0
	s_cbranch_vccz .LBB9_207
; %bb.67:
	v_cmp_gt_i32_e32 vcc_lo, s1, v0
	s_wait_xcnt 0x0
	v_dual_mov_b32 v2, 0 :: v_dual_bitop2_b32 v10, s2, v0 bitop3:0x54
	v_or_b32_e32 v11, 0x100, v0
	v_dual_mov_b32 v13, 0 :: v_dual_mov_b32 v12, 0
	v_dual_mov_b32 v14, 0 :: v_dual_mov_b32 v15, 0
	;; [unrolled: 1-line block ×16, first 2 shown]
	s_and_saveexec_b32 s3, vcc_lo
	s_cbranch_execz .LBB9_99
; %bb.68:
	s_clause 0x1
	global_load_u8 v40, v10, s[6:7]
	global_load_u8 v41, v10, s[8:9]
	v_or_b32_e32 v1, 0x100, v0
	v_dual_mov_b32 v39, 0 :: v_dual_mov_b32 v38, 0
	v_dual_mov_b32 v5, 0 :: v_dual_mov_b32 v37, 0
	s_delay_alu instid0(VALU_DEP_3)
	v_cmp_gt_u32_e64 s0, s1, v1
	v_dual_mov_b32 v6, 0 :: v_dual_mov_b32 v36, 0
	v_dual_mov_b32 v35, 0 :: v_dual_mov_b32 v34, 0
	;; [unrolled: 1-line block ×13, first 2 shown]
	s_wait_xcnt 0x0
	s_and_saveexec_b32 s10, s0
	s_cbranch_execz .LBB9_98
; %bb.69:
	v_dual_mov_b32 v5, 0 :: v_dual_add_nc_u32 v4, s2, v0
	v_or_b32_e32 v1, 0x200, v0
	v_dual_mov_b32 v37, 0 :: v_dual_mov_b32 v6, 0
	s_clause 0x1
	global_load_u8 v38, v4, s[6:7] offset:256
	global_load_u8 v39, v4, s[8:9] offset:256
	v_dual_mov_b32 v36, 0 :: v_dual_mov_b32 v35, 0
	v_cmp_gt_u32_e64 s0, s1, v1
	v_dual_mov_b32 v34, 0 :: v_dual_mov_b32 v33, 0
	v_dual_mov_b32 v32, 0 :: v_dual_mov_b32 v31, 0
	;; [unrolled: 1-line block ×11, first 2 shown]
	v_mov_b32_e32 v13, 0
	s_wait_xcnt 0x0
	s_and_saveexec_b32 s11, s0
	s_cbranch_execz .LBB9_97
; %bb.70:
	v_add_nc_u64_e32 v[6:7], s[6:7], v[4:5]
	v_add_nc_u64_e32 v[8:9], s[8:9], v[4:5]
	v_or_b32_e32 v3, 0x300, v0
	v_dual_mov_b32 v36, 0 :: v_dual_mov_b32 v35, 0
	v_dual_mov_b32 v34, 0 :: v_dual_mov_b32 v33, 0
	global_load_u8 v37, v[6:7], off offset:512
	global_load_u8 v1, v[8:9], off offset:512
	v_cmp_gt_u32_e64 s0, s1, v3
	v_dual_mov_b32 v32, 0 :: v_dual_mov_b32 v31, 0
	v_dual_mov_b32 v30, 0 :: v_dual_mov_b32 v29, 0
	;; [unrolled: 1-line block ×10, first 2 shown]
	v_mov_b32_e32 v13, 0
	s_wait_xcnt 0x0
	s_and_saveexec_b32 s6, s0
	s_cbranch_execz .LBB9_96
; %bb.71:
	global_load_u8 v36, v[6:7], off offset:768
	global_load_u8 v5, v[8:9], off offset:768
	v_or_b32_e32 v3, 0x400, v0
	v_dual_mov_b32 v35, 0 :: v_dual_mov_b32 v34, 0
	v_dual_mov_b32 v33, 0 :: v_dual_mov_b32 v32, 0
	s_delay_alu instid0(VALU_DEP_3)
	v_cmp_gt_u32_e64 s0, s1, v3
	v_dual_mov_b32 v31, 0 :: v_dual_mov_b32 v30, 0
	v_dual_mov_b32 v29, 0 :: v_dual_mov_b32 v28, 0
	;; [unrolled: 1-line block ×10, first 2 shown]
	s_wait_xcnt 0x0
	s_and_saveexec_b32 s7, s0
	s_cbranch_execz .LBB9_95
; %bb.72:
	global_load_u8 v34, v[6:7], off offset:1024
	global_load_u8 v35, v[8:9], off offset:1024
	v_or_b32_e32 v3, 0x500, v0
	v_dual_mov_b32 v33, 0 :: v_dual_mov_b32 v32, 0
	v_dual_mov_b32 v31, 0 :: v_dual_mov_b32 v30, 0
	s_delay_alu instid0(VALU_DEP_3)
	v_cmp_gt_u32_e64 s0, s1, v3
	v_dual_mov_b32 v29, 0 :: v_dual_mov_b32 v28, 0
	v_dual_mov_b32 v27, 0 :: v_dual_mov_b32 v26, 0
	;; [unrolled: 1-line block ×9, first 2 shown]
	s_wait_xcnt 0x0
	s_and_saveexec_b32 s8, s0
	s_cbranch_execz .LBB9_94
; %bb.73:
	global_load_u8 v32, v[6:7], off offset:1280
	global_load_u8 v33, v[8:9], off offset:1280
	v_or_b32_e32 v3, 0x600, v0
	v_dual_mov_b32 v31, 0 :: v_dual_mov_b32 v30, 0
	v_dual_mov_b32 v29, 0 :: v_dual_mov_b32 v28, 0
	s_delay_alu instid0(VALU_DEP_3)
	v_cmp_gt_u32_e64 s0, s1, v3
	v_dual_mov_b32 v27, 0 :: v_dual_mov_b32 v26, 0
	v_dual_mov_b32 v25, 0 :: v_dual_mov_b32 v24, 0
	;; [unrolled: 1-line block ×8, first 2 shown]
	s_wait_xcnt 0x0
	s_and_saveexec_b32 s9, s0
	s_cbranch_execz .LBB9_93
; %bb.74:
	global_load_u8 v30, v[6:7], off offset:1536
	global_load_u8 v31, v[8:9], off offset:1536
	v_or_b32_e32 v3, 0x700, v0
	v_dual_mov_b32 v29, 0 :: v_dual_mov_b32 v28, 0
	v_dual_mov_b32 v27, 0 :: v_dual_mov_b32 v26, 0
	;; [unrolled: 1-line block ×9, first 2 shown]
	s_mov_b32 s12, exec_lo
	s_wait_xcnt 0x0
	v_cmpx_gt_u32_e64 s1, v3
	s_cbranch_execz .LBB9_92
; %bb.75:
	global_load_u8 v28, v[6:7], off offset:1792
	global_load_u8 v29, v[8:9], off offset:1792
	v_or_b32_e32 v3, 0x800, v0
	v_dual_mov_b32 v27, 0 :: v_dual_mov_b32 v26, 0
	v_dual_mov_b32 v25, 0 :: v_dual_mov_b32 v24, 0
	;; [unrolled: 1-line block ×8, first 2 shown]
	s_mov_b32 s13, exec_lo
	s_wait_xcnt 0x0
	v_cmpx_gt_u32_e64 s1, v3
	s_cbranch_execz .LBB9_91
; %bb.76:
	global_load_u8 v26, v[6:7], off offset:2048
	global_load_u8 v27, v[8:9], off offset:2048
	v_or_b32_e32 v3, 0x900, v0
	v_dual_mov_b32 v25, 0 :: v_dual_mov_b32 v24, 0
	v_dual_mov_b32 v23, 0 :: v_dual_mov_b32 v22, 0
	;; [unrolled: 1-line block ×7, first 2 shown]
	s_mov_b32 s14, exec_lo
	s_wait_xcnt 0x0
	v_cmpx_gt_u32_e64 s1, v3
	s_cbranch_execz .LBB9_90
; %bb.77:
	global_load_u8 v24, v[6:7], off offset:2304
	global_load_u8 v25, v[8:9], off offset:2304
	v_or_b32_e32 v3, 0xa00, v0
	v_dual_mov_b32 v23, 0 :: v_dual_mov_b32 v22, 0
	v_dual_mov_b32 v21, 0 :: v_dual_mov_b32 v20, 0
	;; [unrolled: 1-line block ×6, first 2 shown]
	s_mov_b32 s15, exec_lo
	s_wait_xcnt 0x0
	v_cmpx_gt_u32_e64 s1, v3
	s_cbranch_execz .LBB9_89
; %bb.78:
	global_load_u8 v22, v[6:7], off offset:2560
	global_load_u8 v23, v[8:9], off offset:2560
	v_or_b32_e32 v3, 0xb00, v0
	v_dual_mov_b32 v21, 0 :: v_dual_mov_b32 v20, 0
	v_dual_mov_b32 v19, 0 :: v_dual_mov_b32 v18, 0
	;; [unrolled: 1-line block ×5, first 2 shown]
	s_mov_b32 s16, exec_lo
	s_wait_xcnt 0x0
	v_cmpx_gt_u32_e64 s1, v3
	s_cbranch_execz .LBB9_88
; %bb.79:
	global_load_u8 v20, v[6:7], off offset:2816
	global_load_u8 v21, v[8:9], off offset:2816
	v_or_b32_e32 v3, 0xc00, v0
	v_dual_mov_b32 v19, 0 :: v_dual_mov_b32 v18, 0
	v_dual_mov_b32 v17, 0 :: v_dual_mov_b32 v16, 0
	;; [unrolled: 1-line block ×4, first 2 shown]
	s_mov_b32 s17, exec_lo
	s_wait_xcnt 0x0
	v_cmpx_gt_u32_e64 s1, v3
	s_cbranch_execz .LBB9_87
; %bb.80:
	global_load_u8 v18, v[6:7], off offset:3072
	global_load_u8 v19, v[8:9], off offset:3072
	v_or_b32_e32 v3, 0xd00, v0
	v_dual_mov_b32 v17, 0 :: v_dual_mov_b32 v16, 0
	v_dual_mov_b32 v15, 0 :: v_dual_mov_b32 v14, 0
	v_dual_mov_b32 v12, 0 :: v_dual_mov_b32 v13, 0
	s_mov_b32 s18, exec_lo
	s_wait_xcnt 0x0
	v_cmpx_gt_u32_e64 s1, v3
	s_cbranch_execz .LBB9_86
; %bb.81:
	global_load_u8 v16, v[6:7], off offset:3328
	global_load_u8 v17, v[8:9], off offset:3328
	v_or_b32_e32 v3, 0xe00, v0
	v_dual_mov_b32 v15, 0 :: v_dual_mov_b32 v14, 0
	v_dual_mov_b32 v12, 0 :: v_dual_mov_b32 v13, 0
	s_mov_b32 s19, exec_lo
	s_wait_xcnt 0x0
	v_cmpx_gt_u32_e64 s1, v3
	s_cbranch_execz .LBB9_85
; %bb.82:
	global_load_u8 v14, v[6:7], off offset:3584
	global_load_u8 v15, v[8:9], off offset:3584
	v_or_b32_e32 v3, 0xf00, v0
	v_dual_mov_b32 v12, 0 :: v_dual_mov_b32 v13, 0
	s_mov_b32 s20, exec_lo
	s_wait_xcnt 0x0
	s_delay_alu instid0(VALU_DEP_2)
	v_cmpx_gt_u32_e64 s1, v3
	s_cbranch_execz .LBB9_84
; %bb.83:
	global_load_i8 v3, v[8:9], off offset:3840
	global_load_u8 v13, v[6:7], off offset:3840
	s_wait_loadcnt 0x1
	v_sub_nc_u16 v4, 0, v3
	s_delay_alu instid0(VALU_DEP_1)
	v_max_i16 v12, v3, v4
.LBB9_84:
	s_wait_xcnt 0x0
	s_or_b32 exec_lo, exec_lo, s20
.LBB9_85:
	s_delay_alu instid0(SALU_CYCLE_1)
	s_or_b32 exec_lo, exec_lo, s19
.LBB9_86:
	s_delay_alu instid0(SALU_CYCLE_1)
	s_or_b32 exec_lo, exec_lo, s18
.LBB9_87:
	s_delay_alu instid0(SALU_CYCLE_1)
	s_or_b32 exec_lo, exec_lo, s17
.LBB9_88:
	s_delay_alu instid0(SALU_CYCLE_1)
	s_or_b32 exec_lo, exec_lo, s16
.LBB9_89:
	s_delay_alu instid0(SALU_CYCLE_1)
	s_or_b32 exec_lo, exec_lo, s15
.LBB9_90:
	s_delay_alu instid0(SALU_CYCLE_1)
	s_or_b32 exec_lo, exec_lo, s14
.LBB9_91:
	s_delay_alu instid0(SALU_CYCLE_1)
	s_or_b32 exec_lo, exec_lo, s13
.LBB9_92:
	s_delay_alu instid0(SALU_CYCLE_1)
	s_or_b32 exec_lo, exec_lo, s12
.LBB9_93:
	s_delay_alu instid0(SALU_CYCLE_1)
	s_or_b32 exec_lo, exec_lo, s9
.LBB9_94:
	s_delay_alu instid0(SALU_CYCLE_1)
	s_or_b32 exec_lo, exec_lo, s8
.LBB9_95:
	s_delay_alu instid0(SALU_CYCLE_1)
	s_or_b32 exec_lo, exec_lo, s7
.LBB9_96:
	s_delay_alu instid0(SALU_CYCLE_1)
	s_or_b32 exec_lo, exec_lo, s6
	s_wait_loadcnt 0x0
	v_dual_mov_b32 v6, v5 :: v_dual_mov_b32 v5, v1
.LBB9_97:
	s_or_b32 exec_lo, exec_lo, s11
.LBB9_98:
	s_delay_alu instid0(SALU_CYCLE_1)
	s_or_b32 exec_lo, exec_lo, s10
.LBB9_99:
	s_delay_alu instid0(SALU_CYCLE_1)
	s_or_b32 exec_lo, exec_lo, s3
	v_dual_mov_b32 v1, v2 :: v_dual_mov_b32 v4, v2
	v_mov_b32_e32 v3, v2
	s_and_saveexec_b32 s3, vcc_lo
	s_cbranch_execz .LBB9_105
; %bb.100:
	s_wait_loadcnt 0x0
	v_bfe_i32 v1, v41, 0, 8
	v_and_b32_e32 v3, 0xff, v40
	s_mov_b32 s6, exec_lo
	s_delay_alu instid0(VALU_DEP_2) | instskip(NEXT) | instid1(VALU_DEP_1)
	v_sub_nc_u16 v2, 0, v1
	v_max_i16 v1, v1, v2
	s_delay_alu instid0(VALU_DEP_3)
	v_cmpx_ne_u16_e32 0, v3
	s_cbranch_execz .LBB9_104
; %bb.101:
	v_bfe_i32 v2, v40, 0, 8
	s_mov_b32 s7, 0
	s_delay_alu instid0(VALU_DEP_1) | instskip(NEXT) | instid1(VALU_DEP_1)
	v_sub_nc_u16 v3, 0, v2
	v_max_i16 v3, v2, v3
	v_and_b32_e32 v2, 0xff, v1
	s_delay_alu instid0(VALU_DEP_2)
	v_and_b32_e32 v3, 0xffff, v3
.LBB9_102:                              ; =>This Inner Loop Header: Depth=1
	s_delay_alu instid0(VALU_DEP_2) | instskip(NEXT) | instid1(VALU_DEP_1)
	v_bfe_i32 v7, v2, 0, 8
	v_cvt_f32_i32_e32 v9, v7
	s_delay_alu instid0(VALU_DEP_3) | instskip(NEXT) | instid1(VALU_DEP_1)
	v_mov_b32_e32 v1, v3
	v_bfe_i32 v3, v1, 0, 8
	s_delay_alu instid0(VALU_DEP_1) | instskip(SKIP_1) | instid1(VALU_DEP_2)
	v_cvt_f32_i32_e32 v4, v3
	v_xor_b32_e32 v3, v7, v3
	v_rcp_iflag_f32_e32 v8, v4
	v_nop
	s_delay_alu instid0(TRANS32_DEP_1) | instskip(NEXT) | instid1(VALU_DEP_1)
	v_mul_f32_e32 v7, v9, v8
	v_trunc_f32_e32 v7, v7
	s_delay_alu instid0(VALU_DEP_1) | instskip(SKIP_1) | instid1(VALU_DEP_2)
	v_dual_fma_f32 v8, -v7, v4, v9 :: v_dual_ashrrev_i32 v3, 30, v3
	v_cvt_i32_f32_e32 v7, v7
	v_cmp_ge_f32_e64 s0, |v8|, |v4|
	s_delay_alu instid0(VALU_DEP_3) | instskip(NEXT) | instid1(VALU_DEP_1)
	v_or_b32_e32 v3, 1, v3
	v_cndmask_b32_e64 v3, 0, v3, s0
	s_delay_alu instid0(VALU_DEP_1) | instskip(NEXT) | instid1(VALU_DEP_1)
	v_add_nc_u32_e32 v3, v7, v3
	v_mul_lo_u32 v3, v3, v1
	s_delay_alu instid0(VALU_DEP_1) | instskip(NEXT) | instid1(VALU_DEP_1)
	v_sub_nc_u32_e32 v2, v2, v3
	v_bfe_i32 v3, v2, 0, 8
	v_mov_b32_e32 v2, v1
	s_delay_alu instid0(VALU_DEP_2) | instskip(SKIP_2) | instid1(SALU_CYCLE_1)
	v_cmp_eq_u16_e64 s0, 0, v3
	v_and_b32_e32 v3, 0xffff, v3
	s_or_b32 s7, s0, s7
	s_and_not1_b32 exec_lo, exec_lo, s7
	s_cbranch_execnz .LBB9_102
; %bb.103:
	s_or_b32 exec_lo, exec_lo, s7
.LBB9_104:
	s_delay_alu instid0(SALU_CYCLE_1) | instskip(NEXT) | instid1(VALU_DEP_2)
	s_or_b32 exec_lo, exec_lo, s6
	v_and_b32_e32 v2, 0xff, v1
	v_mov_b32_e32 v1, 0
	s_delay_alu instid0(VALU_DEP_2) | instskip(NEXT) | instid1(VALU_DEP_2)
	v_and_b32_e32 v2, 0xffff, v2
	v_dual_mov_b32 v4, v1 :: v_dual_mov_b32 v3, v1
.LBB9_105:
	s_or_b32 exec_lo, exec_lo, s3
	s_delay_alu instid0(SALU_CYCLE_1)
	s_mov_b32 s3, exec_lo
	v_cmpx_gt_i32_e64 s1, v11
	s_cbranch_execz .LBB9_111
; %bb.106:
	s_wait_loadcnt 0x0
	v_bfe_i32 v7, v39, 0, 8
	v_and_b32_e32 v9, 0xff, v38
	s_mov_b32 s7, 0
	s_mov_b32 s6, exec_lo
	s_delay_alu instid0(VALU_DEP_2) | instskip(NEXT) | instid1(VALU_DEP_1)
	v_sub_nc_u16 v8, 0, v7
	v_max_i16 v7, v7, v8
	v_cmpx_ne_u16_e32 0, v9
	s_cbranch_execz .LBB9_110
; %bb.107:
	v_bfe_i32 v8, v38, 0, 8
	s_delay_alu instid0(VALU_DEP_1) | instskip(NEXT) | instid1(VALU_DEP_1)
	v_sub_nc_u16 v9, 0, v8
	v_max_i16 v9, v8, v9
	v_and_b32_e32 v8, 0xff, v7
	s_delay_alu instid0(VALU_DEP_2)
	v_and_b32_e32 v9, 0xffff, v9
.LBB9_108:                              ; =>This Inner Loop Header: Depth=1
	s_delay_alu instid0(VALU_DEP_2) | instskip(NEXT) | instid1(VALU_DEP_2)
	v_bfe_i32 v39, v8, 0, 8
	v_mov_b32_e32 v7, v9
	s_delay_alu instid0(VALU_DEP_2) | instskip(NEXT) | instid1(VALU_DEP_2)
	v_cvt_f32_i32_e32 v41, v39
	v_bfe_i32 v9, v7, 0, 8
	s_delay_alu instid0(VALU_DEP_1) | instskip(SKIP_1) | instid1(VALU_DEP_2)
	v_cvt_f32_i32_e32 v38, v9
	v_xor_b32_e32 v9, v39, v9
	v_rcp_iflag_f32_e32 v40, v38
	v_nop
	s_delay_alu instid0(TRANS32_DEP_1) | instskip(NEXT) | instid1(VALU_DEP_1)
	v_dual_ashrrev_i32 v9, 30, v9 :: v_dual_mul_f32 v39, v41, v40
	v_trunc_f32_e32 v39, v39
	s_delay_alu instid0(VALU_DEP_1) | instskip(SKIP_1) | instid1(VALU_DEP_2)
	v_dual_fma_f32 v40, -v39, v38, v41 :: v_dual_bitop2_b32 v9, 1, v9 bitop3:0x54
	v_cvt_i32_f32_e32 v39, v39
	v_cmp_ge_f32_e64 s0, |v40|, |v38|
	s_delay_alu instid0(VALU_DEP_1) | instskip(NEXT) | instid1(VALU_DEP_1)
	v_cndmask_b32_e64 v9, 0, v9, s0
	v_add_nc_u32_e32 v9, v39, v9
	s_delay_alu instid0(VALU_DEP_1) | instskip(NEXT) | instid1(VALU_DEP_1)
	v_mul_lo_u32 v9, v9, v7
	v_sub_nc_u32_e32 v8, v8, v9
	s_delay_alu instid0(VALU_DEP_1) | instskip(SKIP_1) | instid1(VALU_DEP_2)
	v_bfe_i32 v9, v8, 0, 8
	v_mov_b32_e32 v8, v7
	v_cmp_eq_u16_e64 s0, 0, v9
	v_and_b32_e32 v9, 0xffff, v9
	s_or_b32 s7, s0, s7
	s_delay_alu instid0(SALU_CYCLE_1)
	s_and_not1_b32 exec_lo, exec_lo, s7
	s_cbranch_execnz .LBB9_108
; %bb.109:
	s_or_b32 exec_lo, exec_lo, s7
.LBB9_110:
	s_delay_alu instid0(SALU_CYCLE_1) | instskip(NEXT) | instid1(VALU_DEP_2)
	s_or_b32 exec_lo, exec_lo, s6
	v_perm_b32 v2, v2, v7, 0x7060004
.LBB9_111:
	s_or_b32 exec_lo, exec_lo, s3
	v_or_b32_e32 v7, 0x200, v0
	s_mov_b32 s3, exec_lo
	s_delay_alu instid0(VALU_DEP_1)
	v_cmpx_gt_i32_e64 s1, v7
	s_cbranch_execz .LBB9_117
; %bb.112:
	v_bfe_i32 v5, v5, 0, 8
	v_and_b32_e32 v8, 0xff, v37
	s_mov_b32 s7, 0
	s_mov_b32 s6, exec_lo
	s_delay_alu instid0(VALU_DEP_2) | instskip(NEXT) | instid1(VALU_DEP_1)
	v_sub_nc_u16 v7, 0, v5
	v_max_i16 v5, v5, v7
	v_cmpx_ne_u16_e32 0, v8
	s_cbranch_execz .LBB9_116
; %bb.113:
	v_bfe_i32 v7, v37, 0, 8
	s_delay_alu instid0(VALU_DEP_1) | instskip(NEXT) | instid1(VALU_DEP_1)
	v_sub_nc_u16 v8, 0, v7
	v_max_i16 v8, v7, v8
	v_and_b32_e32 v7, 0xff, v5
	s_delay_alu instid0(VALU_DEP_2)
	v_and_b32_e32 v8, 0xffff, v8
.LBB9_114:                              ; =>This Inner Loop Header: Depth=1
	s_delay_alu instid0(VALU_DEP_2) | instskip(NEXT) | instid1(VALU_DEP_2)
	v_bfe_i32 v37, v7, 0, 8
	v_mov_b32_e32 v5, v8
	s_wait_loadcnt 0x0
	s_delay_alu instid0(VALU_DEP_2) | instskip(NEXT) | instid1(VALU_DEP_2)
	v_cvt_f32_i32_e32 v39, v37
	v_bfe_i32 v8, v5, 0, 8
	s_delay_alu instid0(VALU_DEP_1) | instskip(SKIP_1) | instid1(VALU_DEP_2)
	v_cvt_f32_i32_e32 v9, v8
	v_xor_b32_e32 v8, v37, v8
	v_rcp_iflag_f32_e32 v38, v9
	v_nop
	s_delay_alu instid0(TRANS32_DEP_1) | instskip(NEXT) | instid1(VALU_DEP_1)
	v_dual_mul_f32 v37, v39, v38 :: v_dual_ashrrev_i32 v8, 30, v8
	v_trunc_f32_e32 v37, v37
	s_delay_alu instid0(VALU_DEP_1) | instskip(SKIP_1) | instid1(VALU_DEP_2)
	v_dual_fma_f32 v38, -v37, v9, v39 :: v_dual_bitop2_b32 v8, 1, v8 bitop3:0x54
	v_cvt_i32_f32_e32 v37, v37
	v_cmp_ge_f32_e64 s0, |v38|, |v9|
	s_delay_alu instid0(VALU_DEP_1) | instskip(NEXT) | instid1(VALU_DEP_1)
	v_cndmask_b32_e64 v8, 0, v8, s0
	v_add_nc_u32_e32 v8, v37, v8
	s_delay_alu instid0(VALU_DEP_1) | instskip(NEXT) | instid1(VALU_DEP_1)
	v_mul_lo_u32 v8, v8, v5
	v_sub_nc_u32_e32 v7, v7, v8
	s_delay_alu instid0(VALU_DEP_1) | instskip(SKIP_1) | instid1(VALU_DEP_2)
	v_bfe_i32 v8, v7, 0, 8
	v_mov_b32_e32 v7, v5
	v_cmp_eq_u16_e64 s0, 0, v8
	v_and_b32_e32 v8, 0xffff, v8
	s_or_b32 s7, s0, s7
	s_delay_alu instid0(SALU_CYCLE_1)
	s_and_not1_b32 exec_lo, exec_lo, s7
	s_cbranch_execnz .LBB9_114
; %bb.115:
	s_or_b32 exec_lo, exec_lo, s7
.LBB9_116:
	s_delay_alu instid0(SALU_CYCLE_1) | instskip(NEXT) | instid1(VALU_DEP_2)
	s_or_b32 exec_lo, exec_lo, s6
	v_perm_b32 v2, v2, v5, 0x7000504
.LBB9_117:
	s_or_b32 exec_lo, exec_lo, s3
	v_or_b32_e32 v5, 0x300, v0
	s_mov_b32 s3, exec_lo
	s_delay_alu instid0(VALU_DEP_1)
	v_cmpx_gt_i32_e64 s1, v5
	s_cbranch_execz .LBB9_123
; %bb.118:
	v_bfe_i32 v5, v6, 0, 8
	v_and_b32_e32 v7, 0xff, v36
	s_mov_b32 s7, 0
	s_mov_b32 s6, exec_lo
	s_delay_alu instid0(VALU_DEP_2) | instskip(NEXT) | instid1(VALU_DEP_1)
	v_sub_nc_u16 v6, 0, v5
	v_max_i16 v5, v5, v6
	v_cmpx_ne_u16_e32 0, v7
	s_cbranch_execz .LBB9_122
; %bb.119:
	v_bfe_i32 v6, v36, 0, 8
	s_delay_alu instid0(VALU_DEP_1) | instskip(NEXT) | instid1(VALU_DEP_1)
	v_sub_nc_u16 v7, 0, v6
	v_max_i16 v7, v6, v7
	v_and_b32_e32 v6, 0xff, v5
	s_delay_alu instid0(VALU_DEP_2)
	v_and_b32_e32 v7, 0xffff, v7
.LBB9_120:                              ; =>This Inner Loop Header: Depth=1
	s_delay_alu instid0(VALU_DEP_2) | instskip(NEXT) | instid1(VALU_DEP_2)
	v_bfe_i32 v9, v6, 0, 8
	v_mov_b32_e32 v5, v7
	s_delay_alu instid0(VALU_DEP_2) | instskip(NEXT) | instid1(VALU_DEP_2)
	v_cvt_f32_i32_e32 v37, v9
	v_bfe_i32 v7, v5, 0, 8
	s_delay_alu instid0(VALU_DEP_1) | instskip(SKIP_1) | instid1(VALU_DEP_2)
	v_cvt_f32_i32_e32 v8, v7
	v_xor_b32_e32 v7, v9, v7
	v_rcp_iflag_f32_e32 v36, v8
	v_nop
	s_delay_alu instid0(TRANS32_DEP_1) | instskip(NEXT) | instid1(VALU_DEP_1)
	v_dual_ashrrev_i32 v7, 30, v7 :: v_dual_mul_f32 v9, v37, v36
	v_trunc_f32_e32 v9, v9
	s_delay_alu instid0(VALU_DEP_1) | instskip(SKIP_1) | instid1(VALU_DEP_2)
	v_dual_fma_f32 v36, -v9, v8, v37 :: v_dual_bitop2_b32 v7, 1, v7 bitop3:0x54
	v_cvt_i32_f32_e32 v9, v9
	v_cmp_ge_f32_e64 s0, |v36|, |v8|
	s_delay_alu instid0(VALU_DEP_1) | instskip(NEXT) | instid1(VALU_DEP_1)
	v_cndmask_b32_e64 v7, 0, v7, s0
	v_add_nc_u32_e32 v7, v9, v7
	s_delay_alu instid0(VALU_DEP_1) | instskip(NEXT) | instid1(VALU_DEP_1)
	v_mul_lo_u32 v7, v7, v5
	v_sub_nc_u32_e32 v6, v6, v7
	s_delay_alu instid0(VALU_DEP_1) | instskip(SKIP_1) | instid1(VALU_DEP_2)
	v_bfe_i32 v7, v6, 0, 8
	v_mov_b32_e32 v6, v5
	v_cmp_eq_u16_e64 s0, 0, v7
	v_and_b32_e32 v7, 0xffff, v7
	s_or_b32 s7, s0, s7
	s_delay_alu instid0(SALU_CYCLE_1)
	s_and_not1_b32 exec_lo, exec_lo, s7
	s_cbranch_execnz .LBB9_120
; %bb.121:
	s_or_b32 exec_lo, exec_lo, s7
.LBB9_122:
	s_delay_alu instid0(SALU_CYCLE_1) | instskip(NEXT) | instid1(VALU_DEP_2)
	s_or_b32 exec_lo, exec_lo, s6
	v_perm_b32 v2, v2, v5, 0x60504
.LBB9_123:
	s_or_b32 exec_lo, exec_lo, s3
	v_or_b32_e32 v5, 0x400, v0
	s_mov_b32 s3, exec_lo
	s_delay_alu instid0(VALU_DEP_1)
	v_cmpx_gt_i32_e64 s1, v5
	s_cbranch_execz .LBB9_129
; %bb.124:
	v_bfe_i32 v5, v35, 0, 8
	v_and_b32_e32 v7, 0xff, v34
	s_mov_b32 s7, 0
	s_mov_b32 s6, exec_lo
	s_delay_alu instid0(VALU_DEP_2) | instskip(NEXT) | instid1(VALU_DEP_1)
	v_sub_nc_u16 v6, 0, v5
	v_max_i16 v5, v5, v6
	v_cmpx_ne_u16_e32 0, v7
	s_cbranch_execz .LBB9_128
; %bb.125:
	v_bfe_i32 v6, v34, 0, 8
	s_delay_alu instid0(VALU_DEP_1) | instskip(NEXT) | instid1(VALU_DEP_1)
	v_sub_nc_u16 v7, 0, v6
	v_max_i16 v7, v6, v7
	v_and_b32_e32 v6, 0xff, v5
	s_delay_alu instid0(VALU_DEP_2)
	v_and_b32_e32 v7, 0xffff, v7
.LBB9_126:                              ; =>This Inner Loop Header: Depth=1
	s_delay_alu instid0(VALU_DEP_2) | instskip(NEXT) | instid1(VALU_DEP_2)
	v_bfe_i32 v9, v6, 0, 8
	v_mov_b32_e32 v5, v7
	s_delay_alu instid0(VALU_DEP_2) | instskip(NEXT) | instid1(VALU_DEP_2)
	v_cvt_f32_i32_e32 v35, v9
	v_bfe_i32 v7, v5, 0, 8
	s_delay_alu instid0(VALU_DEP_1) | instskip(SKIP_1) | instid1(VALU_DEP_2)
	v_cvt_f32_i32_e32 v8, v7
	v_xor_b32_e32 v7, v9, v7
	v_rcp_iflag_f32_e32 v34, v8
	v_nop
	s_delay_alu instid0(TRANS32_DEP_1) | instskip(NEXT) | instid1(VALU_DEP_1)
	v_dual_ashrrev_i32 v7, 30, v7 :: v_dual_mul_f32 v9, v35, v34
	v_trunc_f32_e32 v9, v9
	s_delay_alu instid0(VALU_DEP_1) | instskip(SKIP_1) | instid1(VALU_DEP_2)
	v_dual_fma_f32 v34, -v9, v8, v35 :: v_dual_bitop2_b32 v7, 1, v7 bitop3:0x54
	v_cvt_i32_f32_e32 v9, v9
	v_cmp_ge_f32_e64 s0, |v34|, |v8|
	s_delay_alu instid0(VALU_DEP_1) | instskip(NEXT) | instid1(VALU_DEP_1)
	v_cndmask_b32_e64 v7, 0, v7, s0
	v_add_nc_u32_e32 v7, v9, v7
	s_delay_alu instid0(VALU_DEP_1) | instskip(NEXT) | instid1(VALU_DEP_1)
	v_mul_lo_u32 v7, v7, v5
	v_sub_nc_u32_e32 v6, v6, v7
	s_delay_alu instid0(VALU_DEP_1) | instskip(SKIP_1) | instid1(VALU_DEP_2)
	v_bfe_i32 v7, v6, 0, 8
	v_mov_b32_e32 v6, v5
	v_cmp_eq_u16_e64 s0, 0, v7
	v_and_b32_e32 v7, 0xffff, v7
	s_or_b32 s7, s0, s7
	s_delay_alu instid0(SALU_CYCLE_1)
	s_and_not1_b32 exec_lo, exec_lo, s7
	s_cbranch_execnz .LBB9_126
; %bb.127:
	s_or_b32 exec_lo, exec_lo, s7
.LBB9_128:
	s_delay_alu instid0(SALU_CYCLE_1) | instskip(NEXT) | instid1(VALU_DEP_2)
	s_or_b32 exec_lo, exec_lo, s6
	v_perm_b32 v1, v5, v1, 0x3020104
.LBB9_129:
	s_or_b32 exec_lo, exec_lo, s3
	v_or_b32_e32 v5, 0x500, v0
	s_mov_b32 s3, exec_lo
	s_delay_alu instid0(VALU_DEP_1)
	v_cmpx_gt_i32_e64 s1, v5
	s_cbranch_execz .LBB9_135
; %bb.130:
	v_bfe_i32 v5, v33, 0, 8
	v_and_b32_e32 v7, 0xff, v32
	s_mov_b32 s7, 0
	s_mov_b32 s6, exec_lo
	s_delay_alu instid0(VALU_DEP_2) | instskip(NEXT) | instid1(VALU_DEP_1)
	v_sub_nc_u16 v6, 0, v5
	v_max_i16 v5, v5, v6
	v_cmpx_ne_u16_e32 0, v7
	s_cbranch_execz .LBB9_134
; %bb.131:
	v_bfe_i32 v6, v32, 0, 8
	s_delay_alu instid0(VALU_DEP_1) | instskip(NEXT) | instid1(VALU_DEP_1)
	v_sub_nc_u16 v7, 0, v6
	v_max_i16 v7, v6, v7
	v_and_b32_e32 v6, 0xff, v5
	s_delay_alu instid0(VALU_DEP_2)
	v_and_b32_e32 v7, 0xffff, v7
.LBB9_132:                              ; =>This Inner Loop Header: Depth=1
	s_delay_alu instid0(VALU_DEP_2) | instskip(NEXT) | instid1(VALU_DEP_2)
	v_bfe_i32 v9, v6, 0, 8
	v_mov_b32_e32 v5, v7
	s_delay_alu instid0(VALU_DEP_2) | instskip(NEXT) | instid1(VALU_DEP_2)
	v_cvt_f32_i32_e32 v33, v9
	v_bfe_i32 v7, v5, 0, 8
	s_delay_alu instid0(VALU_DEP_1) | instskip(SKIP_1) | instid1(VALU_DEP_2)
	v_cvt_f32_i32_e32 v8, v7
	v_xor_b32_e32 v7, v9, v7
	v_rcp_iflag_f32_e32 v32, v8
	v_nop
	s_delay_alu instid0(TRANS32_DEP_1) | instskip(NEXT) | instid1(VALU_DEP_1)
	v_dual_ashrrev_i32 v7, 30, v7 :: v_dual_mul_f32 v9, v33, v32
	v_trunc_f32_e32 v9, v9
	s_delay_alu instid0(VALU_DEP_1) | instskip(SKIP_1) | instid1(VALU_DEP_2)
	v_dual_fma_f32 v32, -v9, v8, v33 :: v_dual_bitop2_b32 v7, 1, v7 bitop3:0x54
	v_cvt_i32_f32_e32 v9, v9
	v_cmp_ge_f32_e64 s0, |v32|, |v8|
	s_delay_alu instid0(VALU_DEP_1) | instskip(NEXT) | instid1(VALU_DEP_1)
	v_cndmask_b32_e64 v7, 0, v7, s0
	v_add_nc_u32_e32 v7, v9, v7
	s_delay_alu instid0(VALU_DEP_1) | instskip(NEXT) | instid1(VALU_DEP_1)
	v_mul_lo_u32 v7, v7, v5
	v_sub_nc_u32_e32 v6, v6, v7
	s_delay_alu instid0(VALU_DEP_1) | instskip(SKIP_1) | instid1(VALU_DEP_2)
	v_bfe_i32 v7, v6, 0, 8
	v_mov_b32_e32 v6, v5
	v_cmp_eq_u16_e64 s0, 0, v7
	v_and_b32_e32 v7, 0xffff, v7
	s_or_b32 s7, s0, s7
	s_delay_alu instid0(SALU_CYCLE_1)
	s_and_not1_b32 exec_lo, exec_lo, s7
	s_cbranch_execnz .LBB9_132
; %bb.133:
	s_or_b32 exec_lo, exec_lo, s7
.LBB9_134:
	s_delay_alu instid0(SALU_CYCLE_1) | instskip(NEXT) | instid1(VALU_DEP_2)
	s_or_b32 exec_lo, exec_lo, s6
	v_perm_b32 v1, v1, v5, 0x7060004
.LBB9_135:
	s_or_b32 exec_lo, exec_lo, s3
	v_or_b32_e32 v5, 0x600, v0
	s_mov_b32 s3, exec_lo
	s_delay_alu instid0(VALU_DEP_1)
	v_cmpx_gt_i32_e64 s1, v5
	s_cbranch_execz .LBB9_141
; %bb.136:
	v_bfe_i32 v5, v31, 0, 8
	v_and_b32_e32 v7, 0xff, v30
	s_mov_b32 s7, 0
	s_mov_b32 s6, exec_lo
	s_delay_alu instid0(VALU_DEP_2) | instskip(NEXT) | instid1(VALU_DEP_1)
	v_sub_nc_u16 v6, 0, v5
	v_max_i16 v5, v5, v6
	v_cmpx_ne_u16_e32 0, v7
	s_cbranch_execz .LBB9_140
; %bb.137:
	v_bfe_i32 v6, v30, 0, 8
	s_delay_alu instid0(VALU_DEP_1) | instskip(NEXT) | instid1(VALU_DEP_1)
	v_sub_nc_u16 v7, 0, v6
	v_max_i16 v7, v6, v7
	v_and_b32_e32 v6, 0xff, v5
	s_delay_alu instid0(VALU_DEP_2)
	v_and_b32_e32 v7, 0xffff, v7
.LBB9_138:                              ; =>This Inner Loop Header: Depth=1
	s_delay_alu instid0(VALU_DEP_2) | instskip(NEXT) | instid1(VALU_DEP_2)
	v_bfe_i32 v9, v6, 0, 8
	v_mov_b32_e32 v5, v7
	s_delay_alu instid0(VALU_DEP_2) | instskip(NEXT) | instid1(VALU_DEP_2)
	v_cvt_f32_i32_e32 v31, v9
	v_bfe_i32 v7, v5, 0, 8
	s_delay_alu instid0(VALU_DEP_1) | instskip(SKIP_1) | instid1(VALU_DEP_2)
	v_cvt_f32_i32_e32 v8, v7
	v_xor_b32_e32 v7, v9, v7
	v_rcp_iflag_f32_e32 v30, v8
	v_nop
	s_delay_alu instid0(TRANS32_DEP_1) | instskip(NEXT) | instid1(VALU_DEP_1)
	v_dual_ashrrev_i32 v7, 30, v7 :: v_dual_mul_f32 v9, v31, v30
	v_trunc_f32_e32 v9, v9
	s_delay_alu instid0(VALU_DEP_1) | instskip(SKIP_1) | instid1(VALU_DEP_2)
	v_dual_fma_f32 v30, -v9, v8, v31 :: v_dual_bitop2_b32 v7, 1, v7 bitop3:0x54
	v_cvt_i32_f32_e32 v9, v9
	v_cmp_ge_f32_e64 s0, |v30|, |v8|
	s_delay_alu instid0(VALU_DEP_1) | instskip(NEXT) | instid1(VALU_DEP_1)
	v_cndmask_b32_e64 v7, 0, v7, s0
	v_add_nc_u32_e32 v7, v9, v7
	s_delay_alu instid0(VALU_DEP_1) | instskip(NEXT) | instid1(VALU_DEP_1)
	v_mul_lo_u32 v7, v7, v5
	v_sub_nc_u32_e32 v6, v6, v7
	s_delay_alu instid0(VALU_DEP_1) | instskip(SKIP_1) | instid1(VALU_DEP_2)
	v_bfe_i32 v7, v6, 0, 8
	v_mov_b32_e32 v6, v5
	v_cmp_eq_u16_e64 s0, 0, v7
	v_and_b32_e32 v7, 0xffff, v7
	s_or_b32 s7, s0, s7
	s_delay_alu instid0(SALU_CYCLE_1)
	s_and_not1_b32 exec_lo, exec_lo, s7
	s_cbranch_execnz .LBB9_138
; %bb.139:
	s_or_b32 exec_lo, exec_lo, s7
.LBB9_140:
	s_delay_alu instid0(SALU_CYCLE_1) | instskip(NEXT) | instid1(VALU_DEP_2)
	s_or_b32 exec_lo, exec_lo, s6
	v_perm_b32 v1, v1, v5, 0x7000504
.LBB9_141:
	s_or_b32 exec_lo, exec_lo, s3
	v_or_b32_e32 v5, 0x700, v0
	s_mov_b32 s3, exec_lo
	s_delay_alu instid0(VALU_DEP_1)
	v_cmpx_gt_i32_e64 s1, v5
	s_cbranch_execz .LBB9_147
; %bb.142:
	v_bfe_i32 v5, v29, 0, 8
	v_and_b32_e32 v7, 0xff, v28
	s_mov_b32 s7, 0
	s_mov_b32 s6, exec_lo
	s_delay_alu instid0(VALU_DEP_2) | instskip(NEXT) | instid1(VALU_DEP_1)
	v_sub_nc_u16 v6, 0, v5
	v_max_i16 v5, v5, v6
	v_cmpx_ne_u16_e32 0, v7
	s_cbranch_execz .LBB9_146
; %bb.143:
	v_bfe_i32 v6, v28, 0, 8
	s_delay_alu instid0(VALU_DEP_1) | instskip(NEXT) | instid1(VALU_DEP_1)
	v_sub_nc_u16 v7, 0, v6
	v_max_i16 v7, v6, v7
	v_and_b32_e32 v6, 0xff, v5
	s_delay_alu instid0(VALU_DEP_2)
	v_and_b32_e32 v7, 0xffff, v7
.LBB9_144:                              ; =>This Inner Loop Header: Depth=1
	s_delay_alu instid0(VALU_DEP_2) | instskip(NEXT) | instid1(VALU_DEP_2)
	v_bfe_i32 v9, v6, 0, 8
	v_mov_b32_e32 v5, v7
	s_delay_alu instid0(VALU_DEP_2) | instskip(NEXT) | instid1(VALU_DEP_2)
	v_cvt_f32_i32_e32 v29, v9
	v_bfe_i32 v7, v5, 0, 8
	s_delay_alu instid0(VALU_DEP_1) | instskip(SKIP_1) | instid1(VALU_DEP_2)
	v_cvt_f32_i32_e32 v8, v7
	v_xor_b32_e32 v7, v9, v7
	v_rcp_iflag_f32_e32 v28, v8
	v_nop
	s_delay_alu instid0(TRANS32_DEP_1) | instskip(NEXT) | instid1(VALU_DEP_1)
	v_dual_ashrrev_i32 v7, 30, v7 :: v_dual_mul_f32 v9, v29, v28
	v_trunc_f32_e32 v9, v9
	s_delay_alu instid0(VALU_DEP_1) | instskip(SKIP_1) | instid1(VALU_DEP_2)
	v_dual_fma_f32 v28, -v9, v8, v29 :: v_dual_bitop2_b32 v7, 1, v7 bitop3:0x54
	v_cvt_i32_f32_e32 v9, v9
	v_cmp_ge_f32_e64 s0, |v28|, |v8|
	s_delay_alu instid0(VALU_DEP_1) | instskip(NEXT) | instid1(VALU_DEP_1)
	v_cndmask_b32_e64 v7, 0, v7, s0
	v_add_nc_u32_e32 v7, v9, v7
	s_delay_alu instid0(VALU_DEP_1) | instskip(NEXT) | instid1(VALU_DEP_1)
	v_mul_lo_u32 v7, v7, v5
	v_sub_nc_u32_e32 v6, v6, v7
	s_delay_alu instid0(VALU_DEP_1) | instskip(SKIP_1) | instid1(VALU_DEP_2)
	v_bfe_i32 v7, v6, 0, 8
	v_mov_b32_e32 v6, v5
	v_cmp_eq_u16_e64 s0, 0, v7
	v_and_b32_e32 v7, 0xffff, v7
	s_or_b32 s7, s0, s7
	s_delay_alu instid0(SALU_CYCLE_1)
	s_and_not1_b32 exec_lo, exec_lo, s7
	s_cbranch_execnz .LBB9_144
; %bb.145:
	s_or_b32 exec_lo, exec_lo, s7
.LBB9_146:
	s_delay_alu instid0(SALU_CYCLE_1) | instskip(NEXT) | instid1(VALU_DEP_2)
	s_or_b32 exec_lo, exec_lo, s6
	v_perm_b32 v1, v1, v5, 0x60504
.LBB9_147:
	s_or_b32 exec_lo, exec_lo, s3
	v_or_b32_e32 v5, 0x800, v0
	s_mov_b32 s3, exec_lo
	s_delay_alu instid0(VALU_DEP_1)
	v_cmpx_gt_i32_e64 s1, v5
	s_cbranch_execz .LBB9_153
; %bb.148:
	v_bfe_i32 v5, v27, 0, 8
	v_and_b32_e32 v7, 0xff, v26
	s_mov_b32 s7, 0
	s_mov_b32 s6, exec_lo
	s_delay_alu instid0(VALU_DEP_2) | instskip(NEXT) | instid1(VALU_DEP_1)
	v_sub_nc_u16 v6, 0, v5
	v_max_i16 v5, v5, v6
	v_cmpx_ne_u16_e32 0, v7
	s_cbranch_execz .LBB9_152
; %bb.149:
	v_bfe_i32 v6, v26, 0, 8
	s_delay_alu instid0(VALU_DEP_1) | instskip(NEXT) | instid1(VALU_DEP_1)
	v_sub_nc_u16 v7, 0, v6
	v_max_i16 v7, v6, v7
	v_and_b32_e32 v6, 0xff, v5
	s_delay_alu instid0(VALU_DEP_2)
	v_and_b32_e32 v7, 0xffff, v7
.LBB9_150:                              ; =>This Inner Loop Header: Depth=1
	s_delay_alu instid0(VALU_DEP_2) | instskip(NEXT) | instid1(VALU_DEP_2)
	v_bfe_i32 v9, v6, 0, 8
	v_mov_b32_e32 v5, v7
	s_delay_alu instid0(VALU_DEP_2) | instskip(NEXT) | instid1(VALU_DEP_2)
	v_cvt_f32_i32_e32 v27, v9
	v_bfe_i32 v7, v5, 0, 8
	s_delay_alu instid0(VALU_DEP_1) | instskip(SKIP_1) | instid1(VALU_DEP_2)
	v_cvt_f32_i32_e32 v8, v7
	v_xor_b32_e32 v7, v9, v7
	v_rcp_iflag_f32_e32 v26, v8
	v_nop
	s_delay_alu instid0(TRANS32_DEP_1) | instskip(NEXT) | instid1(VALU_DEP_1)
	v_dual_ashrrev_i32 v7, 30, v7 :: v_dual_mul_f32 v9, v27, v26
	v_trunc_f32_e32 v9, v9
	s_delay_alu instid0(VALU_DEP_1) | instskip(SKIP_1) | instid1(VALU_DEP_2)
	v_dual_fma_f32 v26, -v9, v8, v27 :: v_dual_bitop2_b32 v7, 1, v7 bitop3:0x54
	v_cvt_i32_f32_e32 v9, v9
	v_cmp_ge_f32_e64 s0, |v26|, |v8|
	s_delay_alu instid0(VALU_DEP_1) | instskip(NEXT) | instid1(VALU_DEP_1)
	v_cndmask_b32_e64 v7, 0, v7, s0
	v_add_nc_u32_e32 v7, v9, v7
	s_delay_alu instid0(VALU_DEP_1) | instskip(NEXT) | instid1(VALU_DEP_1)
	v_mul_lo_u32 v7, v7, v5
	v_sub_nc_u32_e32 v6, v6, v7
	s_delay_alu instid0(VALU_DEP_1) | instskip(SKIP_1) | instid1(VALU_DEP_2)
	v_bfe_i32 v7, v6, 0, 8
	v_mov_b32_e32 v6, v5
	v_cmp_eq_u16_e64 s0, 0, v7
	v_and_b32_e32 v7, 0xffff, v7
	s_or_b32 s7, s0, s7
	s_delay_alu instid0(SALU_CYCLE_1)
	s_and_not1_b32 exec_lo, exec_lo, s7
	s_cbranch_execnz .LBB9_150
; %bb.151:
	s_or_b32 exec_lo, exec_lo, s7
.LBB9_152:
	s_delay_alu instid0(SALU_CYCLE_1) | instskip(NEXT) | instid1(VALU_DEP_2)
	s_or_b32 exec_lo, exec_lo, s6
	v_perm_b32 v4, v5, v4, 0x3020104
.LBB9_153:
	s_or_b32 exec_lo, exec_lo, s3
	v_or_b32_e32 v5, 0x900, v0
	s_mov_b32 s3, exec_lo
	s_delay_alu instid0(VALU_DEP_1)
	v_cmpx_gt_i32_e64 s1, v5
	s_cbranch_execz .LBB9_159
; %bb.154:
	v_bfe_i32 v5, v25, 0, 8
	v_and_b32_e32 v7, 0xff, v24
	s_mov_b32 s7, 0
	s_mov_b32 s6, exec_lo
	s_delay_alu instid0(VALU_DEP_2) | instskip(NEXT) | instid1(VALU_DEP_1)
	v_sub_nc_u16 v6, 0, v5
	v_max_i16 v5, v5, v6
	v_cmpx_ne_u16_e32 0, v7
	s_cbranch_execz .LBB9_158
; %bb.155:
	v_bfe_i32 v6, v24, 0, 8
	s_delay_alu instid0(VALU_DEP_1) | instskip(NEXT) | instid1(VALU_DEP_1)
	v_sub_nc_u16 v7, 0, v6
	v_max_i16 v7, v6, v7
	v_and_b32_e32 v6, 0xff, v5
	s_delay_alu instid0(VALU_DEP_2)
	v_and_b32_e32 v7, 0xffff, v7
.LBB9_156:                              ; =>This Inner Loop Header: Depth=1
	s_delay_alu instid0(VALU_DEP_2) | instskip(NEXT) | instid1(VALU_DEP_2)
	v_bfe_i32 v9, v6, 0, 8
	v_mov_b32_e32 v5, v7
	s_delay_alu instid0(VALU_DEP_2) | instskip(NEXT) | instid1(VALU_DEP_2)
	v_cvt_f32_i32_e32 v25, v9
	v_bfe_i32 v7, v5, 0, 8
	s_delay_alu instid0(VALU_DEP_1) | instskip(SKIP_1) | instid1(VALU_DEP_2)
	v_cvt_f32_i32_e32 v8, v7
	v_xor_b32_e32 v7, v9, v7
	v_rcp_iflag_f32_e32 v24, v8
	v_nop
	s_delay_alu instid0(TRANS32_DEP_1) | instskip(NEXT) | instid1(VALU_DEP_1)
	v_dual_ashrrev_i32 v7, 30, v7 :: v_dual_mul_f32 v9, v25, v24
	v_trunc_f32_e32 v9, v9
	s_delay_alu instid0(VALU_DEP_1) | instskip(SKIP_1) | instid1(VALU_DEP_2)
	v_dual_fma_f32 v24, -v9, v8, v25 :: v_dual_bitop2_b32 v7, 1, v7 bitop3:0x54
	v_cvt_i32_f32_e32 v9, v9
	v_cmp_ge_f32_e64 s0, |v24|, |v8|
	s_delay_alu instid0(VALU_DEP_1) | instskip(NEXT) | instid1(VALU_DEP_1)
	v_cndmask_b32_e64 v7, 0, v7, s0
	v_add_nc_u32_e32 v7, v9, v7
	s_delay_alu instid0(VALU_DEP_1) | instskip(NEXT) | instid1(VALU_DEP_1)
	v_mul_lo_u32 v7, v7, v5
	v_sub_nc_u32_e32 v6, v6, v7
	s_delay_alu instid0(VALU_DEP_1) | instskip(SKIP_1) | instid1(VALU_DEP_2)
	v_bfe_i32 v7, v6, 0, 8
	v_mov_b32_e32 v6, v5
	v_cmp_eq_u16_e64 s0, 0, v7
	v_and_b32_e32 v7, 0xffff, v7
	s_or_b32 s7, s0, s7
	s_delay_alu instid0(SALU_CYCLE_1)
	s_and_not1_b32 exec_lo, exec_lo, s7
	s_cbranch_execnz .LBB9_156
; %bb.157:
	s_or_b32 exec_lo, exec_lo, s7
.LBB9_158:
	s_delay_alu instid0(SALU_CYCLE_1) | instskip(NEXT) | instid1(VALU_DEP_2)
	s_or_b32 exec_lo, exec_lo, s6
	v_perm_b32 v4, v4, v5, 0x7060004
.LBB9_159:
	s_or_b32 exec_lo, exec_lo, s3
	v_or_b32_e32 v5, 0xa00, v0
	s_mov_b32 s3, exec_lo
	s_delay_alu instid0(VALU_DEP_1)
	v_cmpx_gt_i32_e64 s1, v5
	s_cbranch_execz .LBB9_165
; %bb.160:
	v_bfe_i32 v5, v23, 0, 8
	v_and_b32_e32 v7, 0xff, v22
	s_mov_b32 s7, 0
	s_mov_b32 s6, exec_lo
	s_delay_alu instid0(VALU_DEP_2) | instskip(NEXT) | instid1(VALU_DEP_1)
	v_sub_nc_u16 v6, 0, v5
	v_max_i16 v5, v5, v6
	v_cmpx_ne_u16_e32 0, v7
	s_cbranch_execz .LBB9_164
; %bb.161:
	v_bfe_i32 v6, v22, 0, 8
	s_delay_alu instid0(VALU_DEP_1) | instskip(NEXT) | instid1(VALU_DEP_1)
	v_sub_nc_u16 v7, 0, v6
	v_max_i16 v7, v6, v7
	v_and_b32_e32 v6, 0xff, v5
	s_delay_alu instid0(VALU_DEP_2)
	v_and_b32_e32 v7, 0xffff, v7
.LBB9_162:                              ; =>This Inner Loop Header: Depth=1
	s_delay_alu instid0(VALU_DEP_2) | instskip(NEXT) | instid1(VALU_DEP_2)
	v_bfe_i32 v9, v6, 0, 8
	v_mov_b32_e32 v5, v7
	s_delay_alu instid0(VALU_DEP_2) | instskip(NEXT) | instid1(VALU_DEP_2)
	v_cvt_f32_i32_e32 v23, v9
	v_bfe_i32 v7, v5, 0, 8
	s_delay_alu instid0(VALU_DEP_1) | instskip(SKIP_1) | instid1(VALU_DEP_2)
	v_cvt_f32_i32_e32 v8, v7
	v_xor_b32_e32 v7, v9, v7
	v_rcp_iflag_f32_e32 v22, v8
	v_nop
	s_delay_alu instid0(TRANS32_DEP_1) | instskip(NEXT) | instid1(VALU_DEP_1)
	v_dual_ashrrev_i32 v7, 30, v7 :: v_dual_mul_f32 v9, v23, v22
	v_trunc_f32_e32 v9, v9
	s_delay_alu instid0(VALU_DEP_1) | instskip(SKIP_1) | instid1(VALU_DEP_2)
	v_dual_fma_f32 v22, -v9, v8, v23 :: v_dual_bitop2_b32 v7, 1, v7 bitop3:0x54
	v_cvt_i32_f32_e32 v9, v9
	v_cmp_ge_f32_e64 s0, |v22|, |v8|
	s_delay_alu instid0(VALU_DEP_1) | instskip(NEXT) | instid1(VALU_DEP_1)
	v_cndmask_b32_e64 v7, 0, v7, s0
	v_add_nc_u32_e32 v7, v9, v7
	s_delay_alu instid0(VALU_DEP_1) | instskip(NEXT) | instid1(VALU_DEP_1)
	v_mul_lo_u32 v7, v7, v5
	v_sub_nc_u32_e32 v6, v6, v7
	s_delay_alu instid0(VALU_DEP_1) | instskip(SKIP_1) | instid1(VALU_DEP_2)
	v_bfe_i32 v7, v6, 0, 8
	v_mov_b32_e32 v6, v5
	v_cmp_eq_u16_e64 s0, 0, v7
	v_and_b32_e32 v7, 0xffff, v7
	s_or_b32 s7, s0, s7
	s_delay_alu instid0(SALU_CYCLE_1)
	s_and_not1_b32 exec_lo, exec_lo, s7
	s_cbranch_execnz .LBB9_162
; %bb.163:
	s_or_b32 exec_lo, exec_lo, s7
.LBB9_164:
	s_delay_alu instid0(SALU_CYCLE_1) | instskip(NEXT) | instid1(VALU_DEP_2)
	s_or_b32 exec_lo, exec_lo, s6
	v_perm_b32 v4, v4, v5, 0x7000504
.LBB9_165:
	s_or_b32 exec_lo, exec_lo, s3
	v_or_b32_e32 v5, 0xb00, v0
	s_mov_b32 s3, exec_lo
	s_delay_alu instid0(VALU_DEP_1)
	v_cmpx_gt_i32_e64 s1, v5
	s_cbranch_execz .LBB9_171
; %bb.166:
	v_bfe_i32 v5, v21, 0, 8
	v_and_b32_e32 v7, 0xff, v20
	s_mov_b32 s7, 0
	s_mov_b32 s6, exec_lo
	s_delay_alu instid0(VALU_DEP_2) | instskip(NEXT) | instid1(VALU_DEP_1)
	v_sub_nc_u16 v6, 0, v5
	v_max_i16 v5, v5, v6
	v_cmpx_ne_u16_e32 0, v7
	s_cbranch_execz .LBB9_170
; %bb.167:
	v_bfe_i32 v6, v20, 0, 8
	s_delay_alu instid0(VALU_DEP_1) | instskip(NEXT) | instid1(VALU_DEP_1)
	v_sub_nc_u16 v7, 0, v6
	v_max_i16 v7, v6, v7
	v_and_b32_e32 v6, 0xff, v5
	s_delay_alu instid0(VALU_DEP_2)
	v_and_b32_e32 v7, 0xffff, v7
.LBB9_168:                              ; =>This Inner Loop Header: Depth=1
	s_delay_alu instid0(VALU_DEP_2) | instskip(NEXT) | instid1(VALU_DEP_2)
	v_bfe_i32 v9, v6, 0, 8
	v_mov_b32_e32 v5, v7
	s_delay_alu instid0(VALU_DEP_2) | instskip(NEXT) | instid1(VALU_DEP_2)
	v_cvt_f32_i32_e32 v21, v9
	v_bfe_i32 v7, v5, 0, 8
	s_delay_alu instid0(VALU_DEP_1) | instskip(SKIP_1) | instid1(VALU_DEP_2)
	v_cvt_f32_i32_e32 v8, v7
	v_xor_b32_e32 v7, v9, v7
	v_rcp_iflag_f32_e32 v20, v8
	v_nop
	s_delay_alu instid0(TRANS32_DEP_1) | instskip(NEXT) | instid1(VALU_DEP_1)
	v_dual_ashrrev_i32 v7, 30, v7 :: v_dual_mul_f32 v9, v21, v20
	v_trunc_f32_e32 v9, v9
	s_delay_alu instid0(VALU_DEP_1) | instskip(SKIP_1) | instid1(VALU_DEP_2)
	v_dual_fma_f32 v20, -v9, v8, v21 :: v_dual_bitop2_b32 v7, 1, v7 bitop3:0x54
	v_cvt_i32_f32_e32 v9, v9
	v_cmp_ge_f32_e64 s0, |v20|, |v8|
	s_delay_alu instid0(VALU_DEP_1) | instskip(NEXT) | instid1(VALU_DEP_1)
	v_cndmask_b32_e64 v7, 0, v7, s0
	v_add_nc_u32_e32 v7, v9, v7
	s_delay_alu instid0(VALU_DEP_1) | instskip(NEXT) | instid1(VALU_DEP_1)
	v_mul_lo_u32 v7, v7, v5
	v_sub_nc_u32_e32 v6, v6, v7
	s_delay_alu instid0(VALU_DEP_1) | instskip(SKIP_1) | instid1(VALU_DEP_2)
	v_bfe_i32 v7, v6, 0, 8
	v_mov_b32_e32 v6, v5
	v_cmp_eq_u16_e64 s0, 0, v7
	v_and_b32_e32 v7, 0xffff, v7
	s_or_b32 s7, s0, s7
	s_delay_alu instid0(SALU_CYCLE_1)
	s_and_not1_b32 exec_lo, exec_lo, s7
	s_cbranch_execnz .LBB9_168
; %bb.169:
	s_or_b32 exec_lo, exec_lo, s7
.LBB9_170:
	s_delay_alu instid0(SALU_CYCLE_1) | instskip(NEXT) | instid1(VALU_DEP_2)
	s_or_b32 exec_lo, exec_lo, s6
	v_perm_b32 v4, v4, v5, 0x60504
.LBB9_171:
	s_or_b32 exec_lo, exec_lo, s3
	v_or_b32_e32 v5, 0xc00, v0
	s_mov_b32 s3, exec_lo
	s_delay_alu instid0(VALU_DEP_1)
	v_cmpx_gt_i32_e64 s1, v5
	s_cbranch_execz .LBB9_177
; %bb.172:
	v_bfe_i32 v5, v19, 0, 8
	v_and_b32_e32 v7, 0xff, v18
	s_mov_b32 s7, 0
	s_mov_b32 s6, exec_lo
	s_delay_alu instid0(VALU_DEP_2) | instskip(NEXT) | instid1(VALU_DEP_1)
	v_sub_nc_u16 v6, 0, v5
	v_max_i16 v5, v5, v6
	v_cmpx_ne_u16_e32 0, v7
	s_cbranch_execz .LBB9_176
; %bb.173:
	v_bfe_i32 v6, v18, 0, 8
	s_delay_alu instid0(VALU_DEP_1) | instskip(NEXT) | instid1(VALU_DEP_1)
	v_sub_nc_u16 v7, 0, v6
	v_max_i16 v7, v6, v7
	v_and_b32_e32 v6, 0xff, v5
	s_delay_alu instid0(VALU_DEP_2)
	v_and_b32_e32 v7, 0xffff, v7
.LBB9_174:                              ; =>This Inner Loop Header: Depth=1
	s_delay_alu instid0(VALU_DEP_2) | instskip(NEXT) | instid1(VALU_DEP_2)
	v_bfe_i32 v9, v6, 0, 8
	v_mov_b32_e32 v5, v7
	s_delay_alu instid0(VALU_DEP_2) | instskip(NEXT) | instid1(VALU_DEP_2)
	v_cvt_f32_i32_e32 v19, v9
	v_bfe_i32 v7, v5, 0, 8
	s_delay_alu instid0(VALU_DEP_1) | instskip(SKIP_1) | instid1(VALU_DEP_2)
	v_cvt_f32_i32_e32 v8, v7
	v_xor_b32_e32 v7, v9, v7
	v_rcp_iflag_f32_e32 v18, v8
	v_nop
	s_delay_alu instid0(TRANS32_DEP_1) | instskip(NEXT) | instid1(VALU_DEP_1)
	v_dual_ashrrev_i32 v7, 30, v7 :: v_dual_mul_f32 v9, v19, v18
	v_trunc_f32_e32 v9, v9
	s_delay_alu instid0(VALU_DEP_1) | instskip(SKIP_1) | instid1(VALU_DEP_2)
	v_dual_fma_f32 v18, -v9, v8, v19 :: v_dual_bitop2_b32 v7, 1, v7 bitop3:0x54
	v_cvt_i32_f32_e32 v9, v9
	v_cmp_ge_f32_e64 s0, |v18|, |v8|
	s_delay_alu instid0(VALU_DEP_1) | instskip(NEXT) | instid1(VALU_DEP_1)
	v_cndmask_b32_e64 v7, 0, v7, s0
	v_add_nc_u32_e32 v7, v9, v7
	s_delay_alu instid0(VALU_DEP_1) | instskip(NEXT) | instid1(VALU_DEP_1)
	v_mul_lo_u32 v7, v7, v5
	v_sub_nc_u32_e32 v6, v6, v7
	s_delay_alu instid0(VALU_DEP_1) | instskip(SKIP_1) | instid1(VALU_DEP_2)
	v_bfe_i32 v7, v6, 0, 8
	v_mov_b32_e32 v6, v5
	v_cmp_eq_u16_e64 s0, 0, v7
	v_and_b32_e32 v7, 0xffff, v7
	s_or_b32 s7, s0, s7
	s_delay_alu instid0(SALU_CYCLE_1)
	s_and_not1_b32 exec_lo, exec_lo, s7
	s_cbranch_execnz .LBB9_174
; %bb.175:
	s_or_b32 exec_lo, exec_lo, s7
.LBB9_176:
	s_delay_alu instid0(SALU_CYCLE_1) | instskip(NEXT) | instid1(VALU_DEP_2)
	s_or_b32 exec_lo, exec_lo, s6
	v_perm_b32 v3, v5, v3, 0x3020104
.LBB9_177:
	s_or_b32 exec_lo, exec_lo, s3
	v_or_b32_e32 v5, 0xd00, v0
	s_mov_b32 s3, exec_lo
	s_delay_alu instid0(VALU_DEP_1)
	v_cmpx_gt_i32_e64 s1, v5
	s_cbranch_execz .LBB9_183
; %bb.178:
	v_bfe_i32 v5, v17, 0, 8
	v_and_b32_e32 v7, 0xff, v16
	s_mov_b32 s7, 0
	s_mov_b32 s6, exec_lo
	s_delay_alu instid0(VALU_DEP_2) | instskip(NEXT) | instid1(VALU_DEP_1)
	v_sub_nc_u16 v6, 0, v5
	v_max_i16 v5, v5, v6
	v_cmpx_ne_u16_e32 0, v7
	s_cbranch_execz .LBB9_182
; %bb.179:
	v_bfe_i32 v6, v16, 0, 8
	s_delay_alu instid0(VALU_DEP_1) | instskip(NEXT) | instid1(VALU_DEP_1)
	v_sub_nc_u16 v7, 0, v6
	v_max_i16 v7, v6, v7
	v_and_b32_e32 v6, 0xff, v5
	s_delay_alu instid0(VALU_DEP_2)
	v_and_b32_e32 v7, 0xffff, v7
.LBB9_180:                              ; =>This Inner Loop Header: Depth=1
	s_delay_alu instid0(VALU_DEP_2) | instskip(NEXT) | instid1(VALU_DEP_2)
	v_bfe_i32 v9, v6, 0, 8
	v_mov_b32_e32 v5, v7
	s_delay_alu instid0(VALU_DEP_2) | instskip(NEXT) | instid1(VALU_DEP_2)
	v_cvt_f32_i32_e32 v17, v9
	v_bfe_i32 v7, v5, 0, 8
	s_delay_alu instid0(VALU_DEP_1) | instskip(SKIP_1) | instid1(VALU_DEP_2)
	v_cvt_f32_i32_e32 v8, v7
	v_xor_b32_e32 v7, v9, v7
	v_rcp_iflag_f32_e32 v16, v8
	v_nop
	s_delay_alu instid0(TRANS32_DEP_1) | instskip(NEXT) | instid1(VALU_DEP_1)
	v_dual_ashrrev_i32 v7, 30, v7 :: v_dual_mul_f32 v9, v17, v16
	v_trunc_f32_e32 v9, v9
	s_delay_alu instid0(VALU_DEP_1) | instskip(SKIP_1) | instid1(VALU_DEP_2)
	v_dual_fma_f32 v16, -v9, v8, v17 :: v_dual_bitop2_b32 v7, 1, v7 bitop3:0x54
	v_cvt_i32_f32_e32 v9, v9
	v_cmp_ge_f32_e64 s0, |v16|, |v8|
	s_delay_alu instid0(VALU_DEP_1) | instskip(NEXT) | instid1(VALU_DEP_1)
	v_cndmask_b32_e64 v7, 0, v7, s0
	v_add_nc_u32_e32 v7, v9, v7
	s_delay_alu instid0(VALU_DEP_1) | instskip(NEXT) | instid1(VALU_DEP_1)
	v_mul_lo_u32 v7, v7, v5
	v_sub_nc_u32_e32 v6, v6, v7
	s_delay_alu instid0(VALU_DEP_1) | instskip(SKIP_1) | instid1(VALU_DEP_2)
	v_bfe_i32 v7, v6, 0, 8
	v_mov_b32_e32 v6, v5
	v_cmp_eq_u16_e64 s0, 0, v7
	v_and_b32_e32 v7, 0xffff, v7
	s_or_b32 s7, s0, s7
	s_delay_alu instid0(SALU_CYCLE_1)
	s_and_not1_b32 exec_lo, exec_lo, s7
	s_cbranch_execnz .LBB9_180
; %bb.181:
	s_or_b32 exec_lo, exec_lo, s7
.LBB9_182:
	s_delay_alu instid0(SALU_CYCLE_1) | instskip(NEXT) | instid1(VALU_DEP_2)
	s_or_b32 exec_lo, exec_lo, s6
	v_perm_b32 v3, v3, v5, 0x7060004
.LBB9_183:
	s_or_b32 exec_lo, exec_lo, s3
	v_or_b32_e32 v5, 0xe00, v0
	s_mov_b32 s3, exec_lo
	s_delay_alu instid0(VALU_DEP_1)
	v_cmpx_gt_i32_e64 s1, v5
	s_cbranch_execz .LBB9_189
; %bb.184:
	v_bfe_i32 v5, v15, 0, 8
	v_and_b32_e32 v7, 0xff, v14
	s_mov_b32 s7, 0
	s_mov_b32 s6, exec_lo
	s_delay_alu instid0(VALU_DEP_2) | instskip(NEXT) | instid1(VALU_DEP_1)
	v_sub_nc_u16 v6, 0, v5
	v_max_i16 v5, v5, v6
	v_cmpx_ne_u16_e32 0, v7
	s_cbranch_execz .LBB9_188
; %bb.185:
	v_bfe_i32 v6, v14, 0, 8
	s_delay_alu instid0(VALU_DEP_1) | instskip(NEXT) | instid1(VALU_DEP_1)
	v_sub_nc_u16 v7, 0, v6
	v_max_i16 v7, v6, v7
	v_and_b32_e32 v6, 0xff, v5
	s_delay_alu instid0(VALU_DEP_2)
	v_and_b32_e32 v7, 0xffff, v7
.LBB9_186:                              ; =>This Inner Loop Header: Depth=1
	s_delay_alu instid0(VALU_DEP_2) | instskip(NEXT) | instid1(VALU_DEP_2)
	v_bfe_i32 v9, v6, 0, 8
	v_mov_b32_e32 v5, v7
	s_delay_alu instid0(VALU_DEP_2) | instskip(NEXT) | instid1(VALU_DEP_2)
	v_cvt_f32_i32_e32 v15, v9
	v_bfe_i32 v7, v5, 0, 8
	s_delay_alu instid0(VALU_DEP_1) | instskip(SKIP_1) | instid1(VALU_DEP_2)
	v_cvt_f32_i32_e32 v8, v7
	v_xor_b32_e32 v7, v9, v7
	v_rcp_iflag_f32_e32 v14, v8
	v_nop
	s_delay_alu instid0(TRANS32_DEP_1) | instskip(NEXT) | instid1(VALU_DEP_1)
	v_dual_ashrrev_i32 v7, 30, v7 :: v_dual_mul_f32 v9, v15, v14
	v_trunc_f32_e32 v9, v9
	s_delay_alu instid0(VALU_DEP_1) | instskip(SKIP_1) | instid1(VALU_DEP_2)
	v_dual_fma_f32 v14, -v9, v8, v15 :: v_dual_bitop2_b32 v7, 1, v7 bitop3:0x54
	v_cvt_i32_f32_e32 v9, v9
	v_cmp_ge_f32_e64 s0, |v14|, |v8|
	s_delay_alu instid0(VALU_DEP_1) | instskip(NEXT) | instid1(VALU_DEP_1)
	v_cndmask_b32_e64 v7, 0, v7, s0
	v_add_nc_u32_e32 v7, v9, v7
	s_delay_alu instid0(VALU_DEP_1) | instskip(NEXT) | instid1(VALU_DEP_1)
	v_mul_lo_u32 v7, v7, v5
	v_sub_nc_u32_e32 v6, v6, v7
	s_delay_alu instid0(VALU_DEP_1) | instskip(SKIP_1) | instid1(VALU_DEP_2)
	v_bfe_i32 v7, v6, 0, 8
	v_mov_b32_e32 v6, v5
	v_cmp_eq_u16_e64 s0, 0, v7
	v_and_b32_e32 v7, 0xffff, v7
	s_or_b32 s7, s0, s7
	s_delay_alu instid0(SALU_CYCLE_1)
	s_and_not1_b32 exec_lo, exec_lo, s7
	s_cbranch_execnz .LBB9_186
; %bb.187:
	s_or_b32 exec_lo, exec_lo, s7
.LBB9_188:
	s_delay_alu instid0(SALU_CYCLE_1) | instskip(NEXT) | instid1(VALU_DEP_2)
	s_or_b32 exec_lo, exec_lo, s6
	v_perm_b32 v3, v3, v5, 0x7000504
.LBB9_189:
	s_or_b32 exec_lo, exec_lo, s3
	v_or_b32_e32 v5, 0xf00, v0
	s_mov_b32 s3, exec_lo
	s_delay_alu instid0(VALU_DEP_1)
	v_cmpx_gt_i32_e64 s1, v5
	s_cbranch_execnz .LBB9_208
; %bb.190:
	s_or_b32 exec_lo, exec_lo, s3
	s_and_saveexec_b32 s0, vcc_lo
	s_delay_alu instid0(SALU_CYCLE_1)
	s_xor_b32 s0, exec_lo, s0
	s_cbranch_execnz .LBB9_213
.LBB9_191:
	s_or_b32 exec_lo, exec_lo, s0
	s_delay_alu instid0(SALU_CYCLE_1)
	s_mov_b32 s0, exec_lo
	v_cmpx_gt_i32_e64 s1, v0
	s_cbranch_execnz .LBB9_214
.LBB9_192:
	s_or_b32 exec_lo, exec_lo, s0
	s_delay_alu instid0(SALU_CYCLE_1)
	s_mov_b32 s0, exec_lo
	v_cmpx_gt_i32_e64 s1, v0
	s_cbranch_execnz .LBB9_215
.LBB9_193:
	s_or_b32 exec_lo, exec_lo, s0
	s_delay_alu instid0(SALU_CYCLE_1)
	s_mov_b32 s0, exec_lo
	v_cmpx_gt_i32_e64 s1, v0
	s_cbranch_execnz .LBB9_216
.LBB9_194:
	s_or_b32 exec_lo, exec_lo, s0
	s_delay_alu instid0(SALU_CYCLE_1)
	s_mov_b32 s0, exec_lo
	v_cmpx_gt_i32_e64 s1, v0
	s_cbranch_execnz .LBB9_217
.LBB9_195:
	s_or_b32 exec_lo, exec_lo, s0
	s_delay_alu instid0(SALU_CYCLE_1)
	s_mov_b32 s0, exec_lo
	v_cmpx_gt_i32_e64 s1, v0
	s_cbranch_execnz .LBB9_218
.LBB9_196:
	s_or_b32 exec_lo, exec_lo, s0
	s_delay_alu instid0(SALU_CYCLE_1)
	s_mov_b32 s0, exec_lo
	v_cmpx_gt_i32_e64 s1, v0
	s_cbranch_execnz .LBB9_219
.LBB9_197:
	s_or_b32 exec_lo, exec_lo, s0
	s_delay_alu instid0(SALU_CYCLE_1)
	s_mov_b32 s0, exec_lo
	v_cmpx_gt_i32_e64 s1, v0
	s_cbranch_execnz .LBB9_220
.LBB9_198:
	s_or_b32 exec_lo, exec_lo, s0
	s_delay_alu instid0(SALU_CYCLE_1)
	s_mov_b32 s0, exec_lo
	v_cmpx_gt_i32_e64 s1, v0
	s_cbranch_execnz .LBB9_221
.LBB9_199:
	s_or_b32 exec_lo, exec_lo, s0
	s_delay_alu instid0(SALU_CYCLE_1)
	s_mov_b32 s0, exec_lo
	v_cmpx_gt_i32_e64 s1, v0
	s_cbranch_execnz .LBB9_222
.LBB9_200:
	s_or_b32 exec_lo, exec_lo, s0
	s_delay_alu instid0(SALU_CYCLE_1)
	s_mov_b32 s0, exec_lo
	v_cmpx_gt_i32_e64 s1, v0
	s_cbranch_execnz .LBB9_223
.LBB9_201:
	s_or_b32 exec_lo, exec_lo, s0
	s_delay_alu instid0(SALU_CYCLE_1)
	s_mov_b32 s0, exec_lo
	v_cmpx_gt_i32_e64 s1, v0
	s_cbranch_execnz .LBB9_224
.LBB9_202:
	s_or_b32 exec_lo, exec_lo, s0
	s_delay_alu instid0(SALU_CYCLE_1)
	s_mov_b32 s0, exec_lo
	v_cmpx_gt_i32_e64 s1, v0
	s_cbranch_execnz .LBB9_225
.LBB9_203:
	s_or_b32 exec_lo, exec_lo, s0
	s_delay_alu instid0(SALU_CYCLE_1)
	s_mov_b32 s0, exec_lo
	v_cmpx_gt_i32_e64 s1, v0
	s_cbranch_execnz .LBB9_226
.LBB9_204:
	s_or_b32 exec_lo, exec_lo, s0
	s_delay_alu instid0(SALU_CYCLE_1)
	s_mov_b32 s0, exec_lo
	v_cmpx_gt_i32_e64 s1, v0
	s_cbranch_execnz .LBB9_227
.LBB9_205:
	s_or_b32 exec_lo, exec_lo, s0
	s_delay_alu instid0(SALU_CYCLE_1)
	s_mov_b32 s0, exec_lo
	v_cmpx_gt_i32_e64 s1, v0
	s_cbranch_execz .LBB9_207
.LBB9_206:
	v_dual_lshrrev_b32 v1, 24, v3 :: v_dual_add_nc_u32 v0, s2, v0
	global_store_b8 v0, v1, s[4:5]
.LBB9_207:
	s_endpgm
.LBB9_208:
	v_and_b32_e32 v5, 0xff, v13
	s_mov_b32 s7, 0
	s_mov_b32 s6, exec_lo
	s_delay_alu instid0(VALU_DEP_1)
	v_cmpx_ne_u16_e32 0, v5
	s_cbranch_execz .LBB9_212
; %bb.209:
	v_bfe_i32 v5, v13, 0, 8
	s_delay_alu instid0(VALU_DEP_1) | instskip(NEXT) | instid1(VALU_DEP_1)
	v_sub_nc_u16 v6, 0, v5
	v_max_i16 v6, v5, v6
	v_and_b32_e32 v5, 0xff, v12
	s_delay_alu instid0(VALU_DEP_2)
	v_and_b32_e32 v6, 0xffff, v6
.LBB9_210:                              ; =>This Inner Loop Header: Depth=1
	s_delay_alu instid0(VALU_DEP_2) | instskip(NEXT) | instid1(VALU_DEP_2)
	v_bfe_i32 v8, v5, 0, 8
	v_mov_b32_e32 v12, v6
	s_delay_alu instid0(VALU_DEP_2) | instskip(NEXT) | instid1(VALU_DEP_2)
	v_cvt_f32_i32_e32 v13, v8
	v_bfe_i32 v6, v12, 0, 8
	s_delay_alu instid0(VALU_DEP_1) | instskip(SKIP_1) | instid1(VALU_DEP_2)
	v_cvt_f32_i32_e32 v7, v6
	v_xor_b32_e32 v6, v8, v6
	v_rcp_iflag_f32_e32 v9, v7
	v_nop
	s_delay_alu instid0(TRANS32_DEP_1) | instskip(NEXT) | instid1(VALU_DEP_1)
	v_dual_ashrrev_i32 v6, 30, v6 :: v_dual_mul_f32 v8, v13, v9
	v_trunc_f32_e32 v8, v8
	s_delay_alu instid0(VALU_DEP_1) | instskip(SKIP_1) | instid1(VALU_DEP_2)
	v_dual_fma_f32 v9, -v8, v7, v13 :: v_dual_bitop2_b32 v6, 1, v6 bitop3:0x54
	v_cvt_i32_f32_e32 v8, v8
	v_cmp_ge_f32_e64 s0, |v9|, |v7|
	s_delay_alu instid0(VALU_DEP_1) | instskip(NEXT) | instid1(VALU_DEP_1)
	v_cndmask_b32_e64 v6, 0, v6, s0
	v_add_nc_u32_e32 v6, v8, v6
	s_delay_alu instid0(VALU_DEP_1) | instskip(NEXT) | instid1(VALU_DEP_1)
	v_mul_lo_u32 v6, v6, v12
	v_sub_nc_u32_e32 v5, v5, v6
	s_delay_alu instid0(VALU_DEP_1) | instskip(SKIP_1) | instid1(VALU_DEP_2)
	v_bfe_i32 v6, v5, 0, 8
	v_mov_b32_e32 v5, v12
	v_cmp_eq_u16_e64 s0, 0, v6
	v_and_b32_e32 v6, 0xffff, v6
	s_or_b32 s7, s0, s7
	s_delay_alu instid0(SALU_CYCLE_1)
	s_and_not1_b32 exec_lo, exec_lo, s7
	s_cbranch_execnz .LBB9_210
; %bb.211:
	s_or_b32 exec_lo, exec_lo, s7
.LBB9_212:
	s_delay_alu instid0(SALU_CYCLE_1) | instskip(SKIP_3) | instid1(SALU_CYCLE_1)
	s_or_b32 exec_lo, exec_lo, s6
	v_perm_b32 v3, v3, v12, 0x60504
	s_or_b32 exec_lo, exec_lo, s3
	s_and_saveexec_b32 s0, vcc_lo
	s_xor_b32 s0, exec_lo, s0
	s_cbranch_execz .LBB9_191
.LBB9_213:
	v_mov_b32_e32 v0, v11
	global_store_b8 v10, v2, s[4:5]
	s_wait_xcnt 0x0
	s_or_b32 exec_lo, exec_lo, s0
	s_delay_alu instid0(SALU_CYCLE_1)
	s_mov_b32 s0, exec_lo
	v_cmpx_gt_i32_e64 s1, v0
	s_cbranch_execz .LBB9_192
.LBB9_214:
	v_dual_lshrrev_b32 v5, 8, v2 :: v_dual_add_nc_u32 v6, s2, v0
	v_add_nc_u32_e32 v0, 0x100, v0
	global_store_b8 v6, v5, s[4:5]
	s_wait_xcnt 0x0
	s_or_b32 exec_lo, exec_lo, s0
	s_delay_alu instid0(SALU_CYCLE_1)
	s_mov_b32 s0, exec_lo
	v_cmpx_gt_i32_e64 s1, v0
	s_cbranch_execz .LBB9_193
.LBB9_215:
	v_add_nc_u32_e32 v5, s2, v0
	v_add_nc_u32_e32 v0, 0x100, v0
	global_store_d16_hi_b8 v5, v2, s[4:5]
	s_wait_xcnt 0x0
	s_or_b32 exec_lo, exec_lo, s0
	s_delay_alu instid0(SALU_CYCLE_1)
	s_mov_b32 s0, exec_lo
	v_cmpx_gt_i32_e64 s1, v0
	s_cbranch_execz .LBB9_194
.LBB9_216:
	v_dual_lshrrev_b32 v2, 24, v2 :: v_dual_add_nc_u32 v5, s2, v0
	v_add_nc_u32_e32 v0, 0x100, v0
	global_store_b8 v5, v2, s[4:5]
	s_wait_xcnt 0x0
	s_or_b32 exec_lo, exec_lo, s0
	s_delay_alu instid0(SALU_CYCLE_1)
	s_mov_b32 s0, exec_lo
	v_cmpx_gt_i32_e64 s1, v0
	s_cbranch_execz .LBB9_195
.LBB9_217:
	v_add_nc_u32_e32 v2, s2, v0
	v_add_nc_u32_e32 v0, 0x100, v0
	global_store_b8 v2, v1, s[4:5]
	s_wait_xcnt 0x0
	s_or_b32 exec_lo, exec_lo, s0
	s_delay_alu instid0(SALU_CYCLE_1)
	s_mov_b32 s0, exec_lo
	v_cmpx_gt_i32_e64 s1, v0
	s_cbranch_execz .LBB9_196
.LBB9_218:
	v_dual_lshrrev_b32 v2, 8, v1 :: v_dual_add_nc_u32 v5, s2, v0
	v_add_nc_u32_e32 v0, 0x100, v0
	global_store_b8 v5, v2, s[4:5]
	s_wait_xcnt 0x0
	s_or_b32 exec_lo, exec_lo, s0
	s_delay_alu instid0(SALU_CYCLE_1)
	s_mov_b32 s0, exec_lo
	v_cmpx_gt_i32_e64 s1, v0
	s_cbranch_execz .LBB9_197
.LBB9_219:
	v_add_nc_u32_e32 v2, s2, v0
	v_add_nc_u32_e32 v0, 0x100, v0
	global_store_d16_hi_b8 v2, v1, s[4:5]
	s_wait_xcnt 0x0
	s_or_b32 exec_lo, exec_lo, s0
	s_delay_alu instid0(SALU_CYCLE_1)
	s_mov_b32 s0, exec_lo
	v_cmpx_gt_i32_e64 s1, v0
	s_cbranch_execz .LBB9_198
.LBB9_220:
	v_dual_lshrrev_b32 v1, 24, v1 :: v_dual_add_nc_u32 v2, s2, v0
	v_add_nc_u32_e32 v0, 0x100, v0
	global_store_b8 v2, v1, s[4:5]
	s_wait_xcnt 0x0
	s_or_b32 exec_lo, exec_lo, s0
	s_delay_alu instid0(SALU_CYCLE_1)
	s_mov_b32 s0, exec_lo
	v_cmpx_gt_i32_e64 s1, v0
	s_cbranch_execz .LBB9_199
.LBB9_221:
	v_add_nc_u32_e32 v1, s2, v0
	v_add_nc_u32_e32 v0, 0x100, v0
	global_store_b8 v1, v4, s[4:5]
	s_wait_xcnt 0x0
	s_or_b32 exec_lo, exec_lo, s0
	s_delay_alu instid0(SALU_CYCLE_1)
	s_mov_b32 s0, exec_lo
	v_cmpx_gt_i32_e64 s1, v0
	s_cbranch_execz .LBB9_200
.LBB9_222:
	v_lshrrev_b32_e32 v1, 8, v4
	v_add_nc_u32_e32 v2, s2, v0
	v_add_nc_u32_e32 v0, 0x100, v0
	global_store_b8 v2, v1, s[4:5]
	s_wait_xcnt 0x0
	s_or_b32 exec_lo, exec_lo, s0
	s_delay_alu instid0(SALU_CYCLE_1)
	s_mov_b32 s0, exec_lo
	v_cmpx_gt_i32_e64 s1, v0
	s_cbranch_execz .LBB9_201
.LBB9_223:
	v_add_nc_u32_e32 v1, s2, v0
	v_add_nc_u32_e32 v0, 0x100, v0
	global_store_d16_hi_b8 v1, v4, s[4:5]
	s_wait_xcnt 0x0
	s_or_b32 exec_lo, exec_lo, s0
	s_delay_alu instid0(SALU_CYCLE_1)
	s_mov_b32 s0, exec_lo
	v_cmpx_gt_i32_e64 s1, v0
	s_cbranch_execz .LBB9_202
.LBB9_224:
	v_lshrrev_b32_e32 v1, 24, v4
	v_add_nc_u32_e32 v2, s2, v0
	v_add_nc_u32_e32 v0, 0x100, v0
	global_store_b8 v2, v1, s[4:5]
	s_wait_xcnt 0x0
	s_or_b32 exec_lo, exec_lo, s0
	s_delay_alu instid0(SALU_CYCLE_1)
	s_mov_b32 s0, exec_lo
	v_cmpx_gt_i32_e64 s1, v0
	s_cbranch_execz .LBB9_203
.LBB9_225:
	v_add_nc_u32_e32 v1, s2, v0
	v_add_nc_u32_e32 v0, 0x100, v0
	global_store_b8 v1, v3, s[4:5]
	s_wait_xcnt 0x0
	s_or_b32 exec_lo, exec_lo, s0
	s_delay_alu instid0(SALU_CYCLE_1)
	s_mov_b32 s0, exec_lo
	v_cmpx_gt_i32_e64 s1, v0
	s_cbranch_execz .LBB9_204
.LBB9_226:
	v_dual_lshrrev_b32 v1, 8, v3 :: v_dual_add_nc_u32 v2, s2, v0
	v_add_nc_u32_e32 v0, 0x100, v0
	global_store_b8 v2, v1, s[4:5]
	s_wait_xcnt 0x0
	s_or_b32 exec_lo, exec_lo, s0
	s_delay_alu instid0(SALU_CYCLE_1)
	s_mov_b32 s0, exec_lo
	v_cmpx_gt_i32_e64 s1, v0
	s_cbranch_execz .LBB9_205
.LBB9_227:
	v_add_nc_u32_e32 v1, s2, v0
	v_add_nc_u32_e32 v0, 0x100, v0
	global_store_d16_hi_b8 v1, v3, s[4:5]
	s_wait_xcnt 0x0
	s_or_b32 exec_lo, exec_lo, s0
	s_delay_alu instid0(SALU_CYCLE_1)
	s_mov_b32 s0, exec_lo
	v_cmpx_gt_i32_e64 s1, v0
	s_cbranch_execnz .LBB9_206
	s_branch .LBB9_207
	.section	.rodata,"a",@progbits
	.p2align	6, 0x0
	.amdhsa_kernel _ZN2at6native29vectorized_elementwise_kernelILi8EZZZNS0_15gcd_kernel_cudaERNS_18TensorIteratorBaseEENKUlvE_clEvENKUlvE0_clEvEUlaaE_St5arrayIPcLm3EEEEviT0_T1_
		.amdhsa_group_segment_fixed_size 0
		.amdhsa_private_segment_fixed_size 0
		.amdhsa_kernarg_size 32
		.amdhsa_user_sgpr_count 2
		.amdhsa_user_sgpr_dispatch_ptr 0
		.amdhsa_user_sgpr_queue_ptr 0
		.amdhsa_user_sgpr_kernarg_segment_ptr 1
		.amdhsa_user_sgpr_dispatch_id 0
		.amdhsa_user_sgpr_kernarg_preload_length 0
		.amdhsa_user_sgpr_kernarg_preload_offset 0
		.amdhsa_user_sgpr_private_segment_size 0
		.amdhsa_wavefront_size32 1
		.amdhsa_uses_dynamic_stack 0
		.amdhsa_enable_private_segment 0
		.amdhsa_system_sgpr_workgroup_id_x 1
		.amdhsa_system_sgpr_workgroup_id_y 0
		.amdhsa_system_sgpr_workgroup_id_z 0
		.amdhsa_system_sgpr_workgroup_info 0
		.amdhsa_system_vgpr_workitem_id 0
		.amdhsa_next_free_vgpr 42
		.amdhsa_next_free_sgpr 21
		.amdhsa_named_barrier_count 0
		.amdhsa_reserve_vcc 1
		.amdhsa_float_round_mode_32 0
		.amdhsa_float_round_mode_16_64 0
		.amdhsa_float_denorm_mode_32 3
		.amdhsa_float_denorm_mode_16_64 3
		.amdhsa_fp16_overflow 0
		.amdhsa_memory_ordered 1
		.amdhsa_forward_progress 1
		.amdhsa_inst_pref_size 108
		.amdhsa_round_robin_scheduling 0
		.amdhsa_exception_fp_ieee_invalid_op 0
		.amdhsa_exception_fp_denorm_src 0
		.amdhsa_exception_fp_ieee_div_zero 0
		.amdhsa_exception_fp_ieee_overflow 0
		.amdhsa_exception_fp_ieee_underflow 0
		.amdhsa_exception_fp_ieee_inexact 0
		.amdhsa_exception_int_div_zero 0
	.end_amdhsa_kernel
	.section	.text._ZN2at6native29vectorized_elementwise_kernelILi8EZZZNS0_15gcd_kernel_cudaERNS_18TensorIteratorBaseEENKUlvE_clEvENKUlvE0_clEvEUlaaE_St5arrayIPcLm3EEEEviT0_T1_,"axG",@progbits,_ZN2at6native29vectorized_elementwise_kernelILi8EZZZNS0_15gcd_kernel_cudaERNS_18TensorIteratorBaseEENKUlvE_clEvENKUlvE0_clEvEUlaaE_St5arrayIPcLm3EEEEviT0_T1_,comdat
.Lfunc_end9:
	.size	_ZN2at6native29vectorized_elementwise_kernelILi8EZZZNS0_15gcd_kernel_cudaERNS_18TensorIteratorBaseEENKUlvE_clEvENKUlvE0_clEvEUlaaE_St5arrayIPcLm3EEEEviT0_T1_, .Lfunc_end9-_ZN2at6native29vectorized_elementwise_kernelILi8EZZZNS0_15gcd_kernel_cudaERNS_18TensorIteratorBaseEENKUlvE_clEvENKUlvE0_clEvEUlaaE_St5arrayIPcLm3EEEEviT0_T1_
                                        ; -- End function
	.set _ZN2at6native29vectorized_elementwise_kernelILi8EZZZNS0_15gcd_kernel_cudaERNS_18TensorIteratorBaseEENKUlvE_clEvENKUlvE0_clEvEUlaaE_St5arrayIPcLm3EEEEviT0_T1_.num_vgpr, 42
	.set _ZN2at6native29vectorized_elementwise_kernelILi8EZZZNS0_15gcd_kernel_cudaERNS_18TensorIteratorBaseEENKUlvE_clEvENKUlvE0_clEvEUlaaE_St5arrayIPcLm3EEEEviT0_T1_.num_agpr, 0
	.set _ZN2at6native29vectorized_elementwise_kernelILi8EZZZNS0_15gcd_kernel_cudaERNS_18TensorIteratorBaseEENKUlvE_clEvENKUlvE0_clEvEUlaaE_St5arrayIPcLm3EEEEviT0_T1_.numbered_sgpr, 21
	.set _ZN2at6native29vectorized_elementwise_kernelILi8EZZZNS0_15gcd_kernel_cudaERNS_18TensorIteratorBaseEENKUlvE_clEvENKUlvE0_clEvEUlaaE_St5arrayIPcLm3EEEEviT0_T1_.num_named_barrier, 0
	.set _ZN2at6native29vectorized_elementwise_kernelILi8EZZZNS0_15gcd_kernel_cudaERNS_18TensorIteratorBaseEENKUlvE_clEvENKUlvE0_clEvEUlaaE_St5arrayIPcLm3EEEEviT0_T1_.private_seg_size, 0
	.set _ZN2at6native29vectorized_elementwise_kernelILi8EZZZNS0_15gcd_kernel_cudaERNS_18TensorIteratorBaseEENKUlvE_clEvENKUlvE0_clEvEUlaaE_St5arrayIPcLm3EEEEviT0_T1_.uses_vcc, 1
	.set _ZN2at6native29vectorized_elementwise_kernelILi8EZZZNS0_15gcd_kernel_cudaERNS_18TensorIteratorBaseEENKUlvE_clEvENKUlvE0_clEvEUlaaE_St5arrayIPcLm3EEEEviT0_T1_.uses_flat_scratch, 0
	.set _ZN2at6native29vectorized_elementwise_kernelILi8EZZZNS0_15gcd_kernel_cudaERNS_18TensorIteratorBaseEENKUlvE_clEvENKUlvE0_clEvEUlaaE_St5arrayIPcLm3EEEEviT0_T1_.has_dyn_sized_stack, 0
	.set _ZN2at6native29vectorized_elementwise_kernelILi8EZZZNS0_15gcd_kernel_cudaERNS_18TensorIteratorBaseEENKUlvE_clEvENKUlvE0_clEvEUlaaE_St5arrayIPcLm3EEEEviT0_T1_.has_recursion, 0
	.set _ZN2at6native29vectorized_elementwise_kernelILi8EZZZNS0_15gcd_kernel_cudaERNS_18TensorIteratorBaseEENKUlvE_clEvENKUlvE0_clEvEUlaaE_St5arrayIPcLm3EEEEviT0_T1_.has_indirect_call, 0
	.section	.AMDGPU.csdata,"",@progbits
; Kernel info:
; codeLenInByte = 13796
; TotalNumSgprs: 23
; NumVgprs: 42
; ScratchSize: 0
; MemoryBound: 0
; FloatMode: 240
; IeeeMode: 1
; LDSByteSize: 0 bytes/workgroup (compile time only)
; SGPRBlocks: 0
; VGPRBlocks: 2
; NumSGPRsForWavesPerEU: 23
; NumVGPRsForWavesPerEU: 42
; NamedBarCnt: 0
; Occupancy: 16
; WaveLimiterHint : 1
; COMPUTE_PGM_RSRC2:SCRATCH_EN: 0
; COMPUTE_PGM_RSRC2:USER_SGPR: 2
; COMPUTE_PGM_RSRC2:TRAP_HANDLER: 0
; COMPUTE_PGM_RSRC2:TGID_X_EN: 1
; COMPUTE_PGM_RSRC2:TGID_Y_EN: 0
; COMPUTE_PGM_RSRC2:TGID_Z_EN: 0
; COMPUTE_PGM_RSRC2:TIDIG_COMP_CNT: 0
	.section	.text._ZN2at6native29vectorized_elementwise_kernelILi4EZZZNS0_15gcd_kernel_cudaERNS_18TensorIteratorBaseEENKUlvE_clEvENKUlvE0_clEvEUlaaE_St5arrayIPcLm3EEEEviT0_T1_,"axG",@progbits,_ZN2at6native29vectorized_elementwise_kernelILi4EZZZNS0_15gcd_kernel_cudaERNS_18TensorIteratorBaseEENKUlvE_clEvENKUlvE0_clEvEUlaaE_St5arrayIPcLm3EEEEviT0_T1_,comdat
	.globl	_ZN2at6native29vectorized_elementwise_kernelILi4EZZZNS0_15gcd_kernel_cudaERNS_18TensorIteratorBaseEENKUlvE_clEvENKUlvE0_clEvEUlaaE_St5arrayIPcLm3EEEEviT0_T1_ ; -- Begin function _ZN2at6native29vectorized_elementwise_kernelILi4EZZZNS0_15gcd_kernel_cudaERNS_18TensorIteratorBaseEENKUlvE_clEvENKUlvE0_clEvEUlaaE_St5arrayIPcLm3EEEEviT0_T1_
	.p2align	8
	.type	_ZN2at6native29vectorized_elementwise_kernelILi4EZZZNS0_15gcd_kernel_cudaERNS_18TensorIteratorBaseEENKUlvE_clEvENKUlvE0_clEvEUlaaE_St5arrayIPcLm3EEEEviT0_T1_,@function
_ZN2at6native29vectorized_elementwise_kernelILi4EZZZNS0_15gcd_kernel_cudaERNS_18TensorIteratorBaseEENKUlvE_clEvENKUlvE0_clEvEUlaaE_St5arrayIPcLm3EEEEviT0_T1_: ; @_ZN2at6native29vectorized_elementwise_kernelILi4EZZZNS0_15gcd_kernel_cudaERNS_18TensorIteratorBaseEENKUlvE_clEvENKUlvE0_clEvEUlaaE_St5arrayIPcLm3EEEEviT0_T1_
; %bb.0:
	s_clause 0x2
	s_load_b32 s3, s[0:1], 0x0
	s_load_b128 s[4:7], s[0:1], 0x8
	s_load_b64 s[8:9], s[0:1], 0x18
	s_wait_xcnt 0x0
	s_bfe_u32 s0, ttmp6, 0x4000c
	s_and_b32 s1, ttmp6, 15
	s_add_co_i32 s0, s0, 1
	s_getreg_b32 s2, hwreg(HW_REG_IB_STS2, 6, 4)
	s_mul_i32 s0, ttmp9, s0
	s_delay_alu instid0(SALU_CYCLE_1) | instskip(SKIP_2) | instid1(SALU_CYCLE_1)
	s_add_co_i32 s1, s1, s0
	s_cmp_eq_u32 s2, 0
	s_cselect_b32 s0, ttmp9, s1
	s_lshl_b32 s2, s0, 12
	s_mov_b32 s0, -1
	s_wait_kmcnt 0x0
	s_sub_co_i32 s1, s3, s2
	s_delay_alu instid0(SALU_CYCLE_1)
	s_cmp_gt_i32 s1, 0xfff
	s_cbranch_scc0 .LBB10_66
; %bb.1:
	s_ashr_i32 s3, s2, 31
	s_mov_b32 s0, exec_lo
	s_add_nc_u64 s[10:11], s[8:9], s[2:3]
	s_add_nc_u64 s[12:13], s[6:7], s[2:3]
	s_clause 0x7
	global_load_b32 v6, v0, s[10:11] scale_offset
	global_load_b32 v7, v0, s[12:13] scale_offset
	global_load_b32 v13, v0, s[12:13] offset:1024 scale_offset
	global_load_b32 v8, v0, s[12:13] offset:2048 scale_offset
	global_load_b32 v2, v0, s[12:13] offset:3072 scale_offset
	global_load_b32 v12, v0, s[10:11] offset:1024 scale_offset
	global_load_b32 v9, v0, s[10:11] offset:2048 scale_offset
	global_load_b32 v3, v0, s[10:11] offset:3072 scale_offset
	s_wait_loadcnt 0x6
	v_and_b32_e32 v5, 0xff, v7
	v_bfe_i32 v1, v6, 0, 8
	s_delay_alu instid0(VALU_DEP_1) | instskip(NEXT) | instid1(VALU_DEP_1)
	v_sub_nc_u16 v4, 0, v1
	v_max_i16 v1, v1, v4
	s_wait_xcnt 0x0
	v_cmpx_ne_u16_e32 0, v5
	s_cbranch_execz .LBB10_5
; %bb.2:
	v_bfe_i32 v4, v7, 0, 8
	s_mov_b32 s10, 0
	s_delay_alu instid0(VALU_DEP_1) | instskip(NEXT) | instid1(VALU_DEP_1)
	v_sub_nc_u16 v5, 0, v4
	v_max_i16 v5, v4, v5
	v_and_b32_e32 v4, 0xff, v1
	s_delay_alu instid0(VALU_DEP_2)
	v_and_b32_e32 v5, 0xffff, v5
.LBB10_3:                               ; =>This Inner Loop Header: Depth=1
	s_delay_alu instid0(VALU_DEP_2) | instskip(NEXT) | instid1(VALU_DEP_2)
	v_bfe_i32 v11, v4, 0, 8
	v_mov_b32_e32 v1, v5
	s_delay_alu instid0(VALU_DEP_2) | instskip(NEXT) | instid1(VALU_DEP_2)
	v_cvt_f32_i32_e32 v15, v11
	v_bfe_i32 v5, v1, 0, 8
	s_delay_alu instid0(VALU_DEP_1) | instskip(SKIP_1) | instid1(VALU_DEP_2)
	v_cvt_f32_i32_e32 v10, v5
	v_xor_b32_e32 v5, v11, v5
	v_rcp_iflag_f32_e32 v14, v10
	v_nop
	s_delay_alu instid0(TRANS32_DEP_1) | instskip(NEXT) | instid1(VALU_DEP_1)
	v_dual_ashrrev_i32 v5, 30, v5 :: v_dual_mul_f32 v11, v15, v14
	v_trunc_f32_e32 v11, v11
	s_delay_alu instid0(VALU_DEP_1) | instskip(SKIP_1) | instid1(VALU_DEP_2)
	v_dual_fma_f32 v14, -v11, v10, v15 :: v_dual_bitop2_b32 v5, 1, v5 bitop3:0x54
	v_cvt_i32_f32_e32 v11, v11
	v_cmp_ge_f32_e64 vcc_lo, |v14|, |v10|
	s_delay_alu instid0(VALU_DEP_3) | instskip(NEXT) | instid1(VALU_DEP_1)
	v_cndmask_b32_e32 v5, 0, v5, vcc_lo
	v_add_nc_u32_e32 v5, v11, v5
	s_delay_alu instid0(VALU_DEP_1) | instskip(NEXT) | instid1(VALU_DEP_1)
	v_mul_lo_u32 v5, v5, v1
	v_sub_nc_u32_e32 v4, v4, v5
	s_delay_alu instid0(VALU_DEP_1) | instskip(SKIP_1) | instid1(VALU_DEP_2)
	v_bfe_i32 v5, v4, 0, 8
	v_mov_b32_e32 v4, v1
	v_cmp_eq_u16_e32 vcc_lo, 0, v5
	v_and_b32_e32 v5, 0xffff, v5
	s_or_b32 s10, vcc_lo, s10
	s_delay_alu instid0(SALU_CYCLE_1)
	s_and_not1_b32 exec_lo, exec_lo, s10
	s_cbranch_execnz .LBB10_3
; %bb.4:
	s_or_b32 exec_lo, exec_lo, s10
.LBB10_5:
	s_delay_alu instid0(SALU_CYCLE_1) | instskip(SKIP_3) | instid1(VALU_DEP_1)
	s_or_b32 exec_lo, exec_lo, s0
	v_dual_lshrrev_b32 v4, 8, v6 :: v_dual_lshrrev_b32 v5, 8, v7
	s_mov_b32 s10, 0
	s_mov_b32 s0, exec_lo
	v_bfe_i32 v4, v4, 0, 8
	s_delay_alu instid0(VALU_DEP_2) | instskip(NEXT) | instid1(VALU_DEP_2)
	v_and_b32_e32 v5, 0xff, v5
	v_sub_nc_u16 v10, 0, v4
	s_delay_alu instid0(VALU_DEP_1) | instskip(NEXT) | instid1(VALU_DEP_3)
	v_max_i16 v4, v4, v10
	v_cmpx_ne_u16_e32 0, v5
	s_cbranch_execz .LBB10_9
; %bb.6:
	v_ashrrev_i16 v5, 8, v7
	s_delay_alu instid0(VALU_DEP_1) | instskip(NEXT) | instid1(VALU_DEP_1)
	v_sub_nc_u16 v10, 0, v5
	v_max_i16 v10, v5, v10
	v_and_b32_e32 v5, 0xff, v4
	s_delay_alu instid0(VALU_DEP_2)
	v_and_b32_e32 v10, 0xffff, v10
.LBB10_7:                               ; =>This Inner Loop Header: Depth=1
	s_delay_alu instid0(VALU_DEP_2) | instskip(NEXT) | instid1(VALU_DEP_1)
	v_bfe_i32 v14, v5, 0, 8
	v_cvt_f32_i32_e32 v16, v14
	s_delay_alu instid0(VALU_DEP_3) | instskip(NEXT) | instid1(VALU_DEP_1)
	v_mov_b32_e32 v4, v10
	v_bfe_i32 v10, v4, 0, 8
	s_delay_alu instid0(VALU_DEP_1) | instskip(SKIP_1) | instid1(VALU_DEP_2)
	v_cvt_f32_i32_e32 v11, v10
	v_xor_b32_e32 v10, v14, v10
	v_rcp_iflag_f32_e32 v15, v11
	v_nop
	s_delay_alu instid0(TRANS32_DEP_1) | instskip(NEXT) | instid1(VALU_DEP_1)
	v_mul_f32_e32 v14, v16, v15
	v_trunc_f32_e32 v14, v14
	s_delay_alu instid0(VALU_DEP_1) | instskip(SKIP_1) | instid1(VALU_DEP_2)
	v_dual_fma_f32 v15, -v14, v11, v16 :: v_dual_ashrrev_i32 v10, 30, v10
	v_cvt_i32_f32_e32 v14, v14
	v_cmp_ge_f32_e64 vcc_lo, |v15|, |v11|
	s_delay_alu instid0(VALU_DEP_3) | instskip(NEXT) | instid1(VALU_DEP_1)
	v_or_b32_e32 v10, 1, v10
	v_cndmask_b32_e32 v10, 0, v10, vcc_lo
	s_delay_alu instid0(VALU_DEP_1) | instskip(NEXT) | instid1(VALU_DEP_1)
	v_add_nc_u32_e32 v10, v14, v10
	v_mul_lo_u32 v10, v10, v4
	s_delay_alu instid0(VALU_DEP_1) | instskip(NEXT) | instid1(VALU_DEP_1)
	v_sub_nc_u32_e32 v5, v5, v10
	v_bfe_i32 v10, v5, 0, 8
	v_mov_b32_e32 v5, v4
	s_delay_alu instid0(VALU_DEP_2) | instskip(SKIP_2) | instid1(SALU_CYCLE_1)
	v_cmp_eq_u16_e32 vcc_lo, 0, v10
	v_and_b32_e32 v10, 0xffff, v10
	s_or_b32 s10, vcc_lo, s10
	s_and_not1_b32 exec_lo, exec_lo, s10
	s_cbranch_execnz .LBB10_7
; %bb.8:
	s_or_b32 exec_lo, exec_lo, s10
.LBB10_9:
	s_delay_alu instid0(SALU_CYCLE_1) | instskip(SKIP_3) | instid1(VALU_DEP_1)
	s_or_b32 exec_lo, exec_lo, s0
	v_dual_lshrrev_b32 v5, 16, v6 :: v_dual_lshrrev_b32 v10, 16, v7
	s_mov_b32 s10, 0
	s_mov_b32 s0, exec_lo
	v_bfe_i32 v5, v5, 0, 8
	s_delay_alu instid0(VALU_DEP_2) | instskip(NEXT) | instid1(VALU_DEP_2)
	v_and_b32_e32 v14, 0xff, v10
	v_sub_nc_u16 v11, 0, v5
	s_delay_alu instid0(VALU_DEP_1) | instskip(NEXT) | instid1(VALU_DEP_3)
	v_max_i16 v5, v5, v11
	v_cmpx_ne_u16_e32 0, v14
	s_cbranch_execz .LBB10_13
; %bb.10:
	v_bfe_i32 v10, v10, 0, 8
	s_delay_alu instid0(VALU_DEP_1) | instskip(NEXT) | instid1(VALU_DEP_1)
	v_sub_nc_u16 v11, 0, v10
	v_max_i16 v11, v10, v11
	v_and_b32_e32 v10, 0xff, v5
	s_delay_alu instid0(VALU_DEP_2)
	v_and_b32_e32 v11, 0xffff, v11
.LBB10_11:                              ; =>This Inner Loop Header: Depth=1
	s_delay_alu instid0(VALU_DEP_2) | instskip(NEXT) | instid1(VALU_DEP_1)
	v_bfe_i32 v15, v10, 0, 8
	v_cvt_f32_i32_e32 v17, v15
	s_delay_alu instid0(VALU_DEP_3) | instskip(NEXT) | instid1(VALU_DEP_1)
	v_mov_b32_e32 v5, v11
	v_bfe_i32 v11, v5, 0, 8
	s_delay_alu instid0(VALU_DEP_1) | instskip(SKIP_1) | instid1(VALU_DEP_2)
	v_cvt_f32_i32_e32 v14, v11
	v_xor_b32_e32 v11, v15, v11
	v_rcp_iflag_f32_e32 v16, v14
	v_nop
	s_delay_alu instid0(TRANS32_DEP_1) | instskip(NEXT) | instid1(VALU_DEP_1)
	v_mul_f32_e32 v15, v17, v16
	v_trunc_f32_e32 v15, v15
	s_delay_alu instid0(VALU_DEP_1) | instskip(SKIP_1) | instid1(VALU_DEP_2)
	v_dual_fma_f32 v16, -v15, v14, v17 :: v_dual_ashrrev_i32 v11, 30, v11
	v_cvt_i32_f32_e32 v15, v15
	v_cmp_ge_f32_e64 vcc_lo, |v16|, |v14|
	s_delay_alu instid0(VALU_DEP_3) | instskip(NEXT) | instid1(VALU_DEP_1)
	v_or_b32_e32 v11, 1, v11
	v_cndmask_b32_e32 v11, 0, v11, vcc_lo
	s_delay_alu instid0(VALU_DEP_1) | instskip(NEXT) | instid1(VALU_DEP_1)
	v_add_nc_u32_e32 v11, v15, v11
	v_mul_lo_u32 v11, v11, v5
	s_delay_alu instid0(VALU_DEP_1) | instskip(NEXT) | instid1(VALU_DEP_1)
	v_sub_nc_u32_e32 v10, v10, v11
	v_bfe_i32 v11, v10, 0, 8
	v_mov_b32_e32 v10, v5
	s_delay_alu instid0(VALU_DEP_2) | instskip(SKIP_2) | instid1(SALU_CYCLE_1)
	v_cmp_eq_u16_e32 vcc_lo, 0, v11
	v_and_b32_e32 v11, 0xffff, v11
	s_or_b32 s10, vcc_lo, s10
	s_and_not1_b32 exec_lo, exec_lo, s10
	s_cbranch_execnz .LBB10_11
; %bb.12:
	s_or_b32 exec_lo, exec_lo, s10
.LBB10_13:
	s_delay_alu instid0(SALU_CYCLE_1) | instskip(SKIP_3) | instid1(VALU_DEP_1)
	s_or_b32 exec_lo, exec_lo, s0
	v_lshrrev_b32_e32 v6, 24, v6
	s_mov_b32 s10, 0
	s_mov_b32 s0, exec_lo
	v_bfe_i32 v6, v6, 0, 8
	s_delay_alu instid0(VALU_DEP_1) | instskip(NEXT) | instid1(VALU_DEP_1)
	v_sub_nc_u16 v10, 0, v6
	v_max_i16 v6, v6, v10
	v_cmpx_lt_u32_e32 0xffffff, v7
	s_cbranch_execz .LBB10_17
; %bb.14:
	v_lshrrev_b32_e32 v7, 24, v7
	s_delay_alu instid0(VALU_DEP_1) | instskip(NEXT) | instid1(VALU_DEP_1)
	v_bfe_i32 v7, v7, 0, 8
	v_sub_nc_u16 v10, 0, v7
	s_delay_alu instid0(VALU_DEP_1) | instskip(SKIP_1) | instid1(VALU_DEP_2)
	v_max_i16 v10, v7, v10
	v_and_b32_e32 v7, 0xff, v6
	v_and_b32_e32 v10, 0xffff, v10
.LBB10_15:                              ; =>This Inner Loop Header: Depth=1
	s_delay_alu instid0(VALU_DEP_2) | instskip(NEXT) | instid1(VALU_DEP_1)
	v_bfe_i32 v14, v7, 0, 8
	v_cvt_f32_i32_e32 v16, v14
	s_delay_alu instid0(VALU_DEP_3) | instskip(NEXT) | instid1(VALU_DEP_1)
	v_mov_b32_e32 v6, v10
	v_bfe_i32 v10, v6, 0, 8
	s_delay_alu instid0(VALU_DEP_1) | instskip(SKIP_1) | instid1(VALU_DEP_2)
	v_cvt_f32_i32_e32 v11, v10
	v_xor_b32_e32 v10, v14, v10
	v_rcp_iflag_f32_e32 v15, v11
	v_nop
	s_delay_alu instid0(TRANS32_DEP_1) | instskip(NEXT) | instid1(VALU_DEP_1)
	v_mul_f32_e32 v14, v16, v15
	v_trunc_f32_e32 v14, v14
	s_delay_alu instid0(VALU_DEP_1) | instskip(SKIP_1) | instid1(VALU_DEP_2)
	v_dual_fma_f32 v15, -v14, v11, v16 :: v_dual_ashrrev_i32 v10, 30, v10
	v_cvt_i32_f32_e32 v14, v14
	v_cmp_ge_f32_e64 vcc_lo, |v15|, |v11|
	s_delay_alu instid0(VALU_DEP_3) | instskip(NEXT) | instid1(VALU_DEP_1)
	v_or_b32_e32 v10, 1, v10
	v_cndmask_b32_e32 v10, 0, v10, vcc_lo
	s_delay_alu instid0(VALU_DEP_1) | instskip(NEXT) | instid1(VALU_DEP_1)
	v_add_nc_u32_e32 v10, v14, v10
	v_mul_lo_u32 v10, v10, v6
	s_delay_alu instid0(VALU_DEP_1) | instskip(NEXT) | instid1(VALU_DEP_1)
	v_sub_nc_u32_e32 v7, v7, v10
	v_bfe_i32 v10, v7, 0, 8
	v_mov_b32_e32 v7, v6
	s_delay_alu instid0(VALU_DEP_2) | instskip(SKIP_2) | instid1(SALU_CYCLE_1)
	v_cmp_eq_u16_e32 vcc_lo, 0, v10
	v_and_b32_e32 v10, 0xffff, v10
	s_or_b32 s10, vcc_lo, s10
	s_and_not1_b32 exec_lo, exec_lo, s10
	s_cbranch_execnz .LBB10_15
; %bb.16:
	s_or_b32 exec_lo, exec_lo, s10
.LBB10_17:
	s_delay_alu instid0(SALU_CYCLE_1)
	s_or_b32 exec_lo, exec_lo, s0
	s_wait_loadcnt 0x2
	v_bfe_i32 v7, v12, 0, 8
	v_and_b32_e32 v11, 0xff, v13
	s_mov_b32 s10, 0
	s_mov_b32 s0, exec_lo
	s_delay_alu instid0(VALU_DEP_2) | instskip(NEXT) | instid1(VALU_DEP_1)
	v_sub_nc_u16 v10, 0, v7
	v_max_i16 v7, v7, v10
	v_cmpx_ne_u16_e32 0, v11
	s_cbranch_execz .LBB10_21
; %bb.18:
	v_bfe_i32 v10, v13, 0, 8
	s_delay_alu instid0(VALU_DEP_1) | instskip(NEXT) | instid1(VALU_DEP_1)
	v_sub_nc_u16 v11, 0, v10
	v_max_i16 v11, v10, v11
	v_and_b32_e32 v10, 0xff, v7
	s_delay_alu instid0(VALU_DEP_2)
	v_and_b32_e32 v11, 0xffff, v11
.LBB10_19:                              ; =>This Inner Loop Header: Depth=1
	s_delay_alu instid0(VALU_DEP_2) | instskip(NEXT) | instid1(VALU_DEP_1)
	v_bfe_i32 v15, v10, 0, 8
	v_cvt_f32_i32_e32 v17, v15
	s_delay_alu instid0(VALU_DEP_3) | instskip(NEXT) | instid1(VALU_DEP_1)
	v_mov_b32_e32 v7, v11
	v_bfe_i32 v11, v7, 0, 8
	s_delay_alu instid0(VALU_DEP_1) | instskip(SKIP_1) | instid1(VALU_DEP_2)
	v_cvt_f32_i32_e32 v14, v11
	v_xor_b32_e32 v11, v15, v11
	v_rcp_iflag_f32_e32 v16, v14
	v_nop
	s_delay_alu instid0(TRANS32_DEP_1) | instskip(NEXT) | instid1(VALU_DEP_1)
	v_mul_f32_e32 v15, v17, v16
	v_trunc_f32_e32 v15, v15
	s_delay_alu instid0(VALU_DEP_1) | instskip(SKIP_1) | instid1(VALU_DEP_2)
	v_dual_fma_f32 v16, -v15, v14, v17 :: v_dual_ashrrev_i32 v11, 30, v11
	v_cvt_i32_f32_e32 v15, v15
	v_cmp_ge_f32_e64 vcc_lo, |v16|, |v14|
	s_delay_alu instid0(VALU_DEP_3) | instskip(NEXT) | instid1(VALU_DEP_1)
	v_or_b32_e32 v11, 1, v11
	v_cndmask_b32_e32 v11, 0, v11, vcc_lo
	s_delay_alu instid0(VALU_DEP_1) | instskip(NEXT) | instid1(VALU_DEP_1)
	v_add_nc_u32_e32 v11, v15, v11
	v_mul_lo_u32 v11, v11, v7
	s_delay_alu instid0(VALU_DEP_1) | instskip(NEXT) | instid1(VALU_DEP_1)
	v_sub_nc_u32_e32 v10, v10, v11
	v_bfe_i32 v11, v10, 0, 8
	v_mov_b32_e32 v10, v7
	s_delay_alu instid0(VALU_DEP_2) | instskip(SKIP_2) | instid1(SALU_CYCLE_1)
	v_cmp_eq_u16_e32 vcc_lo, 0, v11
	v_and_b32_e32 v11, 0xffff, v11
	s_or_b32 s10, vcc_lo, s10
	s_and_not1_b32 exec_lo, exec_lo, s10
	s_cbranch_execnz .LBB10_19
; %bb.20:
	s_or_b32 exec_lo, exec_lo, s10
.LBB10_21:
	s_delay_alu instid0(SALU_CYCLE_1) | instskip(SKIP_3) | instid1(VALU_DEP_1)
	s_or_b32 exec_lo, exec_lo, s0
	v_dual_lshrrev_b32 v10, 8, v12 :: v_dual_lshrrev_b32 v11, 8, v13
	s_mov_b32 s10, 0
	s_mov_b32 s0, exec_lo
	v_bfe_i32 v10, v10, 0, 8
	s_delay_alu instid0(VALU_DEP_2) | instskip(NEXT) | instid1(VALU_DEP_2)
	v_and_b32_e32 v11, 0xff, v11
	v_sub_nc_u16 v14, 0, v10
	s_delay_alu instid0(VALU_DEP_1) | instskip(NEXT) | instid1(VALU_DEP_3)
	v_max_i16 v10, v10, v14
	v_cmpx_ne_u16_e32 0, v11
	s_cbranch_execz .LBB10_25
; %bb.22:
	v_ashrrev_i16 v11, 8, v13
	s_delay_alu instid0(VALU_DEP_1) | instskip(NEXT) | instid1(VALU_DEP_1)
	v_sub_nc_u16 v14, 0, v11
	v_max_i16 v14, v11, v14
	v_and_b32_e32 v11, 0xff, v10
	s_delay_alu instid0(VALU_DEP_2)
	v_and_b32_e32 v14, 0xffff, v14
.LBB10_23:                              ; =>This Inner Loop Header: Depth=1
	s_delay_alu instid0(VALU_DEP_2) | instskip(NEXT) | instid1(VALU_DEP_2)
	v_bfe_i32 v16, v11, 0, 8
	v_mov_b32_e32 v10, v14
	s_delay_alu instid0(VALU_DEP_2) | instskip(NEXT) | instid1(VALU_DEP_2)
	v_cvt_f32_i32_e32 v18, v16
	v_bfe_i32 v14, v10, 0, 8
	s_delay_alu instid0(VALU_DEP_1) | instskip(SKIP_1) | instid1(VALU_DEP_2)
	v_cvt_f32_i32_e32 v15, v14
	v_xor_b32_e32 v14, v16, v14
	v_rcp_iflag_f32_e32 v17, v15
	v_nop
	s_delay_alu instid0(TRANS32_DEP_1) | instskip(NEXT) | instid1(VALU_DEP_1)
	v_dual_ashrrev_i32 v14, 30, v14 :: v_dual_mul_f32 v16, v18, v17
	v_trunc_f32_e32 v16, v16
	s_delay_alu instid0(VALU_DEP_1) | instskip(SKIP_1) | instid1(VALU_DEP_2)
	v_dual_fma_f32 v17, -v16, v15, v18 :: v_dual_bitop2_b32 v14, 1, v14 bitop3:0x54
	v_cvt_i32_f32_e32 v16, v16
	v_cmp_ge_f32_e64 vcc_lo, |v17|, |v15|
	s_delay_alu instid0(VALU_DEP_3) | instskip(NEXT) | instid1(VALU_DEP_1)
	v_cndmask_b32_e32 v14, 0, v14, vcc_lo
	v_add_nc_u32_e32 v14, v16, v14
	s_delay_alu instid0(VALU_DEP_1) | instskip(NEXT) | instid1(VALU_DEP_1)
	v_mul_lo_u32 v14, v14, v10
	v_sub_nc_u32_e32 v11, v11, v14
	s_delay_alu instid0(VALU_DEP_1) | instskip(SKIP_1) | instid1(VALU_DEP_2)
	v_bfe_i32 v14, v11, 0, 8
	v_mov_b32_e32 v11, v10
	v_cmp_eq_u16_e32 vcc_lo, 0, v14
	v_and_b32_e32 v14, 0xffff, v14
	s_or_b32 s10, vcc_lo, s10
	s_delay_alu instid0(SALU_CYCLE_1)
	s_and_not1_b32 exec_lo, exec_lo, s10
	s_cbranch_execnz .LBB10_23
; %bb.24:
	s_or_b32 exec_lo, exec_lo, s10
.LBB10_25:
	s_delay_alu instid0(SALU_CYCLE_1) | instskip(SKIP_3) | instid1(VALU_DEP_1)
	s_or_b32 exec_lo, exec_lo, s0
	v_dual_lshrrev_b32 v11, 16, v12 :: v_dual_lshrrev_b32 v14, 16, v13
	s_mov_b32 s10, 0
	s_mov_b32 s0, exec_lo
	v_bfe_i32 v11, v11, 0, 8
	s_delay_alu instid0(VALU_DEP_2) | instskip(NEXT) | instid1(VALU_DEP_2)
	v_and_b32_e32 v16, 0xff, v14
	v_sub_nc_u16 v15, 0, v11
	s_delay_alu instid0(VALU_DEP_1) | instskip(NEXT) | instid1(VALU_DEP_3)
	v_max_i16 v11, v11, v15
	v_cmpx_ne_u16_e32 0, v16
	s_cbranch_execz .LBB10_29
; %bb.26:
	v_bfe_i32 v14, v14, 0, 8
	s_delay_alu instid0(VALU_DEP_1) | instskip(NEXT) | instid1(VALU_DEP_1)
	v_sub_nc_u16 v15, 0, v14
	v_max_i16 v15, v14, v15
	v_and_b32_e32 v14, 0xff, v11
	s_delay_alu instid0(VALU_DEP_2)
	v_and_b32_e32 v15, 0xffff, v15
.LBB10_27:                              ; =>This Inner Loop Header: Depth=1
	s_delay_alu instid0(VALU_DEP_2) | instskip(NEXT) | instid1(VALU_DEP_2)
	v_bfe_i32 v17, v14, 0, 8
	v_mov_b32_e32 v11, v15
	s_delay_alu instid0(VALU_DEP_2) | instskip(NEXT) | instid1(VALU_DEP_2)
	v_cvt_f32_i32_e32 v19, v17
	v_bfe_i32 v15, v11, 0, 8
	s_delay_alu instid0(VALU_DEP_1) | instskip(SKIP_1) | instid1(VALU_DEP_2)
	v_cvt_f32_i32_e32 v16, v15
	v_xor_b32_e32 v15, v17, v15
	v_rcp_iflag_f32_e32 v18, v16
	v_nop
	s_delay_alu instid0(TRANS32_DEP_1) | instskip(NEXT) | instid1(VALU_DEP_1)
	v_dual_ashrrev_i32 v15, 30, v15 :: v_dual_mul_f32 v17, v19, v18
	v_trunc_f32_e32 v17, v17
	s_delay_alu instid0(VALU_DEP_1) | instskip(SKIP_1) | instid1(VALU_DEP_2)
	v_dual_fma_f32 v18, -v17, v16, v19 :: v_dual_bitop2_b32 v15, 1, v15 bitop3:0x54
	v_cvt_i32_f32_e32 v17, v17
	v_cmp_ge_f32_e64 vcc_lo, |v18|, |v16|
	s_delay_alu instid0(VALU_DEP_3) | instskip(NEXT) | instid1(VALU_DEP_1)
	v_cndmask_b32_e32 v15, 0, v15, vcc_lo
	v_add_nc_u32_e32 v15, v17, v15
	s_delay_alu instid0(VALU_DEP_1) | instskip(NEXT) | instid1(VALU_DEP_1)
	v_mul_lo_u32 v15, v15, v11
	v_sub_nc_u32_e32 v14, v14, v15
	s_delay_alu instid0(VALU_DEP_1) | instskip(SKIP_1) | instid1(VALU_DEP_2)
	v_bfe_i32 v15, v14, 0, 8
	v_mov_b32_e32 v14, v11
	v_cmp_eq_u16_e32 vcc_lo, 0, v15
	v_and_b32_e32 v15, 0xffff, v15
	s_or_b32 s10, vcc_lo, s10
	s_delay_alu instid0(SALU_CYCLE_1)
	s_and_not1_b32 exec_lo, exec_lo, s10
	s_cbranch_execnz .LBB10_27
; %bb.28:
	s_or_b32 exec_lo, exec_lo, s10
.LBB10_29:
	s_delay_alu instid0(SALU_CYCLE_1) | instskip(SKIP_3) | instid1(VALU_DEP_1)
	s_or_b32 exec_lo, exec_lo, s0
	v_lshrrev_b32_e32 v12, 24, v12
	s_mov_b32 s10, 0
	s_mov_b32 s0, exec_lo
	v_bfe_i32 v12, v12, 0, 8
	s_delay_alu instid0(VALU_DEP_1) | instskip(NEXT) | instid1(VALU_DEP_1)
	v_sub_nc_u16 v14, 0, v12
	v_max_i16 v12, v12, v14
	v_cmpx_lt_u32_e32 0xffffff, v13
	s_cbranch_execz .LBB10_33
; %bb.30:
	v_lshrrev_b32_e32 v13, 24, v13
	s_delay_alu instid0(VALU_DEP_1) | instskip(NEXT) | instid1(VALU_DEP_1)
	v_bfe_i32 v13, v13, 0, 8
	v_sub_nc_u16 v14, 0, v13
	s_delay_alu instid0(VALU_DEP_1) | instskip(SKIP_1) | instid1(VALU_DEP_2)
	v_max_i16 v14, v13, v14
	v_and_b32_e32 v13, 0xff, v12
	v_and_b32_e32 v14, 0xffff, v14
.LBB10_31:                              ; =>This Inner Loop Header: Depth=1
	s_delay_alu instid0(VALU_DEP_2) | instskip(NEXT) | instid1(VALU_DEP_2)
	v_bfe_i32 v16, v13, 0, 8
	v_mov_b32_e32 v12, v14
	s_delay_alu instid0(VALU_DEP_2) | instskip(NEXT) | instid1(VALU_DEP_2)
	v_cvt_f32_i32_e32 v18, v16
	v_bfe_i32 v14, v12, 0, 8
	s_delay_alu instid0(VALU_DEP_1) | instskip(SKIP_1) | instid1(VALU_DEP_2)
	v_cvt_f32_i32_e32 v15, v14
	v_xor_b32_e32 v14, v16, v14
	v_rcp_iflag_f32_e32 v17, v15
	v_nop
	s_delay_alu instid0(TRANS32_DEP_1) | instskip(NEXT) | instid1(VALU_DEP_1)
	v_dual_ashrrev_i32 v14, 30, v14 :: v_dual_mul_f32 v16, v18, v17
	v_trunc_f32_e32 v16, v16
	s_delay_alu instid0(VALU_DEP_1) | instskip(SKIP_1) | instid1(VALU_DEP_2)
	v_dual_fma_f32 v17, -v16, v15, v18 :: v_dual_bitop2_b32 v14, 1, v14 bitop3:0x54
	v_cvt_i32_f32_e32 v16, v16
	v_cmp_ge_f32_e64 vcc_lo, |v17|, |v15|
	s_delay_alu instid0(VALU_DEP_3) | instskip(NEXT) | instid1(VALU_DEP_1)
	v_cndmask_b32_e32 v14, 0, v14, vcc_lo
	v_add_nc_u32_e32 v14, v16, v14
	s_delay_alu instid0(VALU_DEP_1) | instskip(NEXT) | instid1(VALU_DEP_1)
	v_mul_lo_u32 v14, v14, v12
	v_sub_nc_u32_e32 v13, v13, v14
	s_delay_alu instid0(VALU_DEP_1) | instskip(SKIP_1) | instid1(VALU_DEP_2)
	v_bfe_i32 v14, v13, 0, 8
	v_mov_b32_e32 v13, v12
	v_cmp_eq_u16_e32 vcc_lo, 0, v14
	v_and_b32_e32 v14, 0xffff, v14
	s_or_b32 s10, vcc_lo, s10
	s_delay_alu instid0(SALU_CYCLE_1)
	s_and_not1_b32 exec_lo, exec_lo, s10
	s_cbranch_execnz .LBB10_31
; %bb.32:
	s_or_b32 exec_lo, exec_lo, s10
.LBB10_33:
	s_delay_alu instid0(SALU_CYCLE_1)
	s_or_b32 exec_lo, exec_lo, s0
	s_wait_loadcnt 0x1
	v_bfe_i32 v13, v9, 0, 8
	v_and_b32_e32 v15, 0xff, v8
	s_mov_b32 s10, 0
	s_mov_b32 s0, exec_lo
	s_delay_alu instid0(VALU_DEP_2) | instskip(NEXT) | instid1(VALU_DEP_1)
	v_sub_nc_u16 v14, 0, v13
	v_max_i16 v13, v13, v14
	v_cmpx_ne_u16_e32 0, v15
	s_cbranch_execz .LBB10_37
; %bb.34:
	v_bfe_i32 v14, v8, 0, 8
	s_delay_alu instid0(VALU_DEP_1) | instskip(NEXT) | instid1(VALU_DEP_1)
	v_sub_nc_u16 v15, 0, v14
	v_max_i16 v15, v14, v15
	v_and_b32_e32 v14, 0xff, v13
	s_delay_alu instid0(VALU_DEP_2)
	v_and_b32_e32 v15, 0xffff, v15
.LBB10_35:                              ; =>This Inner Loop Header: Depth=1
	s_delay_alu instid0(VALU_DEP_2) | instskip(NEXT) | instid1(VALU_DEP_2)
	v_bfe_i32 v17, v14, 0, 8
	v_mov_b32_e32 v13, v15
	s_delay_alu instid0(VALU_DEP_2) | instskip(NEXT) | instid1(VALU_DEP_2)
	v_cvt_f32_i32_e32 v19, v17
	v_bfe_i32 v15, v13, 0, 8
	s_delay_alu instid0(VALU_DEP_1) | instskip(SKIP_1) | instid1(VALU_DEP_2)
	v_cvt_f32_i32_e32 v16, v15
	v_xor_b32_e32 v15, v17, v15
	v_rcp_iflag_f32_e32 v18, v16
	v_nop
	s_delay_alu instid0(TRANS32_DEP_1) | instskip(NEXT) | instid1(VALU_DEP_1)
	v_dual_ashrrev_i32 v15, 30, v15 :: v_dual_mul_f32 v17, v19, v18
	v_trunc_f32_e32 v17, v17
	s_delay_alu instid0(VALU_DEP_1) | instskip(SKIP_1) | instid1(VALU_DEP_2)
	v_dual_fma_f32 v18, -v17, v16, v19 :: v_dual_bitop2_b32 v15, 1, v15 bitop3:0x54
	v_cvt_i32_f32_e32 v17, v17
	v_cmp_ge_f32_e64 vcc_lo, |v18|, |v16|
	s_delay_alu instid0(VALU_DEP_3) | instskip(NEXT) | instid1(VALU_DEP_1)
	v_cndmask_b32_e32 v15, 0, v15, vcc_lo
	v_add_nc_u32_e32 v15, v17, v15
	s_delay_alu instid0(VALU_DEP_1) | instskip(NEXT) | instid1(VALU_DEP_1)
	v_mul_lo_u32 v15, v15, v13
	v_sub_nc_u32_e32 v14, v14, v15
	s_delay_alu instid0(VALU_DEP_1) | instskip(SKIP_1) | instid1(VALU_DEP_2)
	v_bfe_i32 v15, v14, 0, 8
	v_mov_b32_e32 v14, v13
	v_cmp_eq_u16_e32 vcc_lo, 0, v15
	v_and_b32_e32 v15, 0xffff, v15
	s_or_b32 s10, vcc_lo, s10
	s_delay_alu instid0(SALU_CYCLE_1)
	s_and_not1_b32 exec_lo, exec_lo, s10
	s_cbranch_execnz .LBB10_35
; %bb.36:
	s_or_b32 exec_lo, exec_lo, s10
.LBB10_37:
	s_delay_alu instid0(SALU_CYCLE_1) | instskip(SKIP_3) | instid1(VALU_DEP_1)
	s_or_b32 exec_lo, exec_lo, s0
	v_dual_lshrrev_b32 v14, 8, v9 :: v_dual_lshrrev_b32 v15, 8, v8
	s_mov_b32 s10, 0
	s_mov_b32 s0, exec_lo
	v_bfe_i32 v14, v14, 0, 8
	s_delay_alu instid0(VALU_DEP_2) | instskip(NEXT) | instid1(VALU_DEP_2)
	v_and_b32_e32 v15, 0xff, v15
	v_sub_nc_u16 v16, 0, v14
	s_delay_alu instid0(VALU_DEP_1) | instskip(NEXT) | instid1(VALU_DEP_3)
	v_max_i16 v14, v14, v16
	v_cmpx_ne_u16_e32 0, v15
	s_cbranch_execz .LBB10_41
; %bb.38:
	v_ashrrev_i16 v15, 8, v8
	s_delay_alu instid0(VALU_DEP_1) | instskip(NEXT) | instid1(VALU_DEP_1)
	v_sub_nc_u16 v16, 0, v15
	v_max_i16 v16, v15, v16
	v_and_b32_e32 v15, 0xff, v14
	s_delay_alu instid0(VALU_DEP_2)
	v_and_b32_e32 v16, 0xffff, v16
.LBB10_39:                              ; =>This Inner Loop Header: Depth=1
	s_delay_alu instid0(VALU_DEP_2) | instskip(NEXT) | instid1(VALU_DEP_2)
	v_bfe_i32 v18, v15, 0, 8
	v_mov_b32_e32 v14, v16
	s_delay_alu instid0(VALU_DEP_2) | instskip(NEXT) | instid1(VALU_DEP_2)
	v_cvt_f32_i32_e32 v20, v18
	v_bfe_i32 v16, v14, 0, 8
	s_delay_alu instid0(VALU_DEP_1) | instskip(SKIP_1) | instid1(VALU_DEP_2)
	v_cvt_f32_i32_e32 v17, v16
	v_xor_b32_e32 v16, v18, v16
	v_rcp_iflag_f32_e32 v19, v17
	v_nop
	s_delay_alu instid0(TRANS32_DEP_1) | instskip(NEXT) | instid1(VALU_DEP_1)
	v_dual_ashrrev_i32 v16, 30, v16 :: v_dual_mul_f32 v18, v20, v19
	v_trunc_f32_e32 v18, v18
	s_delay_alu instid0(VALU_DEP_1) | instskip(SKIP_1) | instid1(VALU_DEP_2)
	v_dual_fma_f32 v19, -v18, v17, v20 :: v_dual_bitop2_b32 v16, 1, v16 bitop3:0x54
	v_cvt_i32_f32_e32 v18, v18
	v_cmp_ge_f32_e64 vcc_lo, |v19|, |v17|
	s_delay_alu instid0(VALU_DEP_3) | instskip(NEXT) | instid1(VALU_DEP_1)
	v_cndmask_b32_e32 v16, 0, v16, vcc_lo
	v_add_nc_u32_e32 v16, v18, v16
	s_delay_alu instid0(VALU_DEP_1) | instskip(NEXT) | instid1(VALU_DEP_1)
	v_mul_lo_u32 v16, v16, v14
	v_sub_nc_u32_e32 v15, v15, v16
	s_delay_alu instid0(VALU_DEP_1) | instskip(SKIP_1) | instid1(VALU_DEP_2)
	v_bfe_i32 v16, v15, 0, 8
	v_mov_b32_e32 v15, v14
	v_cmp_eq_u16_e32 vcc_lo, 0, v16
	v_and_b32_e32 v16, 0xffff, v16
	s_or_b32 s10, vcc_lo, s10
	s_delay_alu instid0(SALU_CYCLE_1)
	s_and_not1_b32 exec_lo, exec_lo, s10
	s_cbranch_execnz .LBB10_39
; %bb.40:
	s_or_b32 exec_lo, exec_lo, s10
.LBB10_41:
	s_delay_alu instid0(SALU_CYCLE_1) | instskip(SKIP_3) | instid1(VALU_DEP_1)
	s_or_b32 exec_lo, exec_lo, s0
	v_dual_lshrrev_b32 v15, 16, v9 :: v_dual_lshrrev_b32 v16, 16, v8
	s_mov_b32 s10, 0
	s_mov_b32 s0, exec_lo
	v_bfe_i32 v15, v15, 0, 8
	s_delay_alu instid0(VALU_DEP_2) | instskip(NEXT) | instid1(VALU_DEP_2)
	v_and_b32_e32 v18, 0xff, v16
	v_sub_nc_u16 v17, 0, v15
	s_delay_alu instid0(VALU_DEP_1) | instskip(NEXT) | instid1(VALU_DEP_3)
	v_max_i16 v15, v15, v17
	v_cmpx_ne_u16_e32 0, v18
	s_cbranch_execz .LBB10_45
; %bb.42:
	v_bfe_i32 v16, v16, 0, 8
	s_delay_alu instid0(VALU_DEP_1) | instskip(NEXT) | instid1(VALU_DEP_1)
	v_sub_nc_u16 v17, 0, v16
	v_max_i16 v17, v16, v17
	v_and_b32_e32 v16, 0xff, v15
	s_delay_alu instid0(VALU_DEP_2)
	v_and_b32_e32 v17, 0xffff, v17
.LBB10_43:                              ; =>This Inner Loop Header: Depth=1
	s_delay_alu instid0(VALU_DEP_2) | instskip(NEXT) | instid1(VALU_DEP_2)
	v_bfe_i32 v19, v16, 0, 8
	v_mov_b32_e32 v15, v17
	s_delay_alu instid0(VALU_DEP_2) | instskip(NEXT) | instid1(VALU_DEP_2)
	v_cvt_f32_i32_e32 v21, v19
	v_bfe_i32 v17, v15, 0, 8
	s_delay_alu instid0(VALU_DEP_1) | instskip(SKIP_1) | instid1(VALU_DEP_2)
	v_cvt_f32_i32_e32 v18, v17
	v_xor_b32_e32 v17, v19, v17
	v_rcp_iflag_f32_e32 v20, v18
	v_nop
	s_delay_alu instid0(TRANS32_DEP_1) | instskip(NEXT) | instid1(VALU_DEP_1)
	v_dual_ashrrev_i32 v17, 30, v17 :: v_dual_mul_f32 v19, v21, v20
	v_trunc_f32_e32 v19, v19
	s_delay_alu instid0(VALU_DEP_1) | instskip(SKIP_1) | instid1(VALU_DEP_2)
	v_dual_fma_f32 v20, -v19, v18, v21 :: v_dual_bitop2_b32 v17, 1, v17 bitop3:0x54
	v_cvt_i32_f32_e32 v19, v19
	v_cmp_ge_f32_e64 vcc_lo, |v20|, |v18|
	s_delay_alu instid0(VALU_DEP_3) | instskip(NEXT) | instid1(VALU_DEP_1)
	v_cndmask_b32_e32 v17, 0, v17, vcc_lo
	v_add_nc_u32_e32 v17, v19, v17
	s_delay_alu instid0(VALU_DEP_1) | instskip(NEXT) | instid1(VALU_DEP_1)
	v_mul_lo_u32 v17, v17, v15
	v_sub_nc_u32_e32 v16, v16, v17
	s_delay_alu instid0(VALU_DEP_1) | instskip(SKIP_1) | instid1(VALU_DEP_2)
	v_bfe_i32 v17, v16, 0, 8
	v_mov_b32_e32 v16, v15
	v_cmp_eq_u16_e32 vcc_lo, 0, v17
	v_and_b32_e32 v17, 0xffff, v17
	s_or_b32 s10, vcc_lo, s10
	s_delay_alu instid0(SALU_CYCLE_1)
	s_and_not1_b32 exec_lo, exec_lo, s10
	s_cbranch_execnz .LBB10_43
; %bb.44:
	s_or_b32 exec_lo, exec_lo, s10
.LBB10_45:
	s_delay_alu instid0(SALU_CYCLE_1) | instskip(SKIP_3) | instid1(VALU_DEP_1)
	s_or_b32 exec_lo, exec_lo, s0
	v_lshrrev_b32_e32 v9, 24, v9
	s_mov_b32 s10, 0
	s_mov_b32 s0, exec_lo
	v_bfe_i32 v9, v9, 0, 8
	s_delay_alu instid0(VALU_DEP_1) | instskip(NEXT) | instid1(VALU_DEP_1)
	v_sub_nc_u16 v16, 0, v9
	v_max_i16 v9, v9, v16
	v_cmpx_lt_u32_e32 0xffffff, v8
	s_cbranch_execz .LBB10_49
; %bb.46:
	v_lshrrev_b32_e32 v8, 24, v8
	s_delay_alu instid0(VALU_DEP_1) | instskip(NEXT) | instid1(VALU_DEP_1)
	v_bfe_i32 v8, v8, 0, 8
	v_sub_nc_u16 v16, 0, v8
	s_delay_alu instid0(VALU_DEP_1) | instskip(SKIP_1) | instid1(VALU_DEP_2)
	v_max_i16 v16, v8, v16
	v_and_b32_e32 v8, 0xff, v9
	v_and_b32_e32 v16, 0xffff, v16
.LBB10_47:                              ; =>This Inner Loop Header: Depth=1
	s_delay_alu instid0(VALU_DEP_2) | instskip(NEXT) | instid1(VALU_DEP_2)
	v_bfe_i32 v18, v8, 0, 8
	v_mov_b32_e32 v9, v16
	s_delay_alu instid0(VALU_DEP_2) | instskip(NEXT) | instid1(VALU_DEP_2)
	v_cvt_f32_i32_e32 v20, v18
	v_bfe_i32 v16, v9, 0, 8
	s_delay_alu instid0(VALU_DEP_1) | instskip(SKIP_1) | instid1(VALU_DEP_2)
	v_cvt_f32_i32_e32 v17, v16
	v_xor_b32_e32 v16, v18, v16
	v_rcp_iflag_f32_e32 v19, v17
	v_nop
	s_delay_alu instid0(TRANS32_DEP_1) | instskip(NEXT) | instid1(VALU_DEP_1)
	v_dual_ashrrev_i32 v16, 30, v16 :: v_dual_mul_f32 v18, v20, v19
	v_trunc_f32_e32 v18, v18
	s_delay_alu instid0(VALU_DEP_1) | instskip(SKIP_1) | instid1(VALU_DEP_2)
	v_dual_fma_f32 v19, -v18, v17, v20 :: v_dual_bitop2_b32 v16, 1, v16 bitop3:0x54
	v_cvt_i32_f32_e32 v18, v18
	v_cmp_ge_f32_e64 vcc_lo, |v19|, |v17|
	s_delay_alu instid0(VALU_DEP_3) | instskip(NEXT) | instid1(VALU_DEP_1)
	v_cndmask_b32_e32 v16, 0, v16, vcc_lo
	v_add_nc_u32_e32 v16, v18, v16
	s_delay_alu instid0(VALU_DEP_1) | instskip(NEXT) | instid1(VALU_DEP_1)
	v_mul_lo_u32 v16, v16, v9
	v_sub_nc_u32_e32 v8, v8, v16
	s_delay_alu instid0(VALU_DEP_1) | instskip(SKIP_1) | instid1(VALU_DEP_2)
	v_bfe_i32 v16, v8, 0, 8
	v_mov_b32_e32 v8, v9
	v_cmp_eq_u16_e32 vcc_lo, 0, v16
	v_and_b32_e32 v16, 0xffff, v16
	s_or_b32 s10, vcc_lo, s10
	s_delay_alu instid0(SALU_CYCLE_1)
	s_and_not1_b32 exec_lo, exec_lo, s10
	s_cbranch_execnz .LBB10_47
; %bb.48:
	s_or_b32 exec_lo, exec_lo, s10
.LBB10_49:
	s_delay_alu instid0(SALU_CYCLE_1)
	s_or_b32 exec_lo, exec_lo, s0
	s_wait_loadcnt 0x0
	v_bfe_i32 v8, v3, 0, 8
	v_and_b32_e32 v17, 0xff, v2
	s_mov_b32 s10, 0
	s_mov_b32 s0, exec_lo
	s_delay_alu instid0(VALU_DEP_2) | instskip(NEXT) | instid1(VALU_DEP_1)
	v_sub_nc_u16 v16, 0, v8
	v_max_i16 v8, v8, v16
	v_cmpx_ne_u16_e32 0, v17
	s_cbranch_execz .LBB10_53
; %bb.50:
	v_bfe_i32 v16, v2, 0, 8
	s_delay_alu instid0(VALU_DEP_1) | instskip(NEXT) | instid1(VALU_DEP_1)
	v_sub_nc_u16 v17, 0, v16
	v_max_i16 v17, v16, v17
	v_and_b32_e32 v16, 0xff, v8
	s_delay_alu instid0(VALU_DEP_2)
	v_and_b32_e32 v17, 0xffff, v17
.LBB10_51:                              ; =>This Inner Loop Header: Depth=1
	s_delay_alu instid0(VALU_DEP_2) | instskip(NEXT) | instid1(VALU_DEP_2)
	v_bfe_i32 v19, v16, 0, 8
	v_mov_b32_e32 v8, v17
	s_delay_alu instid0(VALU_DEP_2) | instskip(NEXT) | instid1(VALU_DEP_2)
	v_cvt_f32_i32_e32 v21, v19
	v_bfe_i32 v17, v8, 0, 8
	s_delay_alu instid0(VALU_DEP_1) | instskip(SKIP_1) | instid1(VALU_DEP_2)
	v_cvt_f32_i32_e32 v18, v17
	v_xor_b32_e32 v17, v19, v17
	v_rcp_iflag_f32_e32 v20, v18
	v_nop
	s_delay_alu instid0(TRANS32_DEP_1) | instskip(NEXT) | instid1(VALU_DEP_1)
	v_dual_ashrrev_i32 v17, 30, v17 :: v_dual_mul_f32 v19, v21, v20
	v_trunc_f32_e32 v19, v19
	s_delay_alu instid0(VALU_DEP_1) | instskip(SKIP_1) | instid1(VALU_DEP_2)
	v_dual_fma_f32 v20, -v19, v18, v21 :: v_dual_bitop2_b32 v17, 1, v17 bitop3:0x54
	v_cvt_i32_f32_e32 v19, v19
	v_cmp_ge_f32_e64 vcc_lo, |v20|, |v18|
	s_delay_alu instid0(VALU_DEP_3) | instskip(NEXT) | instid1(VALU_DEP_1)
	v_cndmask_b32_e32 v17, 0, v17, vcc_lo
	v_add_nc_u32_e32 v17, v19, v17
	s_delay_alu instid0(VALU_DEP_1) | instskip(NEXT) | instid1(VALU_DEP_1)
	v_mul_lo_u32 v17, v17, v8
	v_sub_nc_u32_e32 v16, v16, v17
	s_delay_alu instid0(VALU_DEP_1) | instskip(SKIP_1) | instid1(VALU_DEP_2)
	v_bfe_i32 v17, v16, 0, 8
	v_mov_b32_e32 v16, v8
	v_cmp_eq_u16_e32 vcc_lo, 0, v17
	v_and_b32_e32 v17, 0xffff, v17
	s_or_b32 s10, vcc_lo, s10
	s_delay_alu instid0(SALU_CYCLE_1)
	s_and_not1_b32 exec_lo, exec_lo, s10
	s_cbranch_execnz .LBB10_51
; %bb.52:
	s_or_b32 exec_lo, exec_lo, s10
.LBB10_53:
	s_delay_alu instid0(SALU_CYCLE_1) | instskip(SKIP_3) | instid1(VALU_DEP_1)
	s_or_b32 exec_lo, exec_lo, s0
	v_dual_lshrrev_b32 v16, 8, v3 :: v_dual_lshrrev_b32 v17, 8, v2
	s_mov_b32 s10, 0
	s_mov_b32 s0, exec_lo
	v_bfe_i32 v16, v16, 0, 8
	s_delay_alu instid0(VALU_DEP_2) | instskip(NEXT) | instid1(VALU_DEP_2)
	v_and_b32_e32 v17, 0xff, v17
	v_sub_nc_u16 v18, 0, v16
	s_delay_alu instid0(VALU_DEP_1) | instskip(NEXT) | instid1(VALU_DEP_3)
	v_max_i16 v16, v16, v18
	v_cmpx_ne_u16_e32 0, v17
	s_cbranch_execz .LBB10_57
; %bb.54:
	v_ashrrev_i16 v17, 8, v2
	s_delay_alu instid0(VALU_DEP_1) | instskip(NEXT) | instid1(VALU_DEP_1)
	v_sub_nc_u16 v18, 0, v17
	v_max_i16 v18, v17, v18
	v_and_b32_e32 v17, 0xff, v16
	s_delay_alu instid0(VALU_DEP_2)
	v_and_b32_e32 v18, 0xffff, v18
.LBB10_55:                              ; =>This Inner Loop Header: Depth=1
	s_delay_alu instid0(VALU_DEP_2) | instskip(NEXT) | instid1(VALU_DEP_2)
	v_bfe_i32 v20, v17, 0, 8
	v_mov_b32_e32 v16, v18
	s_delay_alu instid0(VALU_DEP_2) | instskip(NEXT) | instid1(VALU_DEP_2)
	v_cvt_f32_i32_e32 v22, v20
	v_bfe_i32 v18, v16, 0, 8
	s_delay_alu instid0(VALU_DEP_1) | instskip(SKIP_1) | instid1(VALU_DEP_2)
	v_cvt_f32_i32_e32 v19, v18
	v_xor_b32_e32 v18, v20, v18
	v_rcp_iflag_f32_e32 v21, v19
	v_nop
	s_delay_alu instid0(TRANS32_DEP_1) | instskip(NEXT) | instid1(VALU_DEP_1)
	v_dual_ashrrev_i32 v18, 30, v18 :: v_dual_mul_f32 v20, v22, v21
	v_trunc_f32_e32 v20, v20
	s_delay_alu instid0(VALU_DEP_1) | instskip(SKIP_1) | instid1(VALU_DEP_2)
	v_dual_fma_f32 v21, -v20, v19, v22 :: v_dual_bitop2_b32 v18, 1, v18 bitop3:0x54
	v_cvt_i32_f32_e32 v20, v20
	v_cmp_ge_f32_e64 vcc_lo, |v21|, |v19|
	s_delay_alu instid0(VALU_DEP_3) | instskip(NEXT) | instid1(VALU_DEP_1)
	v_cndmask_b32_e32 v18, 0, v18, vcc_lo
	v_add_nc_u32_e32 v18, v20, v18
	s_delay_alu instid0(VALU_DEP_1) | instskip(NEXT) | instid1(VALU_DEP_1)
	v_mul_lo_u32 v18, v18, v16
	v_sub_nc_u32_e32 v17, v17, v18
	s_delay_alu instid0(VALU_DEP_1) | instskip(SKIP_1) | instid1(VALU_DEP_2)
	v_bfe_i32 v18, v17, 0, 8
	v_mov_b32_e32 v17, v16
	v_cmp_eq_u16_e32 vcc_lo, 0, v18
	v_and_b32_e32 v18, 0xffff, v18
	s_or_b32 s10, vcc_lo, s10
	s_delay_alu instid0(SALU_CYCLE_1)
	s_and_not1_b32 exec_lo, exec_lo, s10
	s_cbranch_execnz .LBB10_55
; %bb.56:
	s_or_b32 exec_lo, exec_lo, s10
.LBB10_57:
	s_delay_alu instid0(SALU_CYCLE_1) | instskip(SKIP_3) | instid1(VALU_DEP_1)
	s_or_b32 exec_lo, exec_lo, s0
	v_dual_lshrrev_b32 v17, 16, v3 :: v_dual_lshrrev_b32 v18, 16, v2
	s_mov_b32 s10, 0
	s_mov_b32 s0, exec_lo
	v_bfe_i32 v17, v17, 0, 8
	s_delay_alu instid0(VALU_DEP_2) | instskip(NEXT) | instid1(VALU_DEP_2)
	v_and_b32_e32 v20, 0xff, v18
	v_sub_nc_u16 v19, 0, v17
	s_delay_alu instid0(VALU_DEP_1) | instskip(NEXT) | instid1(VALU_DEP_3)
	v_max_i16 v17, v17, v19
	v_cmpx_ne_u16_e32 0, v20
	s_cbranch_execz .LBB10_61
; %bb.58:
	v_bfe_i32 v18, v18, 0, 8
	s_delay_alu instid0(VALU_DEP_1) | instskip(NEXT) | instid1(VALU_DEP_1)
	v_sub_nc_u16 v19, 0, v18
	v_max_i16 v19, v18, v19
	v_and_b32_e32 v18, 0xff, v17
	s_delay_alu instid0(VALU_DEP_2)
	v_and_b32_e32 v19, 0xffff, v19
.LBB10_59:                              ; =>This Inner Loop Header: Depth=1
	s_delay_alu instid0(VALU_DEP_2) | instskip(NEXT) | instid1(VALU_DEP_2)
	v_bfe_i32 v21, v18, 0, 8
	v_mov_b32_e32 v17, v19
	s_delay_alu instid0(VALU_DEP_2) | instskip(NEXT) | instid1(VALU_DEP_2)
	v_cvt_f32_i32_e32 v23, v21
	v_bfe_i32 v19, v17, 0, 8
	s_delay_alu instid0(VALU_DEP_1) | instskip(SKIP_1) | instid1(VALU_DEP_2)
	v_cvt_f32_i32_e32 v20, v19
	v_xor_b32_e32 v19, v21, v19
	v_rcp_iflag_f32_e32 v22, v20
	v_nop
	s_delay_alu instid0(TRANS32_DEP_1) | instskip(NEXT) | instid1(VALU_DEP_1)
	v_dual_ashrrev_i32 v19, 30, v19 :: v_dual_mul_f32 v21, v23, v22
	v_trunc_f32_e32 v21, v21
	s_delay_alu instid0(VALU_DEP_1) | instskip(SKIP_1) | instid1(VALU_DEP_2)
	v_dual_fma_f32 v22, -v21, v20, v23 :: v_dual_bitop2_b32 v19, 1, v19 bitop3:0x54
	v_cvt_i32_f32_e32 v21, v21
	v_cmp_ge_f32_e64 vcc_lo, |v22|, |v20|
	s_delay_alu instid0(VALU_DEP_3) | instskip(NEXT) | instid1(VALU_DEP_1)
	v_cndmask_b32_e32 v19, 0, v19, vcc_lo
	v_add_nc_u32_e32 v19, v21, v19
	s_delay_alu instid0(VALU_DEP_1) | instskip(NEXT) | instid1(VALU_DEP_1)
	v_mul_lo_u32 v19, v19, v17
	v_sub_nc_u32_e32 v18, v18, v19
	s_delay_alu instid0(VALU_DEP_1) | instskip(SKIP_1) | instid1(VALU_DEP_2)
	v_bfe_i32 v19, v18, 0, 8
	v_mov_b32_e32 v18, v17
	v_cmp_eq_u16_e32 vcc_lo, 0, v19
	v_and_b32_e32 v19, 0xffff, v19
	s_or_b32 s10, vcc_lo, s10
	s_delay_alu instid0(SALU_CYCLE_1)
	s_and_not1_b32 exec_lo, exec_lo, s10
	s_cbranch_execnz .LBB10_59
; %bb.60:
	s_or_b32 exec_lo, exec_lo, s10
.LBB10_61:
	s_delay_alu instid0(SALU_CYCLE_1) | instskip(SKIP_3) | instid1(VALU_DEP_1)
	s_or_b32 exec_lo, exec_lo, s0
	v_lshrrev_b32_e32 v3, 24, v3
	s_mov_b32 s10, 0
	s_mov_b32 s0, exec_lo
	v_bfe_i32 v3, v3, 0, 8
	s_delay_alu instid0(VALU_DEP_1) | instskip(NEXT) | instid1(VALU_DEP_1)
	v_sub_nc_u16 v18, 0, v3
	v_max_i16 v3, v3, v18
	v_cmpx_lt_u32_e32 0xffffff, v2
	s_cbranch_execz .LBB10_65
; %bb.62:
	v_lshrrev_b32_e32 v2, 24, v2
	s_delay_alu instid0(VALU_DEP_1) | instskip(NEXT) | instid1(VALU_DEP_1)
	v_bfe_i32 v2, v2, 0, 8
	v_sub_nc_u16 v18, 0, v2
	s_delay_alu instid0(VALU_DEP_1) | instskip(SKIP_1) | instid1(VALU_DEP_2)
	v_max_i16 v18, v2, v18
	v_and_b32_e32 v2, 0xff, v3
	v_and_b32_e32 v18, 0xffff, v18
.LBB10_63:                              ; =>This Inner Loop Header: Depth=1
	s_delay_alu instid0(VALU_DEP_2) | instskip(NEXT) | instid1(VALU_DEP_2)
	v_bfe_i32 v20, v2, 0, 8
	v_mov_b32_e32 v3, v18
	s_delay_alu instid0(VALU_DEP_2) | instskip(NEXT) | instid1(VALU_DEP_2)
	v_cvt_f32_i32_e32 v22, v20
	v_bfe_i32 v18, v3, 0, 8
	s_delay_alu instid0(VALU_DEP_1) | instskip(SKIP_1) | instid1(VALU_DEP_2)
	v_cvt_f32_i32_e32 v19, v18
	v_xor_b32_e32 v18, v20, v18
	v_rcp_iflag_f32_e32 v21, v19
	v_nop
	s_delay_alu instid0(TRANS32_DEP_1) | instskip(NEXT) | instid1(VALU_DEP_1)
	v_dual_ashrrev_i32 v18, 30, v18 :: v_dual_mul_f32 v20, v22, v21
	v_trunc_f32_e32 v20, v20
	s_delay_alu instid0(VALU_DEP_1) | instskip(SKIP_1) | instid1(VALU_DEP_2)
	v_dual_fma_f32 v21, -v20, v19, v22 :: v_dual_bitop2_b32 v18, 1, v18 bitop3:0x54
	v_cvt_i32_f32_e32 v20, v20
	v_cmp_ge_f32_e64 vcc_lo, |v21|, |v19|
	s_delay_alu instid0(VALU_DEP_3) | instskip(NEXT) | instid1(VALU_DEP_1)
	v_cndmask_b32_e32 v18, 0, v18, vcc_lo
	v_add_nc_u32_e32 v18, v20, v18
	s_delay_alu instid0(VALU_DEP_1) | instskip(NEXT) | instid1(VALU_DEP_1)
	v_mul_lo_u32 v18, v18, v3
	v_sub_nc_u32_e32 v2, v2, v18
	s_delay_alu instid0(VALU_DEP_1) | instskip(SKIP_1) | instid1(VALU_DEP_2)
	v_bfe_i32 v18, v2, 0, 8
	v_mov_b32_e32 v2, v3
	v_cmp_eq_u16_e32 vcc_lo, 0, v18
	v_and_b32_e32 v18, 0xffff, v18
	s_or_b32 s10, vcc_lo, s10
	s_delay_alu instid0(SALU_CYCLE_1)
	s_and_not1_b32 exec_lo, exec_lo, s10
	s_cbranch_execnz .LBB10_63
; %bb.64:
	s_or_b32 exec_lo, exec_lo, s10
.LBB10_65:
	s_delay_alu instid0(SALU_CYCLE_1)
	s_or_b32 exec_lo, exec_lo, s0
	v_perm_b32 v1, v1, v4, 0xc0c0004
	v_perm_b32 v4, v5, v6, 0xc0c0004
	;; [unrolled: 1-line block ×8, first 2 shown]
	v_lshl_or_b32 v1, v4, 16, v1
	v_lshl_or_b32 v2, v3, 16, v2
	;; [unrolled: 1-line block ×3, first 2 shown]
	s_add_nc_u64 s[10:11], s[4:5], s[2:3]
	v_lshl_or_b32 v4, v6, 16, v8
	s_mov_b32 s0, 0
	s_clause 0x3
	global_store_b32 v0, v1, s[10:11] scale_offset
	global_store_b32 v0, v3, s[10:11] offset:1024 scale_offset
	global_store_b32 v0, v4, s[10:11] offset:2048 scale_offset
	;; [unrolled: 1-line block ×3, first 2 shown]
.LBB10_66:
	s_and_b32 vcc_lo, exec_lo, s0
	s_cbranch_vccz .LBB10_207
; %bb.67:
	v_cmp_gt_i32_e32 vcc_lo, s1, v0
	s_wait_xcnt 0x0
	v_dual_mov_b32 v2, 0 :: v_dual_bitop2_b32 v10, s2, v0 bitop3:0x54
	v_or_b32_e32 v11, 0x100, v0
	v_dual_mov_b32 v13, 0 :: v_dual_mov_b32 v12, 0
	v_dual_mov_b32 v14, 0 :: v_dual_mov_b32 v15, 0
	;; [unrolled: 1-line block ×16, first 2 shown]
	s_and_saveexec_b32 s3, vcc_lo
	s_cbranch_execz .LBB10_99
; %bb.68:
	s_clause 0x1
	global_load_u8 v40, v10, s[6:7]
	global_load_u8 v41, v10, s[8:9]
	v_or_b32_e32 v1, 0x100, v0
	v_dual_mov_b32 v39, 0 :: v_dual_mov_b32 v38, 0
	v_dual_mov_b32 v5, 0 :: v_dual_mov_b32 v37, 0
	s_delay_alu instid0(VALU_DEP_3)
	v_cmp_gt_u32_e64 s0, s1, v1
	v_dual_mov_b32 v6, 0 :: v_dual_mov_b32 v36, 0
	v_dual_mov_b32 v35, 0 :: v_dual_mov_b32 v34, 0
	;; [unrolled: 1-line block ×13, first 2 shown]
	s_wait_xcnt 0x0
	s_and_saveexec_b32 s10, s0
	s_cbranch_execz .LBB10_98
; %bb.69:
	v_dual_mov_b32 v5, 0 :: v_dual_add_nc_u32 v4, s2, v0
	v_or_b32_e32 v1, 0x200, v0
	v_dual_mov_b32 v37, 0 :: v_dual_mov_b32 v6, 0
	s_clause 0x1
	global_load_u8 v38, v4, s[6:7] offset:256
	global_load_u8 v39, v4, s[8:9] offset:256
	v_dual_mov_b32 v36, 0 :: v_dual_mov_b32 v35, 0
	v_cmp_gt_u32_e64 s0, s1, v1
	v_dual_mov_b32 v34, 0 :: v_dual_mov_b32 v33, 0
	v_dual_mov_b32 v32, 0 :: v_dual_mov_b32 v31, 0
	;; [unrolled: 1-line block ×11, first 2 shown]
	v_mov_b32_e32 v13, 0
	s_wait_xcnt 0x0
	s_and_saveexec_b32 s11, s0
	s_cbranch_execz .LBB10_97
; %bb.70:
	v_add_nc_u64_e32 v[6:7], s[6:7], v[4:5]
	v_add_nc_u64_e32 v[8:9], s[8:9], v[4:5]
	v_or_b32_e32 v3, 0x300, v0
	v_dual_mov_b32 v36, 0 :: v_dual_mov_b32 v35, 0
	v_dual_mov_b32 v34, 0 :: v_dual_mov_b32 v33, 0
	global_load_u8 v37, v[6:7], off offset:512
	global_load_u8 v1, v[8:9], off offset:512
	v_cmp_gt_u32_e64 s0, s1, v3
	v_dual_mov_b32 v32, 0 :: v_dual_mov_b32 v31, 0
	v_dual_mov_b32 v30, 0 :: v_dual_mov_b32 v29, 0
	;; [unrolled: 1-line block ×10, first 2 shown]
	v_mov_b32_e32 v13, 0
	s_wait_xcnt 0x0
	s_and_saveexec_b32 s6, s0
	s_cbranch_execz .LBB10_96
; %bb.71:
	global_load_u8 v36, v[6:7], off offset:768
	global_load_u8 v5, v[8:9], off offset:768
	v_or_b32_e32 v3, 0x400, v0
	v_dual_mov_b32 v35, 0 :: v_dual_mov_b32 v34, 0
	v_dual_mov_b32 v33, 0 :: v_dual_mov_b32 v32, 0
	s_delay_alu instid0(VALU_DEP_3)
	v_cmp_gt_u32_e64 s0, s1, v3
	v_dual_mov_b32 v31, 0 :: v_dual_mov_b32 v30, 0
	v_dual_mov_b32 v29, 0 :: v_dual_mov_b32 v28, 0
	;; [unrolled: 1-line block ×10, first 2 shown]
	s_wait_xcnt 0x0
	s_and_saveexec_b32 s7, s0
	s_cbranch_execz .LBB10_95
; %bb.72:
	global_load_u8 v34, v[6:7], off offset:1024
	global_load_u8 v35, v[8:9], off offset:1024
	v_or_b32_e32 v3, 0x500, v0
	v_dual_mov_b32 v33, 0 :: v_dual_mov_b32 v32, 0
	v_dual_mov_b32 v31, 0 :: v_dual_mov_b32 v30, 0
	s_delay_alu instid0(VALU_DEP_3)
	v_cmp_gt_u32_e64 s0, s1, v3
	v_dual_mov_b32 v29, 0 :: v_dual_mov_b32 v28, 0
	v_dual_mov_b32 v27, 0 :: v_dual_mov_b32 v26, 0
	;; [unrolled: 1-line block ×9, first 2 shown]
	s_wait_xcnt 0x0
	s_and_saveexec_b32 s8, s0
	s_cbranch_execz .LBB10_94
; %bb.73:
	global_load_u8 v32, v[6:7], off offset:1280
	global_load_u8 v33, v[8:9], off offset:1280
	v_or_b32_e32 v3, 0x600, v0
	v_dual_mov_b32 v31, 0 :: v_dual_mov_b32 v30, 0
	v_dual_mov_b32 v29, 0 :: v_dual_mov_b32 v28, 0
	s_delay_alu instid0(VALU_DEP_3)
	v_cmp_gt_u32_e64 s0, s1, v3
	v_dual_mov_b32 v27, 0 :: v_dual_mov_b32 v26, 0
	v_dual_mov_b32 v25, 0 :: v_dual_mov_b32 v24, 0
	;; [unrolled: 1-line block ×8, first 2 shown]
	s_wait_xcnt 0x0
	s_and_saveexec_b32 s9, s0
	s_cbranch_execz .LBB10_93
; %bb.74:
	global_load_u8 v30, v[6:7], off offset:1536
	global_load_u8 v31, v[8:9], off offset:1536
	v_or_b32_e32 v3, 0x700, v0
	v_dual_mov_b32 v29, 0 :: v_dual_mov_b32 v28, 0
	v_dual_mov_b32 v27, 0 :: v_dual_mov_b32 v26, 0
	;; [unrolled: 1-line block ×9, first 2 shown]
	s_mov_b32 s12, exec_lo
	s_wait_xcnt 0x0
	v_cmpx_gt_u32_e64 s1, v3
	s_cbranch_execz .LBB10_92
; %bb.75:
	global_load_u8 v28, v[6:7], off offset:1792
	global_load_u8 v29, v[8:9], off offset:1792
	v_or_b32_e32 v3, 0x800, v0
	v_dual_mov_b32 v27, 0 :: v_dual_mov_b32 v26, 0
	v_dual_mov_b32 v25, 0 :: v_dual_mov_b32 v24, 0
	;; [unrolled: 1-line block ×8, first 2 shown]
	s_mov_b32 s13, exec_lo
	s_wait_xcnt 0x0
	v_cmpx_gt_u32_e64 s1, v3
	s_cbranch_execz .LBB10_91
; %bb.76:
	global_load_u8 v26, v[6:7], off offset:2048
	global_load_u8 v27, v[8:9], off offset:2048
	v_or_b32_e32 v3, 0x900, v0
	v_dual_mov_b32 v25, 0 :: v_dual_mov_b32 v24, 0
	v_dual_mov_b32 v23, 0 :: v_dual_mov_b32 v22, 0
	;; [unrolled: 1-line block ×7, first 2 shown]
	s_mov_b32 s14, exec_lo
	s_wait_xcnt 0x0
	v_cmpx_gt_u32_e64 s1, v3
	s_cbranch_execz .LBB10_90
; %bb.77:
	global_load_u8 v24, v[6:7], off offset:2304
	global_load_u8 v25, v[8:9], off offset:2304
	v_or_b32_e32 v3, 0xa00, v0
	v_dual_mov_b32 v23, 0 :: v_dual_mov_b32 v22, 0
	v_dual_mov_b32 v21, 0 :: v_dual_mov_b32 v20, 0
	;; [unrolled: 1-line block ×6, first 2 shown]
	s_mov_b32 s15, exec_lo
	s_wait_xcnt 0x0
	v_cmpx_gt_u32_e64 s1, v3
	s_cbranch_execz .LBB10_89
; %bb.78:
	global_load_u8 v22, v[6:7], off offset:2560
	global_load_u8 v23, v[8:9], off offset:2560
	v_or_b32_e32 v3, 0xb00, v0
	v_dual_mov_b32 v21, 0 :: v_dual_mov_b32 v20, 0
	v_dual_mov_b32 v19, 0 :: v_dual_mov_b32 v18, 0
	;; [unrolled: 1-line block ×5, first 2 shown]
	s_mov_b32 s16, exec_lo
	s_wait_xcnt 0x0
	v_cmpx_gt_u32_e64 s1, v3
	s_cbranch_execz .LBB10_88
; %bb.79:
	global_load_u8 v20, v[6:7], off offset:2816
	global_load_u8 v21, v[8:9], off offset:2816
	v_or_b32_e32 v3, 0xc00, v0
	v_dual_mov_b32 v19, 0 :: v_dual_mov_b32 v18, 0
	v_dual_mov_b32 v17, 0 :: v_dual_mov_b32 v16, 0
	;; [unrolled: 1-line block ×4, first 2 shown]
	s_mov_b32 s17, exec_lo
	s_wait_xcnt 0x0
	v_cmpx_gt_u32_e64 s1, v3
	s_cbranch_execz .LBB10_87
; %bb.80:
	global_load_u8 v18, v[6:7], off offset:3072
	global_load_u8 v19, v[8:9], off offset:3072
	v_or_b32_e32 v3, 0xd00, v0
	v_dual_mov_b32 v17, 0 :: v_dual_mov_b32 v16, 0
	v_dual_mov_b32 v15, 0 :: v_dual_mov_b32 v14, 0
	;; [unrolled: 1-line block ×3, first 2 shown]
	s_mov_b32 s18, exec_lo
	s_wait_xcnt 0x0
	v_cmpx_gt_u32_e64 s1, v3
	s_cbranch_execz .LBB10_86
; %bb.81:
	global_load_u8 v16, v[6:7], off offset:3328
	global_load_u8 v17, v[8:9], off offset:3328
	v_or_b32_e32 v3, 0xe00, v0
	v_dual_mov_b32 v15, 0 :: v_dual_mov_b32 v14, 0
	v_dual_mov_b32 v12, 0 :: v_dual_mov_b32 v13, 0
	s_mov_b32 s19, exec_lo
	s_wait_xcnt 0x0
	v_cmpx_gt_u32_e64 s1, v3
	s_cbranch_execz .LBB10_85
; %bb.82:
	global_load_u8 v14, v[6:7], off offset:3584
	global_load_u8 v15, v[8:9], off offset:3584
	v_or_b32_e32 v3, 0xf00, v0
	v_dual_mov_b32 v12, 0 :: v_dual_mov_b32 v13, 0
	s_mov_b32 s20, exec_lo
	s_wait_xcnt 0x0
	s_delay_alu instid0(VALU_DEP_2)
	v_cmpx_gt_u32_e64 s1, v3
	s_cbranch_execz .LBB10_84
; %bb.83:
	global_load_i8 v3, v[8:9], off offset:3840
	global_load_u8 v13, v[6:7], off offset:3840
	s_wait_loadcnt 0x1
	v_sub_nc_u16 v4, 0, v3
	s_delay_alu instid0(VALU_DEP_1)
	v_max_i16 v12, v3, v4
.LBB10_84:
	s_wait_xcnt 0x0
	s_or_b32 exec_lo, exec_lo, s20
.LBB10_85:
	s_delay_alu instid0(SALU_CYCLE_1)
	s_or_b32 exec_lo, exec_lo, s19
.LBB10_86:
	s_delay_alu instid0(SALU_CYCLE_1)
	s_or_b32 exec_lo, exec_lo, s18
.LBB10_87:
	s_delay_alu instid0(SALU_CYCLE_1)
	s_or_b32 exec_lo, exec_lo, s17
.LBB10_88:
	s_delay_alu instid0(SALU_CYCLE_1)
	s_or_b32 exec_lo, exec_lo, s16
.LBB10_89:
	s_delay_alu instid0(SALU_CYCLE_1)
	s_or_b32 exec_lo, exec_lo, s15
.LBB10_90:
	s_delay_alu instid0(SALU_CYCLE_1)
	s_or_b32 exec_lo, exec_lo, s14
.LBB10_91:
	s_delay_alu instid0(SALU_CYCLE_1)
	s_or_b32 exec_lo, exec_lo, s13
.LBB10_92:
	s_delay_alu instid0(SALU_CYCLE_1)
	s_or_b32 exec_lo, exec_lo, s12
.LBB10_93:
	s_delay_alu instid0(SALU_CYCLE_1)
	s_or_b32 exec_lo, exec_lo, s9
.LBB10_94:
	s_delay_alu instid0(SALU_CYCLE_1)
	s_or_b32 exec_lo, exec_lo, s8
.LBB10_95:
	s_delay_alu instid0(SALU_CYCLE_1)
	s_or_b32 exec_lo, exec_lo, s7
.LBB10_96:
	s_delay_alu instid0(SALU_CYCLE_1)
	s_or_b32 exec_lo, exec_lo, s6
	s_wait_loadcnt 0x0
	v_dual_mov_b32 v6, v5 :: v_dual_mov_b32 v5, v1
.LBB10_97:
	s_or_b32 exec_lo, exec_lo, s11
.LBB10_98:
	s_delay_alu instid0(SALU_CYCLE_1)
	s_or_b32 exec_lo, exec_lo, s10
.LBB10_99:
	s_delay_alu instid0(SALU_CYCLE_1)
	s_or_b32 exec_lo, exec_lo, s3
	v_dual_mov_b32 v1, v2 :: v_dual_mov_b32 v4, v2
	v_mov_b32_e32 v3, v2
	s_and_saveexec_b32 s3, vcc_lo
	s_cbranch_execz .LBB10_105
; %bb.100:
	s_wait_loadcnt 0x0
	v_bfe_i32 v1, v41, 0, 8
	v_and_b32_e32 v3, 0xff, v40
	s_mov_b32 s6, exec_lo
	s_delay_alu instid0(VALU_DEP_2) | instskip(NEXT) | instid1(VALU_DEP_1)
	v_sub_nc_u16 v2, 0, v1
	v_max_i16 v1, v1, v2
	s_delay_alu instid0(VALU_DEP_3)
	v_cmpx_ne_u16_e32 0, v3
	s_cbranch_execz .LBB10_104
; %bb.101:
	v_bfe_i32 v2, v40, 0, 8
	s_mov_b32 s7, 0
	s_delay_alu instid0(VALU_DEP_1) | instskip(NEXT) | instid1(VALU_DEP_1)
	v_sub_nc_u16 v3, 0, v2
	v_max_i16 v3, v2, v3
	v_and_b32_e32 v2, 0xff, v1
	s_delay_alu instid0(VALU_DEP_2)
	v_and_b32_e32 v3, 0xffff, v3
.LBB10_102:                             ; =>This Inner Loop Header: Depth=1
	s_delay_alu instid0(VALU_DEP_2) | instskip(NEXT) | instid1(VALU_DEP_1)
	v_bfe_i32 v7, v2, 0, 8
	v_cvt_f32_i32_e32 v9, v7
	s_delay_alu instid0(VALU_DEP_3) | instskip(NEXT) | instid1(VALU_DEP_1)
	v_mov_b32_e32 v1, v3
	v_bfe_i32 v3, v1, 0, 8
	s_delay_alu instid0(VALU_DEP_1) | instskip(SKIP_1) | instid1(VALU_DEP_2)
	v_cvt_f32_i32_e32 v4, v3
	v_xor_b32_e32 v3, v7, v3
	v_rcp_iflag_f32_e32 v8, v4
	v_nop
	s_delay_alu instid0(TRANS32_DEP_1) | instskip(NEXT) | instid1(VALU_DEP_1)
	v_mul_f32_e32 v7, v9, v8
	v_trunc_f32_e32 v7, v7
	s_delay_alu instid0(VALU_DEP_1) | instskip(SKIP_1) | instid1(VALU_DEP_2)
	v_dual_fma_f32 v8, -v7, v4, v9 :: v_dual_ashrrev_i32 v3, 30, v3
	v_cvt_i32_f32_e32 v7, v7
	v_cmp_ge_f32_e64 s0, |v8|, |v4|
	s_delay_alu instid0(VALU_DEP_3) | instskip(NEXT) | instid1(VALU_DEP_1)
	v_or_b32_e32 v3, 1, v3
	v_cndmask_b32_e64 v3, 0, v3, s0
	s_delay_alu instid0(VALU_DEP_1) | instskip(NEXT) | instid1(VALU_DEP_1)
	v_add_nc_u32_e32 v3, v7, v3
	v_mul_lo_u32 v3, v3, v1
	s_delay_alu instid0(VALU_DEP_1) | instskip(NEXT) | instid1(VALU_DEP_1)
	v_sub_nc_u32_e32 v2, v2, v3
	v_bfe_i32 v3, v2, 0, 8
	v_mov_b32_e32 v2, v1
	s_delay_alu instid0(VALU_DEP_2) | instskip(SKIP_2) | instid1(SALU_CYCLE_1)
	v_cmp_eq_u16_e64 s0, 0, v3
	v_and_b32_e32 v3, 0xffff, v3
	s_or_b32 s7, s0, s7
	s_and_not1_b32 exec_lo, exec_lo, s7
	s_cbranch_execnz .LBB10_102
; %bb.103:
	s_or_b32 exec_lo, exec_lo, s7
.LBB10_104:
	s_delay_alu instid0(SALU_CYCLE_1) | instskip(NEXT) | instid1(VALU_DEP_2)
	s_or_b32 exec_lo, exec_lo, s6
	v_and_b32_e32 v2, 0xff, v1
	v_mov_b32_e32 v1, 0
	s_delay_alu instid0(VALU_DEP_2) | instskip(NEXT) | instid1(VALU_DEP_2)
	v_and_b32_e32 v2, 0xffff, v2
	v_dual_mov_b32 v4, v1 :: v_dual_mov_b32 v3, v1
.LBB10_105:
	s_or_b32 exec_lo, exec_lo, s3
	s_delay_alu instid0(SALU_CYCLE_1)
	s_mov_b32 s3, exec_lo
	v_cmpx_gt_i32_e64 s1, v11
	s_cbranch_execz .LBB10_111
; %bb.106:
	s_wait_loadcnt 0x0
	v_bfe_i32 v7, v39, 0, 8
	v_and_b32_e32 v9, 0xff, v38
	s_mov_b32 s7, 0
	s_mov_b32 s6, exec_lo
	s_delay_alu instid0(VALU_DEP_2) | instskip(NEXT) | instid1(VALU_DEP_1)
	v_sub_nc_u16 v8, 0, v7
	v_max_i16 v7, v7, v8
	v_cmpx_ne_u16_e32 0, v9
	s_cbranch_execz .LBB10_110
; %bb.107:
	v_bfe_i32 v8, v38, 0, 8
	s_delay_alu instid0(VALU_DEP_1) | instskip(NEXT) | instid1(VALU_DEP_1)
	v_sub_nc_u16 v9, 0, v8
	v_max_i16 v9, v8, v9
	v_and_b32_e32 v8, 0xff, v7
	s_delay_alu instid0(VALU_DEP_2)
	v_and_b32_e32 v9, 0xffff, v9
.LBB10_108:                             ; =>This Inner Loop Header: Depth=1
	s_delay_alu instid0(VALU_DEP_2) | instskip(NEXT) | instid1(VALU_DEP_2)
	v_bfe_i32 v39, v8, 0, 8
	v_mov_b32_e32 v7, v9
	s_delay_alu instid0(VALU_DEP_2) | instskip(NEXT) | instid1(VALU_DEP_2)
	v_cvt_f32_i32_e32 v41, v39
	v_bfe_i32 v9, v7, 0, 8
	s_delay_alu instid0(VALU_DEP_1) | instskip(SKIP_1) | instid1(VALU_DEP_2)
	v_cvt_f32_i32_e32 v38, v9
	v_xor_b32_e32 v9, v39, v9
	v_rcp_iflag_f32_e32 v40, v38
	v_nop
	s_delay_alu instid0(TRANS32_DEP_1) | instskip(NEXT) | instid1(VALU_DEP_1)
	v_dual_ashrrev_i32 v9, 30, v9 :: v_dual_mul_f32 v39, v41, v40
	v_trunc_f32_e32 v39, v39
	s_delay_alu instid0(VALU_DEP_1) | instskip(SKIP_1) | instid1(VALU_DEP_2)
	v_dual_fma_f32 v40, -v39, v38, v41 :: v_dual_bitop2_b32 v9, 1, v9 bitop3:0x54
	v_cvt_i32_f32_e32 v39, v39
	v_cmp_ge_f32_e64 s0, |v40|, |v38|
	s_delay_alu instid0(VALU_DEP_1) | instskip(NEXT) | instid1(VALU_DEP_1)
	v_cndmask_b32_e64 v9, 0, v9, s0
	v_add_nc_u32_e32 v9, v39, v9
	s_delay_alu instid0(VALU_DEP_1) | instskip(NEXT) | instid1(VALU_DEP_1)
	v_mul_lo_u32 v9, v9, v7
	v_sub_nc_u32_e32 v8, v8, v9
	s_delay_alu instid0(VALU_DEP_1) | instskip(SKIP_1) | instid1(VALU_DEP_2)
	v_bfe_i32 v9, v8, 0, 8
	v_mov_b32_e32 v8, v7
	v_cmp_eq_u16_e64 s0, 0, v9
	v_and_b32_e32 v9, 0xffff, v9
	s_or_b32 s7, s0, s7
	s_delay_alu instid0(SALU_CYCLE_1)
	s_and_not1_b32 exec_lo, exec_lo, s7
	s_cbranch_execnz .LBB10_108
; %bb.109:
	s_or_b32 exec_lo, exec_lo, s7
.LBB10_110:
	s_delay_alu instid0(SALU_CYCLE_1) | instskip(NEXT) | instid1(VALU_DEP_2)
	s_or_b32 exec_lo, exec_lo, s6
	v_perm_b32 v2, v2, v7, 0x7060004
.LBB10_111:
	s_or_b32 exec_lo, exec_lo, s3
	v_or_b32_e32 v7, 0x200, v0
	s_mov_b32 s3, exec_lo
	s_delay_alu instid0(VALU_DEP_1)
	v_cmpx_gt_i32_e64 s1, v7
	s_cbranch_execz .LBB10_117
; %bb.112:
	v_bfe_i32 v5, v5, 0, 8
	v_and_b32_e32 v8, 0xff, v37
	s_mov_b32 s7, 0
	s_mov_b32 s6, exec_lo
	s_delay_alu instid0(VALU_DEP_2) | instskip(NEXT) | instid1(VALU_DEP_1)
	v_sub_nc_u16 v7, 0, v5
	v_max_i16 v5, v5, v7
	v_cmpx_ne_u16_e32 0, v8
	s_cbranch_execz .LBB10_116
; %bb.113:
	v_bfe_i32 v7, v37, 0, 8
	s_delay_alu instid0(VALU_DEP_1) | instskip(NEXT) | instid1(VALU_DEP_1)
	v_sub_nc_u16 v8, 0, v7
	v_max_i16 v8, v7, v8
	v_and_b32_e32 v7, 0xff, v5
	s_delay_alu instid0(VALU_DEP_2)
	v_and_b32_e32 v8, 0xffff, v8
.LBB10_114:                             ; =>This Inner Loop Header: Depth=1
	s_delay_alu instid0(VALU_DEP_2) | instskip(NEXT) | instid1(VALU_DEP_2)
	v_bfe_i32 v37, v7, 0, 8
	v_mov_b32_e32 v5, v8
	s_wait_loadcnt 0x0
	s_delay_alu instid0(VALU_DEP_2) | instskip(NEXT) | instid1(VALU_DEP_2)
	v_cvt_f32_i32_e32 v39, v37
	v_bfe_i32 v8, v5, 0, 8
	s_delay_alu instid0(VALU_DEP_1) | instskip(SKIP_1) | instid1(VALU_DEP_2)
	v_cvt_f32_i32_e32 v9, v8
	v_xor_b32_e32 v8, v37, v8
	v_rcp_iflag_f32_e32 v38, v9
	v_nop
	s_delay_alu instid0(TRANS32_DEP_1) | instskip(NEXT) | instid1(VALU_DEP_1)
	v_dual_mul_f32 v37, v39, v38 :: v_dual_ashrrev_i32 v8, 30, v8
	v_trunc_f32_e32 v37, v37
	s_delay_alu instid0(VALU_DEP_1) | instskip(SKIP_1) | instid1(VALU_DEP_2)
	v_dual_fma_f32 v38, -v37, v9, v39 :: v_dual_bitop2_b32 v8, 1, v8 bitop3:0x54
	v_cvt_i32_f32_e32 v37, v37
	v_cmp_ge_f32_e64 s0, |v38|, |v9|
	s_delay_alu instid0(VALU_DEP_1) | instskip(NEXT) | instid1(VALU_DEP_1)
	v_cndmask_b32_e64 v8, 0, v8, s0
	v_add_nc_u32_e32 v8, v37, v8
	s_delay_alu instid0(VALU_DEP_1) | instskip(NEXT) | instid1(VALU_DEP_1)
	v_mul_lo_u32 v8, v8, v5
	v_sub_nc_u32_e32 v7, v7, v8
	s_delay_alu instid0(VALU_DEP_1) | instskip(SKIP_1) | instid1(VALU_DEP_2)
	v_bfe_i32 v8, v7, 0, 8
	v_mov_b32_e32 v7, v5
	v_cmp_eq_u16_e64 s0, 0, v8
	v_and_b32_e32 v8, 0xffff, v8
	s_or_b32 s7, s0, s7
	s_delay_alu instid0(SALU_CYCLE_1)
	s_and_not1_b32 exec_lo, exec_lo, s7
	s_cbranch_execnz .LBB10_114
; %bb.115:
	s_or_b32 exec_lo, exec_lo, s7
.LBB10_116:
	s_delay_alu instid0(SALU_CYCLE_1) | instskip(NEXT) | instid1(VALU_DEP_2)
	s_or_b32 exec_lo, exec_lo, s6
	v_perm_b32 v2, v2, v5, 0x7000504
.LBB10_117:
	s_or_b32 exec_lo, exec_lo, s3
	v_or_b32_e32 v5, 0x300, v0
	s_mov_b32 s3, exec_lo
	s_delay_alu instid0(VALU_DEP_1)
	v_cmpx_gt_i32_e64 s1, v5
	s_cbranch_execz .LBB10_123
; %bb.118:
	v_bfe_i32 v5, v6, 0, 8
	v_and_b32_e32 v7, 0xff, v36
	s_mov_b32 s7, 0
	s_mov_b32 s6, exec_lo
	s_delay_alu instid0(VALU_DEP_2) | instskip(NEXT) | instid1(VALU_DEP_1)
	v_sub_nc_u16 v6, 0, v5
	v_max_i16 v5, v5, v6
	v_cmpx_ne_u16_e32 0, v7
	s_cbranch_execz .LBB10_122
; %bb.119:
	v_bfe_i32 v6, v36, 0, 8
	s_delay_alu instid0(VALU_DEP_1) | instskip(NEXT) | instid1(VALU_DEP_1)
	v_sub_nc_u16 v7, 0, v6
	v_max_i16 v7, v6, v7
	v_and_b32_e32 v6, 0xff, v5
	s_delay_alu instid0(VALU_DEP_2)
	v_and_b32_e32 v7, 0xffff, v7
.LBB10_120:                             ; =>This Inner Loop Header: Depth=1
	s_delay_alu instid0(VALU_DEP_2) | instskip(NEXT) | instid1(VALU_DEP_2)
	v_bfe_i32 v9, v6, 0, 8
	v_mov_b32_e32 v5, v7
	s_delay_alu instid0(VALU_DEP_2) | instskip(NEXT) | instid1(VALU_DEP_2)
	v_cvt_f32_i32_e32 v37, v9
	v_bfe_i32 v7, v5, 0, 8
	s_delay_alu instid0(VALU_DEP_1) | instskip(SKIP_1) | instid1(VALU_DEP_2)
	v_cvt_f32_i32_e32 v8, v7
	v_xor_b32_e32 v7, v9, v7
	v_rcp_iflag_f32_e32 v36, v8
	v_nop
	s_delay_alu instid0(TRANS32_DEP_1) | instskip(NEXT) | instid1(VALU_DEP_1)
	v_dual_ashrrev_i32 v7, 30, v7 :: v_dual_mul_f32 v9, v37, v36
	v_trunc_f32_e32 v9, v9
	s_delay_alu instid0(VALU_DEP_1) | instskip(SKIP_1) | instid1(VALU_DEP_2)
	v_dual_fma_f32 v36, -v9, v8, v37 :: v_dual_bitop2_b32 v7, 1, v7 bitop3:0x54
	v_cvt_i32_f32_e32 v9, v9
	v_cmp_ge_f32_e64 s0, |v36|, |v8|
	s_delay_alu instid0(VALU_DEP_1) | instskip(NEXT) | instid1(VALU_DEP_1)
	v_cndmask_b32_e64 v7, 0, v7, s0
	v_add_nc_u32_e32 v7, v9, v7
	s_delay_alu instid0(VALU_DEP_1) | instskip(NEXT) | instid1(VALU_DEP_1)
	v_mul_lo_u32 v7, v7, v5
	v_sub_nc_u32_e32 v6, v6, v7
	s_delay_alu instid0(VALU_DEP_1) | instskip(SKIP_1) | instid1(VALU_DEP_2)
	v_bfe_i32 v7, v6, 0, 8
	v_mov_b32_e32 v6, v5
	v_cmp_eq_u16_e64 s0, 0, v7
	v_and_b32_e32 v7, 0xffff, v7
	s_or_b32 s7, s0, s7
	s_delay_alu instid0(SALU_CYCLE_1)
	s_and_not1_b32 exec_lo, exec_lo, s7
	s_cbranch_execnz .LBB10_120
; %bb.121:
	s_or_b32 exec_lo, exec_lo, s7
.LBB10_122:
	s_delay_alu instid0(SALU_CYCLE_1) | instskip(NEXT) | instid1(VALU_DEP_2)
	s_or_b32 exec_lo, exec_lo, s6
	v_perm_b32 v2, v2, v5, 0x60504
.LBB10_123:
	s_or_b32 exec_lo, exec_lo, s3
	v_or_b32_e32 v5, 0x400, v0
	s_mov_b32 s3, exec_lo
	s_delay_alu instid0(VALU_DEP_1)
	v_cmpx_gt_i32_e64 s1, v5
	s_cbranch_execz .LBB10_129
; %bb.124:
	v_bfe_i32 v5, v35, 0, 8
	v_and_b32_e32 v7, 0xff, v34
	s_mov_b32 s7, 0
	s_mov_b32 s6, exec_lo
	s_delay_alu instid0(VALU_DEP_2) | instskip(NEXT) | instid1(VALU_DEP_1)
	v_sub_nc_u16 v6, 0, v5
	v_max_i16 v5, v5, v6
	v_cmpx_ne_u16_e32 0, v7
	s_cbranch_execz .LBB10_128
; %bb.125:
	v_bfe_i32 v6, v34, 0, 8
	s_delay_alu instid0(VALU_DEP_1) | instskip(NEXT) | instid1(VALU_DEP_1)
	v_sub_nc_u16 v7, 0, v6
	v_max_i16 v7, v6, v7
	v_and_b32_e32 v6, 0xff, v5
	s_delay_alu instid0(VALU_DEP_2)
	v_and_b32_e32 v7, 0xffff, v7
.LBB10_126:                             ; =>This Inner Loop Header: Depth=1
	s_delay_alu instid0(VALU_DEP_2) | instskip(NEXT) | instid1(VALU_DEP_2)
	v_bfe_i32 v9, v6, 0, 8
	v_mov_b32_e32 v5, v7
	s_delay_alu instid0(VALU_DEP_2) | instskip(NEXT) | instid1(VALU_DEP_2)
	v_cvt_f32_i32_e32 v35, v9
	v_bfe_i32 v7, v5, 0, 8
	s_delay_alu instid0(VALU_DEP_1) | instskip(SKIP_1) | instid1(VALU_DEP_2)
	v_cvt_f32_i32_e32 v8, v7
	v_xor_b32_e32 v7, v9, v7
	v_rcp_iflag_f32_e32 v34, v8
	v_nop
	s_delay_alu instid0(TRANS32_DEP_1) | instskip(NEXT) | instid1(VALU_DEP_1)
	v_dual_ashrrev_i32 v7, 30, v7 :: v_dual_mul_f32 v9, v35, v34
	v_trunc_f32_e32 v9, v9
	s_delay_alu instid0(VALU_DEP_1) | instskip(SKIP_1) | instid1(VALU_DEP_2)
	v_dual_fma_f32 v34, -v9, v8, v35 :: v_dual_bitop2_b32 v7, 1, v7 bitop3:0x54
	v_cvt_i32_f32_e32 v9, v9
	v_cmp_ge_f32_e64 s0, |v34|, |v8|
	s_delay_alu instid0(VALU_DEP_1) | instskip(NEXT) | instid1(VALU_DEP_1)
	v_cndmask_b32_e64 v7, 0, v7, s0
	v_add_nc_u32_e32 v7, v9, v7
	s_delay_alu instid0(VALU_DEP_1) | instskip(NEXT) | instid1(VALU_DEP_1)
	v_mul_lo_u32 v7, v7, v5
	v_sub_nc_u32_e32 v6, v6, v7
	s_delay_alu instid0(VALU_DEP_1) | instskip(SKIP_1) | instid1(VALU_DEP_2)
	v_bfe_i32 v7, v6, 0, 8
	v_mov_b32_e32 v6, v5
	v_cmp_eq_u16_e64 s0, 0, v7
	v_and_b32_e32 v7, 0xffff, v7
	s_or_b32 s7, s0, s7
	s_delay_alu instid0(SALU_CYCLE_1)
	s_and_not1_b32 exec_lo, exec_lo, s7
	s_cbranch_execnz .LBB10_126
; %bb.127:
	s_or_b32 exec_lo, exec_lo, s7
.LBB10_128:
	s_delay_alu instid0(SALU_CYCLE_1) | instskip(NEXT) | instid1(VALU_DEP_2)
	s_or_b32 exec_lo, exec_lo, s6
	v_perm_b32 v1, v5, v1, 0x3020104
.LBB10_129:
	s_or_b32 exec_lo, exec_lo, s3
	v_or_b32_e32 v5, 0x500, v0
	s_mov_b32 s3, exec_lo
	s_delay_alu instid0(VALU_DEP_1)
	v_cmpx_gt_i32_e64 s1, v5
	s_cbranch_execz .LBB10_135
; %bb.130:
	v_bfe_i32 v5, v33, 0, 8
	v_and_b32_e32 v7, 0xff, v32
	s_mov_b32 s7, 0
	s_mov_b32 s6, exec_lo
	s_delay_alu instid0(VALU_DEP_2) | instskip(NEXT) | instid1(VALU_DEP_1)
	v_sub_nc_u16 v6, 0, v5
	v_max_i16 v5, v5, v6
	v_cmpx_ne_u16_e32 0, v7
	s_cbranch_execz .LBB10_134
; %bb.131:
	v_bfe_i32 v6, v32, 0, 8
	s_delay_alu instid0(VALU_DEP_1) | instskip(NEXT) | instid1(VALU_DEP_1)
	v_sub_nc_u16 v7, 0, v6
	v_max_i16 v7, v6, v7
	v_and_b32_e32 v6, 0xff, v5
	s_delay_alu instid0(VALU_DEP_2)
	v_and_b32_e32 v7, 0xffff, v7
.LBB10_132:                             ; =>This Inner Loop Header: Depth=1
	s_delay_alu instid0(VALU_DEP_2) | instskip(NEXT) | instid1(VALU_DEP_2)
	v_bfe_i32 v9, v6, 0, 8
	v_mov_b32_e32 v5, v7
	s_delay_alu instid0(VALU_DEP_2) | instskip(NEXT) | instid1(VALU_DEP_2)
	v_cvt_f32_i32_e32 v33, v9
	v_bfe_i32 v7, v5, 0, 8
	s_delay_alu instid0(VALU_DEP_1) | instskip(SKIP_1) | instid1(VALU_DEP_2)
	v_cvt_f32_i32_e32 v8, v7
	v_xor_b32_e32 v7, v9, v7
	v_rcp_iflag_f32_e32 v32, v8
	v_nop
	s_delay_alu instid0(TRANS32_DEP_1) | instskip(NEXT) | instid1(VALU_DEP_1)
	v_dual_ashrrev_i32 v7, 30, v7 :: v_dual_mul_f32 v9, v33, v32
	v_trunc_f32_e32 v9, v9
	s_delay_alu instid0(VALU_DEP_1) | instskip(SKIP_1) | instid1(VALU_DEP_2)
	v_dual_fma_f32 v32, -v9, v8, v33 :: v_dual_bitop2_b32 v7, 1, v7 bitop3:0x54
	v_cvt_i32_f32_e32 v9, v9
	v_cmp_ge_f32_e64 s0, |v32|, |v8|
	s_delay_alu instid0(VALU_DEP_1) | instskip(NEXT) | instid1(VALU_DEP_1)
	v_cndmask_b32_e64 v7, 0, v7, s0
	v_add_nc_u32_e32 v7, v9, v7
	s_delay_alu instid0(VALU_DEP_1) | instskip(NEXT) | instid1(VALU_DEP_1)
	v_mul_lo_u32 v7, v7, v5
	v_sub_nc_u32_e32 v6, v6, v7
	s_delay_alu instid0(VALU_DEP_1) | instskip(SKIP_1) | instid1(VALU_DEP_2)
	v_bfe_i32 v7, v6, 0, 8
	v_mov_b32_e32 v6, v5
	v_cmp_eq_u16_e64 s0, 0, v7
	v_and_b32_e32 v7, 0xffff, v7
	s_or_b32 s7, s0, s7
	s_delay_alu instid0(SALU_CYCLE_1)
	s_and_not1_b32 exec_lo, exec_lo, s7
	s_cbranch_execnz .LBB10_132
; %bb.133:
	s_or_b32 exec_lo, exec_lo, s7
.LBB10_134:
	s_delay_alu instid0(SALU_CYCLE_1) | instskip(NEXT) | instid1(VALU_DEP_2)
	s_or_b32 exec_lo, exec_lo, s6
	v_perm_b32 v1, v1, v5, 0x7060004
.LBB10_135:
	s_or_b32 exec_lo, exec_lo, s3
	v_or_b32_e32 v5, 0x600, v0
	s_mov_b32 s3, exec_lo
	s_delay_alu instid0(VALU_DEP_1)
	v_cmpx_gt_i32_e64 s1, v5
	s_cbranch_execz .LBB10_141
; %bb.136:
	v_bfe_i32 v5, v31, 0, 8
	v_and_b32_e32 v7, 0xff, v30
	s_mov_b32 s7, 0
	s_mov_b32 s6, exec_lo
	s_delay_alu instid0(VALU_DEP_2) | instskip(NEXT) | instid1(VALU_DEP_1)
	v_sub_nc_u16 v6, 0, v5
	v_max_i16 v5, v5, v6
	v_cmpx_ne_u16_e32 0, v7
	s_cbranch_execz .LBB10_140
; %bb.137:
	v_bfe_i32 v6, v30, 0, 8
	s_delay_alu instid0(VALU_DEP_1) | instskip(NEXT) | instid1(VALU_DEP_1)
	v_sub_nc_u16 v7, 0, v6
	v_max_i16 v7, v6, v7
	v_and_b32_e32 v6, 0xff, v5
	s_delay_alu instid0(VALU_DEP_2)
	v_and_b32_e32 v7, 0xffff, v7
.LBB10_138:                             ; =>This Inner Loop Header: Depth=1
	s_delay_alu instid0(VALU_DEP_2) | instskip(NEXT) | instid1(VALU_DEP_2)
	v_bfe_i32 v9, v6, 0, 8
	v_mov_b32_e32 v5, v7
	s_delay_alu instid0(VALU_DEP_2) | instskip(NEXT) | instid1(VALU_DEP_2)
	v_cvt_f32_i32_e32 v31, v9
	v_bfe_i32 v7, v5, 0, 8
	s_delay_alu instid0(VALU_DEP_1) | instskip(SKIP_1) | instid1(VALU_DEP_2)
	v_cvt_f32_i32_e32 v8, v7
	v_xor_b32_e32 v7, v9, v7
	v_rcp_iflag_f32_e32 v30, v8
	v_nop
	s_delay_alu instid0(TRANS32_DEP_1) | instskip(NEXT) | instid1(VALU_DEP_1)
	v_dual_ashrrev_i32 v7, 30, v7 :: v_dual_mul_f32 v9, v31, v30
	v_trunc_f32_e32 v9, v9
	s_delay_alu instid0(VALU_DEP_1) | instskip(SKIP_1) | instid1(VALU_DEP_2)
	v_dual_fma_f32 v30, -v9, v8, v31 :: v_dual_bitop2_b32 v7, 1, v7 bitop3:0x54
	v_cvt_i32_f32_e32 v9, v9
	v_cmp_ge_f32_e64 s0, |v30|, |v8|
	s_delay_alu instid0(VALU_DEP_1) | instskip(NEXT) | instid1(VALU_DEP_1)
	v_cndmask_b32_e64 v7, 0, v7, s0
	v_add_nc_u32_e32 v7, v9, v7
	s_delay_alu instid0(VALU_DEP_1) | instskip(NEXT) | instid1(VALU_DEP_1)
	v_mul_lo_u32 v7, v7, v5
	v_sub_nc_u32_e32 v6, v6, v7
	s_delay_alu instid0(VALU_DEP_1) | instskip(SKIP_1) | instid1(VALU_DEP_2)
	v_bfe_i32 v7, v6, 0, 8
	v_mov_b32_e32 v6, v5
	v_cmp_eq_u16_e64 s0, 0, v7
	v_and_b32_e32 v7, 0xffff, v7
	s_or_b32 s7, s0, s7
	s_delay_alu instid0(SALU_CYCLE_1)
	s_and_not1_b32 exec_lo, exec_lo, s7
	s_cbranch_execnz .LBB10_138
; %bb.139:
	s_or_b32 exec_lo, exec_lo, s7
.LBB10_140:
	s_delay_alu instid0(SALU_CYCLE_1) | instskip(NEXT) | instid1(VALU_DEP_2)
	s_or_b32 exec_lo, exec_lo, s6
	v_perm_b32 v1, v1, v5, 0x7000504
.LBB10_141:
	s_or_b32 exec_lo, exec_lo, s3
	v_or_b32_e32 v5, 0x700, v0
	s_mov_b32 s3, exec_lo
	s_delay_alu instid0(VALU_DEP_1)
	v_cmpx_gt_i32_e64 s1, v5
	s_cbranch_execz .LBB10_147
; %bb.142:
	v_bfe_i32 v5, v29, 0, 8
	v_and_b32_e32 v7, 0xff, v28
	s_mov_b32 s7, 0
	s_mov_b32 s6, exec_lo
	s_delay_alu instid0(VALU_DEP_2) | instskip(NEXT) | instid1(VALU_DEP_1)
	v_sub_nc_u16 v6, 0, v5
	v_max_i16 v5, v5, v6
	v_cmpx_ne_u16_e32 0, v7
	s_cbranch_execz .LBB10_146
; %bb.143:
	v_bfe_i32 v6, v28, 0, 8
	s_delay_alu instid0(VALU_DEP_1) | instskip(NEXT) | instid1(VALU_DEP_1)
	v_sub_nc_u16 v7, 0, v6
	v_max_i16 v7, v6, v7
	v_and_b32_e32 v6, 0xff, v5
	s_delay_alu instid0(VALU_DEP_2)
	v_and_b32_e32 v7, 0xffff, v7
.LBB10_144:                             ; =>This Inner Loop Header: Depth=1
	s_delay_alu instid0(VALU_DEP_2) | instskip(NEXT) | instid1(VALU_DEP_2)
	v_bfe_i32 v9, v6, 0, 8
	v_mov_b32_e32 v5, v7
	s_delay_alu instid0(VALU_DEP_2) | instskip(NEXT) | instid1(VALU_DEP_2)
	v_cvt_f32_i32_e32 v29, v9
	v_bfe_i32 v7, v5, 0, 8
	s_delay_alu instid0(VALU_DEP_1) | instskip(SKIP_1) | instid1(VALU_DEP_2)
	v_cvt_f32_i32_e32 v8, v7
	v_xor_b32_e32 v7, v9, v7
	v_rcp_iflag_f32_e32 v28, v8
	v_nop
	s_delay_alu instid0(TRANS32_DEP_1) | instskip(NEXT) | instid1(VALU_DEP_1)
	v_dual_ashrrev_i32 v7, 30, v7 :: v_dual_mul_f32 v9, v29, v28
	v_trunc_f32_e32 v9, v9
	s_delay_alu instid0(VALU_DEP_1) | instskip(SKIP_1) | instid1(VALU_DEP_2)
	v_dual_fma_f32 v28, -v9, v8, v29 :: v_dual_bitop2_b32 v7, 1, v7 bitop3:0x54
	v_cvt_i32_f32_e32 v9, v9
	v_cmp_ge_f32_e64 s0, |v28|, |v8|
	s_delay_alu instid0(VALU_DEP_1) | instskip(NEXT) | instid1(VALU_DEP_1)
	v_cndmask_b32_e64 v7, 0, v7, s0
	v_add_nc_u32_e32 v7, v9, v7
	s_delay_alu instid0(VALU_DEP_1) | instskip(NEXT) | instid1(VALU_DEP_1)
	v_mul_lo_u32 v7, v7, v5
	v_sub_nc_u32_e32 v6, v6, v7
	s_delay_alu instid0(VALU_DEP_1) | instskip(SKIP_1) | instid1(VALU_DEP_2)
	v_bfe_i32 v7, v6, 0, 8
	v_mov_b32_e32 v6, v5
	v_cmp_eq_u16_e64 s0, 0, v7
	v_and_b32_e32 v7, 0xffff, v7
	s_or_b32 s7, s0, s7
	s_delay_alu instid0(SALU_CYCLE_1)
	s_and_not1_b32 exec_lo, exec_lo, s7
	s_cbranch_execnz .LBB10_144
; %bb.145:
	s_or_b32 exec_lo, exec_lo, s7
.LBB10_146:
	s_delay_alu instid0(SALU_CYCLE_1) | instskip(NEXT) | instid1(VALU_DEP_2)
	s_or_b32 exec_lo, exec_lo, s6
	v_perm_b32 v1, v1, v5, 0x60504
.LBB10_147:
	s_or_b32 exec_lo, exec_lo, s3
	v_or_b32_e32 v5, 0x800, v0
	s_mov_b32 s3, exec_lo
	s_delay_alu instid0(VALU_DEP_1)
	v_cmpx_gt_i32_e64 s1, v5
	s_cbranch_execz .LBB10_153
; %bb.148:
	v_bfe_i32 v5, v27, 0, 8
	v_and_b32_e32 v7, 0xff, v26
	s_mov_b32 s7, 0
	s_mov_b32 s6, exec_lo
	s_delay_alu instid0(VALU_DEP_2) | instskip(NEXT) | instid1(VALU_DEP_1)
	v_sub_nc_u16 v6, 0, v5
	v_max_i16 v5, v5, v6
	v_cmpx_ne_u16_e32 0, v7
	s_cbranch_execz .LBB10_152
; %bb.149:
	v_bfe_i32 v6, v26, 0, 8
	s_delay_alu instid0(VALU_DEP_1) | instskip(NEXT) | instid1(VALU_DEP_1)
	v_sub_nc_u16 v7, 0, v6
	v_max_i16 v7, v6, v7
	v_and_b32_e32 v6, 0xff, v5
	s_delay_alu instid0(VALU_DEP_2)
	v_and_b32_e32 v7, 0xffff, v7
.LBB10_150:                             ; =>This Inner Loop Header: Depth=1
	s_delay_alu instid0(VALU_DEP_2) | instskip(NEXT) | instid1(VALU_DEP_2)
	v_bfe_i32 v9, v6, 0, 8
	v_mov_b32_e32 v5, v7
	s_delay_alu instid0(VALU_DEP_2) | instskip(NEXT) | instid1(VALU_DEP_2)
	v_cvt_f32_i32_e32 v27, v9
	v_bfe_i32 v7, v5, 0, 8
	s_delay_alu instid0(VALU_DEP_1) | instskip(SKIP_1) | instid1(VALU_DEP_2)
	v_cvt_f32_i32_e32 v8, v7
	v_xor_b32_e32 v7, v9, v7
	v_rcp_iflag_f32_e32 v26, v8
	v_nop
	s_delay_alu instid0(TRANS32_DEP_1) | instskip(NEXT) | instid1(VALU_DEP_1)
	v_dual_ashrrev_i32 v7, 30, v7 :: v_dual_mul_f32 v9, v27, v26
	v_trunc_f32_e32 v9, v9
	s_delay_alu instid0(VALU_DEP_1) | instskip(SKIP_1) | instid1(VALU_DEP_2)
	v_dual_fma_f32 v26, -v9, v8, v27 :: v_dual_bitop2_b32 v7, 1, v7 bitop3:0x54
	v_cvt_i32_f32_e32 v9, v9
	v_cmp_ge_f32_e64 s0, |v26|, |v8|
	s_delay_alu instid0(VALU_DEP_1) | instskip(NEXT) | instid1(VALU_DEP_1)
	v_cndmask_b32_e64 v7, 0, v7, s0
	v_add_nc_u32_e32 v7, v9, v7
	s_delay_alu instid0(VALU_DEP_1) | instskip(NEXT) | instid1(VALU_DEP_1)
	v_mul_lo_u32 v7, v7, v5
	v_sub_nc_u32_e32 v6, v6, v7
	s_delay_alu instid0(VALU_DEP_1) | instskip(SKIP_1) | instid1(VALU_DEP_2)
	v_bfe_i32 v7, v6, 0, 8
	v_mov_b32_e32 v6, v5
	v_cmp_eq_u16_e64 s0, 0, v7
	v_and_b32_e32 v7, 0xffff, v7
	s_or_b32 s7, s0, s7
	s_delay_alu instid0(SALU_CYCLE_1)
	s_and_not1_b32 exec_lo, exec_lo, s7
	s_cbranch_execnz .LBB10_150
; %bb.151:
	s_or_b32 exec_lo, exec_lo, s7
.LBB10_152:
	s_delay_alu instid0(SALU_CYCLE_1) | instskip(NEXT) | instid1(VALU_DEP_2)
	s_or_b32 exec_lo, exec_lo, s6
	v_perm_b32 v4, v5, v4, 0x3020104
.LBB10_153:
	s_or_b32 exec_lo, exec_lo, s3
	v_or_b32_e32 v5, 0x900, v0
	s_mov_b32 s3, exec_lo
	s_delay_alu instid0(VALU_DEP_1)
	v_cmpx_gt_i32_e64 s1, v5
	s_cbranch_execz .LBB10_159
; %bb.154:
	v_bfe_i32 v5, v25, 0, 8
	v_and_b32_e32 v7, 0xff, v24
	s_mov_b32 s7, 0
	s_mov_b32 s6, exec_lo
	s_delay_alu instid0(VALU_DEP_2) | instskip(NEXT) | instid1(VALU_DEP_1)
	v_sub_nc_u16 v6, 0, v5
	v_max_i16 v5, v5, v6
	v_cmpx_ne_u16_e32 0, v7
	s_cbranch_execz .LBB10_158
; %bb.155:
	v_bfe_i32 v6, v24, 0, 8
	s_delay_alu instid0(VALU_DEP_1) | instskip(NEXT) | instid1(VALU_DEP_1)
	v_sub_nc_u16 v7, 0, v6
	v_max_i16 v7, v6, v7
	v_and_b32_e32 v6, 0xff, v5
	s_delay_alu instid0(VALU_DEP_2)
	v_and_b32_e32 v7, 0xffff, v7
.LBB10_156:                             ; =>This Inner Loop Header: Depth=1
	s_delay_alu instid0(VALU_DEP_2) | instskip(NEXT) | instid1(VALU_DEP_2)
	v_bfe_i32 v9, v6, 0, 8
	v_mov_b32_e32 v5, v7
	s_delay_alu instid0(VALU_DEP_2) | instskip(NEXT) | instid1(VALU_DEP_2)
	v_cvt_f32_i32_e32 v25, v9
	v_bfe_i32 v7, v5, 0, 8
	s_delay_alu instid0(VALU_DEP_1) | instskip(SKIP_1) | instid1(VALU_DEP_2)
	v_cvt_f32_i32_e32 v8, v7
	v_xor_b32_e32 v7, v9, v7
	v_rcp_iflag_f32_e32 v24, v8
	v_nop
	s_delay_alu instid0(TRANS32_DEP_1) | instskip(NEXT) | instid1(VALU_DEP_1)
	v_dual_ashrrev_i32 v7, 30, v7 :: v_dual_mul_f32 v9, v25, v24
	v_trunc_f32_e32 v9, v9
	s_delay_alu instid0(VALU_DEP_1) | instskip(SKIP_1) | instid1(VALU_DEP_2)
	v_dual_fma_f32 v24, -v9, v8, v25 :: v_dual_bitop2_b32 v7, 1, v7 bitop3:0x54
	v_cvt_i32_f32_e32 v9, v9
	v_cmp_ge_f32_e64 s0, |v24|, |v8|
	s_delay_alu instid0(VALU_DEP_1) | instskip(NEXT) | instid1(VALU_DEP_1)
	v_cndmask_b32_e64 v7, 0, v7, s0
	v_add_nc_u32_e32 v7, v9, v7
	s_delay_alu instid0(VALU_DEP_1) | instskip(NEXT) | instid1(VALU_DEP_1)
	v_mul_lo_u32 v7, v7, v5
	v_sub_nc_u32_e32 v6, v6, v7
	s_delay_alu instid0(VALU_DEP_1) | instskip(SKIP_1) | instid1(VALU_DEP_2)
	v_bfe_i32 v7, v6, 0, 8
	v_mov_b32_e32 v6, v5
	v_cmp_eq_u16_e64 s0, 0, v7
	v_and_b32_e32 v7, 0xffff, v7
	s_or_b32 s7, s0, s7
	s_delay_alu instid0(SALU_CYCLE_1)
	s_and_not1_b32 exec_lo, exec_lo, s7
	s_cbranch_execnz .LBB10_156
; %bb.157:
	s_or_b32 exec_lo, exec_lo, s7
.LBB10_158:
	s_delay_alu instid0(SALU_CYCLE_1) | instskip(NEXT) | instid1(VALU_DEP_2)
	s_or_b32 exec_lo, exec_lo, s6
	v_perm_b32 v4, v4, v5, 0x7060004
.LBB10_159:
	s_or_b32 exec_lo, exec_lo, s3
	v_or_b32_e32 v5, 0xa00, v0
	s_mov_b32 s3, exec_lo
	s_delay_alu instid0(VALU_DEP_1)
	v_cmpx_gt_i32_e64 s1, v5
	s_cbranch_execz .LBB10_165
; %bb.160:
	v_bfe_i32 v5, v23, 0, 8
	v_and_b32_e32 v7, 0xff, v22
	s_mov_b32 s7, 0
	s_mov_b32 s6, exec_lo
	s_delay_alu instid0(VALU_DEP_2) | instskip(NEXT) | instid1(VALU_DEP_1)
	v_sub_nc_u16 v6, 0, v5
	v_max_i16 v5, v5, v6
	v_cmpx_ne_u16_e32 0, v7
	s_cbranch_execz .LBB10_164
; %bb.161:
	v_bfe_i32 v6, v22, 0, 8
	s_delay_alu instid0(VALU_DEP_1) | instskip(NEXT) | instid1(VALU_DEP_1)
	v_sub_nc_u16 v7, 0, v6
	v_max_i16 v7, v6, v7
	v_and_b32_e32 v6, 0xff, v5
	s_delay_alu instid0(VALU_DEP_2)
	v_and_b32_e32 v7, 0xffff, v7
.LBB10_162:                             ; =>This Inner Loop Header: Depth=1
	s_delay_alu instid0(VALU_DEP_2) | instskip(NEXT) | instid1(VALU_DEP_2)
	v_bfe_i32 v9, v6, 0, 8
	v_mov_b32_e32 v5, v7
	s_delay_alu instid0(VALU_DEP_2) | instskip(NEXT) | instid1(VALU_DEP_2)
	v_cvt_f32_i32_e32 v23, v9
	v_bfe_i32 v7, v5, 0, 8
	s_delay_alu instid0(VALU_DEP_1) | instskip(SKIP_1) | instid1(VALU_DEP_2)
	v_cvt_f32_i32_e32 v8, v7
	v_xor_b32_e32 v7, v9, v7
	v_rcp_iflag_f32_e32 v22, v8
	v_nop
	s_delay_alu instid0(TRANS32_DEP_1) | instskip(NEXT) | instid1(VALU_DEP_1)
	v_dual_ashrrev_i32 v7, 30, v7 :: v_dual_mul_f32 v9, v23, v22
	v_trunc_f32_e32 v9, v9
	s_delay_alu instid0(VALU_DEP_1) | instskip(SKIP_1) | instid1(VALU_DEP_2)
	v_dual_fma_f32 v22, -v9, v8, v23 :: v_dual_bitop2_b32 v7, 1, v7 bitop3:0x54
	v_cvt_i32_f32_e32 v9, v9
	v_cmp_ge_f32_e64 s0, |v22|, |v8|
	s_delay_alu instid0(VALU_DEP_1) | instskip(NEXT) | instid1(VALU_DEP_1)
	v_cndmask_b32_e64 v7, 0, v7, s0
	v_add_nc_u32_e32 v7, v9, v7
	s_delay_alu instid0(VALU_DEP_1) | instskip(NEXT) | instid1(VALU_DEP_1)
	v_mul_lo_u32 v7, v7, v5
	v_sub_nc_u32_e32 v6, v6, v7
	s_delay_alu instid0(VALU_DEP_1) | instskip(SKIP_1) | instid1(VALU_DEP_2)
	v_bfe_i32 v7, v6, 0, 8
	v_mov_b32_e32 v6, v5
	v_cmp_eq_u16_e64 s0, 0, v7
	v_and_b32_e32 v7, 0xffff, v7
	s_or_b32 s7, s0, s7
	s_delay_alu instid0(SALU_CYCLE_1)
	s_and_not1_b32 exec_lo, exec_lo, s7
	s_cbranch_execnz .LBB10_162
; %bb.163:
	s_or_b32 exec_lo, exec_lo, s7
.LBB10_164:
	s_delay_alu instid0(SALU_CYCLE_1) | instskip(NEXT) | instid1(VALU_DEP_2)
	s_or_b32 exec_lo, exec_lo, s6
	v_perm_b32 v4, v4, v5, 0x7000504
.LBB10_165:
	s_or_b32 exec_lo, exec_lo, s3
	v_or_b32_e32 v5, 0xb00, v0
	s_mov_b32 s3, exec_lo
	s_delay_alu instid0(VALU_DEP_1)
	v_cmpx_gt_i32_e64 s1, v5
	s_cbranch_execz .LBB10_171
; %bb.166:
	v_bfe_i32 v5, v21, 0, 8
	v_and_b32_e32 v7, 0xff, v20
	s_mov_b32 s7, 0
	s_mov_b32 s6, exec_lo
	s_delay_alu instid0(VALU_DEP_2) | instskip(NEXT) | instid1(VALU_DEP_1)
	v_sub_nc_u16 v6, 0, v5
	v_max_i16 v5, v5, v6
	v_cmpx_ne_u16_e32 0, v7
	s_cbranch_execz .LBB10_170
; %bb.167:
	v_bfe_i32 v6, v20, 0, 8
	s_delay_alu instid0(VALU_DEP_1) | instskip(NEXT) | instid1(VALU_DEP_1)
	v_sub_nc_u16 v7, 0, v6
	v_max_i16 v7, v6, v7
	v_and_b32_e32 v6, 0xff, v5
	s_delay_alu instid0(VALU_DEP_2)
	v_and_b32_e32 v7, 0xffff, v7
.LBB10_168:                             ; =>This Inner Loop Header: Depth=1
	s_delay_alu instid0(VALU_DEP_2) | instskip(NEXT) | instid1(VALU_DEP_2)
	v_bfe_i32 v9, v6, 0, 8
	v_mov_b32_e32 v5, v7
	s_delay_alu instid0(VALU_DEP_2) | instskip(NEXT) | instid1(VALU_DEP_2)
	v_cvt_f32_i32_e32 v21, v9
	v_bfe_i32 v7, v5, 0, 8
	s_delay_alu instid0(VALU_DEP_1) | instskip(SKIP_1) | instid1(VALU_DEP_2)
	v_cvt_f32_i32_e32 v8, v7
	v_xor_b32_e32 v7, v9, v7
	v_rcp_iflag_f32_e32 v20, v8
	v_nop
	s_delay_alu instid0(TRANS32_DEP_1) | instskip(NEXT) | instid1(VALU_DEP_1)
	v_dual_ashrrev_i32 v7, 30, v7 :: v_dual_mul_f32 v9, v21, v20
	v_trunc_f32_e32 v9, v9
	s_delay_alu instid0(VALU_DEP_1) | instskip(SKIP_1) | instid1(VALU_DEP_2)
	v_dual_fma_f32 v20, -v9, v8, v21 :: v_dual_bitop2_b32 v7, 1, v7 bitop3:0x54
	v_cvt_i32_f32_e32 v9, v9
	v_cmp_ge_f32_e64 s0, |v20|, |v8|
	s_delay_alu instid0(VALU_DEP_1) | instskip(NEXT) | instid1(VALU_DEP_1)
	v_cndmask_b32_e64 v7, 0, v7, s0
	v_add_nc_u32_e32 v7, v9, v7
	s_delay_alu instid0(VALU_DEP_1) | instskip(NEXT) | instid1(VALU_DEP_1)
	v_mul_lo_u32 v7, v7, v5
	v_sub_nc_u32_e32 v6, v6, v7
	s_delay_alu instid0(VALU_DEP_1) | instskip(SKIP_1) | instid1(VALU_DEP_2)
	v_bfe_i32 v7, v6, 0, 8
	v_mov_b32_e32 v6, v5
	v_cmp_eq_u16_e64 s0, 0, v7
	v_and_b32_e32 v7, 0xffff, v7
	s_or_b32 s7, s0, s7
	s_delay_alu instid0(SALU_CYCLE_1)
	s_and_not1_b32 exec_lo, exec_lo, s7
	s_cbranch_execnz .LBB10_168
; %bb.169:
	s_or_b32 exec_lo, exec_lo, s7
.LBB10_170:
	s_delay_alu instid0(SALU_CYCLE_1) | instskip(NEXT) | instid1(VALU_DEP_2)
	s_or_b32 exec_lo, exec_lo, s6
	v_perm_b32 v4, v4, v5, 0x60504
.LBB10_171:
	s_or_b32 exec_lo, exec_lo, s3
	v_or_b32_e32 v5, 0xc00, v0
	s_mov_b32 s3, exec_lo
	s_delay_alu instid0(VALU_DEP_1)
	v_cmpx_gt_i32_e64 s1, v5
	s_cbranch_execz .LBB10_177
; %bb.172:
	v_bfe_i32 v5, v19, 0, 8
	v_and_b32_e32 v7, 0xff, v18
	s_mov_b32 s7, 0
	s_mov_b32 s6, exec_lo
	s_delay_alu instid0(VALU_DEP_2) | instskip(NEXT) | instid1(VALU_DEP_1)
	v_sub_nc_u16 v6, 0, v5
	v_max_i16 v5, v5, v6
	v_cmpx_ne_u16_e32 0, v7
	s_cbranch_execz .LBB10_176
; %bb.173:
	v_bfe_i32 v6, v18, 0, 8
	s_delay_alu instid0(VALU_DEP_1) | instskip(NEXT) | instid1(VALU_DEP_1)
	v_sub_nc_u16 v7, 0, v6
	v_max_i16 v7, v6, v7
	v_and_b32_e32 v6, 0xff, v5
	s_delay_alu instid0(VALU_DEP_2)
	v_and_b32_e32 v7, 0xffff, v7
.LBB10_174:                             ; =>This Inner Loop Header: Depth=1
	s_delay_alu instid0(VALU_DEP_2) | instskip(NEXT) | instid1(VALU_DEP_2)
	v_bfe_i32 v9, v6, 0, 8
	v_mov_b32_e32 v5, v7
	s_delay_alu instid0(VALU_DEP_2) | instskip(NEXT) | instid1(VALU_DEP_2)
	v_cvt_f32_i32_e32 v19, v9
	v_bfe_i32 v7, v5, 0, 8
	s_delay_alu instid0(VALU_DEP_1) | instskip(SKIP_1) | instid1(VALU_DEP_2)
	v_cvt_f32_i32_e32 v8, v7
	v_xor_b32_e32 v7, v9, v7
	v_rcp_iflag_f32_e32 v18, v8
	v_nop
	s_delay_alu instid0(TRANS32_DEP_1) | instskip(NEXT) | instid1(VALU_DEP_1)
	v_dual_ashrrev_i32 v7, 30, v7 :: v_dual_mul_f32 v9, v19, v18
	v_trunc_f32_e32 v9, v9
	s_delay_alu instid0(VALU_DEP_1) | instskip(SKIP_1) | instid1(VALU_DEP_2)
	v_dual_fma_f32 v18, -v9, v8, v19 :: v_dual_bitop2_b32 v7, 1, v7 bitop3:0x54
	v_cvt_i32_f32_e32 v9, v9
	v_cmp_ge_f32_e64 s0, |v18|, |v8|
	s_delay_alu instid0(VALU_DEP_1) | instskip(NEXT) | instid1(VALU_DEP_1)
	v_cndmask_b32_e64 v7, 0, v7, s0
	v_add_nc_u32_e32 v7, v9, v7
	s_delay_alu instid0(VALU_DEP_1) | instskip(NEXT) | instid1(VALU_DEP_1)
	v_mul_lo_u32 v7, v7, v5
	v_sub_nc_u32_e32 v6, v6, v7
	s_delay_alu instid0(VALU_DEP_1) | instskip(SKIP_1) | instid1(VALU_DEP_2)
	v_bfe_i32 v7, v6, 0, 8
	v_mov_b32_e32 v6, v5
	v_cmp_eq_u16_e64 s0, 0, v7
	v_and_b32_e32 v7, 0xffff, v7
	s_or_b32 s7, s0, s7
	s_delay_alu instid0(SALU_CYCLE_1)
	s_and_not1_b32 exec_lo, exec_lo, s7
	s_cbranch_execnz .LBB10_174
; %bb.175:
	s_or_b32 exec_lo, exec_lo, s7
.LBB10_176:
	s_delay_alu instid0(SALU_CYCLE_1) | instskip(NEXT) | instid1(VALU_DEP_2)
	s_or_b32 exec_lo, exec_lo, s6
	v_perm_b32 v3, v5, v3, 0x3020104
.LBB10_177:
	s_or_b32 exec_lo, exec_lo, s3
	v_or_b32_e32 v5, 0xd00, v0
	s_mov_b32 s3, exec_lo
	s_delay_alu instid0(VALU_DEP_1)
	v_cmpx_gt_i32_e64 s1, v5
	s_cbranch_execz .LBB10_183
; %bb.178:
	v_bfe_i32 v5, v17, 0, 8
	v_and_b32_e32 v7, 0xff, v16
	s_mov_b32 s7, 0
	s_mov_b32 s6, exec_lo
	s_delay_alu instid0(VALU_DEP_2) | instskip(NEXT) | instid1(VALU_DEP_1)
	v_sub_nc_u16 v6, 0, v5
	v_max_i16 v5, v5, v6
	v_cmpx_ne_u16_e32 0, v7
	s_cbranch_execz .LBB10_182
; %bb.179:
	v_bfe_i32 v6, v16, 0, 8
	s_delay_alu instid0(VALU_DEP_1) | instskip(NEXT) | instid1(VALU_DEP_1)
	v_sub_nc_u16 v7, 0, v6
	v_max_i16 v7, v6, v7
	v_and_b32_e32 v6, 0xff, v5
	s_delay_alu instid0(VALU_DEP_2)
	v_and_b32_e32 v7, 0xffff, v7
.LBB10_180:                             ; =>This Inner Loop Header: Depth=1
	s_delay_alu instid0(VALU_DEP_2) | instskip(NEXT) | instid1(VALU_DEP_2)
	v_bfe_i32 v9, v6, 0, 8
	v_mov_b32_e32 v5, v7
	s_delay_alu instid0(VALU_DEP_2) | instskip(NEXT) | instid1(VALU_DEP_2)
	v_cvt_f32_i32_e32 v17, v9
	v_bfe_i32 v7, v5, 0, 8
	s_delay_alu instid0(VALU_DEP_1) | instskip(SKIP_1) | instid1(VALU_DEP_2)
	v_cvt_f32_i32_e32 v8, v7
	v_xor_b32_e32 v7, v9, v7
	v_rcp_iflag_f32_e32 v16, v8
	v_nop
	s_delay_alu instid0(TRANS32_DEP_1) | instskip(NEXT) | instid1(VALU_DEP_1)
	v_dual_ashrrev_i32 v7, 30, v7 :: v_dual_mul_f32 v9, v17, v16
	v_trunc_f32_e32 v9, v9
	s_delay_alu instid0(VALU_DEP_1) | instskip(SKIP_1) | instid1(VALU_DEP_2)
	v_dual_fma_f32 v16, -v9, v8, v17 :: v_dual_bitop2_b32 v7, 1, v7 bitop3:0x54
	v_cvt_i32_f32_e32 v9, v9
	v_cmp_ge_f32_e64 s0, |v16|, |v8|
	s_delay_alu instid0(VALU_DEP_1) | instskip(NEXT) | instid1(VALU_DEP_1)
	v_cndmask_b32_e64 v7, 0, v7, s0
	v_add_nc_u32_e32 v7, v9, v7
	s_delay_alu instid0(VALU_DEP_1) | instskip(NEXT) | instid1(VALU_DEP_1)
	v_mul_lo_u32 v7, v7, v5
	v_sub_nc_u32_e32 v6, v6, v7
	s_delay_alu instid0(VALU_DEP_1) | instskip(SKIP_1) | instid1(VALU_DEP_2)
	v_bfe_i32 v7, v6, 0, 8
	v_mov_b32_e32 v6, v5
	v_cmp_eq_u16_e64 s0, 0, v7
	v_and_b32_e32 v7, 0xffff, v7
	s_or_b32 s7, s0, s7
	s_delay_alu instid0(SALU_CYCLE_1)
	s_and_not1_b32 exec_lo, exec_lo, s7
	s_cbranch_execnz .LBB10_180
; %bb.181:
	s_or_b32 exec_lo, exec_lo, s7
.LBB10_182:
	s_delay_alu instid0(SALU_CYCLE_1) | instskip(NEXT) | instid1(VALU_DEP_2)
	s_or_b32 exec_lo, exec_lo, s6
	v_perm_b32 v3, v3, v5, 0x7060004
.LBB10_183:
	s_or_b32 exec_lo, exec_lo, s3
	v_or_b32_e32 v5, 0xe00, v0
	s_mov_b32 s3, exec_lo
	s_delay_alu instid0(VALU_DEP_1)
	v_cmpx_gt_i32_e64 s1, v5
	s_cbranch_execz .LBB10_189
; %bb.184:
	v_bfe_i32 v5, v15, 0, 8
	v_and_b32_e32 v7, 0xff, v14
	s_mov_b32 s7, 0
	s_mov_b32 s6, exec_lo
	s_delay_alu instid0(VALU_DEP_2) | instskip(NEXT) | instid1(VALU_DEP_1)
	v_sub_nc_u16 v6, 0, v5
	v_max_i16 v5, v5, v6
	v_cmpx_ne_u16_e32 0, v7
	s_cbranch_execz .LBB10_188
; %bb.185:
	v_bfe_i32 v6, v14, 0, 8
	s_delay_alu instid0(VALU_DEP_1) | instskip(NEXT) | instid1(VALU_DEP_1)
	v_sub_nc_u16 v7, 0, v6
	v_max_i16 v7, v6, v7
	v_and_b32_e32 v6, 0xff, v5
	s_delay_alu instid0(VALU_DEP_2)
	v_and_b32_e32 v7, 0xffff, v7
.LBB10_186:                             ; =>This Inner Loop Header: Depth=1
	s_delay_alu instid0(VALU_DEP_2) | instskip(NEXT) | instid1(VALU_DEP_2)
	v_bfe_i32 v9, v6, 0, 8
	v_mov_b32_e32 v5, v7
	s_delay_alu instid0(VALU_DEP_2) | instskip(NEXT) | instid1(VALU_DEP_2)
	v_cvt_f32_i32_e32 v15, v9
	v_bfe_i32 v7, v5, 0, 8
	s_delay_alu instid0(VALU_DEP_1) | instskip(SKIP_1) | instid1(VALU_DEP_2)
	v_cvt_f32_i32_e32 v8, v7
	v_xor_b32_e32 v7, v9, v7
	v_rcp_iflag_f32_e32 v14, v8
	v_nop
	s_delay_alu instid0(TRANS32_DEP_1) | instskip(NEXT) | instid1(VALU_DEP_1)
	v_dual_ashrrev_i32 v7, 30, v7 :: v_dual_mul_f32 v9, v15, v14
	v_trunc_f32_e32 v9, v9
	s_delay_alu instid0(VALU_DEP_1) | instskip(SKIP_1) | instid1(VALU_DEP_2)
	v_dual_fma_f32 v14, -v9, v8, v15 :: v_dual_bitop2_b32 v7, 1, v7 bitop3:0x54
	v_cvt_i32_f32_e32 v9, v9
	v_cmp_ge_f32_e64 s0, |v14|, |v8|
	s_delay_alu instid0(VALU_DEP_1) | instskip(NEXT) | instid1(VALU_DEP_1)
	v_cndmask_b32_e64 v7, 0, v7, s0
	v_add_nc_u32_e32 v7, v9, v7
	s_delay_alu instid0(VALU_DEP_1) | instskip(NEXT) | instid1(VALU_DEP_1)
	v_mul_lo_u32 v7, v7, v5
	v_sub_nc_u32_e32 v6, v6, v7
	s_delay_alu instid0(VALU_DEP_1) | instskip(SKIP_1) | instid1(VALU_DEP_2)
	v_bfe_i32 v7, v6, 0, 8
	v_mov_b32_e32 v6, v5
	v_cmp_eq_u16_e64 s0, 0, v7
	v_and_b32_e32 v7, 0xffff, v7
	s_or_b32 s7, s0, s7
	s_delay_alu instid0(SALU_CYCLE_1)
	s_and_not1_b32 exec_lo, exec_lo, s7
	s_cbranch_execnz .LBB10_186
; %bb.187:
	s_or_b32 exec_lo, exec_lo, s7
.LBB10_188:
	s_delay_alu instid0(SALU_CYCLE_1) | instskip(NEXT) | instid1(VALU_DEP_2)
	s_or_b32 exec_lo, exec_lo, s6
	v_perm_b32 v3, v3, v5, 0x7000504
.LBB10_189:
	s_or_b32 exec_lo, exec_lo, s3
	v_or_b32_e32 v5, 0xf00, v0
	s_mov_b32 s3, exec_lo
	s_delay_alu instid0(VALU_DEP_1)
	v_cmpx_gt_i32_e64 s1, v5
	s_cbranch_execnz .LBB10_208
; %bb.190:
	s_or_b32 exec_lo, exec_lo, s3
	s_and_saveexec_b32 s0, vcc_lo
	s_delay_alu instid0(SALU_CYCLE_1)
	s_xor_b32 s0, exec_lo, s0
	s_cbranch_execnz .LBB10_213
.LBB10_191:
	s_or_b32 exec_lo, exec_lo, s0
	s_delay_alu instid0(SALU_CYCLE_1)
	s_mov_b32 s0, exec_lo
	v_cmpx_gt_i32_e64 s1, v0
	s_cbranch_execnz .LBB10_214
.LBB10_192:
	s_or_b32 exec_lo, exec_lo, s0
	s_delay_alu instid0(SALU_CYCLE_1)
	s_mov_b32 s0, exec_lo
	v_cmpx_gt_i32_e64 s1, v0
	s_cbranch_execnz .LBB10_215
.LBB10_193:
	s_or_b32 exec_lo, exec_lo, s0
	s_delay_alu instid0(SALU_CYCLE_1)
	s_mov_b32 s0, exec_lo
	v_cmpx_gt_i32_e64 s1, v0
	s_cbranch_execnz .LBB10_216
.LBB10_194:
	s_or_b32 exec_lo, exec_lo, s0
	s_delay_alu instid0(SALU_CYCLE_1)
	s_mov_b32 s0, exec_lo
	v_cmpx_gt_i32_e64 s1, v0
	s_cbranch_execnz .LBB10_217
.LBB10_195:
	s_or_b32 exec_lo, exec_lo, s0
	s_delay_alu instid0(SALU_CYCLE_1)
	s_mov_b32 s0, exec_lo
	v_cmpx_gt_i32_e64 s1, v0
	s_cbranch_execnz .LBB10_218
.LBB10_196:
	s_or_b32 exec_lo, exec_lo, s0
	s_delay_alu instid0(SALU_CYCLE_1)
	s_mov_b32 s0, exec_lo
	v_cmpx_gt_i32_e64 s1, v0
	s_cbranch_execnz .LBB10_219
.LBB10_197:
	s_or_b32 exec_lo, exec_lo, s0
	s_delay_alu instid0(SALU_CYCLE_1)
	s_mov_b32 s0, exec_lo
	v_cmpx_gt_i32_e64 s1, v0
	s_cbranch_execnz .LBB10_220
.LBB10_198:
	s_or_b32 exec_lo, exec_lo, s0
	s_delay_alu instid0(SALU_CYCLE_1)
	s_mov_b32 s0, exec_lo
	v_cmpx_gt_i32_e64 s1, v0
	s_cbranch_execnz .LBB10_221
.LBB10_199:
	s_or_b32 exec_lo, exec_lo, s0
	s_delay_alu instid0(SALU_CYCLE_1)
	s_mov_b32 s0, exec_lo
	v_cmpx_gt_i32_e64 s1, v0
	s_cbranch_execnz .LBB10_222
.LBB10_200:
	s_or_b32 exec_lo, exec_lo, s0
	s_delay_alu instid0(SALU_CYCLE_1)
	s_mov_b32 s0, exec_lo
	v_cmpx_gt_i32_e64 s1, v0
	s_cbranch_execnz .LBB10_223
.LBB10_201:
	s_or_b32 exec_lo, exec_lo, s0
	s_delay_alu instid0(SALU_CYCLE_1)
	s_mov_b32 s0, exec_lo
	v_cmpx_gt_i32_e64 s1, v0
	s_cbranch_execnz .LBB10_224
.LBB10_202:
	s_or_b32 exec_lo, exec_lo, s0
	s_delay_alu instid0(SALU_CYCLE_1)
	s_mov_b32 s0, exec_lo
	v_cmpx_gt_i32_e64 s1, v0
	s_cbranch_execnz .LBB10_225
.LBB10_203:
	s_or_b32 exec_lo, exec_lo, s0
	s_delay_alu instid0(SALU_CYCLE_1)
	s_mov_b32 s0, exec_lo
	v_cmpx_gt_i32_e64 s1, v0
	s_cbranch_execnz .LBB10_226
.LBB10_204:
	s_or_b32 exec_lo, exec_lo, s0
	s_delay_alu instid0(SALU_CYCLE_1)
	s_mov_b32 s0, exec_lo
	v_cmpx_gt_i32_e64 s1, v0
	s_cbranch_execnz .LBB10_227
.LBB10_205:
	s_or_b32 exec_lo, exec_lo, s0
	s_delay_alu instid0(SALU_CYCLE_1)
	s_mov_b32 s0, exec_lo
	v_cmpx_gt_i32_e64 s1, v0
	s_cbranch_execz .LBB10_207
.LBB10_206:
	v_dual_lshrrev_b32 v1, 24, v3 :: v_dual_add_nc_u32 v0, s2, v0
	global_store_b8 v0, v1, s[4:5]
.LBB10_207:
	s_endpgm
.LBB10_208:
	v_and_b32_e32 v5, 0xff, v13
	s_mov_b32 s7, 0
	s_mov_b32 s6, exec_lo
	s_delay_alu instid0(VALU_DEP_1)
	v_cmpx_ne_u16_e32 0, v5
	s_cbranch_execz .LBB10_212
; %bb.209:
	v_bfe_i32 v5, v13, 0, 8
	s_delay_alu instid0(VALU_DEP_1) | instskip(NEXT) | instid1(VALU_DEP_1)
	v_sub_nc_u16 v6, 0, v5
	v_max_i16 v6, v5, v6
	v_and_b32_e32 v5, 0xff, v12
	s_delay_alu instid0(VALU_DEP_2)
	v_and_b32_e32 v6, 0xffff, v6
.LBB10_210:                             ; =>This Inner Loop Header: Depth=1
	s_delay_alu instid0(VALU_DEP_2) | instskip(NEXT) | instid1(VALU_DEP_2)
	v_bfe_i32 v8, v5, 0, 8
	v_mov_b32_e32 v12, v6
	s_delay_alu instid0(VALU_DEP_2) | instskip(NEXT) | instid1(VALU_DEP_2)
	v_cvt_f32_i32_e32 v13, v8
	v_bfe_i32 v6, v12, 0, 8
	s_delay_alu instid0(VALU_DEP_1) | instskip(SKIP_1) | instid1(VALU_DEP_2)
	v_cvt_f32_i32_e32 v7, v6
	v_xor_b32_e32 v6, v8, v6
	v_rcp_iflag_f32_e32 v9, v7
	v_nop
	s_delay_alu instid0(TRANS32_DEP_1) | instskip(NEXT) | instid1(VALU_DEP_1)
	v_dual_ashrrev_i32 v6, 30, v6 :: v_dual_mul_f32 v8, v13, v9
	v_trunc_f32_e32 v8, v8
	s_delay_alu instid0(VALU_DEP_1) | instskip(SKIP_1) | instid1(VALU_DEP_2)
	v_dual_fma_f32 v9, -v8, v7, v13 :: v_dual_bitop2_b32 v6, 1, v6 bitop3:0x54
	v_cvt_i32_f32_e32 v8, v8
	v_cmp_ge_f32_e64 s0, |v9|, |v7|
	s_delay_alu instid0(VALU_DEP_1) | instskip(NEXT) | instid1(VALU_DEP_1)
	v_cndmask_b32_e64 v6, 0, v6, s0
	v_add_nc_u32_e32 v6, v8, v6
	s_delay_alu instid0(VALU_DEP_1) | instskip(NEXT) | instid1(VALU_DEP_1)
	v_mul_lo_u32 v6, v6, v12
	v_sub_nc_u32_e32 v5, v5, v6
	s_delay_alu instid0(VALU_DEP_1) | instskip(SKIP_1) | instid1(VALU_DEP_2)
	v_bfe_i32 v6, v5, 0, 8
	v_mov_b32_e32 v5, v12
	v_cmp_eq_u16_e64 s0, 0, v6
	v_and_b32_e32 v6, 0xffff, v6
	s_or_b32 s7, s0, s7
	s_delay_alu instid0(SALU_CYCLE_1)
	s_and_not1_b32 exec_lo, exec_lo, s7
	s_cbranch_execnz .LBB10_210
; %bb.211:
	s_or_b32 exec_lo, exec_lo, s7
.LBB10_212:
	s_delay_alu instid0(SALU_CYCLE_1) | instskip(SKIP_3) | instid1(SALU_CYCLE_1)
	s_or_b32 exec_lo, exec_lo, s6
	v_perm_b32 v3, v3, v12, 0x60504
	s_or_b32 exec_lo, exec_lo, s3
	s_and_saveexec_b32 s0, vcc_lo
	s_xor_b32 s0, exec_lo, s0
	s_cbranch_execz .LBB10_191
.LBB10_213:
	v_mov_b32_e32 v0, v11
	global_store_b8 v10, v2, s[4:5]
	s_wait_xcnt 0x0
	s_or_b32 exec_lo, exec_lo, s0
	s_delay_alu instid0(SALU_CYCLE_1)
	s_mov_b32 s0, exec_lo
	v_cmpx_gt_i32_e64 s1, v0
	s_cbranch_execz .LBB10_192
.LBB10_214:
	v_dual_lshrrev_b32 v5, 8, v2 :: v_dual_add_nc_u32 v6, s2, v0
	v_add_nc_u32_e32 v0, 0x100, v0
	global_store_b8 v6, v5, s[4:5]
	s_wait_xcnt 0x0
	s_or_b32 exec_lo, exec_lo, s0
	s_delay_alu instid0(SALU_CYCLE_1)
	s_mov_b32 s0, exec_lo
	v_cmpx_gt_i32_e64 s1, v0
	s_cbranch_execz .LBB10_193
.LBB10_215:
	v_add_nc_u32_e32 v5, s2, v0
	v_add_nc_u32_e32 v0, 0x100, v0
	global_store_d16_hi_b8 v5, v2, s[4:5]
	s_wait_xcnt 0x0
	s_or_b32 exec_lo, exec_lo, s0
	s_delay_alu instid0(SALU_CYCLE_1)
	s_mov_b32 s0, exec_lo
	v_cmpx_gt_i32_e64 s1, v0
	s_cbranch_execz .LBB10_194
.LBB10_216:
	v_dual_lshrrev_b32 v2, 24, v2 :: v_dual_add_nc_u32 v5, s2, v0
	v_add_nc_u32_e32 v0, 0x100, v0
	global_store_b8 v5, v2, s[4:5]
	s_wait_xcnt 0x0
	s_or_b32 exec_lo, exec_lo, s0
	s_delay_alu instid0(SALU_CYCLE_1)
	s_mov_b32 s0, exec_lo
	v_cmpx_gt_i32_e64 s1, v0
	s_cbranch_execz .LBB10_195
.LBB10_217:
	v_add_nc_u32_e32 v2, s2, v0
	v_add_nc_u32_e32 v0, 0x100, v0
	global_store_b8 v2, v1, s[4:5]
	s_wait_xcnt 0x0
	s_or_b32 exec_lo, exec_lo, s0
	s_delay_alu instid0(SALU_CYCLE_1)
	s_mov_b32 s0, exec_lo
	v_cmpx_gt_i32_e64 s1, v0
	s_cbranch_execz .LBB10_196
.LBB10_218:
	v_dual_lshrrev_b32 v2, 8, v1 :: v_dual_add_nc_u32 v5, s2, v0
	v_add_nc_u32_e32 v0, 0x100, v0
	global_store_b8 v5, v2, s[4:5]
	s_wait_xcnt 0x0
	s_or_b32 exec_lo, exec_lo, s0
	s_delay_alu instid0(SALU_CYCLE_1)
	s_mov_b32 s0, exec_lo
	v_cmpx_gt_i32_e64 s1, v0
	s_cbranch_execz .LBB10_197
.LBB10_219:
	v_add_nc_u32_e32 v2, s2, v0
	v_add_nc_u32_e32 v0, 0x100, v0
	global_store_d16_hi_b8 v2, v1, s[4:5]
	s_wait_xcnt 0x0
	s_or_b32 exec_lo, exec_lo, s0
	s_delay_alu instid0(SALU_CYCLE_1)
	s_mov_b32 s0, exec_lo
	v_cmpx_gt_i32_e64 s1, v0
	s_cbranch_execz .LBB10_198
.LBB10_220:
	v_dual_lshrrev_b32 v1, 24, v1 :: v_dual_add_nc_u32 v2, s2, v0
	v_add_nc_u32_e32 v0, 0x100, v0
	global_store_b8 v2, v1, s[4:5]
	s_wait_xcnt 0x0
	s_or_b32 exec_lo, exec_lo, s0
	s_delay_alu instid0(SALU_CYCLE_1)
	s_mov_b32 s0, exec_lo
	v_cmpx_gt_i32_e64 s1, v0
	s_cbranch_execz .LBB10_199
.LBB10_221:
	v_add_nc_u32_e32 v1, s2, v0
	v_add_nc_u32_e32 v0, 0x100, v0
	global_store_b8 v1, v4, s[4:5]
	s_wait_xcnt 0x0
	s_or_b32 exec_lo, exec_lo, s0
	s_delay_alu instid0(SALU_CYCLE_1)
	s_mov_b32 s0, exec_lo
	v_cmpx_gt_i32_e64 s1, v0
	s_cbranch_execz .LBB10_200
.LBB10_222:
	v_lshrrev_b32_e32 v1, 8, v4
	v_add_nc_u32_e32 v2, s2, v0
	v_add_nc_u32_e32 v0, 0x100, v0
	global_store_b8 v2, v1, s[4:5]
	s_wait_xcnt 0x0
	s_or_b32 exec_lo, exec_lo, s0
	s_delay_alu instid0(SALU_CYCLE_1)
	s_mov_b32 s0, exec_lo
	v_cmpx_gt_i32_e64 s1, v0
	s_cbranch_execz .LBB10_201
.LBB10_223:
	v_add_nc_u32_e32 v1, s2, v0
	v_add_nc_u32_e32 v0, 0x100, v0
	global_store_d16_hi_b8 v1, v4, s[4:5]
	s_wait_xcnt 0x0
	s_or_b32 exec_lo, exec_lo, s0
	s_delay_alu instid0(SALU_CYCLE_1)
	s_mov_b32 s0, exec_lo
	v_cmpx_gt_i32_e64 s1, v0
	s_cbranch_execz .LBB10_202
.LBB10_224:
	v_lshrrev_b32_e32 v1, 24, v4
	v_add_nc_u32_e32 v2, s2, v0
	v_add_nc_u32_e32 v0, 0x100, v0
	global_store_b8 v2, v1, s[4:5]
	s_wait_xcnt 0x0
	s_or_b32 exec_lo, exec_lo, s0
	s_delay_alu instid0(SALU_CYCLE_1)
	s_mov_b32 s0, exec_lo
	v_cmpx_gt_i32_e64 s1, v0
	s_cbranch_execz .LBB10_203
.LBB10_225:
	v_add_nc_u32_e32 v1, s2, v0
	v_add_nc_u32_e32 v0, 0x100, v0
	global_store_b8 v1, v3, s[4:5]
	s_wait_xcnt 0x0
	s_or_b32 exec_lo, exec_lo, s0
	s_delay_alu instid0(SALU_CYCLE_1)
	s_mov_b32 s0, exec_lo
	v_cmpx_gt_i32_e64 s1, v0
	s_cbranch_execz .LBB10_204
.LBB10_226:
	v_dual_lshrrev_b32 v1, 8, v3 :: v_dual_add_nc_u32 v2, s2, v0
	v_add_nc_u32_e32 v0, 0x100, v0
	global_store_b8 v2, v1, s[4:5]
	s_wait_xcnt 0x0
	s_or_b32 exec_lo, exec_lo, s0
	s_delay_alu instid0(SALU_CYCLE_1)
	s_mov_b32 s0, exec_lo
	v_cmpx_gt_i32_e64 s1, v0
	s_cbranch_execz .LBB10_205
.LBB10_227:
	v_add_nc_u32_e32 v1, s2, v0
	v_add_nc_u32_e32 v0, 0x100, v0
	global_store_d16_hi_b8 v1, v3, s[4:5]
	s_wait_xcnt 0x0
	s_or_b32 exec_lo, exec_lo, s0
	s_delay_alu instid0(SALU_CYCLE_1)
	s_mov_b32 s0, exec_lo
	v_cmpx_gt_i32_e64 s1, v0
	s_cbranch_execnz .LBB10_206
	s_branch .LBB10_207
	.section	.rodata,"a",@progbits
	.p2align	6, 0x0
	.amdhsa_kernel _ZN2at6native29vectorized_elementwise_kernelILi4EZZZNS0_15gcd_kernel_cudaERNS_18TensorIteratorBaseEENKUlvE_clEvENKUlvE0_clEvEUlaaE_St5arrayIPcLm3EEEEviT0_T1_
		.amdhsa_group_segment_fixed_size 0
		.amdhsa_private_segment_fixed_size 0
		.amdhsa_kernarg_size 32
		.amdhsa_user_sgpr_count 2
		.amdhsa_user_sgpr_dispatch_ptr 0
		.amdhsa_user_sgpr_queue_ptr 0
		.amdhsa_user_sgpr_kernarg_segment_ptr 1
		.amdhsa_user_sgpr_dispatch_id 0
		.amdhsa_user_sgpr_kernarg_preload_length 0
		.amdhsa_user_sgpr_kernarg_preload_offset 0
		.amdhsa_user_sgpr_private_segment_size 0
		.amdhsa_wavefront_size32 1
		.amdhsa_uses_dynamic_stack 0
		.amdhsa_enable_private_segment 0
		.amdhsa_system_sgpr_workgroup_id_x 1
		.amdhsa_system_sgpr_workgroup_id_y 0
		.amdhsa_system_sgpr_workgroup_id_z 0
		.amdhsa_system_sgpr_workgroup_info 0
		.amdhsa_system_vgpr_workitem_id 0
		.amdhsa_next_free_vgpr 42
		.amdhsa_next_free_sgpr 21
		.amdhsa_named_barrier_count 0
		.amdhsa_reserve_vcc 1
		.amdhsa_float_round_mode_32 0
		.amdhsa_float_round_mode_16_64 0
		.amdhsa_float_denorm_mode_32 3
		.amdhsa_float_denorm_mode_16_64 3
		.amdhsa_fp16_overflow 0
		.amdhsa_memory_ordered 1
		.amdhsa_forward_progress 1
		.amdhsa_inst_pref_size 109
		.amdhsa_round_robin_scheduling 0
		.amdhsa_exception_fp_ieee_invalid_op 0
		.amdhsa_exception_fp_denorm_src 0
		.amdhsa_exception_fp_ieee_div_zero 0
		.amdhsa_exception_fp_ieee_overflow 0
		.amdhsa_exception_fp_ieee_underflow 0
		.amdhsa_exception_fp_ieee_inexact 0
		.amdhsa_exception_int_div_zero 0
	.end_amdhsa_kernel
	.section	.text._ZN2at6native29vectorized_elementwise_kernelILi4EZZZNS0_15gcd_kernel_cudaERNS_18TensorIteratorBaseEENKUlvE_clEvENKUlvE0_clEvEUlaaE_St5arrayIPcLm3EEEEviT0_T1_,"axG",@progbits,_ZN2at6native29vectorized_elementwise_kernelILi4EZZZNS0_15gcd_kernel_cudaERNS_18TensorIteratorBaseEENKUlvE_clEvENKUlvE0_clEvEUlaaE_St5arrayIPcLm3EEEEviT0_T1_,comdat
.Lfunc_end10:
	.size	_ZN2at6native29vectorized_elementwise_kernelILi4EZZZNS0_15gcd_kernel_cudaERNS_18TensorIteratorBaseEENKUlvE_clEvENKUlvE0_clEvEUlaaE_St5arrayIPcLm3EEEEviT0_T1_, .Lfunc_end10-_ZN2at6native29vectorized_elementwise_kernelILi4EZZZNS0_15gcd_kernel_cudaERNS_18TensorIteratorBaseEENKUlvE_clEvENKUlvE0_clEvEUlaaE_St5arrayIPcLm3EEEEviT0_T1_
                                        ; -- End function
	.set _ZN2at6native29vectorized_elementwise_kernelILi4EZZZNS0_15gcd_kernel_cudaERNS_18TensorIteratorBaseEENKUlvE_clEvENKUlvE0_clEvEUlaaE_St5arrayIPcLm3EEEEviT0_T1_.num_vgpr, 42
	.set _ZN2at6native29vectorized_elementwise_kernelILi4EZZZNS0_15gcd_kernel_cudaERNS_18TensorIteratorBaseEENKUlvE_clEvENKUlvE0_clEvEUlaaE_St5arrayIPcLm3EEEEviT0_T1_.num_agpr, 0
	.set _ZN2at6native29vectorized_elementwise_kernelILi4EZZZNS0_15gcd_kernel_cudaERNS_18TensorIteratorBaseEENKUlvE_clEvENKUlvE0_clEvEUlaaE_St5arrayIPcLm3EEEEviT0_T1_.numbered_sgpr, 21
	.set _ZN2at6native29vectorized_elementwise_kernelILi4EZZZNS0_15gcd_kernel_cudaERNS_18TensorIteratorBaseEENKUlvE_clEvENKUlvE0_clEvEUlaaE_St5arrayIPcLm3EEEEviT0_T1_.num_named_barrier, 0
	.set _ZN2at6native29vectorized_elementwise_kernelILi4EZZZNS0_15gcd_kernel_cudaERNS_18TensorIteratorBaseEENKUlvE_clEvENKUlvE0_clEvEUlaaE_St5arrayIPcLm3EEEEviT0_T1_.private_seg_size, 0
	.set _ZN2at6native29vectorized_elementwise_kernelILi4EZZZNS0_15gcd_kernel_cudaERNS_18TensorIteratorBaseEENKUlvE_clEvENKUlvE0_clEvEUlaaE_St5arrayIPcLm3EEEEviT0_T1_.uses_vcc, 1
	.set _ZN2at6native29vectorized_elementwise_kernelILi4EZZZNS0_15gcd_kernel_cudaERNS_18TensorIteratorBaseEENKUlvE_clEvENKUlvE0_clEvEUlaaE_St5arrayIPcLm3EEEEviT0_T1_.uses_flat_scratch, 0
	.set _ZN2at6native29vectorized_elementwise_kernelILi4EZZZNS0_15gcd_kernel_cudaERNS_18TensorIteratorBaseEENKUlvE_clEvENKUlvE0_clEvEUlaaE_St5arrayIPcLm3EEEEviT0_T1_.has_dyn_sized_stack, 0
	.set _ZN2at6native29vectorized_elementwise_kernelILi4EZZZNS0_15gcd_kernel_cudaERNS_18TensorIteratorBaseEENKUlvE_clEvENKUlvE0_clEvEUlaaE_St5arrayIPcLm3EEEEviT0_T1_.has_recursion, 0
	.set _ZN2at6native29vectorized_elementwise_kernelILi4EZZZNS0_15gcd_kernel_cudaERNS_18TensorIteratorBaseEENKUlvE_clEvENKUlvE0_clEvEUlaaE_St5arrayIPcLm3EEEEviT0_T1_.has_indirect_call, 0
	.section	.AMDGPU.csdata,"",@progbits
; Kernel info:
; codeLenInByte = 13860
; TotalNumSgprs: 23
; NumVgprs: 42
; ScratchSize: 0
; MemoryBound: 0
; FloatMode: 240
; IeeeMode: 1
; LDSByteSize: 0 bytes/workgroup (compile time only)
; SGPRBlocks: 0
; VGPRBlocks: 2
; NumSGPRsForWavesPerEU: 23
; NumVGPRsForWavesPerEU: 42
; NamedBarCnt: 0
; Occupancy: 16
; WaveLimiterHint : 1
; COMPUTE_PGM_RSRC2:SCRATCH_EN: 0
; COMPUTE_PGM_RSRC2:USER_SGPR: 2
; COMPUTE_PGM_RSRC2:TRAP_HANDLER: 0
; COMPUTE_PGM_RSRC2:TGID_X_EN: 1
; COMPUTE_PGM_RSRC2:TGID_Y_EN: 0
; COMPUTE_PGM_RSRC2:TGID_Z_EN: 0
; COMPUTE_PGM_RSRC2:TIDIG_COMP_CNT: 0
	.section	.text._ZN2at6native29vectorized_elementwise_kernelILi2EZZZNS0_15gcd_kernel_cudaERNS_18TensorIteratorBaseEENKUlvE_clEvENKUlvE0_clEvEUlaaE_St5arrayIPcLm3EEEEviT0_T1_,"axG",@progbits,_ZN2at6native29vectorized_elementwise_kernelILi2EZZZNS0_15gcd_kernel_cudaERNS_18TensorIteratorBaseEENKUlvE_clEvENKUlvE0_clEvEUlaaE_St5arrayIPcLm3EEEEviT0_T1_,comdat
	.globl	_ZN2at6native29vectorized_elementwise_kernelILi2EZZZNS0_15gcd_kernel_cudaERNS_18TensorIteratorBaseEENKUlvE_clEvENKUlvE0_clEvEUlaaE_St5arrayIPcLm3EEEEviT0_T1_ ; -- Begin function _ZN2at6native29vectorized_elementwise_kernelILi2EZZZNS0_15gcd_kernel_cudaERNS_18TensorIteratorBaseEENKUlvE_clEvENKUlvE0_clEvEUlaaE_St5arrayIPcLm3EEEEviT0_T1_
	.p2align	8
	.type	_ZN2at6native29vectorized_elementwise_kernelILi2EZZZNS0_15gcd_kernel_cudaERNS_18TensorIteratorBaseEENKUlvE_clEvENKUlvE0_clEvEUlaaE_St5arrayIPcLm3EEEEviT0_T1_,@function
_ZN2at6native29vectorized_elementwise_kernelILi2EZZZNS0_15gcd_kernel_cudaERNS_18TensorIteratorBaseEENKUlvE_clEvENKUlvE0_clEvEUlaaE_St5arrayIPcLm3EEEEviT0_T1_: ; @_ZN2at6native29vectorized_elementwise_kernelILi2EZZZNS0_15gcd_kernel_cudaERNS_18TensorIteratorBaseEENKUlvE_clEvENKUlvE0_clEvEUlaaE_St5arrayIPcLm3EEEEviT0_T1_
; %bb.0:
	s_clause 0x2
	s_load_b32 s3, s[0:1], 0x0
	s_load_b128 s[4:7], s[0:1], 0x8
	s_load_b64 s[8:9], s[0:1], 0x18
	s_wait_xcnt 0x0
	s_bfe_u32 s0, ttmp6, 0x4000c
	s_and_b32 s1, ttmp6, 15
	s_add_co_i32 s0, s0, 1
	s_getreg_b32 s2, hwreg(HW_REG_IB_STS2, 6, 4)
	s_mul_i32 s0, ttmp9, s0
	s_delay_alu instid0(SALU_CYCLE_1) | instskip(SKIP_2) | instid1(SALU_CYCLE_1)
	s_add_co_i32 s1, s1, s0
	s_cmp_eq_u32 s2, 0
	s_cselect_b32 s0, ttmp9, s1
	s_lshl_b32 s2, s0, 12
	s_mov_b32 s0, -1
	s_wait_kmcnt 0x0
	s_sub_co_i32 s1, s3, s2
	s_delay_alu instid0(SALU_CYCLE_1)
	s_cmp_gt_i32 s1, 0xfff
	s_cbranch_scc0 .LBB11_66
; %bb.1:
	s_ashr_i32 s3, s2, 31
	s_mov_b32 s0, exec_lo
	s_add_nc_u64 s[10:11], s[8:9], s[2:3]
	s_add_nc_u64 s[12:13], s[6:7], s[2:3]
	s_clause 0xf
	global_load_u16 v4, v0, s[10:11] scale_offset
	global_load_u16 v5, v0, s[12:13] scale_offset
	global_load_u16 v9, v0, s[12:13] offset:512 scale_offset
	global_load_u16 v13, v0, s[12:13] offset:1024 scale_offset
	;; [unrolled: 1-line block ×13, first 2 shown]
	; meta instruction
	global_load_u16 v3, v0, s[10:11] offset:3584 scale_offset
	s_wait_loadcnt 0xf
	v_bfe_i32 v1, v4, 0, 8
	s_wait_loadcnt 0xe
	v_and_b32_e32 v19, 0xff, v5
	s_delay_alu instid0(VALU_DEP_2) | instskip(NEXT) | instid1(VALU_DEP_1)
	v_sub_nc_u16 v18, 0, v1
	v_max_i16 v1, v1, v18
	s_wait_xcnt 0x0
	s_delay_alu instid0(VALU_DEP_3)
	v_cmpx_ne_u16_e32 0, v19
	s_cbranch_execz .LBB11_5
; %bb.2:
	v_bfe_i32 v18, v5, 0, 8
	s_mov_b32 s10, 0
	s_delay_alu instid0(VALU_DEP_1) | instskip(NEXT) | instid1(VALU_DEP_1)
	v_sub_nc_u16 v19, 0, v18
	v_max_i16 v19, v18, v19
	v_and_b32_e32 v18, 0xff, v1
	s_delay_alu instid0(VALU_DEP_2)
	v_and_b32_e32 v19, 0xffff, v19
.LBB11_3:                               ; =>This Inner Loop Header: Depth=1
	s_delay_alu instid0(VALU_DEP_2) | instskip(NEXT) | instid1(VALU_DEP_2)
	v_bfe_i32 v21, v18, 0, 8
	v_mov_b32_e32 v1, v19
	s_delay_alu instid0(VALU_DEP_2) | instskip(NEXT) | instid1(VALU_DEP_2)
	v_cvt_f32_i32_e32 v23, v21
	v_bfe_i32 v19, v1, 0, 8
	s_delay_alu instid0(VALU_DEP_1) | instskip(SKIP_1) | instid1(VALU_DEP_2)
	v_cvt_f32_i32_e32 v20, v19
	v_xor_b32_e32 v19, v21, v19
	v_rcp_iflag_f32_e32 v22, v20
	v_nop
	s_delay_alu instid0(TRANS32_DEP_1) | instskip(NEXT) | instid1(VALU_DEP_1)
	v_dual_ashrrev_i32 v19, 30, v19 :: v_dual_mul_f32 v21, v23, v22
	v_trunc_f32_e32 v21, v21
	s_delay_alu instid0(VALU_DEP_1) | instskip(SKIP_1) | instid1(VALU_DEP_2)
	v_dual_fma_f32 v22, -v21, v20, v23 :: v_dual_bitop2_b32 v19, 1, v19 bitop3:0x54
	v_cvt_i32_f32_e32 v21, v21
	v_cmp_ge_f32_e64 vcc_lo, |v22|, |v20|
	s_delay_alu instid0(VALU_DEP_3) | instskip(NEXT) | instid1(VALU_DEP_1)
	v_cndmask_b32_e32 v19, 0, v19, vcc_lo
	v_add_nc_u32_e32 v19, v21, v19
	s_delay_alu instid0(VALU_DEP_1) | instskip(NEXT) | instid1(VALU_DEP_1)
	v_mul_lo_u32 v19, v19, v1
	v_sub_nc_u32_e32 v18, v18, v19
	s_delay_alu instid0(VALU_DEP_1) | instskip(SKIP_1) | instid1(VALU_DEP_2)
	v_bfe_i32 v19, v18, 0, 8
	v_mov_b32_e32 v18, v1
	v_cmp_eq_u16_e32 vcc_lo, 0, v19
	v_and_b32_e32 v19, 0xffff, v19
	s_or_b32 s10, vcc_lo, s10
	s_delay_alu instid0(SALU_CYCLE_1)
	s_and_not1_b32 exec_lo, exec_lo, s10
	s_cbranch_execnz .LBB11_3
; %bb.4:
	s_or_b32 exec_lo, exec_lo, s10
.LBB11_5:
	s_delay_alu instid0(SALU_CYCLE_1) | instskip(SKIP_4) | instid1(VALU_DEP_2)
	s_or_b32 exec_lo, exec_lo, s0
	v_ashrrev_i16 v4, 8, v4
	v_lshrrev_b16 v19, 8, v5
	s_mov_b32 s10, 0
	s_mov_b32 s0, exec_lo
	v_sub_nc_u16 v18, 0, v4
	s_delay_alu instid0(VALU_DEP_1)
	v_max_i16 v4, v4, v18
	v_cmpx_ne_u16_e32 0, v19
	s_cbranch_execz .LBB11_9
; %bb.6:
	v_ashrrev_i16 v5, 8, v5
	s_delay_alu instid0(VALU_DEP_1) | instskip(NEXT) | instid1(VALU_DEP_1)
	v_sub_nc_u16 v18, 0, v5
	v_max_i16 v18, v5, v18
	v_and_b32_e32 v5, 0xff, v4
	s_delay_alu instid0(VALU_DEP_2)
	v_and_b32_e32 v18, 0xffff, v18
.LBB11_7:                               ; =>This Inner Loop Header: Depth=1
	s_delay_alu instid0(VALU_DEP_2) | instskip(NEXT) | instid1(VALU_DEP_2)
	v_bfe_i32 v20, v5, 0, 8
	v_mov_b32_e32 v4, v18
	s_delay_alu instid0(VALU_DEP_2) | instskip(NEXT) | instid1(VALU_DEP_2)
	v_cvt_f32_i32_e32 v22, v20
	v_bfe_i32 v18, v4, 0, 8
	s_delay_alu instid0(VALU_DEP_1) | instskip(SKIP_1) | instid1(VALU_DEP_2)
	v_cvt_f32_i32_e32 v19, v18
	v_xor_b32_e32 v18, v20, v18
	v_rcp_iflag_f32_e32 v21, v19
	v_nop
	s_delay_alu instid0(TRANS32_DEP_1) | instskip(NEXT) | instid1(VALU_DEP_1)
	v_dual_ashrrev_i32 v18, 30, v18 :: v_dual_mul_f32 v20, v22, v21
	v_trunc_f32_e32 v20, v20
	s_delay_alu instid0(VALU_DEP_1) | instskip(SKIP_1) | instid1(VALU_DEP_2)
	v_dual_fma_f32 v21, -v20, v19, v22 :: v_dual_bitop2_b32 v18, 1, v18 bitop3:0x54
	v_cvt_i32_f32_e32 v20, v20
	v_cmp_ge_f32_e64 vcc_lo, |v21|, |v19|
	s_delay_alu instid0(VALU_DEP_3) | instskip(NEXT) | instid1(VALU_DEP_1)
	v_cndmask_b32_e32 v18, 0, v18, vcc_lo
	v_add_nc_u32_e32 v18, v20, v18
	s_delay_alu instid0(VALU_DEP_1) | instskip(NEXT) | instid1(VALU_DEP_1)
	v_mul_lo_u32 v18, v18, v4
	v_sub_nc_u32_e32 v5, v5, v18
	s_delay_alu instid0(VALU_DEP_1) | instskip(SKIP_1) | instid1(VALU_DEP_2)
	v_bfe_i32 v18, v5, 0, 8
	v_mov_b32_e32 v5, v4
	v_cmp_eq_u16_e32 vcc_lo, 0, v18
	v_and_b32_e32 v18, 0xffff, v18
	s_or_b32 s10, vcc_lo, s10
	s_delay_alu instid0(SALU_CYCLE_1)
	s_and_not1_b32 exec_lo, exec_lo, s10
	s_cbranch_execnz .LBB11_7
; %bb.8:
	s_or_b32 exec_lo, exec_lo, s10
.LBB11_9:
	s_delay_alu instid0(SALU_CYCLE_1)
	s_or_b32 exec_lo, exec_lo, s0
	s_wait_loadcnt 0x6
	v_bfe_i32 v5, v8, 0, 8
	v_and_b32_e32 v19, 0xff, v9
	s_mov_b32 s10, 0
	s_mov_b32 s0, exec_lo
	s_delay_alu instid0(VALU_DEP_2) | instskip(NEXT) | instid1(VALU_DEP_1)
	v_sub_nc_u16 v18, 0, v5
	v_max_i16 v5, v5, v18
	v_cmpx_ne_u16_e32 0, v19
	s_cbranch_execz .LBB11_13
; %bb.10:
	v_bfe_i32 v18, v9, 0, 8
	s_delay_alu instid0(VALU_DEP_1) | instskip(NEXT) | instid1(VALU_DEP_1)
	v_sub_nc_u16 v19, 0, v18
	v_max_i16 v19, v18, v19
	v_and_b32_e32 v18, 0xff, v5
	s_delay_alu instid0(VALU_DEP_2)
	v_and_b32_e32 v19, 0xffff, v19
.LBB11_11:                              ; =>This Inner Loop Header: Depth=1
	s_delay_alu instid0(VALU_DEP_2) | instskip(NEXT) | instid1(VALU_DEP_2)
	v_bfe_i32 v21, v18, 0, 8
	v_mov_b32_e32 v5, v19
	s_delay_alu instid0(VALU_DEP_2) | instskip(NEXT) | instid1(VALU_DEP_2)
	v_cvt_f32_i32_e32 v23, v21
	v_bfe_i32 v19, v5, 0, 8
	s_delay_alu instid0(VALU_DEP_1) | instskip(SKIP_1) | instid1(VALU_DEP_2)
	v_cvt_f32_i32_e32 v20, v19
	v_xor_b32_e32 v19, v21, v19
	v_rcp_iflag_f32_e32 v22, v20
	v_nop
	s_delay_alu instid0(TRANS32_DEP_1) | instskip(NEXT) | instid1(VALU_DEP_1)
	v_dual_ashrrev_i32 v19, 30, v19 :: v_dual_mul_f32 v21, v23, v22
	v_trunc_f32_e32 v21, v21
	s_delay_alu instid0(VALU_DEP_1) | instskip(SKIP_1) | instid1(VALU_DEP_2)
	v_dual_fma_f32 v22, -v21, v20, v23 :: v_dual_bitop2_b32 v19, 1, v19 bitop3:0x54
	v_cvt_i32_f32_e32 v21, v21
	v_cmp_ge_f32_e64 vcc_lo, |v22|, |v20|
	s_delay_alu instid0(VALU_DEP_3) | instskip(NEXT) | instid1(VALU_DEP_1)
	v_cndmask_b32_e32 v19, 0, v19, vcc_lo
	v_add_nc_u32_e32 v19, v21, v19
	s_delay_alu instid0(VALU_DEP_1) | instskip(NEXT) | instid1(VALU_DEP_1)
	v_mul_lo_u32 v19, v19, v5
	v_sub_nc_u32_e32 v18, v18, v19
	s_delay_alu instid0(VALU_DEP_1) | instskip(SKIP_1) | instid1(VALU_DEP_2)
	v_bfe_i32 v19, v18, 0, 8
	v_mov_b32_e32 v18, v5
	v_cmp_eq_u16_e32 vcc_lo, 0, v19
	v_and_b32_e32 v19, 0xffff, v19
	s_or_b32 s10, vcc_lo, s10
	s_delay_alu instid0(SALU_CYCLE_1)
	s_and_not1_b32 exec_lo, exec_lo, s10
	s_cbranch_execnz .LBB11_11
; %bb.12:
	s_or_b32 exec_lo, exec_lo, s10
.LBB11_13:
	s_delay_alu instid0(SALU_CYCLE_1) | instskip(SKIP_4) | instid1(VALU_DEP_2)
	s_or_b32 exec_lo, exec_lo, s0
	v_ashrrev_i16 v8, 8, v8
	v_lshrrev_b16 v19, 8, v9
	s_mov_b32 s10, 0
	s_mov_b32 s0, exec_lo
	v_sub_nc_u16 v18, 0, v8
	s_delay_alu instid0(VALU_DEP_1)
	v_max_i16 v8, v8, v18
	v_cmpx_ne_u16_e32 0, v19
	s_cbranch_execz .LBB11_17
; %bb.14:
	v_ashrrev_i16 v9, 8, v9
	s_delay_alu instid0(VALU_DEP_1) | instskip(NEXT) | instid1(VALU_DEP_1)
	v_sub_nc_u16 v18, 0, v9
	v_max_i16 v18, v9, v18
	v_and_b32_e32 v9, 0xff, v8
	s_delay_alu instid0(VALU_DEP_2)
	v_and_b32_e32 v18, 0xffff, v18
.LBB11_15:                              ; =>This Inner Loop Header: Depth=1
	s_delay_alu instid0(VALU_DEP_2) | instskip(NEXT) | instid1(VALU_DEP_2)
	v_bfe_i32 v20, v9, 0, 8
	v_mov_b32_e32 v8, v18
	s_delay_alu instid0(VALU_DEP_2) | instskip(NEXT) | instid1(VALU_DEP_2)
	v_cvt_f32_i32_e32 v22, v20
	v_bfe_i32 v18, v8, 0, 8
	s_delay_alu instid0(VALU_DEP_1) | instskip(SKIP_1) | instid1(VALU_DEP_2)
	v_cvt_f32_i32_e32 v19, v18
	v_xor_b32_e32 v18, v20, v18
	v_rcp_iflag_f32_e32 v21, v19
	v_nop
	s_delay_alu instid0(TRANS32_DEP_1) | instskip(NEXT) | instid1(VALU_DEP_1)
	v_dual_ashrrev_i32 v18, 30, v18 :: v_dual_mul_f32 v20, v22, v21
	v_trunc_f32_e32 v20, v20
	s_delay_alu instid0(VALU_DEP_1) | instskip(SKIP_1) | instid1(VALU_DEP_2)
	v_dual_fma_f32 v21, -v20, v19, v22 :: v_dual_bitop2_b32 v18, 1, v18 bitop3:0x54
	v_cvt_i32_f32_e32 v20, v20
	v_cmp_ge_f32_e64 vcc_lo, |v21|, |v19|
	s_delay_alu instid0(VALU_DEP_3) | instskip(NEXT) | instid1(VALU_DEP_1)
	v_cndmask_b32_e32 v18, 0, v18, vcc_lo
	v_add_nc_u32_e32 v18, v20, v18
	s_delay_alu instid0(VALU_DEP_1) | instskip(NEXT) | instid1(VALU_DEP_1)
	v_mul_lo_u32 v18, v18, v8
	v_sub_nc_u32_e32 v9, v9, v18
	s_delay_alu instid0(VALU_DEP_1) | instskip(SKIP_1) | instid1(VALU_DEP_2)
	v_bfe_i32 v18, v9, 0, 8
	v_mov_b32_e32 v9, v8
	v_cmp_eq_u16_e32 vcc_lo, 0, v18
	v_and_b32_e32 v18, 0xffff, v18
	s_or_b32 s10, vcc_lo, s10
	s_delay_alu instid0(SALU_CYCLE_1)
	s_and_not1_b32 exec_lo, exec_lo, s10
	s_cbranch_execnz .LBB11_15
; %bb.16:
	s_or_b32 exec_lo, exec_lo, s10
.LBB11_17:
	s_delay_alu instid0(SALU_CYCLE_1)
	s_or_b32 exec_lo, exec_lo, s0
	s_wait_loadcnt 0x5
	v_bfe_i32 v9, v12, 0, 8
	v_and_b32_e32 v19, 0xff, v13
	s_mov_b32 s10, 0
	s_mov_b32 s0, exec_lo
	s_delay_alu instid0(VALU_DEP_2) | instskip(NEXT) | instid1(VALU_DEP_1)
	v_sub_nc_u16 v18, 0, v9
	v_max_i16 v9, v9, v18
	v_cmpx_ne_u16_e32 0, v19
	s_cbranch_execz .LBB11_21
; %bb.18:
	v_bfe_i32 v18, v13, 0, 8
	s_delay_alu instid0(VALU_DEP_1) | instskip(NEXT) | instid1(VALU_DEP_1)
	v_sub_nc_u16 v19, 0, v18
	v_max_i16 v19, v18, v19
	v_and_b32_e32 v18, 0xff, v9
	s_delay_alu instid0(VALU_DEP_2)
	v_and_b32_e32 v19, 0xffff, v19
.LBB11_19:                              ; =>This Inner Loop Header: Depth=1
	s_delay_alu instid0(VALU_DEP_2) | instskip(NEXT) | instid1(VALU_DEP_2)
	v_bfe_i32 v21, v18, 0, 8
	v_mov_b32_e32 v9, v19
	s_delay_alu instid0(VALU_DEP_2) | instskip(NEXT) | instid1(VALU_DEP_2)
	v_cvt_f32_i32_e32 v23, v21
	v_bfe_i32 v19, v9, 0, 8
	s_delay_alu instid0(VALU_DEP_1) | instskip(SKIP_1) | instid1(VALU_DEP_2)
	v_cvt_f32_i32_e32 v20, v19
	v_xor_b32_e32 v19, v21, v19
	v_rcp_iflag_f32_e32 v22, v20
	v_nop
	s_delay_alu instid0(TRANS32_DEP_1) | instskip(NEXT) | instid1(VALU_DEP_1)
	v_dual_ashrrev_i32 v19, 30, v19 :: v_dual_mul_f32 v21, v23, v22
	v_trunc_f32_e32 v21, v21
	s_delay_alu instid0(VALU_DEP_1) | instskip(SKIP_1) | instid1(VALU_DEP_2)
	v_dual_fma_f32 v22, -v21, v20, v23 :: v_dual_bitop2_b32 v19, 1, v19 bitop3:0x54
	v_cvt_i32_f32_e32 v21, v21
	v_cmp_ge_f32_e64 vcc_lo, |v22|, |v20|
	s_delay_alu instid0(VALU_DEP_3) | instskip(NEXT) | instid1(VALU_DEP_1)
	v_cndmask_b32_e32 v19, 0, v19, vcc_lo
	v_add_nc_u32_e32 v19, v21, v19
	s_delay_alu instid0(VALU_DEP_1) | instskip(NEXT) | instid1(VALU_DEP_1)
	v_mul_lo_u32 v19, v19, v9
	v_sub_nc_u32_e32 v18, v18, v19
	s_delay_alu instid0(VALU_DEP_1) | instskip(SKIP_1) | instid1(VALU_DEP_2)
	v_bfe_i32 v19, v18, 0, 8
	v_mov_b32_e32 v18, v9
	v_cmp_eq_u16_e32 vcc_lo, 0, v19
	v_and_b32_e32 v19, 0xffff, v19
	s_or_b32 s10, vcc_lo, s10
	s_delay_alu instid0(SALU_CYCLE_1)
	s_and_not1_b32 exec_lo, exec_lo, s10
	s_cbranch_execnz .LBB11_19
; %bb.20:
	s_or_b32 exec_lo, exec_lo, s10
.LBB11_21:
	s_delay_alu instid0(SALU_CYCLE_1) | instskip(SKIP_4) | instid1(VALU_DEP_2)
	s_or_b32 exec_lo, exec_lo, s0
	v_ashrrev_i16 v12, 8, v12
	v_lshrrev_b16 v19, 8, v13
	s_mov_b32 s10, 0
	s_mov_b32 s0, exec_lo
	v_sub_nc_u16 v18, 0, v12
	s_delay_alu instid0(VALU_DEP_1)
	v_max_i16 v12, v12, v18
	v_cmpx_ne_u16_e32 0, v19
	s_cbranch_execz .LBB11_25
; %bb.22:
	v_ashrrev_i16 v13, 8, v13
	s_delay_alu instid0(VALU_DEP_1) | instskip(NEXT) | instid1(VALU_DEP_1)
	v_sub_nc_u16 v18, 0, v13
	v_max_i16 v18, v13, v18
	v_and_b32_e32 v13, 0xff, v12
	s_delay_alu instid0(VALU_DEP_2)
	v_and_b32_e32 v18, 0xffff, v18
.LBB11_23:                              ; =>This Inner Loop Header: Depth=1
	s_delay_alu instid0(VALU_DEP_2) | instskip(NEXT) | instid1(VALU_DEP_2)
	v_bfe_i32 v20, v13, 0, 8
	v_mov_b32_e32 v12, v18
	s_delay_alu instid0(VALU_DEP_2) | instskip(NEXT) | instid1(VALU_DEP_2)
	v_cvt_f32_i32_e32 v22, v20
	v_bfe_i32 v18, v12, 0, 8
	s_delay_alu instid0(VALU_DEP_1) | instskip(SKIP_1) | instid1(VALU_DEP_2)
	v_cvt_f32_i32_e32 v19, v18
	v_xor_b32_e32 v18, v20, v18
	v_rcp_iflag_f32_e32 v21, v19
	v_nop
	s_delay_alu instid0(TRANS32_DEP_1) | instskip(NEXT) | instid1(VALU_DEP_1)
	v_dual_ashrrev_i32 v18, 30, v18 :: v_dual_mul_f32 v20, v22, v21
	v_trunc_f32_e32 v20, v20
	s_delay_alu instid0(VALU_DEP_1) | instskip(SKIP_1) | instid1(VALU_DEP_2)
	v_dual_fma_f32 v21, -v20, v19, v22 :: v_dual_bitop2_b32 v18, 1, v18 bitop3:0x54
	v_cvt_i32_f32_e32 v20, v20
	v_cmp_ge_f32_e64 vcc_lo, |v21|, |v19|
	s_delay_alu instid0(VALU_DEP_3) | instskip(NEXT) | instid1(VALU_DEP_1)
	v_cndmask_b32_e32 v18, 0, v18, vcc_lo
	v_add_nc_u32_e32 v18, v20, v18
	s_delay_alu instid0(VALU_DEP_1) | instskip(NEXT) | instid1(VALU_DEP_1)
	v_mul_lo_u32 v18, v18, v12
	v_sub_nc_u32_e32 v13, v13, v18
	s_delay_alu instid0(VALU_DEP_1) | instskip(SKIP_1) | instid1(VALU_DEP_2)
	v_bfe_i32 v18, v13, 0, 8
	v_mov_b32_e32 v13, v12
	v_cmp_eq_u16_e32 vcc_lo, 0, v18
	v_and_b32_e32 v18, 0xffff, v18
	s_or_b32 s10, vcc_lo, s10
	s_delay_alu instid0(SALU_CYCLE_1)
	s_and_not1_b32 exec_lo, exec_lo, s10
	s_cbranch_execnz .LBB11_23
; %bb.24:
	s_or_b32 exec_lo, exec_lo, s10
.LBB11_25:
	s_delay_alu instid0(SALU_CYCLE_1)
	s_or_b32 exec_lo, exec_lo, s0
	s_wait_loadcnt 0x4
	v_bfe_i32 v13, v16, 0, 8
	v_and_b32_e32 v19, 0xff, v17
	s_mov_b32 s10, 0
	s_mov_b32 s0, exec_lo
	s_delay_alu instid0(VALU_DEP_2) | instskip(NEXT) | instid1(VALU_DEP_1)
	v_sub_nc_u16 v18, 0, v13
	v_max_i16 v13, v13, v18
	v_cmpx_ne_u16_e32 0, v19
	s_cbranch_execz .LBB11_29
; %bb.26:
	v_bfe_i32 v18, v17, 0, 8
	s_delay_alu instid0(VALU_DEP_1) | instskip(NEXT) | instid1(VALU_DEP_1)
	v_sub_nc_u16 v19, 0, v18
	v_max_i16 v19, v18, v19
	v_and_b32_e32 v18, 0xff, v13
	s_delay_alu instid0(VALU_DEP_2)
	v_and_b32_e32 v19, 0xffff, v19
.LBB11_27:                              ; =>This Inner Loop Header: Depth=1
	s_delay_alu instid0(VALU_DEP_2) | instskip(NEXT) | instid1(VALU_DEP_2)
	v_bfe_i32 v21, v18, 0, 8
	v_mov_b32_e32 v13, v19
	s_delay_alu instid0(VALU_DEP_2) | instskip(NEXT) | instid1(VALU_DEP_2)
	v_cvt_f32_i32_e32 v23, v21
	v_bfe_i32 v19, v13, 0, 8
	s_delay_alu instid0(VALU_DEP_1) | instskip(SKIP_1) | instid1(VALU_DEP_2)
	v_cvt_f32_i32_e32 v20, v19
	v_xor_b32_e32 v19, v21, v19
	v_rcp_iflag_f32_e32 v22, v20
	v_nop
	s_delay_alu instid0(TRANS32_DEP_1) | instskip(NEXT) | instid1(VALU_DEP_1)
	v_dual_ashrrev_i32 v19, 30, v19 :: v_dual_mul_f32 v21, v23, v22
	v_trunc_f32_e32 v21, v21
	s_delay_alu instid0(VALU_DEP_1) | instskip(SKIP_1) | instid1(VALU_DEP_2)
	v_dual_fma_f32 v22, -v21, v20, v23 :: v_dual_bitop2_b32 v19, 1, v19 bitop3:0x54
	v_cvt_i32_f32_e32 v21, v21
	v_cmp_ge_f32_e64 vcc_lo, |v22|, |v20|
	s_delay_alu instid0(VALU_DEP_3) | instskip(NEXT) | instid1(VALU_DEP_1)
	v_cndmask_b32_e32 v19, 0, v19, vcc_lo
	v_add_nc_u32_e32 v19, v21, v19
	s_delay_alu instid0(VALU_DEP_1) | instskip(NEXT) | instid1(VALU_DEP_1)
	v_mul_lo_u32 v19, v19, v13
	v_sub_nc_u32_e32 v18, v18, v19
	s_delay_alu instid0(VALU_DEP_1) | instskip(SKIP_1) | instid1(VALU_DEP_2)
	v_bfe_i32 v19, v18, 0, 8
	v_mov_b32_e32 v18, v13
	v_cmp_eq_u16_e32 vcc_lo, 0, v19
	v_and_b32_e32 v19, 0xffff, v19
	s_or_b32 s10, vcc_lo, s10
	s_delay_alu instid0(SALU_CYCLE_1)
	s_and_not1_b32 exec_lo, exec_lo, s10
	s_cbranch_execnz .LBB11_27
; %bb.28:
	s_or_b32 exec_lo, exec_lo, s10
.LBB11_29:
	s_delay_alu instid0(SALU_CYCLE_1) | instskip(SKIP_4) | instid1(VALU_DEP_2)
	s_or_b32 exec_lo, exec_lo, s0
	v_ashrrev_i16 v16, 8, v16
	v_lshrrev_b16 v19, 8, v17
	s_mov_b32 s10, 0
	s_mov_b32 s0, exec_lo
	v_sub_nc_u16 v18, 0, v16
	s_delay_alu instid0(VALU_DEP_1)
	v_max_i16 v16, v16, v18
	v_cmpx_ne_u16_e32 0, v19
	s_cbranch_execz .LBB11_33
; %bb.30:
	v_ashrrev_i16 v17, 8, v17
	s_delay_alu instid0(VALU_DEP_1) | instskip(NEXT) | instid1(VALU_DEP_1)
	v_sub_nc_u16 v18, 0, v17
	v_max_i16 v18, v17, v18
	v_and_b32_e32 v17, 0xff, v16
	s_delay_alu instid0(VALU_DEP_2)
	v_and_b32_e32 v18, 0xffff, v18
.LBB11_31:                              ; =>This Inner Loop Header: Depth=1
	s_delay_alu instid0(VALU_DEP_2) | instskip(NEXT) | instid1(VALU_DEP_2)
	v_bfe_i32 v20, v17, 0, 8
	v_mov_b32_e32 v16, v18
	s_delay_alu instid0(VALU_DEP_2) | instskip(NEXT) | instid1(VALU_DEP_2)
	v_cvt_f32_i32_e32 v22, v20
	v_bfe_i32 v18, v16, 0, 8
	s_delay_alu instid0(VALU_DEP_1) | instskip(SKIP_1) | instid1(VALU_DEP_2)
	v_cvt_f32_i32_e32 v19, v18
	v_xor_b32_e32 v18, v20, v18
	v_rcp_iflag_f32_e32 v21, v19
	v_nop
	s_delay_alu instid0(TRANS32_DEP_1) | instskip(NEXT) | instid1(VALU_DEP_1)
	v_dual_ashrrev_i32 v18, 30, v18 :: v_dual_mul_f32 v20, v22, v21
	v_trunc_f32_e32 v20, v20
	s_delay_alu instid0(VALU_DEP_1) | instskip(SKIP_1) | instid1(VALU_DEP_2)
	v_dual_fma_f32 v21, -v20, v19, v22 :: v_dual_bitop2_b32 v18, 1, v18 bitop3:0x54
	v_cvt_i32_f32_e32 v20, v20
	v_cmp_ge_f32_e64 vcc_lo, |v21|, |v19|
	s_delay_alu instid0(VALU_DEP_3) | instskip(NEXT) | instid1(VALU_DEP_1)
	v_cndmask_b32_e32 v18, 0, v18, vcc_lo
	v_add_nc_u32_e32 v18, v20, v18
	s_delay_alu instid0(VALU_DEP_1) | instskip(NEXT) | instid1(VALU_DEP_1)
	v_mul_lo_u32 v18, v18, v16
	v_sub_nc_u32_e32 v17, v17, v18
	s_delay_alu instid0(VALU_DEP_1) | instskip(SKIP_1) | instid1(VALU_DEP_2)
	v_bfe_i32 v18, v17, 0, 8
	v_mov_b32_e32 v17, v16
	v_cmp_eq_u16_e32 vcc_lo, 0, v18
	v_and_b32_e32 v18, 0xffff, v18
	s_or_b32 s10, vcc_lo, s10
	s_delay_alu instid0(SALU_CYCLE_1)
	s_and_not1_b32 exec_lo, exec_lo, s10
	s_cbranch_execnz .LBB11_31
; %bb.32:
	s_or_b32 exec_lo, exec_lo, s10
.LBB11_33:
	s_delay_alu instid0(SALU_CYCLE_1)
	s_or_b32 exec_lo, exec_lo, s0
	s_wait_loadcnt 0x3
	v_bfe_i32 v17, v15, 0, 8
	v_and_b32_e32 v19, 0xff, v14
	s_mov_b32 s10, 0
	s_mov_b32 s0, exec_lo
	s_delay_alu instid0(VALU_DEP_2) | instskip(NEXT) | instid1(VALU_DEP_1)
	v_sub_nc_u16 v18, 0, v17
	v_max_i16 v17, v17, v18
	v_cmpx_ne_u16_e32 0, v19
	s_cbranch_execz .LBB11_37
; %bb.34:
	v_bfe_i32 v18, v14, 0, 8
	s_delay_alu instid0(VALU_DEP_1) | instskip(NEXT) | instid1(VALU_DEP_1)
	v_sub_nc_u16 v19, 0, v18
	v_max_i16 v19, v18, v19
	v_and_b32_e32 v18, 0xff, v17
	s_delay_alu instid0(VALU_DEP_2)
	v_and_b32_e32 v19, 0xffff, v19
.LBB11_35:                              ; =>This Inner Loop Header: Depth=1
	s_delay_alu instid0(VALU_DEP_2) | instskip(NEXT) | instid1(VALU_DEP_2)
	v_bfe_i32 v21, v18, 0, 8
	v_mov_b32_e32 v17, v19
	s_delay_alu instid0(VALU_DEP_2) | instskip(NEXT) | instid1(VALU_DEP_2)
	v_cvt_f32_i32_e32 v23, v21
	v_bfe_i32 v19, v17, 0, 8
	s_delay_alu instid0(VALU_DEP_1) | instskip(SKIP_1) | instid1(VALU_DEP_2)
	v_cvt_f32_i32_e32 v20, v19
	v_xor_b32_e32 v19, v21, v19
	v_rcp_iflag_f32_e32 v22, v20
	v_nop
	s_delay_alu instid0(TRANS32_DEP_1) | instskip(NEXT) | instid1(VALU_DEP_1)
	v_dual_ashrrev_i32 v19, 30, v19 :: v_dual_mul_f32 v21, v23, v22
	v_trunc_f32_e32 v21, v21
	s_delay_alu instid0(VALU_DEP_1) | instskip(SKIP_1) | instid1(VALU_DEP_2)
	v_dual_fma_f32 v22, -v21, v20, v23 :: v_dual_bitop2_b32 v19, 1, v19 bitop3:0x54
	v_cvt_i32_f32_e32 v21, v21
	v_cmp_ge_f32_e64 vcc_lo, |v22|, |v20|
	s_delay_alu instid0(VALU_DEP_3) | instskip(NEXT) | instid1(VALU_DEP_1)
	v_cndmask_b32_e32 v19, 0, v19, vcc_lo
	v_add_nc_u32_e32 v19, v21, v19
	s_delay_alu instid0(VALU_DEP_1) | instskip(NEXT) | instid1(VALU_DEP_1)
	v_mul_lo_u32 v19, v19, v17
	v_sub_nc_u32_e32 v18, v18, v19
	s_delay_alu instid0(VALU_DEP_1) | instskip(SKIP_1) | instid1(VALU_DEP_2)
	v_bfe_i32 v19, v18, 0, 8
	v_mov_b32_e32 v18, v17
	v_cmp_eq_u16_e32 vcc_lo, 0, v19
	v_and_b32_e32 v19, 0xffff, v19
	s_or_b32 s10, vcc_lo, s10
	s_delay_alu instid0(SALU_CYCLE_1)
	s_and_not1_b32 exec_lo, exec_lo, s10
	s_cbranch_execnz .LBB11_35
; %bb.36:
	s_or_b32 exec_lo, exec_lo, s10
.LBB11_37:
	s_delay_alu instid0(SALU_CYCLE_1) | instskip(SKIP_4) | instid1(VALU_DEP_2)
	s_or_b32 exec_lo, exec_lo, s0
	v_ashrrev_i16 v15, 8, v15
	v_lshrrev_b16 v19, 8, v14
	s_mov_b32 s10, 0
	s_mov_b32 s0, exec_lo
	v_sub_nc_u16 v18, 0, v15
	s_delay_alu instid0(VALU_DEP_1)
	v_max_i16 v15, v15, v18
	v_cmpx_ne_u16_e32 0, v19
	s_cbranch_execz .LBB11_41
; %bb.38:
	v_ashrrev_i16 v14, 8, v14
	s_delay_alu instid0(VALU_DEP_1) | instskip(NEXT) | instid1(VALU_DEP_1)
	v_sub_nc_u16 v18, 0, v14
	v_max_i16 v18, v14, v18
	v_and_b32_e32 v14, 0xff, v15
	s_delay_alu instid0(VALU_DEP_2)
	v_and_b32_e32 v18, 0xffff, v18
.LBB11_39:                              ; =>This Inner Loop Header: Depth=1
	s_delay_alu instid0(VALU_DEP_2) | instskip(NEXT) | instid1(VALU_DEP_2)
	v_bfe_i32 v20, v14, 0, 8
	v_mov_b32_e32 v15, v18
	s_delay_alu instid0(VALU_DEP_2) | instskip(NEXT) | instid1(VALU_DEP_2)
	v_cvt_f32_i32_e32 v22, v20
	v_bfe_i32 v18, v15, 0, 8
	s_delay_alu instid0(VALU_DEP_1) | instskip(SKIP_1) | instid1(VALU_DEP_2)
	v_cvt_f32_i32_e32 v19, v18
	v_xor_b32_e32 v18, v20, v18
	v_rcp_iflag_f32_e32 v21, v19
	v_nop
	s_delay_alu instid0(TRANS32_DEP_1) | instskip(NEXT) | instid1(VALU_DEP_1)
	v_dual_ashrrev_i32 v18, 30, v18 :: v_dual_mul_f32 v20, v22, v21
	v_trunc_f32_e32 v20, v20
	s_delay_alu instid0(VALU_DEP_1) | instskip(SKIP_1) | instid1(VALU_DEP_2)
	v_dual_fma_f32 v21, -v20, v19, v22 :: v_dual_bitop2_b32 v18, 1, v18 bitop3:0x54
	v_cvt_i32_f32_e32 v20, v20
	v_cmp_ge_f32_e64 vcc_lo, |v21|, |v19|
	s_delay_alu instid0(VALU_DEP_3) | instskip(NEXT) | instid1(VALU_DEP_1)
	v_cndmask_b32_e32 v18, 0, v18, vcc_lo
	v_add_nc_u32_e32 v18, v20, v18
	s_delay_alu instid0(VALU_DEP_1) | instskip(NEXT) | instid1(VALU_DEP_1)
	v_mul_lo_u32 v18, v18, v15
	v_sub_nc_u32_e32 v14, v14, v18
	s_delay_alu instid0(VALU_DEP_1) | instskip(SKIP_1) | instid1(VALU_DEP_2)
	v_bfe_i32 v18, v14, 0, 8
	v_mov_b32_e32 v14, v15
	v_cmp_eq_u16_e32 vcc_lo, 0, v18
	v_and_b32_e32 v18, 0xffff, v18
	s_or_b32 s10, vcc_lo, s10
	s_delay_alu instid0(SALU_CYCLE_1)
	s_and_not1_b32 exec_lo, exec_lo, s10
	s_cbranch_execnz .LBB11_39
; %bb.40:
	s_or_b32 exec_lo, exec_lo, s10
.LBB11_41:
	s_delay_alu instid0(SALU_CYCLE_1)
	s_or_b32 exec_lo, exec_lo, s0
	s_wait_loadcnt 0x2
	v_bfe_i32 v14, v11, 0, 8
	v_and_b32_e32 v19, 0xff, v10
	s_mov_b32 s10, 0
	s_mov_b32 s0, exec_lo
	s_delay_alu instid0(VALU_DEP_2) | instskip(NEXT) | instid1(VALU_DEP_1)
	v_sub_nc_u16 v18, 0, v14
	v_max_i16 v14, v14, v18
	v_cmpx_ne_u16_e32 0, v19
	s_cbranch_execz .LBB11_45
; %bb.42:
	v_bfe_i32 v18, v10, 0, 8
	s_delay_alu instid0(VALU_DEP_1) | instskip(NEXT) | instid1(VALU_DEP_1)
	v_sub_nc_u16 v19, 0, v18
	v_max_i16 v19, v18, v19
	v_and_b32_e32 v18, 0xff, v14
	s_delay_alu instid0(VALU_DEP_2)
	v_and_b32_e32 v19, 0xffff, v19
.LBB11_43:                              ; =>This Inner Loop Header: Depth=1
	s_delay_alu instid0(VALU_DEP_2) | instskip(NEXT) | instid1(VALU_DEP_2)
	v_bfe_i32 v21, v18, 0, 8
	v_mov_b32_e32 v14, v19
	s_delay_alu instid0(VALU_DEP_2) | instskip(NEXT) | instid1(VALU_DEP_2)
	v_cvt_f32_i32_e32 v23, v21
	v_bfe_i32 v19, v14, 0, 8
	s_delay_alu instid0(VALU_DEP_1) | instskip(SKIP_1) | instid1(VALU_DEP_2)
	v_cvt_f32_i32_e32 v20, v19
	v_xor_b32_e32 v19, v21, v19
	v_rcp_iflag_f32_e32 v22, v20
	v_nop
	s_delay_alu instid0(TRANS32_DEP_1) | instskip(NEXT) | instid1(VALU_DEP_1)
	v_dual_ashrrev_i32 v19, 30, v19 :: v_dual_mul_f32 v21, v23, v22
	v_trunc_f32_e32 v21, v21
	s_delay_alu instid0(VALU_DEP_1) | instskip(SKIP_1) | instid1(VALU_DEP_2)
	v_dual_fma_f32 v22, -v21, v20, v23 :: v_dual_bitop2_b32 v19, 1, v19 bitop3:0x54
	v_cvt_i32_f32_e32 v21, v21
	v_cmp_ge_f32_e64 vcc_lo, |v22|, |v20|
	s_delay_alu instid0(VALU_DEP_3) | instskip(NEXT) | instid1(VALU_DEP_1)
	v_cndmask_b32_e32 v19, 0, v19, vcc_lo
	v_add_nc_u32_e32 v19, v21, v19
	s_delay_alu instid0(VALU_DEP_1) | instskip(NEXT) | instid1(VALU_DEP_1)
	v_mul_lo_u32 v19, v19, v14
	v_sub_nc_u32_e32 v18, v18, v19
	s_delay_alu instid0(VALU_DEP_1) | instskip(SKIP_1) | instid1(VALU_DEP_2)
	v_bfe_i32 v19, v18, 0, 8
	v_mov_b32_e32 v18, v14
	v_cmp_eq_u16_e32 vcc_lo, 0, v19
	v_and_b32_e32 v19, 0xffff, v19
	s_or_b32 s10, vcc_lo, s10
	s_delay_alu instid0(SALU_CYCLE_1)
	s_and_not1_b32 exec_lo, exec_lo, s10
	s_cbranch_execnz .LBB11_43
; %bb.44:
	s_or_b32 exec_lo, exec_lo, s10
.LBB11_45:
	s_delay_alu instid0(SALU_CYCLE_1) | instskip(SKIP_4) | instid1(VALU_DEP_2)
	s_or_b32 exec_lo, exec_lo, s0
	v_ashrrev_i16 v11, 8, v11
	v_lshrrev_b16 v19, 8, v10
	s_mov_b32 s10, 0
	s_mov_b32 s0, exec_lo
	v_sub_nc_u16 v18, 0, v11
	s_delay_alu instid0(VALU_DEP_1)
	v_max_i16 v11, v11, v18
	v_cmpx_ne_u16_e32 0, v19
	s_cbranch_execz .LBB11_49
; %bb.46:
	v_ashrrev_i16 v10, 8, v10
	s_delay_alu instid0(VALU_DEP_1) | instskip(NEXT) | instid1(VALU_DEP_1)
	v_sub_nc_u16 v18, 0, v10
	v_max_i16 v18, v10, v18
	v_and_b32_e32 v10, 0xff, v11
	s_delay_alu instid0(VALU_DEP_2)
	v_and_b32_e32 v18, 0xffff, v18
.LBB11_47:                              ; =>This Inner Loop Header: Depth=1
	s_delay_alu instid0(VALU_DEP_2) | instskip(NEXT) | instid1(VALU_DEP_2)
	v_bfe_i32 v20, v10, 0, 8
	v_mov_b32_e32 v11, v18
	s_delay_alu instid0(VALU_DEP_2) | instskip(NEXT) | instid1(VALU_DEP_2)
	v_cvt_f32_i32_e32 v22, v20
	v_bfe_i32 v18, v11, 0, 8
	s_delay_alu instid0(VALU_DEP_1) | instskip(SKIP_1) | instid1(VALU_DEP_2)
	v_cvt_f32_i32_e32 v19, v18
	v_xor_b32_e32 v18, v20, v18
	v_rcp_iflag_f32_e32 v21, v19
	v_nop
	s_delay_alu instid0(TRANS32_DEP_1) | instskip(NEXT) | instid1(VALU_DEP_1)
	v_dual_ashrrev_i32 v18, 30, v18 :: v_dual_mul_f32 v20, v22, v21
	v_trunc_f32_e32 v20, v20
	s_delay_alu instid0(VALU_DEP_1) | instskip(SKIP_1) | instid1(VALU_DEP_2)
	v_dual_fma_f32 v21, -v20, v19, v22 :: v_dual_bitop2_b32 v18, 1, v18 bitop3:0x54
	v_cvt_i32_f32_e32 v20, v20
	v_cmp_ge_f32_e64 vcc_lo, |v21|, |v19|
	s_delay_alu instid0(VALU_DEP_3) | instskip(NEXT) | instid1(VALU_DEP_1)
	v_cndmask_b32_e32 v18, 0, v18, vcc_lo
	v_add_nc_u32_e32 v18, v20, v18
	s_delay_alu instid0(VALU_DEP_1) | instskip(NEXT) | instid1(VALU_DEP_1)
	v_mul_lo_u32 v18, v18, v11
	v_sub_nc_u32_e32 v10, v10, v18
	s_delay_alu instid0(VALU_DEP_1) | instskip(SKIP_1) | instid1(VALU_DEP_2)
	v_bfe_i32 v18, v10, 0, 8
	v_mov_b32_e32 v10, v11
	v_cmp_eq_u16_e32 vcc_lo, 0, v18
	v_and_b32_e32 v18, 0xffff, v18
	s_or_b32 s10, vcc_lo, s10
	s_delay_alu instid0(SALU_CYCLE_1)
	s_and_not1_b32 exec_lo, exec_lo, s10
	s_cbranch_execnz .LBB11_47
; %bb.48:
	s_or_b32 exec_lo, exec_lo, s10
.LBB11_49:
	s_delay_alu instid0(SALU_CYCLE_1)
	s_or_b32 exec_lo, exec_lo, s0
	s_wait_loadcnt 0x1
	v_bfe_i32 v10, v7, 0, 8
	v_and_b32_e32 v19, 0xff, v6
	s_mov_b32 s10, 0
	s_mov_b32 s0, exec_lo
	s_delay_alu instid0(VALU_DEP_2) | instskip(NEXT) | instid1(VALU_DEP_1)
	v_sub_nc_u16 v18, 0, v10
	v_max_i16 v10, v10, v18
	v_cmpx_ne_u16_e32 0, v19
	s_cbranch_execz .LBB11_53
; %bb.50:
	v_bfe_i32 v18, v6, 0, 8
	s_delay_alu instid0(VALU_DEP_1) | instskip(NEXT) | instid1(VALU_DEP_1)
	v_sub_nc_u16 v19, 0, v18
	v_max_i16 v19, v18, v19
	v_and_b32_e32 v18, 0xff, v10
	s_delay_alu instid0(VALU_DEP_2)
	v_and_b32_e32 v19, 0xffff, v19
.LBB11_51:                              ; =>This Inner Loop Header: Depth=1
	s_delay_alu instid0(VALU_DEP_2) | instskip(NEXT) | instid1(VALU_DEP_2)
	v_bfe_i32 v21, v18, 0, 8
	v_mov_b32_e32 v10, v19
	s_delay_alu instid0(VALU_DEP_2) | instskip(NEXT) | instid1(VALU_DEP_2)
	v_cvt_f32_i32_e32 v23, v21
	v_bfe_i32 v19, v10, 0, 8
	s_delay_alu instid0(VALU_DEP_1) | instskip(SKIP_1) | instid1(VALU_DEP_2)
	v_cvt_f32_i32_e32 v20, v19
	v_xor_b32_e32 v19, v21, v19
	v_rcp_iflag_f32_e32 v22, v20
	v_nop
	s_delay_alu instid0(TRANS32_DEP_1) | instskip(NEXT) | instid1(VALU_DEP_1)
	v_dual_ashrrev_i32 v19, 30, v19 :: v_dual_mul_f32 v21, v23, v22
	v_trunc_f32_e32 v21, v21
	s_delay_alu instid0(VALU_DEP_1) | instskip(SKIP_1) | instid1(VALU_DEP_2)
	v_dual_fma_f32 v22, -v21, v20, v23 :: v_dual_bitop2_b32 v19, 1, v19 bitop3:0x54
	v_cvt_i32_f32_e32 v21, v21
	v_cmp_ge_f32_e64 vcc_lo, |v22|, |v20|
	s_delay_alu instid0(VALU_DEP_3) | instskip(NEXT) | instid1(VALU_DEP_1)
	v_cndmask_b32_e32 v19, 0, v19, vcc_lo
	v_add_nc_u32_e32 v19, v21, v19
	s_delay_alu instid0(VALU_DEP_1) | instskip(NEXT) | instid1(VALU_DEP_1)
	v_mul_lo_u32 v19, v19, v10
	v_sub_nc_u32_e32 v18, v18, v19
	s_delay_alu instid0(VALU_DEP_1) | instskip(SKIP_1) | instid1(VALU_DEP_2)
	v_bfe_i32 v19, v18, 0, 8
	v_mov_b32_e32 v18, v10
	v_cmp_eq_u16_e32 vcc_lo, 0, v19
	v_and_b32_e32 v19, 0xffff, v19
	s_or_b32 s10, vcc_lo, s10
	s_delay_alu instid0(SALU_CYCLE_1)
	s_and_not1_b32 exec_lo, exec_lo, s10
	s_cbranch_execnz .LBB11_51
; %bb.52:
	s_or_b32 exec_lo, exec_lo, s10
.LBB11_53:
	s_delay_alu instid0(SALU_CYCLE_1) | instskip(SKIP_4) | instid1(VALU_DEP_2)
	s_or_b32 exec_lo, exec_lo, s0
	v_ashrrev_i16 v7, 8, v7
	v_lshrrev_b16 v19, 8, v6
	s_mov_b32 s10, 0
	s_mov_b32 s0, exec_lo
	v_sub_nc_u16 v18, 0, v7
	s_delay_alu instid0(VALU_DEP_1)
	v_max_i16 v7, v7, v18
	v_cmpx_ne_u16_e32 0, v19
	s_cbranch_execz .LBB11_57
; %bb.54:
	v_ashrrev_i16 v6, 8, v6
	s_delay_alu instid0(VALU_DEP_1) | instskip(NEXT) | instid1(VALU_DEP_1)
	v_sub_nc_u16 v18, 0, v6
	v_max_i16 v18, v6, v18
	v_and_b32_e32 v6, 0xff, v7
	s_delay_alu instid0(VALU_DEP_2)
	v_and_b32_e32 v18, 0xffff, v18
.LBB11_55:                              ; =>This Inner Loop Header: Depth=1
	s_delay_alu instid0(VALU_DEP_2) | instskip(NEXT) | instid1(VALU_DEP_2)
	v_bfe_i32 v20, v6, 0, 8
	v_mov_b32_e32 v7, v18
	s_delay_alu instid0(VALU_DEP_2) | instskip(NEXT) | instid1(VALU_DEP_2)
	v_cvt_f32_i32_e32 v22, v20
	v_bfe_i32 v18, v7, 0, 8
	s_delay_alu instid0(VALU_DEP_1) | instskip(SKIP_1) | instid1(VALU_DEP_2)
	v_cvt_f32_i32_e32 v19, v18
	v_xor_b32_e32 v18, v20, v18
	v_rcp_iflag_f32_e32 v21, v19
	v_nop
	s_delay_alu instid0(TRANS32_DEP_1) | instskip(NEXT) | instid1(VALU_DEP_1)
	v_dual_ashrrev_i32 v18, 30, v18 :: v_dual_mul_f32 v20, v22, v21
	v_trunc_f32_e32 v20, v20
	s_delay_alu instid0(VALU_DEP_1) | instskip(SKIP_1) | instid1(VALU_DEP_2)
	v_dual_fma_f32 v21, -v20, v19, v22 :: v_dual_bitop2_b32 v18, 1, v18 bitop3:0x54
	v_cvt_i32_f32_e32 v20, v20
	v_cmp_ge_f32_e64 vcc_lo, |v21|, |v19|
	s_delay_alu instid0(VALU_DEP_3) | instskip(NEXT) | instid1(VALU_DEP_1)
	v_cndmask_b32_e32 v18, 0, v18, vcc_lo
	v_add_nc_u32_e32 v18, v20, v18
	s_delay_alu instid0(VALU_DEP_1) | instskip(NEXT) | instid1(VALU_DEP_1)
	v_mul_lo_u32 v18, v18, v7
	v_sub_nc_u32_e32 v6, v6, v18
	s_delay_alu instid0(VALU_DEP_1) | instskip(SKIP_1) | instid1(VALU_DEP_2)
	v_bfe_i32 v18, v6, 0, 8
	v_mov_b32_e32 v6, v7
	v_cmp_eq_u16_e32 vcc_lo, 0, v18
	v_and_b32_e32 v18, 0xffff, v18
	s_or_b32 s10, vcc_lo, s10
	s_delay_alu instid0(SALU_CYCLE_1)
	s_and_not1_b32 exec_lo, exec_lo, s10
	s_cbranch_execnz .LBB11_55
; %bb.56:
	s_or_b32 exec_lo, exec_lo, s10
.LBB11_57:
	s_delay_alu instid0(SALU_CYCLE_1)
	s_or_b32 exec_lo, exec_lo, s0
	s_wait_loadcnt 0x0
	v_bfe_i32 v6, v3, 0, 8
	v_and_b32_e32 v19, 0xff, v2
	s_mov_b32 s10, 0
	s_mov_b32 s0, exec_lo
	s_delay_alu instid0(VALU_DEP_2) | instskip(NEXT) | instid1(VALU_DEP_1)
	v_sub_nc_u16 v18, 0, v6
	v_max_i16 v6, v6, v18
	v_cmpx_ne_u16_e32 0, v19
	s_cbranch_execz .LBB11_61
; %bb.58:
	v_bfe_i32 v18, v2, 0, 8
	s_delay_alu instid0(VALU_DEP_1) | instskip(NEXT) | instid1(VALU_DEP_1)
	v_sub_nc_u16 v19, 0, v18
	v_max_i16 v19, v18, v19
	v_and_b32_e32 v18, 0xff, v6
	s_delay_alu instid0(VALU_DEP_2)
	v_and_b32_e32 v19, 0xffff, v19
.LBB11_59:                              ; =>This Inner Loop Header: Depth=1
	s_delay_alu instid0(VALU_DEP_2) | instskip(NEXT) | instid1(VALU_DEP_2)
	v_bfe_i32 v21, v18, 0, 8
	v_mov_b32_e32 v6, v19
	s_delay_alu instid0(VALU_DEP_2) | instskip(NEXT) | instid1(VALU_DEP_2)
	v_cvt_f32_i32_e32 v23, v21
	v_bfe_i32 v19, v6, 0, 8
	s_delay_alu instid0(VALU_DEP_1) | instskip(SKIP_1) | instid1(VALU_DEP_2)
	v_cvt_f32_i32_e32 v20, v19
	v_xor_b32_e32 v19, v21, v19
	v_rcp_iflag_f32_e32 v22, v20
	v_nop
	s_delay_alu instid0(TRANS32_DEP_1) | instskip(NEXT) | instid1(VALU_DEP_1)
	v_dual_ashrrev_i32 v19, 30, v19 :: v_dual_mul_f32 v21, v23, v22
	v_trunc_f32_e32 v21, v21
	s_delay_alu instid0(VALU_DEP_1) | instskip(SKIP_1) | instid1(VALU_DEP_2)
	v_dual_fma_f32 v22, -v21, v20, v23 :: v_dual_bitop2_b32 v19, 1, v19 bitop3:0x54
	v_cvt_i32_f32_e32 v21, v21
	v_cmp_ge_f32_e64 vcc_lo, |v22|, |v20|
	s_delay_alu instid0(VALU_DEP_3) | instskip(NEXT) | instid1(VALU_DEP_1)
	v_cndmask_b32_e32 v19, 0, v19, vcc_lo
	v_add_nc_u32_e32 v19, v21, v19
	s_delay_alu instid0(VALU_DEP_1) | instskip(NEXT) | instid1(VALU_DEP_1)
	v_mul_lo_u32 v19, v19, v6
	v_sub_nc_u32_e32 v18, v18, v19
	s_delay_alu instid0(VALU_DEP_1) | instskip(SKIP_1) | instid1(VALU_DEP_2)
	v_bfe_i32 v19, v18, 0, 8
	v_mov_b32_e32 v18, v6
	v_cmp_eq_u16_e32 vcc_lo, 0, v19
	v_and_b32_e32 v19, 0xffff, v19
	s_or_b32 s10, vcc_lo, s10
	s_delay_alu instid0(SALU_CYCLE_1)
	s_and_not1_b32 exec_lo, exec_lo, s10
	s_cbranch_execnz .LBB11_59
; %bb.60:
	s_or_b32 exec_lo, exec_lo, s10
.LBB11_61:
	s_delay_alu instid0(SALU_CYCLE_1) | instskip(SKIP_4) | instid1(VALU_DEP_2)
	s_or_b32 exec_lo, exec_lo, s0
	v_ashrrev_i16 v3, 8, v3
	v_lshrrev_b16 v19, 8, v2
	s_mov_b32 s10, 0
	s_mov_b32 s0, exec_lo
	v_sub_nc_u16 v18, 0, v3
	s_delay_alu instid0(VALU_DEP_1)
	v_max_i16 v3, v3, v18
	v_cmpx_ne_u16_e32 0, v19
	s_cbranch_execz .LBB11_65
; %bb.62:
	v_ashrrev_i16 v2, 8, v2
	s_delay_alu instid0(VALU_DEP_1) | instskip(NEXT) | instid1(VALU_DEP_1)
	v_sub_nc_u16 v18, 0, v2
	v_max_i16 v18, v2, v18
	v_and_b32_e32 v2, 0xff, v3
	s_delay_alu instid0(VALU_DEP_2)
	v_and_b32_e32 v18, 0xffff, v18
.LBB11_63:                              ; =>This Inner Loop Header: Depth=1
	s_delay_alu instid0(VALU_DEP_2) | instskip(NEXT) | instid1(VALU_DEP_2)
	v_bfe_i32 v20, v2, 0, 8
	v_mov_b32_e32 v3, v18
	s_delay_alu instid0(VALU_DEP_2) | instskip(NEXT) | instid1(VALU_DEP_2)
	v_cvt_f32_i32_e32 v22, v20
	v_bfe_i32 v18, v3, 0, 8
	s_delay_alu instid0(VALU_DEP_1) | instskip(SKIP_1) | instid1(VALU_DEP_2)
	v_cvt_f32_i32_e32 v19, v18
	v_xor_b32_e32 v18, v20, v18
	v_rcp_iflag_f32_e32 v21, v19
	v_nop
	s_delay_alu instid0(TRANS32_DEP_1) | instskip(NEXT) | instid1(VALU_DEP_1)
	v_dual_ashrrev_i32 v18, 30, v18 :: v_dual_mul_f32 v20, v22, v21
	v_trunc_f32_e32 v20, v20
	s_delay_alu instid0(VALU_DEP_1) | instskip(SKIP_1) | instid1(VALU_DEP_2)
	v_dual_fma_f32 v21, -v20, v19, v22 :: v_dual_bitop2_b32 v18, 1, v18 bitop3:0x54
	v_cvt_i32_f32_e32 v20, v20
	v_cmp_ge_f32_e64 vcc_lo, |v21|, |v19|
	s_delay_alu instid0(VALU_DEP_3) | instskip(NEXT) | instid1(VALU_DEP_1)
	v_cndmask_b32_e32 v18, 0, v18, vcc_lo
	v_add_nc_u32_e32 v18, v20, v18
	s_delay_alu instid0(VALU_DEP_1) | instskip(NEXT) | instid1(VALU_DEP_1)
	v_mul_lo_u32 v18, v18, v3
	v_sub_nc_u32_e32 v2, v2, v18
	s_delay_alu instid0(VALU_DEP_1) | instskip(SKIP_1) | instid1(VALU_DEP_2)
	v_bfe_i32 v18, v2, 0, 8
	v_mov_b32_e32 v2, v3
	v_cmp_eq_u16_e32 vcc_lo, 0, v18
	v_and_b32_e32 v18, 0xffff, v18
	s_or_b32 s10, vcc_lo, s10
	s_delay_alu instid0(SALU_CYCLE_1)
	s_and_not1_b32 exec_lo, exec_lo, s10
	s_cbranch_execnz .LBB11_63
; %bb.64:
	s_or_b32 exec_lo, exec_lo, s10
.LBB11_65:
	s_delay_alu instid0(SALU_CYCLE_1)
	s_or_b32 exec_lo, exec_lo, s0
	v_perm_b32 v1, v1, v4, 0xc0c0004
	v_perm_b32 v4, v5, v8, 0xc0c0004
	;; [unrolled: 1-line block ×6, first 2 shown]
	s_add_nc_u64 s[10:11], s[4:5], s[2:3]
	s_mov_b32 s0, 0
	v_perm_b32 v7, v17, v15, 0xc0c0004
	v_perm_b32 v6, v14, v11, 0xc0c0004
	s_clause 0x7
	global_store_b16 v0, v1, s[10:11] scale_offset
	global_store_b16 v0, v4, s[10:11] offset:512 scale_offset
	global_store_b16 v0, v5, s[10:11] offset:1024 scale_offset
	;; [unrolled: 1-line block ×7, first 2 shown]
.LBB11_66:
	s_and_b32 vcc_lo, exec_lo, s0
	s_cbranch_vccz .LBB11_207
; %bb.67:
	v_cmp_gt_i32_e32 vcc_lo, s1, v0
	s_wait_xcnt 0x0
	v_dual_mov_b32 v2, 0 :: v_dual_bitop2_b32 v10, s2, v0 bitop3:0x54
	v_or_b32_e32 v11, 0x100, v0
	v_dual_mov_b32 v13, 0 :: v_dual_mov_b32 v12, 0
	v_dual_mov_b32 v14, 0 :: v_dual_mov_b32 v15, 0
	;; [unrolled: 1-line block ×16, first 2 shown]
	s_and_saveexec_b32 s3, vcc_lo
	s_cbranch_execz .LBB11_99
; %bb.68:
	s_clause 0x1
	global_load_u8 v40, v10, s[6:7]
	global_load_u8 v41, v10, s[8:9]
	v_or_b32_e32 v1, 0x100, v0
	v_dual_mov_b32 v39, 0 :: v_dual_mov_b32 v38, 0
	v_dual_mov_b32 v5, 0 :: v_dual_mov_b32 v37, 0
	s_delay_alu instid0(VALU_DEP_3)
	v_cmp_gt_u32_e64 s0, s1, v1
	v_dual_mov_b32 v6, 0 :: v_dual_mov_b32 v36, 0
	v_dual_mov_b32 v35, 0 :: v_dual_mov_b32 v34, 0
	;; [unrolled: 1-line block ×13, first 2 shown]
	s_wait_xcnt 0x0
	s_and_saveexec_b32 s10, s0
	s_cbranch_execz .LBB11_98
; %bb.69:
	v_dual_mov_b32 v5, 0 :: v_dual_add_nc_u32 v4, s2, v0
	v_or_b32_e32 v1, 0x200, v0
	v_dual_mov_b32 v37, 0 :: v_dual_mov_b32 v6, 0
	s_clause 0x1
	global_load_u8 v38, v4, s[6:7] offset:256
	global_load_u8 v39, v4, s[8:9] offset:256
	v_dual_mov_b32 v36, 0 :: v_dual_mov_b32 v35, 0
	v_cmp_gt_u32_e64 s0, s1, v1
	v_dual_mov_b32 v34, 0 :: v_dual_mov_b32 v33, 0
	v_dual_mov_b32 v32, 0 :: v_dual_mov_b32 v31, 0
	;; [unrolled: 1-line block ×11, first 2 shown]
	v_mov_b32_e32 v13, 0
	s_wait_xcnt 0x0
	s_and_saveexec_b32 s11, s0
	s_cbranch_execz .LBB11_97
; %bb.70:
	v_add_nc_u64_e32 v[6:7], s[6:7], v[4:5]
	v_add_nc_u64_e32 v[8:9], s[8:9], v[4:5]
	v_or_b32_e32 v3, 0x300, v0
	v_dual_mov_b32 v36, 0 :: v_dual_mov_b32 v35, 0
	v_dual_mov_b32 v34, 0 :: v_dual_mov_b32 v33, 0
	global_load_u8 v37, v[6:7], off offset:512
	global_load_u8 v1, v[8:9], off offset:512
	v_cmp_gt_u32_e64 s0, s1, v3
	v_dual_mov_b32 v32, 0 :: v_dual_mov_b32 v31, 0
	v_dual_mov_b32 v30, 0 :: v_dual_mov_b32 v29, 0
	v_dual_mov_b32 v28, 0 :: v_dual_mov_b32 v27, 0
	v_dual_mov_b32 v26, 0 :: v_dual_mov_b32 v25, 0
	v_dual_mov_b32 v24, 0 :: v_dual_mov_b32 v23, 0
	v_dual_mov_b32 v22, 0 :: v_dual_mov_b32 v21, 0
	v_dual_mov_b32 v20, 0 :: v_dual_mov_b32 v19, 0
	v_dual_mov_b32 v18, 0 :: v_dual_mov_b32 v17, 0
	v_dual_mov_b32 v16, 0 :: v_dual_mov_b32 v15, 0
	v_dual_mov_b32 v14, 0 :: v_dual_mov_b32 v12, 0
	v_mov_b32_e32 v13, 0
	s_wait_xcnt 0x0
	s_and_saveexec_b32 s6, s0
	s_cbranch_execz .LBB11_96
; %bb.71:
	global_load_u8 v36, v[6:7], off offset:768
	global_load_u8 v5, v[8:9], off offset:768
	v_or_b32_e32 v3, 0x400, v0
	v_dual_mov_b32 v35, 0 :: v_dual_mov_b32 v34, 0
	v_dual_mov_b32 v33, 0 :: v_dual_mov_b32 v32, 0
	s_delay_alu instid0(VALU_DEP_3)
	v_cmp_gt_u32_e64 s0, s1, v3
	v_dual_mov_b32 v31, 0 :: v_dual_mov_b32 v30, 0
	v_dual_mov_b32 v29, 0 :: v_dual_mov_b32 v28, 0
	v_dual_mov_b32 v27, 0 :: v_dual_mov_b32 v26, 0
	v_dual_mov_b32 v25, 0 :: v_dual_mov_b32 v24, 0
	v_dual_mov_b32 v23, 0 :: v_dual_mov_b32 v22, 0
	v_dual_mov_b32 v21, 0 :: v_dual_mov_b32 v20, 0
	v_dual_mov_b32 v19, 0 :: v_dual_mov_b32 v18, 0
	v_dual_mov_b32 v17, 0 :: v_dual_mov_b32 v16, 0
	v_dual_mov_b32 v15, 0 :: v_dual_mov_b32 v14, 0
	v_dual_mov_b32 v12, 0 :: v_dual_mov_b32 v13, 0
	s_wait_xcnt 0x0
	s_and_saveexec_b32 s7, s0
	s_cbranch_execz .LBB11_95
; %bb.72:
	global_load_u8 v34, v[6:7], off offset:1024
	global_load_u8 v35, v[8:9], off offset:1024
	v_or_b32_e32 v3, 0x500, v0
	v_dual_mov_b32 v33, 0 :: v_dual_mov_b32 v32, 0
	v_dual_mov_b32 v31, 0 :: v_dual_mov_b32 v30, 0
	s_delay_alu instid0(VALU_DEP_3)
	v_cmp_gt_u32_e64 s0, s1, v3
	v_dual_mov_b32 v29, 0 :: v_dual_mov_b32 v28, 0
	v_dual_mov_b32 v27, 0 :: v_dual_mov_b32 v26, 0
	;; [unrolled: 1-line block ×9, first 2 shown]
	s_wait_xcnt 0x0
	s_and_saveexec_b32 s8, s0
	s_cbranch_execz .LBB11_94
; %bb.73:
	global_load_u8 v32, v[6:7], off offset:1280
	global_load_u8 v33, v[8:9], off offset:1280
	v_or_b32_e32 v3, 0x600, v0
	v_dual_mov_b32 v31, 0 :: v_dual_mov_b32 v30, 0
	v_dual_mov_b32 v29, 0 :: v_dual_mov_b32 v28, 0
	s_delay_alu instid0(VALU_DEP_3)
	v_cmp_gt_u32_e64 s0, s1, v3
	v_dual_mov_b32 v27, 0 :: v_dual_mov_b32 v26, 0
	v_dual_mov_b32 v25, 0 :: v_dual_mov_b32 v24, 0
	;; [unrolled: 1-line block ×8, first 2 shown]
	s_wait_xcnt 0x0
	s_and_saveexec_b32 s9, s0
	s_cbranch_execz .LBB11_93
; %bb.74:
	global_load_u8 v30, v[6:7], off offset:1536
	global_load_u8 v31, v[8:9], off offset:1536
	v_or_b32_e32 v3, 0x700, v0
	v_dual_mov_b32 v29, 0 :: v_dual_mov_b32 v28, 0
	v_dual_mov_b32 v27, 0 :: v_dual_mov_b32 v26, 0
	;; [unrolled: 1-line block ×9, first 2 shown]
	s_mov_b32 s12, exec_lo
	s_wait_xcnt 0x0
	v_cmpx_gt_u32_e64 s1, v3
	s_cbranch_execz .LBB11_92
; %bb.75:
	global_load_u8 v28, v[6:7], off offset:1792
	global_load_u8 v29, v[8:9], off offset:1792
	v_or_b32_e32 v3, 0x800, v0
	v_dual_mov_b32 v27, 0 :: v_dual_mov_b32 v26, 0
	v_dual_mov_b32 v25, 0 :: v_dual_mov_b32 v24, 0
	;; [unrolled: 1-line block ×8, first 2 shown]
	s_mov_b32 s13, exec_lo
	s_wait_xcnt 0x0
	v_cmpx_gt_u32_e64 s1, v3
	s_cbranch_execz .LBB11_91
; %bb.76:
	global_load_u8 v26, v[6:7], off offset:2048
	global_load_u8 v27, v[8:9], off offset:2048
	v_or_b32_e32 v3, 0x900, v0
	v_dual_mov_b32 v25, 0 :: v_dual_mov_b32 v24, 0
	v_dual_mov_b32 v23, 0 :: v_dual_mov_b32 v22, 0
	;; [unrolled: 1-line block ×7, first 2 shown]
	s_mov_b32 s14, exec_lo
	s_wait_xcnt 0x0
	v_cmpx_gt_u32_e64 s1, v3
	s_cbranch_execz .LBB11_90
; %bb.77:
	global_load_u8 v24, v[6:7], off offset:2304
	global_load_u8 v25, v[8:9], off offset:2304
	v_or_b32_e32 v3, 0xa00, v0
	v_dual_mov_b32 v23, 0 :: v_dual_mov_b32 v22, 0
	v_dual_mov_b32 v21, 0 :: v_dual_mov_b32 v20, 0
	v_dual_mov_b32 v19, 0 :: v_dual_mov_b32 v18, 0
	v_dual_mov_b32 v17, 0 :: v_dual_mov_b32 v16, 0
	v_dual_mov_b32 v15, 0 :: v_dual_mov_b32 v14, 0
	v_dual_mov_b32 v12, 0 :: v_dual_mov_b32 v13, 0
	s_mov_b32 s15, exec_lo
	s_wait_xcnt 0x0
	v_cmpx_gt_u32_e64 s1, v3
	s_cbranch_execz .LBB11_89
; %bb.78:
	global_load_u8 v22, v[6:7], off offset:2560
	global_load_u8 v23, v[8:9], off offset:2560
	v_or_b32_e32 v3, 0xb00, v0
	v_dual_mov_b32 v21, 0 :: v_dual_mov_b32 v20, 0
	v_dual_mov_b32 v19, 0 :: v_dual_mov_b32 v18, 0
	;; [unrolled: 1-line block ×5, first 2 shown]
	s_mov_b32 s16, exec_lo
	s_wait_xcnt 0x0
	v_cmpx_gt_u32_e64 s1, v3
	s_cbranch_execz .LBB11_88
; %bb.79:
	global_load_u8 v20, v[6:7], off offset:2816
	global_load_u8 v21, v[8:9], off offset:2816
	v_or_b32_e32 v3, 0xc00, v0
	v_dual_mov_b32 v19, 0 :: v_dual_mov_b32 v18, 0
	v_dual_mov_b32 v17, 0 :: v_dual_mov_b32 v16, 0
	;; [unrolled: 1-line block ×4, first 2 shown]
	s_mov_b32 s17, exec_lo
	s_wait_xcnt 0x0
	v_cmpx_gt_u32_e64 s1, v3
	s_cbranch_execz .LBB11_87
; %bb.80:
	global_load_u8 v18, v[6:7], off offset:3072
	global_load_u8 v19, v[8:9], off offset:3072
	v_or_b32_e32 v3, 0xd00, v0
	v_dual_mov_b32 v17, 0 :: v_dual_mov_b32 v16, 0
	v_dual_mov_b32 v15, 0 :: v_dual_mov_b32 v14, 0
	;; [unrolled: 1-line block ×3, first 2 shown]
	s_mov_b32 s18, exec_lo
	s_wait_xcnt 0x0
	v_cmpx_gt_u32_e64 s1, v3
	s_cbranch_execz .LBB11_86
; %bb.81:
	global_load_u8 v16, v[6:7], off offset:3328
	global_load_u8 v17, v[8:9], off offset:3328
	v_or_b32_e32 v3, 0xe00, v0
	v_dual_mov_b32 v15, 0 :: v_dual_mov_b32 v14, 0
	v_dual_mov_b32 v12, 0 :: v_dual_mov_b32 v13, 0
	s_mov_b32 s19, exec_lo
	s_wait_xcnt 0x0
	v_cmpx_gt_u32_e64 s1, v3
	s_cbranch_execz .LBB11_85
; %bb.82:
	global_load_u8 v14, v[6:7], off offset:3584
	global_load_u8 v15, v[8:9], off offset:3584
	v_or_b32_e32 v3, 0xf00, v0
	v_dual_mov_b32 v12, 0 :: v_dual_mov_b32 v13, 0
	s_mov_b32 s20, exec_lo
	s_wait_xcnt 0x0
	s_delay_alu instid0(VALU_DEP_2)
	v_cmpx_gt_u32_e64 s1, v3
	s_cbranch_execz .LBB11_84
; %bb.83:
	global_load_i8 v3, v[8:9], off offset:3840
	global_load_u8 v13, v[6:7], off offset:3840
	s_wait_loadcnt 0x1
	v_sub_nc_u16 v4, 0, v3
	s_delay_alu instid0(VALU_DEP_1)
	v_max_i16 v12, v3, v4
.LBB11_84:
	s_wait_xcnt 0x0
	s_or_b32 exec_lo, exec_lo, s20
.LBB11_85:
	s_delay_alu instid0(SALU_CYCLE_1)
	s_or_b32 exec_lo, exec_lo, s19
.LBB11_86:
	s_delay_alu instid0(SALU_CYCLE_1)
	s_or_b32 exec_lo, exec_lo, s18
.LBB11_87:
	s_delay_alu instid0(SALU_CYCLE_1)
	s_or_b32 exec_lo, exec_lo, s17
.LBB11_88:
	s_delay_alu instid0(SALU_CYCLE_1)
	s_or_b32 exec_lo, exec_lo, s16
.LBB11_89:
	s_delay_alu instid0(SALU_CYCLE_1)
	s_or_b32 exec_lo, exec_lo, s15
.LBB11_90:
	s_delay_alu instid0(SALU_CYCLE_1)
	s_or_b32 exec_lo, exec_lo, s14
.LBB11_91:
	s_delay_alu instid0(SALU_CYCLE_1)
	s_or_b32 exec_lo, exec_lo, s13
.LBB11_92:
	s_delay_alu instid0(SALU_CYCLE_1)
	s_or_b32 exec_lo, exec_lo, s12
.LBB11_93:
	s_delay_alu instid0(SALU_CYCLE_1)
	s_or_b32 exec_lo, exec_lo, s9
.LBB11_94:
	s_delay_alu instid0(SALU_CYCLE_1)
	s_or_b32 exec_lo, exec_lo, s8
.LBB11_95:
	s_delay_alu instid0(SALU_CYCLE_1)
	s_or_b32 exec_lo, exec_lo, s7
.LBB11_96:
	s_delay_alu instid0(SALU_CYCLE_1)
	s_or_b32 exec_lo, exec_lo, s6
	s_wait_loadcnt 0x0
	v_dual_mov_b32 v6, v5 :: v_dual_mov_b32 v5, v1
.LBB11_97:
	s_or_b32 exec_lo, exec_lo, s11
.LBB11_98:
	s_delay_alu instid0(SALU_CYCLE_1)
	s_or_b32 exec_lo, exec_lo, s10
.LBB11_99:
	s_delay_alu instid0(SALU_CYCLE_1)
	s_or_b32 exec_lo, exec_lo, s3
	v_dual_mov_b32 v1, v2 :: v_dual_mov_b32 v4, v2
	v_mov_b32_e32 v3, v2
	s_and_saveexec_b32 s3, vcc_lo
	s_cbranch_execz .LBB11_105
; %bb.100:
	s_wait_loadcnt 0x0
	v_bfe_i32 v1, v41, 0, 8
	v_and_b32_e32 v3, 0xff, v40
	s_mov_b32 s6, exec_lo
	s_delay_alu instid0(VALU_DEP_2) | instskip(NEXT) | instid1(VALU_DEP_1)
	v_sub_nc_u16 v2, 0, v1
	v_max_i16 v1, v1, v2
	s_delay_alu instid0(VALU_DEP_3)
	v_cmpx_ne_u16_e32 0, v3
	s_cbranch_execz .LBB11_104
; %bb.101:
	v_bfe_i32 v2, v40, 0, 8
	s_mov_b32 s7, 0
	s_delay_alu instid0(VALU_DEP_1) | instskip(NEXT) | instid1(VALU_DEP_1)
	v_sub_nc_u16 v3, 0, v2
	v_max_i16 v3, v2, v3
	v_and_b32_e32 v2, 0xff, v1
	s_delay_alu instid0(VALU_DEP_2)
	v_and_b32_e32 v3, 0xffff, v3
.LBB11_102:                             ; =>This Inner Loop Header: Depth=1
	s_delay_alu instid0(VALU_DEP_2) | instskip(NEXT) | instid1(VALU_DEP_1)
	v_bfe_i32 v7, v2, 0, 8
	v_cvt_f32_i32_e32 v9, v7
	s_delay_alu instid0(VALU_DEP_3) | instskip(NEXT) | instid1(VALU_DEP_1)
	v_mov_b32_e32 v1, v3
	v_bfe_i32 v3, v1, 0, 8
	s_delay_alu instid0(VALU_DEP_1) | instskip(SKIP_1) | instid1(VALU_DEP_2)
	v_cvt_f32_i32_e32 v4, v3
	v_xor_b32_e32 v3, v7, v3
	v_rcp_iflag_f32_e32 v8, v4
	v_nop
	s_delay_alu instid0(TRANS32_DEP_1) | instskip(NEXT) | instid1(VALU_DEP_1)
	v_mul_f32_e32 v7, v9, v8
	v_trunc_f32_e32 v7, v7
	s_delay_alu instid0(VALU_DEP_1) | instskip(SKIP_1) | instid1(VALU_DEP_2)
	v_dual_fma_f32 v8, -v7, v4, v9 :: v_dual_ashrrev_i32 v3, 30, v3
	v_cvt_i32_f32_e32 v7, v7
	v_cmp_ge_f32_e64 s0, |v8|, |v4|
	s_delay_alu instid0(VALU_DEP_3) | instskip(NEXT) | instid1(VALU_DEP_1)
	v_or_b32_e32 v3, 1, v3
	v_cndmask_b32_e64 v3, 0, v3, s0
	s_delay_alu instid0(VALU_DEP_1) | instskip(NEXT) | instid1(VALU_DEP_1)
	v_add_nc_u32_e32 v3, v7, v3
	v_mul_lo_u32 v3, v3, v1
	s_delay_alu instid0(VALU_DEP_1) | instskip(NEXT) | instid1(VALU_DEP_1)
	v_sub_nc_u32_e32 v2, v2, v3
	v_bfe_i32 v3, v2, 0, 8
	v_mov_b32_e32 v2, v1
	s_delay_alu instid0(VALU_DEP_2) | instskip(SKIP_2) | instid1(SALU_CYCLE_1)
	v_cmp_eq_u16_e64 s0, 0, v3
	v_and_b32_e32 v3, 0xffff, v3
	s_or_b32 s7, s0, s7
	s_and_not1_b32 exec_lo, exec_lo, s7
	s_cbranch_execnz .LBB11_102
; %bb.103:
	s_or_b32 exec_lo, exec_lo, s7
.LBB11_104:
	s_delay_alu instid0(SALU_CYCLE_1) | instskip(NEXT) | instid1(VALU_DEP_2)
	s_or_b32 exec_lo, exec_lo, s6
	v_and_b32_e32 v2, 0xff, v1
	v_mov_b32_e32 v1, 0
	s_delay_alu instid0(VALU_DEP_2) | instskip(NEXT) | instid1(VALU_DEP_2)
	v_and_b32_e32 v2, 0xffff, v2
	v_dual_mov_b32 v4, v1 :: v_dual_mov_b32 v3, v1
.LBB11_105:
	s_or_b32 exec_lo, exec_lo, s3
	s_delay_alu instid0(SALU_CYCLE_1)
	s_mov_b32 s3, exec_lo
	v_cmpx_gt_i32_e64 s1, v11
	s_cbranch_execz .LBB11_111
; %bb.106:
	s_wait_loadcnt 0x0
	v_bfe_i32 v7, v39, 0, 8
	v_and_b32_e32 v9, 0xff, v38
	s_mov_b32 s7, 0
	s_mov_b32 s6, exec_lo
	s_delay_alu instid0(VALU_DEP_2) | instskip(NEXT) | instid1(VALU_DEP_1)
	v_sub_nc_u16 v8, 0, v7
	v_max_i16 v7, v7, v8
	v_cmpx_ne_u16_e32 0, v9
	s_cbranch_execz .LBB11_110
; %bb.107:
	v_bfe_i32 v8, v38, 0, 8
	s_delay_alu instid0(VALU_DEP_1) | instskip(NEXT) | instid1(VALU_DEP_1)
	v_sub_nc_u16 v9, 0, v8
	v_max_i16 v9, v8, v9
	v_and_b32_e32 v8, 0xff, v7
	s_delay_alu instid0(VALU_DEP_2)
	v_and_b32_e32 v9, 0xffff, v9
.LBB11_108:                             ; =>This Inner Loop Header: Depth=1
	s_delay_alu instid0(VALU_DEP_2) | instskip(NEXT) | instid1(VALU_DEP_2)
	v_bfe_i32 v39, v8, 0, 8
	v_mov_b32_e32 v7, v9
	s_delay_alu instid0(VALU_DEP_2) | instskip(NEXT) | instid1(VALU_DEP_2)
	v_cvt_f32_i32_e32 v41, v39
	v_bfe_i32 v9, v7, 0, 8
	s_delay_alu instid0(VALU_DEP_1) | instskip(SKIP_1) | instid1(VALU_DEP_2)
	v_cvt_f32_i32_e32 v38, v9
	v_xor_b32_e32 v9, v39, v9
	v_rcp_iflag_f32_e32 v40, v38
	v_nop
	s_delay_alu instid0(TRANS32_DEP_1) | instskip(NEXT) | instid1(VALU_DEP_1)
	v_dual_ashrrev_i32 v9, 30, v9 :: v_dual_mul_f32 v39, v41, v40
	v_trunc_f32_e32 v39, v39
	s_delay_alu instid0(VALU_DEP_1) | instskip(SKIP_1) | instid1(VALU_DEP_2)
	v_dual_fma_f32 v40, -v39, v38, v41 :: v_dual_bitop2_b32 v9, 1, v9 bitop3:0x54
	v_cvt_i32_f32_e32 v39, v39
	v_cmp_ge_f32_e64 s0, |v40|, |v38|
	s_delay_alu instid0(VALU_DEP_1) | instskip(NEXT) | instid1(VALU_DEP_1)
	v_cndmask_b32_e64 v9, 0, v9, s0
	v_add_nc_u32_e32 v9, v39, v9
	s_delay_alu instid0(VALU_DEP_1) | instskip(NEXT) | instid1(VALU_DEP_1)
	v_mul_lo_u32 v9, v9, v7
	v_sub_nc_u32_e32 v8, v8, v9
	s_delay_alu instid0(VALU_DEP_1) | instskip(SKIP_1) | instid1(VALU_DEP_2)
	v_bfe_i32 v9, v8, 0, 8
	v_mov_b32_e32 v8, v7
	v_cmp_eq_u16_e64 s0, 0, v9
	v_and_b32_e32 v9, 0xffff, v9
	s_or_b32 s7, s0, s7
	s_delay_alu instid0(SALU_CYCLE_1)
	s_and_not1_b32 exec_lo, exec_lo, s7
	s_cbranch_execnz .LBB11_108
; %bb.109:
	s_or_b32 exec_lo, exec_lo, s7
.LBB11_110:
	s_delay_alu instid0(SALU_CYCLE_1) | instskip(NEXT) | instid1(VALU_DEP_2)
	s_or_b32 exec_lo, exec_lo, s6
	v_perm_b32 v2, v2, v7, 0x7060004
.LBB11_111:
	s_or_b32 exec_lo, exec_lo, s3
	v_or_b32_e32 v7, 0x200, v0
	s_mov_b32 s3, exec_lo
	s_delay_alu instid0(VALU_DEP_1)
	v_cmpx_gt_i32_e64 s1, v7
	s_cbranch_execz .LBB11_117
; %bb.112:
	v_bfe_i32 v5, v5, 0, 8
	v_and_b32_e32 v8, 0xff, v37
	s_mov_b32 s7, 0
	s_mov_b32 s6, exec_lo
	s_delay_alu instid0(VALU_DEP_2) | instskip(NEXT) | instid1(VALU_DEP_1)
	v_sub_nc_u16 v7, 0, v5
	v_max_i16 v5, v5, v7
	v_cmpx_ne_u16_e32 0, v8
	s_cbranch_execz .LBB11_116
; %bb.113:
	v_bfe_i32 v7, v37, 0, 8
	s_delay_alu instid0(VALU_DEP_1) | instskip(NEXT) | instid1(VALU_DEP_1)
	v_sub_nc_u16 v8, 0, v7
	v_max_i16 v8, v7, v8
	v_and_b32_e32 v7, 0xff, v5
	s_delay_alu instid0(VALU_DEP_2)
	v_and_b32_e32 v8, 0xffff, v8
.LBB11_114:                             ; =>This Inner Loop Header: Depth=1
	s_delay_alu instid0(VALU_DEP_2) | instskip(NEXT) | instid1(VALU_DEP_2)
	v_bfe_i32 v37, v7, 0, 8
	v_mov_b32_e32 v5, v8
	s_wait_loadcnt 0x0
	s_delay_alu instid0(VALU_DEP_2) | instskip(NEXT) | instid1(VALU_DEP_2)
	v_cvt_f32_i32_e32 v39, v37
	v_bfe_i32 v8, v5, 0, 8
	s_delay_alu instid0(VALU_DEP_1) | instskip(SKIP_1) | instid1(VALU_DEP_2)
	v_cvt_f32_i32_e32 v9, v8
	v_xor_b32_e32 v8, v37, v8
	v_rcp_iflag_f32_e32 v38, v9
	v_nop
	s_delay_alu instid0(TRANS32_DEP_1) | instskip(NEXT) | instid1(VALU_DEP_1)
	v_dual_mul_f32 v37, v39, v38 :: v_dual_ashrrev_i32 v8, 30, v8
	v_trunc_f32_e32 v37, v37
	s_delay_alu instid0(VALU_DEP_1) | instskip(SKIP_1) | instid1(VALU_DEP_2)
	v_dual_fma_f32 v38, -v37, v9, v39 :: v_dual_bitop2_b32 v8, 1, v8 bitop3:0x54
	v_cvt_i32_f32_e32 v37, v37
	v_cmp_ge_f32_e64 s0, |v38|, |v9|
	s_delay_alu instid0(VALU_DEP_1) | instskip(NEXT) | instid1(VALU_DEP_1)
	v_cndmask_b32_e64 v8, 0, v8, s0
	v_add_nc_u32_e32 v8, v37, v8
	s_delay_alu instid0(VALU_DEP_1) | instskip(NEXT) | instid1(VALU_DEP_1)
	v_mul_lo_u32 v8, v8, v5
	v_sub_nc_u32_e32 v7, v7, v8
	s_delay_alu instid0(VALU_DEP_1) | instskip(SKIP_1) | instid1(VALU_DEP_2)
	v_bfe_i32 v8, v7, 0, 8
	v_mov_b32_e32 v7, v5
	v_cmp_eq_u16_e64 s0, 0, v8
	v_and_b32_e32 v8, 0xffff, v8
	s_or_b32 s7, s0, s7
	s_delay_alu instid0(SALU_CYCLE_1)
	s_and_not1_b32 exec_lo, exec_lo, s7
	s_cbranch_execnz .LBB11_114
; %bb.115:
	s_or_b32 exec_lo, exec_lo, s7
.LBB11_116:
	s_delay_alu instid0(SALU_CYCLE_1) | instskip(NEXT) | instid1(VALU_DEP_2)
	s_or_b32 exec_lo, exec_lo, s6
	v_perm_b32 v2, v2, v5, 0x7000504
.LBB11_117:
	s_or_b32 exec_lo, exec_lo, s3
	v_or_b32_e32 v5, 0x300, v0
	s_mov_b32 s3, exec_lo
	s_delay_alu instid0(VALU_DEP_1)
	v_cmpx_gt_i32_e64 s1, v5
	s_cbranch_execz .LBB11_123
; %bb.118:
	v_bfe_i32 v5, v6, 0, 8
	v_and_b32_e32 v7, 0xff, v36
	s_mov_b32 s7, 0
	s_mov_b32 s6, exec_lo
	s_delay_alu instid0(VALU_DEP_2) | instskip(NEXT) | instid1(VALU_DEP_1)
	v_sub_nc_u16 v6, 0, v5
	v_max_i16 v5, v5, v6
	v_cmpx_ne_u16_e32 0, v7
	s_cbranch_execz .LBB11_122
; %bb.119:
	v_bfe_i32 v6, v36, 0, 8
	s_delay_alu instid0(VALU_DEP_1) | instskip(NEXT) | instid1(VALU_DEP_1)
	v_sub_nc_u16 v7, 0, v6
	v_max_i16 v7, v6, v7
	v_and_b32_e32 v6, 0xff, v5
	s_delay_alu instid0(VALU_DEP_2)
	v_and_b32_e32 v7, 0xffff, v7
.LBB11_120:                             ; =>This Inner Loop Header: Depth=1
	s_delay_alu instid0(VALU_DEP_2) | instskip(NEXT) | instid1(VALU_DEP_2)
	v_bfe_i32 v9, v6, 0, 8
	v_mov_b32_e32 v5, v7
	s_delay_alu instid0(VALU_DEP_2) | instskip(NEXT) | instid1(VALU_DEP_2)
	v_cvt_f32_i32_e32 v37, v9
	v_bfe_i32 v7, v5, 0, 8
	s_delay_alu instid0(VALU_DEP_1) | instskip(SKIP_1) | instid1(VALU_DEP_2)
	v_cvt_f32_i32_e32 v8, v7
	v_xor_b32_e32 v7, v9, v7
	v_rcp_iflag_f32_e32 v36, v8
	v_nop
	s_delay_alu instid0(TRANS32_DEP_1) | instskip(NEXT) | instid1(VALU_DEP_1)
	v_dual_ashrrev_i32 v7, 30, v7 :: v_dual_mul_f32 v9, v37, v36
	v_trunc_f32_e32 v9, v9
	s_delay_alu instid0(VALU_DEP_1) | instskip(SKIP_1) | instid1(VALU_DEP_2)
	v_dual_fma_f32 v36, -v9, v8, v37 :: v_dual_bitop2_b32 v7, 1, v7 bitop3:0x54
	v_cvt_i32_f32_e32 v9, v9
	v_cmp_ge_f32_e64 s0, |v36|, |v8|
	s_delay_alu instid0(VALU_DEP_1) | instskip(NEXT) | instid1(VALU_DEP_1)
	v_cndmask_b32_e64 v7, 0, v7, s0
	v_add_nc_u32_e32 v7, v9, v7
	s_delay_alu instid0(VALU_DEP_1) | instskip(NEXT) | instid1(VALU_DEP_1)
	v_mul_lo_u32 v7, v7, v5
	v_sub_nc_u32_e32 v6, v6, v7
	s_delay_alu instid0(VALU_DEP_1) | instskip(SKIP_1) | instid1(VALU_DEP_2)
	v_bfe_i32 v7, v6, 0, 8
	v_mov_b32_e32 v6, v5
	v_cmp_eq_u16_e64 s0, 0, v7
	v_and_b32_e32 v7, 0xffff, v7
	s_or_b32 s7, s0, s7
	s_delay_alu instid0(SALU_CYCLE_1)
	s_and_not1_b32 exec_lo, exec_lo, s7
	s_cbranch_execnz .LBB11_120
; %bb.121:
	s_or_b32 exec_lo, exec_lo, s7
.LBB11_122:
	s_delay_alu instid0(SALU_CYCLE_1) | instskip(NEXT) | instid1(VALU_DEP_2)
	s_or_b32 exec_lo, exec_lo, s6
	v_perm_b32 v2, v2, v5, 0x60504
.LBB11_123:
	s_or_b32 exec_lo, exec_lo, s3
	v_or_b32_e32 v5, 0x400, v0
	s_mov_b32 s3, exec_lo
	s_delay_alu instid0(VALU_DEP_1)
	v_cmpx_gt_i32_e64 s1, v5
	s_cbranch_execz .LBB11_129
; %bb.124:
	v_bfe_i32 v5, v35, 0, 8
	v_and_b32_e32 v7, 0xff, v34
	s_mov_b32 s7, 0
	s_mov_b32 s6, exec_lo
	s_delay_alu instid0(VALU_DEP_2) | instskip(NEXT) | instid1(VALU_DEP_1)
	v_sub_nc_u16 v6, 0, v5
	v_max_i16 v5, v5, v6
	v_cmpx_ne_u16_e32 0, v7
	s_cbranch_execz .LBB11_128
; %bb.125:
	v_bfe_i32 v6, v34, 0, 8
	s_delay_alu instid0(VALU_DEP_1) | instskip(NEXT) | instid1(VALU_DEP_1)
	v_sub_nc_u16 v7, 0, v6
	v_max_i16 v7, v6, v7
	v_and_b32_e32 v6, 0xff, v5
	s_delay_alu instid0(VALU_DEP_2)
	v_and_b32_e32 v7, 0xffff, v7
.LBB11_126:                             ; =>This Inner Loop Header: Depth=1
	s_delay_alu instid0(VALU_DEP_2) | instskip(NEXT) | instid1(VALU_DEP_2)
	v_bfe_i32 v9, v6, 0, 8
	v_mov_b32_e32 v5, v7
	s_delay_alu instid0(VALU_DEP_2) | instskip(NEXT) | instid1(VALU_DEP_2)
	v_cvt_f32_i32_e32 v35, v9
	v_bfe_i32 v7, v5, 0, 8
	s_delay_alu instid0(VALU_DEP_1) | instskip(SKIP_1) | instid1(VALU_DEP_2)
	v_cvt_f32_i32_e32 v8, v7
	v_xor_b32_e32 v7, v9, v7
	v_rcp_iflag_f32_e32 v34, v8
	v_nop
	s_delay_alu instid0(TRANS32_DEP_1) | instskip(NEXT) | instid1(VALU_DEP_1)
	v_dual_ashrrev_i32 v7, 30, v7 :: v_dual_mul_f32 v9, v35, v34
	v_trunc_f32_e32 v9, v9
	s_delay_alu instid0(VALU_DEP_1) | instskip(SKIP_1) | instid1(VALU_DEP_2)
	v_dual_fma_f32 v34, -v9, v8, v35 :: v_dual_bitop2_b32 v7, 1, v7 bitop3:0x54
	v_cvt_i32_f32_e32 v9, v9
	v_cmp_ge_f32_e64 s0, |v34|, |v8|
	s_delay_alu instid0(VALU_DEP_1) | instskip(NEXT) | instid1(VALU_DEP_1)
	v_cndmask_b32_e64 v7, 0, v7, s0
	v_add_nc_u32_e32 v7, v9, v7
	s_delay_alu instid0(VALU_DEP_1) | instskip(NEXT) | instid1(VALU_DEP_1)
	v_mul_lo_u32 v7, v7, v5
	v_sub_nc_u32_e32 v6, v6, v7
	s_delay_alu instid0(VALU_DEP_1) | instskip(SKIP_1) | instid1(VALU_DEP_2)
	v_bfe_i32 v7, v6, 0, 8
	v_mov_b32_e32 v6, v5
	v_cmp_eq_u16_e64 s0, 0, v7
	v_and_b32_e32 v7, 0xffff, v7
	s_or_b32 s7, s0, s7
	s_delay_alu instid0(SALU_CYCLE_1)
	s_and_not1_b32 exec_lo, exec_lo, s7
	s_cbranch_execnz .LBB11_126
; %bb.127:
	s_or_b32 exec_lo, exec_lo, s7
.LBB11_128:
	s_delay_alu instid0(SALU_CYCLE_1) | instskip(NEXT) | instid1(VALU_DEP_2)
	s_or_b32 exec_lo, exec_lo, s6
	v_perm_b32 v1, v5, v1, 0x3020104
.LBB11_129:
	s_or_b32 exec_lo, exec_lo, s3
	v_or_b32_e32 v5, 0x500, v0
	s_mov_b32 s3, exec_lo
	s_delay_alu instid0(VALU_DEP_1)
	v_cmpx_gt_i32_e64 s1, v5
	s_cbranch_execz .LBB11_135
; %bb.130:
	v_bfe_i32 v5, v33, 0, 8
	v_and_b32_e32 v7, 0xff, v32
	s_mov_b32 s7, 0
	s_mov_b32 s6, exec_lo
	s_delay_alu instid0(VALU_DEP_2) | instskip(NEXT) | instid1(VALU_DEP_1)
	v_sub_nc_u16 v6, 0, v5
	v_max_i16 v5, v5, v6
	v_cmpx_ne_u16_e32 0, v7
	s_cbranch_execz .LBB11_134
; %bb.131:
	v_bfe_i32 v6, v32, 0, 8
	s_delay_alu instid0(VALU_DEP_1) | instskip(NEXT) | instid1(VALU_DEP_1)
	v_sub_nc_u16 v7, 0, v6
	v_max_i16 v7, v6, v7
	v_and_b32_e32 v6, 0xff, v5
	s_delay_alu instid0(VALU_DEP_2)
	v_and_b32_e32 v7, 0xffff, v7
.LBB11_132:                             ; =>This Inner Loop Header: Depth=1
	s_delay_alu instid0(VALU_DEP_2) | instskip(NEXT) | instid1(VALU_DEP_2)
	v_bfe_i32 v9, v6, 0, 8
	v_mov_b32_e32 v5, v7
	s_delay_alu instid0(VALU_DEP_2) | instskip(NEXT) | instid1(VALU_DEP_2)
	v_cvt_f32_i32_e32 v33, v9
	v_bfe_i32 v7, v5, 0, 8
	s_delay_alu instid0(VALU_DEP_1) | instskip(SKIP_1) | instid1(VALU_DEP_2)
	v_cvt_f32_i32_e32 v8, v7
	v_xor_b32_e32 v7, v9, v7
	v_rcp_iflag_f32_e32 v32, v8
	v_nop
	s_delay_alu instid0(TRANS32_DEP_1) | instskip(NEXT) | instid1(VALU_DEP_1)
	v_dual_ashrrev_i32 v7, 30, v7 :: v_dual_mul_f32 v9, v33, v32
	v_trunc_f32_e32 v9, v9
	s_delay_alu instid0(VALU_DEP_1) | instskip(SKIP_1) | instid1(VALU_DEP_2)
	v_dual_fma_f32 v32, -v9, v8, v33 :: v_dual_bitop2_b32 v7, 1, v7 bitop3:0x54
	v_cvt_i32_f32_e32 v9, v9
	v_cmp_ge_f32_e64 s0, |v32|, |v8|
	s_delay_alu instid0(VALU_DEP_1) | instskip(NEXT) | instid1(VALU_DEP_1)
	v_cndmask_b32_e64 v7, 0, v7, s0
	v_add_nc_u32_e32 v7, v9, v7
	s_delay_alu instid0(VALU_DEP_1) | instskip(NEXT) | instid1(VALU_DEP_1)
	v_mul_lo_u32 v7, v7, v5
	v_sub_nc_u32_e32 v6, v6, v7
	s_delay_alu instid0(VALU_DEP_1) | instskip(SKIP_1) | instid1(VALU_DEP_2)
	v_bfe_i32 v7, v6, 0, 8
	v_mov_b32_e32 v6, v5
	v_cmp_eq_u16_e64 s0, 0, v7
	v_and_b32_e32 v7, 0xffff, v7
	s_or_b32 s7, s0, s7
	s_delay_alu instid0(SALU_CYCLE_1)
	s_and_not1_b32 exec_lo, exec_lo, s7
	s_cbranch_execnz .LBB11_132
; %bb.133:
	s_or_b32 exec_lo, exec_lo, s7
.LBB11_134:
	s_delay_alu instid0(SALU_CYCLE_1) | instskip(NEXT) | instid1(VALU_DEP_2)
	s_or_b32 exec_lo, exec_lo, s6
	v_perm_b32 v1, v1, v5, 0x7060004
.LBB11_135:
	s_or_b32 exec_lo, exec_lo, s3
	v_or_b32_e32 v5, 0x600, v0
	s_mov_b32 s3, exec_lo
	s_delay_alu instid0(VALU_DEP_1)
	v_cmpx_gt_i32_e64 s1, v5
	s_cbranch_execz .LBB11_141
; %bb.136:
	v_bfe_i32 v5, v31, 0, 8
	v_and_b32_e32 v7, 0xff, v30
	s_mov_b32 s7, 0
	s_mov_b32 s6, exec_lo
	s_delay_alu instid0(VALU_DEP_2) | instskip(NEXT) | instid1(VALU_DEP_1)
	v_sub_nc_u16 v6, 0, v5
	v_max_i16 v5, v5, v6
	v_cmpx_ne_u16_e32 0, v7
	s_cbranch_execz .LBB11_140
; %bb.137:
	v_bfe_i32 v6, v30, 0, 8
	s_delay_alu instid0(VALU_DEP_1) | instskip(NEXT) | instid1(VALU_DEP_1)
	v_sub_nc_u16 v7, 0, v6
	v_max_i16 v7, v6, v7
	v_and_b32_e32 v6, 0xff, v5
	s_delay_alu instid0(VALU_DEP_2)
	v_and_b32_e32 v7, 0xffff, v7
.LBB11_138:                             ; =>This Inner Loop Header: Depth=1
	s_delay_alu instid0(VALU_DEP_2) | instskip(NEXT) | instid1(VALU_DEP_2)
	v_bfe_i32 v9, v6, 0, 8
	v_mov_b32_e32 v5, v7
	s_delay_alu instid0(VALU_DEP_2) | instskip(NEXT) | instid1(VALU_DEP_2)
	v_cvt_f32_i32_e32 v31, v9
	v_bfe_i32 v7, v5, 0, 8
	s_delay_alu instid0(VALU_DEP_1) | instskip(SKIP_1) | instid1(VALU_DEP_2)
	v_cvt_f32_i32_e32 v8, v7
	v_xor_b32_e32 v7, v9, v7
	v_rcp_iflag_f32_e32 v30, v8
	v_nop
	s_delay_alu instid0(TRANS32_DEP_1) | instskip(NEXT) | instid1(VALU_DEP_1)
	v_dual_ashrrev_i32 v7, 30, v7 :: v_dual_mul_f32 v9, v31, v30
	v_trunc_f32_e32 v9, v9
	s_delay_alu instid0(VALU_DEP_1) | instskip(SKIP_1) | instid1(VALU_DEP_2)
	v_dual_fma_f32 v30, -v9, v8, v31 :: v_dual_bitop2_b32 v7, 1, v7 bitop3:0x54
	v_cvt_i32_f32_e32 v9, v9
	v_cmp_ge_f32_e64 s0, |v30|, |v8|
	s_delay_alu instid0(VALU_DEP_1) | instskip(NEXT) | instid1(VALU_DEP_1)
	v_cndmask_b32_e64 v7, 0, v7, s0
	v_add_nc_u32_e32 v7, v9, v7
	s_delay_alu instid0(VALU_DEP_1) | instskip(NEXT) | instid1(VALU_DEP_1)
	v_mul_lo_u32 v7, v7, v5
	v_sub_nc_u32_e32 v6, v6, v7
	s_delay_alu instid0(VALU_DEP_1) | instskip(SKIP_1) | instid1(VALU_DEP_2)
	v_bfe_i32 v7, v6, 0, 8
	v_mov_b32_e32 v6, v5
	v_cmp_eq_u16_e64 s0, 0, v7
	v_and_b32_e32 v7, 0xffff, v7
	s_or_b32 s7, s0, s7
	s_delay_alu instid0(SALU_CYCLE_1)
	s_and_not1_b32 exec_lo, exec_lo, s7
	s_cbranch_execnz .LBB11_138
; %bb.139:
	s_or_b32 exec_lo, exec_lo, s7
.LBB11_140:
	s_delay_alu instid0(SALU_CYCLE_1) | instskip(NEXT) | instid1(VALU_DEP_2)
	s_or_b32 exec_lo, exec_lo, s6
	v_perm_b32 v1, v1, v5, 0x7000504
.LBB11_141:
	s_or_b32 exec_lo, exec_lo, s3
	v_or_b32_e32 v5, 0x700, v0
	s_mov_b32 s3, exec_lo
	s_delay_alu instid0(VALU_DEP_1)
	v_cmpx_gt_i32_e64 s1, v5
	s_cbranch_execz .LBB11_147
; %bb.142:
	v_bfe_i32 v5, v29, 0, 8
	v_and_b32_e32 v7, 0xff, v28
	s_mov_b32 s7, 0
	s_mov_b32 s6, exec_lo
	s_delay_alu instid0(VALU_DEP_2) | instskip(NEXT) | instid1(VALU_DEP_1)
	v_sub_nc_u16 v6, 0, v5
	v_max_i16 v5, v5, v6
	v_cmpx_ne_u16_e32 0, v7
	s_cbranch_execz .LBB11_146
; %bb.143:
	v_bfe_i32 v6, v28, 0, 8
	s_delay_alu instid0(VALU_DEP_1) | instskip(NEXT) | instid1(VALU_DEP_1)
	v_sub_nc_u16 v7, 0, v6
	v_max_i16 v7, v6, v7
	v_and_b32_e32 v6, 0xff, v5
	s_delay_alu instid0(VALU_DEP_2)
	v_and_b32_e32 v7, 0xffff, v7
.LBB11_144:                             ; =>This Inner Loop Header: Depth=1
	s_delay_alu instid0(VALU_DEP_2) | instskip(NEXT) | instid1(VALU_DEP_2)
	v_bfe_i32 v9, v6, 0, 8
	v_mov_b32_e32 v5, v7
	s_delay_alu instid0(VALU_DEP_2) | instskip(NEXT) | instid1(VALU_DEP_2)
	v_cvt_f32_i32_e32 v29, v9
	v_bfe_i32 v7, v5, 0, 8
	s_delay_alu instid0(VALU_DEP_1) | instskip(SKIP_1) | instid1(VALU_DEP_2)
	v_cvt_f32_i32_e32 v8, v7
	v_xor_b32_e32 v7, v9, v7
	v_rcp_iflag_f32_e32 v28, v8
	v_nop
	s_delay_alu instid0(TRANS32_DEP_1) | instskip(NEXT) | instid1(VALU_DEP_1)
	v_dual_ashrrev_i32 v7, 30, v7 :: v_dual_mul_f32 v9, v29, v28
	v_trunc_f32_e32 v9, v9
	s_delay_alu instid0(VALU_DEP_1) | instskip(SKIP_1) | instid1(VALU_DEP_2)
	v_dual_fma_f32 v28, -v9, v8, v29 :: v_dual_bitop2_b32 v7, 1, v7 bitop3:0x54
	v_cvt_i32_f32_e32 v9, v9
	v_cmp_ge_f32_e64 s0, |v28|, |v8|
	s_delay_alu instid0(VALU_DEP_1) | instskip(NEXT) | instid1(VALU_DEP_1)
	v_cndmask_b32_e64 v7, 0, v7, s0
	v_add_nc_u32_e32 v7, v9, v7
	s_delay_alu instid0(VALU_DEP_1) | instskip(NEXT) | instid1(VALU_DEP_1)
	v_mul_lo_u32 v7, v7, v5
	v_sub_nc_u32_e32 v6, v6, v7
	s_delay_alu instid0(VALU_DEP_1) | instskip(SKIP_1) | instid1(VALU_DEP_2)
	v_bfe_i32 v7, v6, 0, 8
	v_mov_b32_e32 v6, v5
	v_cmp_eq_u16_e64 s0, 0, v7
	v_and_b32_e32 v7, 0xffff, v7
	s_or_b32 s7, s0, s7
	s_delay_alu instid0(SALU_CYCLE_1)
	s_and_not1_b32 exec_lo, exec_lo, s7
	s_cbranch_execnz .LBB11_144
; %bb.145:
	s_or_b32 exec_lo, exec_lo, s7
.LBB11_146:
	s_delay_alu instid0(SALU_CYCLE_1) | instskip(NEXT) | instid1(VALU_DEP_2)
	s_or_b32 exec_lo, exec_lo, s6
	v_perm_b32 v1, v1, v5, 0x60504
.LBB11_147:
	s_or_b32 exec_lo, exec_lo, s3
	v_or_b32_e32 v5, 0x800, v0
	s_mov_b32 s3, exec_lo
	s_delay_alu instid0(VALU_DEP_1)
	v_cmpx_gt_i32_e64 s1, v5
	s_cbranch_execz .LBB11_153
; %bb.148:
	v_bfe_i32 v5, v27, 0, 8
	v_and_b32_e32 v7, 0xff, v26
	s_mov_b32 s7, 0
	s_mov_b32 s6, exec_lo
	s_delay_alu instid0(VALU_DEP_2) | instskip(NEXT) | instid1(VALU_DEP_1)
	v_sub_nc_u16 v6, 0, v5
	v_max_i16 v5, v5, v6
	v_cmpx_ne_u16_e32 0, v7
	s_cbranch_execz .LBB11_152
; %bb.149:
	v_bfe_i32 v6, v26, 0, 8
	s_delay_alu instid0(VALU_DEP_1) | instskip(NEXT) | instid1(VALU_DEP_1)
	v_sub_nc_u16 v7, 0, v6
	v_max_i16 v7, v6, v7
	v_and_b32_e32 v6, 0xff, v5
	s_delay_alu instid0(VALU_DEP_2)
	v_and_b32_e32 v7, 0xffff, v7
.LBB11_150:                             ; =>This Inner Loop Header: Depth=1
	s_delay_alu instid0(VALU_DEP_2) | instskip(NEXT) | instid1(VALU_DEP_2)
	v_bfe_i32 v9, v6, 0, 8
	v_mov_b32_e32 v5, v7
	s_delay_alu instid0(VALU_DEP_2) | instskip(NEXT) | instid1(VALU_DEP_2)
	v_cvt_f32_i32_e32 v27, v9
	v_bfe_i32 v7, v5, 0, 8
	s_delay_alu instid0(VALU_DEP_1) | instskip(SKIP_1) | instid1(VALU_DEP_2)
	v_cvt_f32_i32_e32 v8, v7
	v_xor_b32_e32 v7, v9, v7
	v_rcp_iflag_f32_e32 v26, v8
	v_nop
	s_delay_alu instid0(TRANS32_DEP_1) | instskip(NEXT) | instid1(VALU_DEP_1)
	v_dual_ashrrev_i32 v7, 30, v7 :: v_dual_mul_f32 v9, v27, v26
	v_trunc_f32_e32 v9, v9
	s_delay_alu instid0(VALU_DEP_1) | instskip(SKIP_1) | instid1(VALU_DEP_2)
	v_dual_fma_f32 v26, -v9, v8, v27 :: v_dual_bitop2_b32 v7, 1, v7 bitop3:0x54
	v_cvt_i32_f32_e32 v9, v9
	v_cmp_ge_f32_e64 s0, |v26|, |v8|
	s_delay_alu instid0(VALU_DEP_1) | instskip(NEXT) | instid1(VALU_DEP_1)
	v_cndmask_b32_e64 v7, 0, v7, s0
	v_add_nc_u32_e32 v7, v9, v7
	s_delay_alu instid0(VALU_DEP_1) | instskip(NEXT) | instid1(VALU_DEP_1)
	v_mul_lo_u32 v7, v7, v5
	v_sub_nc_u32_e32 v6, v6, v7
	s_delay_alu instid0(VALU_DEP_1) | instskip(SKIP_1) | instid1(VALU_DEP_2)
	v_bfe_i32 v7, v6, 0, 8
	v_mov_b32_e32 v6, v5
	v_cmp_eq_u16_e64 s0, 0, v7
	v_and_b32_e32 v7, 0xffff, v7
	s_or_b32 s7, s0, s7
	s_delay_alu instid0(SALU_CYCLE_1)
	s_and_not1_b32 exec_lo, exec_lo, s7
	s_cbranch_execnz .LBB11_150
; %bb.151:
	s_or_b32 exec_lo, exec_lo, s7
.LBB11_152:
	s_delay_alu instid0(SALU_CYCLE_1) | instskip(NEXT) | instid1(VALU_DEP_2)
	s_or_b32 exec_lo, exec_lo, s6
	v_perm_b32 v4, v5, v4, 0x3020104
.LBB11_153:
	s_or_b32 exec_lo, exec_lo, s3
	v_or_b32_e32 v5, 0x900, v0
	s_mov_b32 s3, exec_lo
	s_delay_alu instid0(VALU_DEP_1)
	v_cmpx_gt_i32_e64 s1, v5
	s_cbranch_execz .LBB11_159
; %bb.154:
	v_bfe_i32 v5, v25, 0, 8
	v_and_b32_e32 v7, 0xff, v24
	s_mov_b32 s7, 0
	s_mov_b32 s6, exec_lo
	s_delay_alu instid0(VALU_DEP_2) | instskip(NEXT) | instid1(VALU_DEP_1)
	v_sub_nc_u16 v6, 0, v5
	v_max_i16 v5, v5, v6
	v_cmpx_ne_u16_e32 0, v7
	s_cbranch_execz .LBB11_158
; %bb.155:
	v_bfe_i32 v6, v24, 0, 8
	s_delay_alu instid0(VALU_DEP_1) | instskip(NEXT) | instid1(VALU_DEP_1)
	v_sub_nc_u16 v7, 0, v6
	v_max_i16 v7, v6, v7
	v_and_b32_e32 v6, 0xff, v5
	s_delay_alu instid0(VALU_DEP_2)
	v_and_b32_e32 v7, 0xffff, v7
.LBB11_156:                             ; =>This Inner Loop Header: Depth=1
	s_delay_alu instid0(VALU_DEP_2) | instskip(NEXT) | instid1(VALU_DEP_2)
	v_bfe_i32 v9, v6, 0, 8
	v_mov_b32_e32 v5, v7
	s_delay_alu instid0(VALU_DEP_2) | instskip(NEXT) | instid1(VALU_DEP_2)
	v_cvt_f32_i32_e32 v25, v9
	v_bfe_i32 v7, v5, 0, 8
	s_delay_alu instid0(VALU_DEP_1) | instskip(SKIP_1) | instid1(VALU_DEP_2)
	v_cvt_f32_i32_e32 v8, v7
	v_xor_b32_e32 v7, v9, v7
	v_rcp_iflag_f32_e32 v24, v8
	v_nop
	s_delay_alu instid0(TRANS32_DEP_1) | instskip(NEXT) | instid1(VALU_DEP_1)
	v_dual_ashrrev_i32 v7, 30, v7 :: v_dual_mul_f32 v9, v25, v24
	v_trunc_f32_e32 v9, v9
	s_delay_alu instid0(VALU_DEP_1) | instskip(SKIP_1) | instid1(VALU_DEP_2)
	v_dual_fma_f32 v24, -v9, v8, v25 :: v_dual_bitop2_b32 v7, 1, v7 bitop3:0x54
	v_cvt_i32_f32_e32 v9, v9
	v_cmp_ge_f32_e64 s0, |v24|, |v8|
	s_delay_alu instid0(VALU_DEP_1) | instskip(NEXT) | instid1(VALU_DEP_1)
	v_cndmask_b32_e64 v7, 0, v7, s0
	v_add_nc_u32_e32 v7, v9, v7
	s_delay_alu instid0(VALU_DEP_1) | instskip(NEXT) | instid1(VALU_DEP_1)
	v_mul_lo_u32 v7, v7, v5
	v_sub_nc_u32_e32 v6, v6, v7
	s_delay_alu instid0(VALU_DEP_1) | instskip(SKIP_1) | instid1(VALU_DEP_2)
	v_bfe_i32 v7, v6, 0, 8
	v_mov_b32_e32 v6, v5
	v_cmp_eq_u16_e64 s0, 0, v7
	v_and_b32_e32 v7, 0xffff, v7
	s_or_b32 s7, s0, s7
	s_delay_alu instid0(SALU_CYCLE_1)
	s_and_not1_b32 exec_lo, exec_lo, s7
	s_cbranch_execnz .LBB11_156
; %bb.157:
	s_or_b32 exec_lo, exec_lo, s7
.LBB11_158:
	s_delay_alu instid0(SALU_CYCLE_1) | instskip(NEXT) | instid1(VALU_DEP_2)
	s_or_b32 exec_lo, exec_lo, s6
	v_perm_b32 v4, v4, v5, 0x7060004
.LBB11_159:
	s_or_b32 exec_lo, exec_lo, s3
	v_or_b32_e32 v5, 0xa00, v0
	s_mov_b32 s3, exec_lo
	s_delay_alu instid0(VALU_DEP_1)
	v_cmpx_gt_i32_e64 s1, v5
	s_cbranch_execz .LBB11_165
; %bb.160:
	v_bfe_i32 v5, v23, 0, 8
	v_and_b32_e32 v7, 0xff, v22
	s_mov_b32 s7, 0
	s_mov_b32 s6, exec_lo
	s_delay_alu instid0(VALU_DEP_2) | instskip(NEXT) | instid1(VALU_DEP_1)
	v_sub_nc_u16 v6, 0, v5
	v_max_i16 v5, v5, v6
	v_cmpx_ne_u16_e32 0, v7
	s_cbranch_execz .LBB11_164
; %bb.161:
	v_bfe_i32 v6, v22, 0, 8
	s_delay_alu instid0(VALU_DEP_1) | instskip(NEXT) | instid1(VALU_DEP_1)
	v_sub_nc_u16 v7, 0, v6
	v_max_i16 v7, v6, v7
	v_and_b32_e32 v6, 0xff, v5
	s_delay_alu instid0(VALU_DEP_2)
	v_and_b32_e32 v7, 0xffff, v7
.LBB11_162:                             ; =>This Inner Loop Header: Depth=1
	s_delay_alu instid0(VALU_DEP_2) | instskip(NEXT) | instid1(VALU_DEP_2)
	v_bfe_i32 v9, v6, 0, 8
	v_mov_b32_e32 v5, v7
	s_delay_alu instid0(VALU_DEP_2) | instskip(NEXT) | instid1(VALU_DEP_2)
	v_cvt_f32_i32_e32 v23, v9
	v_bfe_i32 v7, v5, 0, 8
	s_delay_alu instid0(VALU_DEP_1) | instskip(SKIP_1) | instid1(VALU_DEP_2)
	v_cvt_f32_i32_e32 v8, v7
	v_xor_b32_e32 v7, v9, v7
	v_rcp_iflag_f32_e32 v22, v8
	v_nop
	s_delay_alu instid0(TRANS32_DEP_1) | instskip(NEXT) | instid1(VALU_DEP_1)
	v_dual_ashrrev_i32 v7, 30, v7 :: v_dual_mul_f32 v9, v23, v22
	v_trunc_f32_e32 v9, v9
	s_delay_alu instid0(VALU_DEP_1) | instskip(SKIP_1) | instid1(VALU_DEP_2)
	v_dual_fma_f32 v22, -v9, v8, v23 :: v_dual_bitop2_b32 v7, 1, v7 bitop3:0x54
	v_cvt_i32_f32_e32 v9, v9
	v_cmp_ge_f32_e64 s0, |v22|, |v8|
	s_delay_alu instid0(VALU_DEP_1) | instskip(NEXT) | instid1(VALU_DEP_1)
	v_cndmask_b32_e64 v7, 0, v7, s0
	v_add_nc_u32_e32 v7, v9, v7
	s_delay_alu instid0(VALU_DEP_1) | instskip(NEXT) | instid1(VALU_DEP_1)
	v_mul_lo_u32 v7, v7, v5
	v_sub_nc_u32_e32 v6, v6, v7
	s_delay_alu instid0(VALU_DEP_1) | instskip(SKIP_1) | instid1(VALU_DEP_2)
	v_bfe_i32 v7, v6, 0, 8
	v_mov_b32_e32 v6, v5
	v_cmp_eq_u16_e64 s0, 0, v7
	v_and_b32_e32 v7, 0xffff, v7
	s_or_b32 s7, s0, s7
	s_delay_alu instid0(SALU_CYCLE_1)
	s_and_not1_b32 exec_lo, exec_lo, s7
	s_cbranch_execnz .LBB11_162
; %bb.163:
	s_or_b32 exec_lo, exec_lo, s7
.LBB11_164:
	s_delay_alu instid0(SALU_CYCLE_1) | instskip(NEXT) | instid1(VALU_DEP_2)
	s_or_b32 exec_lo, exec_lo, s6
	v_perm_b32 v4, v4, v5, 0x7000504
.LBB11_165:
	s_or_b32 exec_lo, exec_lo, s3
	v_or_b32_e32 v5, 0xb00, v0
	s_mov_b32 s3, exec_lo
	s_delay_alu instid0(VALU_DEP_1)
	v_cmpx_gt_i32_e64 s1, v5
	s_cbranch_execz .LBB11_171
; %bb.166:
	v_bfe_i32 v5, v21, 0, 8
	v_and_b32_e32 v7, 0xff, v20
	s_mov_b32 s7, 0
	s_mov_b32 s6, exec_lo
	s_delay_alu instid0(VALU_DEP_2) | instskip(NEXT) | instid1(VALU_DEP_1)
	v_sub_nc_u16 v6, 0, v5
	v_max_i16 v5, v5, v6
	v_cmpx_ne_u16_e32 0, v7
	s_cbranch_execz .LBB11_170
; %bb.167:
	v_bfe_i32 v6, v20, 0, 8
	s_delay_alu instid0(VALU_DEP_1) | instskip(NEXT) | instid1(VALU_DEP_1)
	v_sub_nc_u16 v7, 0, v6
	v_max_i16 v7, v6, v7
	v_and_b32_e32 v6, 0xff, v5
	s_delay_alu instid0(VALU_DEP_2)
	v_and_b32_e32 v7, 0xffff, v7
.LBB11_168:                             ; =>This Inner Loop Header: Depth=1
	s_delay_alu instid0(VALU_DEP_2) | instskip(NEXT) | instid1(VALU_DEP_2)
	v_bfe_i32 v9, v6, 0, 8
	v_mov_b32_e32 v5, v7
	s_delay_alu instid0(VALU_DEP_2) | instskip(NEXT) | instid1(VALU_DEP_2)
	v_cvt_f32_i32_e32 v21, v9
	v_bfe_i32 v7, v5, 0, 8
	s_delay_alu instid0(VALU_DEP_1) | instskip(SKIP_1) | instid1(VALU_DEP_2)
	v_cvt_f32_i32_e32 v8, v7
	v_xor_b32_e32 v7, v9, v7
	v_rcp_iflag_f32_e32 v20, v8
	v_nop
	s_delay_alu instid0(TRANS32_DEP_1) | instskip(NEXT) | instid1(VALU_DEP_1)
	v_dual_ashrrev_i32 v7, 30, v7 :: v_dual_mul_f32 v9, v21, v20
	v_trunc_f32_e32 v9, v9
	s_delay_alu instid0(VALU_DEP_1) | instskip(SKIP_1) | instid1(VALU_DEP_2)
	v_dual_fma_f32 v20, -v9, v8, v21 :: v_dual_bitop2_b32 v7, 1, v7 bitop3:0x54
	v_cvt_i32_f32_e32 v9, v9
	v_cmp_ge_f32_e64 s0, |v20|, |v8|
	s_delay_alu instid0(VALU_DEP_1) | instskip(NEXT) | instid1(VALU_DEP_1)
	v_cndmask_b32_e64 v7, 0, v7, s0
	v_add_nc_u32_e32 v7, v9, v7
	s_delay_alu instid0(VALU_DEP_1) | instskip(NEXT) | instid1(VALU_DEP_1)
	v_mul_lo_u32 v7, v7, v5
	v_sub_nc_u32_e32 v6, v6, v7
	s_delay_alu instid0(VALU_DEP_1) | instskip(SKIP_1) | instid1(VALU_DEP_2)
	v_bfe_i32 v7, v6, 0, 8
	v_mov_b32_e32 v6, v5
	v_cmp_eq_u16_e64 s0, 0, v7
	v_and_b32_e32 v7, 0xffff, v7
	s_or_b32 s7, s0, s7
	s_delay_alu instid0(SALU_CYCLE_1)
	s_and_not1_b32 exec_lo, exec_lo, s7
	s_cbranch_execnz .LBB11_168
; %bb.169:
	s_or_b32 exec_lo, exec_lo, s7
.LBB11_170:
	s_delay_alu instid0(SALU_CYCLE_1) | instskip(NEXT) | instid1(VALU_DEP_2)
	s_or_b32 exec_lo, exec_lo, s6
	v_perm_b32 v4, v4, v5, 0x60504
.LBB11_171:
	s_or_b32 exec_lo, exec_lo, s3
	v_or_b32_e32 v5, 0xc00, v0
	s_mov_b32 s3, exec_lo
	s_delay_alu instid0(VALU_DEP_1)
	v_cmpx_gt_i32_e64 s1, v5
	s_cbranch_execz .LBB11_177
; %bb.172:
	v_bfe_i32 v5, v19, 0, 8
	v_and_b32_e32 v7, 0xff, v18
	s_mov_b32 s7, 0
	s_mov_b32 s6, exec_lo
	s_delay_alu instid0(VALU_DEP_2) | instskip(NEXT) | instid1(VALU_DEP_1)
	v_sub_nc_u16 v6, 0, v5
	v_max_i16 v5, v5, v6
	v_cmpx_ne_u16_e32 0, v7
	s_cbranch_execz .LBB11_176
; %bb.173:
	v_bfe_i32 v6, v18, 0, 8
	s_delay_alu instid0(VALU_DEP_1) | instskip(NEXT) | instid1(VALU_DEP_1)
	v_sub_nc_u16 v7, 0, v6
	v_max_i16 v7, v6, v7
	v_and_b32_e32 v6, 0xff, v5
	s_delay_alu instid0(VALU_DEP_2)
	v_and_b32_e32 v7, 0xffff, v7
.LBB11_174:                             ; =>This Inner Loop Header: Depth=1
	s_delay_alu instid0(VALU_DEP_2) | instskip(NEXT) | instid1(VALU_DEP_2)
	v_bfe_i32 v9, v6, 0, 8
	v_mov_b32_e32 v5, v7
	s_delay_alu instid0(VALU_DEP_2) | instskip(NEXT) | instid1(VALU_DEP_2)
	v_cvt_f32_i32_e32 v19, v9
	v_bfe_i32 v7, v5, 0, 8
	s_delay_alu instid0(VALU_DEP_1) | instskip(SKIP_1) | instid1(VALU_DEP_2)
	v_cvt_f32_i32_e32 v8, v7
	v_xor_b32_e32 v7, v9, v7
	v_rcp_iflag_f32_e32 v18, v8
	v_nop
	s_delay_alu instid0(TRANS32_DEP_1) | instskip(NEXT) | instid1(VALU_DEP_1)
	v_dual_ashrrev_i32 v7, 30, v7 :: v_dual_mul_f32 v9, v19, v18
	v_trunc_f32_e32 v9, v9
	s_delay_alu instid0(VALU_DEP_1) | instskip(SKIP_1) | instid1(VALU_DEP_2)
	v_dual_fma_f32 v18, -v9, v8, v19 :: v_dual_bitop2_b32 v7, 1, v7 bitop3:0x54
	v_cvt_i32_f32_e32 v9, v9
	v_cmp_ge_f32_e64 s0, |v18|, |v8|
	s_delay_alu instid0(VALU_DEP_1) | instskip(NEXT) | instid1(VALU_DEP_1)
	v_cndmask_b32_e64 v7, 0, v7, s0
	v_add_nc_u32_e32 v7, v9, v7
	s_delay_alu instid0(VALU_DEP_1) | instskip(NEXT) | instid1(VALU_DEP_1)
	v_mul_lo_u32 v7, v7, v5
	v_sub_nc_u32_e32 v6, v6, v7
	s_delay_alu instid0(VALU_DEP_1) | instskip(SKIP_1) | instid1(VALU_DEP_2)
	v_bfe_i32 v7, v6, 0, 8
	v_mov_b32_e32 v6, v5
	v_cmp_eq_u16_e64 s0, 0, v7
	v_and_b32_e32 v7, 0xffff, v7
	s_or_b32 s7, s0, s7
	s_delay_alu instid0(SALU_CYCLE_1)
	s_and_not1_b32 exec_lo, exec_lo, s7
	s_cbranch_execnz .LBB11_174
; %bb.175:
	s_or_b32 exec_lo, exec_lo, s7
.LBB11_176:
	s_delay_alu instid0(SALU_CYCLE_1) | instskip(NEXT) | instid1(VALU_DEP_2)
	s_or_b32 exec_lo, exec_lo, s6
	v_perm_b32 v3, v5, v3, 0x3020104
.LBB11_177:
	s_or_b32 exec_lo, exec_lo, s3
	v_or_b32_e32 v5, 0xd00, v0
	s_mov_b32 s3, exec_lo
	s_delay_alu instid0(VALU_DEP_1)
	v_cmpx_gt_i32_e64 s1, v5
	s_cbranch_execz .LBB11_183
; %bb.178:
	v_bfe_i32 v5, v17, 0, 8
	v_and_b32_e32 v7, 0xff, v16
	s_mov_b32 s7, 0
	s_mov_b32 s6, exec_lo
	s_delay_alu instid0(VALU_DEP_2) | instskip(NEXT) | instid1(VALU_DEP_1)
	v_sub_nc_u16 v6, 0, v5
	v_max_i16 v5, v5, v6
	v_cmpx_ne_u16_e32 0, v7
	s_cbranch_execz .LBB11_182
; %bb.179:
	v_bfe_i32 v6, v16, 0, 8
	s_delay_alu instid0(VALU_DEP_1) | instskip(NEXT) | instid1(VALU_DEP_1)
	v_sub_nc_u16 v7, 0, v6
	v_max_i16 v7, v6, v7
	v_and_b32_e32 v6, 0xff, v5
	s_delay_alu instid0(VALU_DEP_2)
	v_and_b32_e32 v7, 0xffff, v7
.LBB11_180:                             ; =>This Inner Loop Header: Depth=1
	s_delay_alu instid0(VALU_DEP_2) | instskip(NEXT) | instid1(VALU_DEP_2)
	v_bfe_i32 v9, v6, 0, 8
	v_mov_b32_e32 v5, v7
	s_delay_alu instid0(VALU_DEP_2) | instskip(NEXT) | instid1(VALU_DEP_2)
	v_cvt_f32_i32_e32 v17, v9
	v_bfe_i32 v7, v5, 0, 8
	s_delay_alu instid0(VALU_DEP_1) | instskip(SKIP_1) | instid1(VALU_DEP_2)
	v_cvt_f32_i32_e32 v8, v7
	v_xor_b32_e32 v7, v9, v7
	v_rcp_iflag_f32_e32 v16, v8
	v_nop
	s_delay_alu instid0(TRANS32_DEP_1) | instskip(NEXT) | instid1(VALU_DEP_1)
	v_dual_ashrrev_i32 v7, 30, v7 :: v_dual_mul_f32 v9, v17, v16
	v_trunc_f32_e32 v9, v9
	s_delay_alu instid0(VALU_DEP_1) | instskip(SKIP_1) | instid1(VALU_DEP_2)
	v_dual_fma_f32 v16, -v9, v8, v17 :: v_dual_bitop2_b32 v7, 1, v7 bitop3:0x54
	v_cvt_i32_f32_e32 v9, v9
	v_cmp_ge_f32_e64 s0, |v16|, |v8|
	s_delay_alu instid0(VALU_DEP_1) | instskip(NEXT) | instid1(VALU_DEP_1)
	v_cndmask_b32_e64 v7, 0, v7, s0
	v_add_nc_u32_e32 v7, v9, v7
	s_delay_alu instid0(VALU_DEP_1) | instskip(NEXT) | instid1(VALU_DEP_1)
	v_mul_lo_u32 v7, v7, v5
	v_sub_nc_u32_e32 v6, v6, v7
	s_delay_alu instid0(VALU_DEP_1) | instskip(SKIP_1) | instid1(VALU_DEP_2)
	v_bfe_i32 v7, v6, 0, 8
	v_mov_b32_e32 v6, v5
	v_cmp_eq_u16_e64 s0, 0, v7
	v_and_b32_e32 v7, 0xffff, v7
	s_or_b32 s7, s0, s7
	s_delay_alu instid0(SALU_CYCLE_1)
	s_and_not1_b32 exec_lo, exec_lo, s7
	s_cbranch_execnz .LBB11_180
; %bb.181:
	s_or_b32 exec_lo, exec_lo, s7
.LBB11_182:
	s_delay_alu instid0(SALU_CYCLE_1) | instskip(NEXT) | instid1(VALU_DEP_2)
	s_or_b32 exec_lo, exec_lo, s6
	v_perm_b32 v3, v3, v5, 0x7060004
.LBB11_183:
	s_or_b32 exec_lo, exec_lo, s3
	v_or_b32_e32 v5, 0xe00, v0
	s_mov_b32 s3, exec_lo
	s_delay_alu instid0(VALU_DEP_1)
	v_cmpx_gt_i32_e64 s1, v5
	s_cbranch_execz .LBB11_189
; %bb.184:
	v_bfe_i32 v5, v15, 0, 8
	v_and_b32_e32 v7, 0xff, v14
	s_mov_b32 s7, 0
	s_mov_b32 s6, exec_lo
	s_delay_alu instid0(VALU_DEP_2) | instskip(NEXT) | instid1(VALU_DEP_1)
	v_sub_nc_u16 v6, 0, v5
	v_max_i16 v5, v5, v6
	v_cmpx_ne_u16_e32 0, v7
	s_cbranch_execz .LBB11_188
; %bb.185:
	v_bfe_i32 v6, v14, 0, 8
	s_delay_alu instid0(VALU_DEP_1) | instskip(NEXT) | instid1(VALU_DEP_1)
	v_sub_nc_u16 v7, 0, v6
	v_max_i16 v7, v6, v7
	v_and_b32_e32 v6, 0xff, v5
	s_delay_alu instid0(VALU_DEP_2)
	v_and_b32_e32 v7, 0xffff, v7
.LBB11_186:                             ; =>This Inner Loop Header: Depth=1
	s_delay_alu instid0(VALU_DEP_2) | instskip(NEXT) | instid1(VALU_DEP_2)
	v_bfe_i32 v9, v6, 0, 8
	v_mov_b32_e32 v5, v7
	s_delay_alu instid0(VALU_DEP_2) | instskip(NEXT) | instid1(VALU_DEP_2)
	v_cvt_f32_i32_e32 v15, v9
	v_bfe_i32 v7, v5, 0, 8
	s_delay_alu instid0(VALU_DEP_1) | instskip(SKIP_1) | instid1(VALU_DEP_2)
	v_cvt_f32_i32_e32 v8, v7
	v_xor_b32_e32 v7, v9, v7
	v_rcp_iflag_f32_e32 v14, v8
	v_nop
	s_delay_alu instid0(TRANS32_DEP_1) | instskip(NEXT) | instid1(VALU_DEP_1)
	v_dual_ashrrev_i32 v7, 30, v7 :: v_dual_mul_f32 v9, v15, v14
	v_trunc_f32_e32 v9, v9
	s_delay_alu instid0(VALU_DEP_1) | instskip(SKIP_1) | instid1(VALU_DEP_2)
	v_dual_fma_f32 v14, -v9, v8, v15 :: v_dual_bitop2_b32 v7, 1, v7 bitop3:0x54
	v_cvt_i32_f32_e32 v9, v9
	v_cmp_ge_f32_e64 s0, |v14|, |v8|
	s_delay_alu instid0(VALU_DEP_1) | instskip(NEXT) | instid1(VALU_DEP_1)
	v_cndmask_b32_e64 v7, 0, v7, s0
	v_add_nc_u32_e32 v7, v9, v7
	s_delay_alu instid0(VALU_DEP_1) | instskip(NEXT) | instid1(VALU_DEP_1)
	v_mul_lo_u32 v7, v7, v5
	v_sub_nc_u32_e32 v6, v6, v7
	s_delay_alu instid0(VALU_DEP_1) | instskip(SKIP_1) | instid1(VALU_DEP_2)
	v_bfe_i32 v7, v6, 0, 8
	v_mov_b32_e32 v6, v5
	v_cmp_eq_u16_e64 s0, 0, v7
	v_and_b32_e32 v7, 0xffff, v7
	s_or_b32 s7, s0, s7
	s_delay_alu instid0(SALU_CYCLE_1)
	s_and_not1_b32 exec_lo, exec_lo, s7
	s_cbranch_execnz .LBB11_186
; %bb.187:
	s_or_b32 exec_lo, exec_lo, s7
.LBB11_188:
	s_delay_alu instid0(SALU_CYCLE_1) | instskip(NEXT) | instid1(VALU_DEP_2)
	s_or_b32 exec_lo, exec_lo, s6
	v_perm_b32 v3, v3, v5, 0x7000504
.LBB11_189:
	s_or_b32 exec_lo, exec_lo, s3
	v_or_b32_e32 v5, 0xf00, v0
	s_mov_b32 s3, exec_lo
	s_delay_alu instid0(VALU_DEP_1)
	v_cmpx_gt_i32_e64 s1, v5
	s_cbranch_execnz .LBB11_208
; %bb.190:
	s_or_b32 exec_lo, exec_lo, s3
	s_and_saveexec_b32 s0, vcc_lo
	s_delay_alu instid0(SALU_CYCLE_1)
	s_xor_b32 s0, exec_lo, s0
	s_cbranch_execnz .LBB11_213
.LBB11_191:
	s_or_b32 exec_lo, exec_lo, s0
	s_delay_alu instid0(SALU_CYCLE_1)
	s_mov_b32 s0, exec_lo
	v_cmpx_gt_i32_e64 s1, v0
	s_cbranch_execnz .LBB11_214
.LBB11_192:
	s_or_b32 exec_lo, exec_lo, s0
	s_delay_alu instid0(SALU_CYCLE_1)
	s_mov_b32 s0, exec_lo
	v_cmpx_gt_i32_e64 s1, v0
	s_cbranch_execnz .LBB11_215
.LBB11_193:
	s_or_b32 exec_lo, exec_lo, s0
	s_delay_alu instid0(SALU_CYCLE_1)
	s_mov_b32 s0, exec_lo
	v_cmpx_gt_i32_e64 s1, v0
	s_cbranch_execnz .LBB11_216
.LBB11_194:
	s_or_b32 exec_lo, exec_lo, s0
	s_delay_alu instid0(SALU_CYCLE_1)
	s_mov_b32 s0, exec_lo
	v_cmpx_gt_i32_e64 s1, v0
	s_cbranch_execnz .LBB11_217
.LBB11_195:
	s_or_b32 exec_lo, exec_lo, s0
	s_delay_alu instid0(SALU_CYCLE_1)
	s_mov_b32 s0, exec_lo
	v_cmpx_gt_i32_e64 s1, v0
	s_cbranch_execnz .LBB11_218
.LBB11_196:
	s_or_b32 exec_lo, exec_lo, s0
	s_delay_alu instid0(SALU_CYCLE_1)
	s_mov_b32 s0, exec_lo
	v_cmpx_gt_i32_e64 s1, v0
	s_cbranch_execnz .LBB11_219
.LBB11_197:
	s_or_b32 exec_lo, exec_lo, s0
	s_delay_alu instid0(SALU_CYCLE_1)
	s_mov_b32 s0, exec_lo
	v_cmpx_gt_i32_e64 s1, v0
	s_cbranch_execnz .LBB11_220
.LBB11_198:
	s_or_b32 exec_lo, exec_lo, s0
	s_delay_alu instid0(SALU_CYCLE_1)
	s_mov_b32 s0, exec_lo
	v_cmpx_gt_i32_e64 s1, v0
	s_cbranch_execnz .LBB11_221
.LBB11_199:
	s_or_b32 exec_lo, exec_lo, s0
	s_delay_alu instid0(SALU_CYCLE_1)
	s_mov_b32 s0, exec_lo
	v_cmpx_gt_i32_e64 s1, v0
	s_cbranch_execnz .LBB11_222
.LBB11_200:
	s_or_b32 exec_lo, exec_lo, s0
	s_delay_alu instid0(SALU_CYCLE_1)
	s_mov_b32 s0, exec_lo
	v_cmpx_gt_i32_e64 s1, v0
	s_cbranch_execnz .LBB11_223
.LBB11_201:
	s_or_b32 exec_lo, exec_lo, s0
	s_delay_alu instid0(SALU_CYCLE_1)
	s_mov_b32 s0, exec_lo
	v_cmpx_gt_i32_e64 s1, v0
	s_cbranch_execnz .LBB11_224
.LBB11_202:
	s_or_b32 exec_lo, exec_lo, s0
	s_delay_alu instid0(SALU_CYCLE_1)
	s_mov_b32 s0, exec_lo
	v_cmpx_gt_i32_e64 s1, v0
	s_cbranch_execnz .LBB11_225
.LBB11_203:
	s_or_b32 exec_lo, exec_lo, s0
	s_delay_alu instid0(SALU_CYCLE_1)
	s_mov_b32 s0, exec_lo
	v_cmpx_gt_i32_e64 s1, v0
	s_cbranch_execnz .LBB11_226
.LBB11_204:
	s_or_b32 exec_lo, exec_lo, s0
	s_delay_alu instid0(SALU_CYCLE_1)
	s_mov_b32 s0, exec_lo
	v_cmpx_gt_i32_e64 s1, v0
	s_cbranch_execnz .LBB11_227
.LBB11_205:
	s_or_b32 exec_lo, exec_lo, s0
	s_delay_alu instid0(SALU_CYCLE_1)
	s_mov_b32 s0, exec_lo
	v_cmpx_gt_i32_e64 s1, v0
	s_cbranch_execz .LBB11_207
.LBB11_206:
	v_dual_lshrrev_b32 v1, 24, v3 :: v_dual_add_nc_u32 v0, s2, v0
	global_store_b8 v0, v1, s[4:5]
.LBB11_207:
	s_endpgm
.LBB11_208:
	v_and_b32_e32 v5, 0xff, v13
	s_mov_b32 s7, 0
	s_mov_b32 s6, exec_lo
	s_delay_alu instid0(VALU_DEP_1)
	v_cmpx_ne_u16_e32 0, v5
	s_cbranch_execz .LBB11_212
; %bb.209:
	v_bfe_i32 v5, v13, 0, 8
	s_delay_alu instid0(VALU_DEP_1) | instskip(NEXT) | instid1(VALU_DEP_1)
	v_sub_nc_u16 v6, 0, v5
	v_max_i16 v6, v5, v6
	v_and_b32_e32 v5, 0xff, v12
	s_delay_alu instid0(VALU_DEP_2)
	v_and_b32_e32 v6, 0xffff, v6
.LBB11_210:                             ; =>This Inner Loop Header: Depth=1
	s_delay_alu instid0(VALU_DEP_2) | instskip(NEXT) | instid1(VALU_DEP_2)
	v_bfe_i32 v8, v5, 0, 8
	v_mov_b32_e32 v12, v6
	s_delay_alu instid0(VALU_DEP_2) | instskip(NEXT) | instid1(VALU_DEP_2)
	v_cvt_f32_i32_e32 v13, v8
	v_bfe_i32 v6, v12, 0, 8
	s_delay_alu instid0(VALU_DEP_1) | instskip(SKIP_1) | instid1(VALU_DEP_2)
	v_cvt_f32_i32_e32 v7, v6
	v_xor_b32_e32 v6, v8, v6
	v_rcp_iflag_f32_e32 v9, v7
	v_nop
	s_delay_alu instid0(TRANS32_DEP_1) | instskip(NEXT) | instid1(VALU_DEP_1)
	v_dual_ashrrev_i32 v6, 30, v6 :: v_dual_mul_f32 v8, v13, v9
	v_trunc_f32_e32 v8, v8
	s_delay_alu instid0(VALU_DEP_1) | instskip(SKIP_1) | instid1(VALU_DEP_2)
	v_dual_fma_f32 v9, -v8, v7, v13 :: v_dual_bitop2_b32 v6, 1, v6 bitop3:0x54
	v_cvt_i32_f32_e32 v8, v8
	v_cmp_ge_f32_e64 s0, |v9|, |v7|
	s_delay_alu instid0(VALU_DEP_1) | instskip(NEXT) | instid1(VALU_DEP_1)
	v_cndmask_b32_e64 v6, 0, v6, s0
	v_add_nc_u32_e32 v6, v8, v6
	s_delay_alu instid0(VALU_DEP_1) | instskip(NEXT) | instid1(VALU_DEP_1)
	v_mul_lo_u32 v6, v6, v12
	v_sub_nc_u32_e32 v5, v5, v6
	s_delay_alu instid0(VALU_DEP_1) | instskip(SKIP_1) | instid1(VALU_DEP_2)
	v_bfe_i32 v6, v5, 0, 8
	v_mov_b32_e32 v5, v12
	v_cmp_eq_u16_e64 s0, 0, v6
	v_and_b32_e32 v6, 0xffff, v6
	s_or_b32 s7, s0, s7
	s_delay_alu instid0(SALU_CYCLE_1)
	s_and_not1_b32 exec_lo, exec_lo, s7
	s_cbranch_execnz .LBB11_210
; %bb.211:
	s_or_b32 exec_lo, exec_lo, s7
.LBB11_212:
	s_delay_alu instid0(SALU_CYCLE_1) | instskip(SKIP_3) | instid1(SALU_CYCLE_1)
	s_or_b32 exec_lo, exec_lo, s6
	v_perm_b32 v3, v3, v12, 0x60504
	s_or_b32 exec_lo, exec_lo, s3
	s_and_saveexec_b32 s0, vcc_lo
	s_xor_b32 s0, exec_lo, s0
	s_cbranch_execz .LBB11_191
.LBB11_213:
	v_mov_b32_e32 v0, v11
	global_store_b8 v10, v2, s[4:5]
	s_wait_xcnt 0x0
	s_or_b32 exec_lo, exec_lo, s0
	s_delay_alu instid0(SALU_CYCLE_1)
	s_mov_b32 s0, exec_lo
	v_cmpx_gt_i32_e64 s1, v0
	s_cbranch_execz .LBB11_192
.LBB11_214:
	v_dual_lshrrev_b32 v5, 8, v2 :: v_dual_add_nc_u32 v6, s2, v0
	v_add_nc_u32_e32 v0, 0x100, v0
	global_store_b8 v6, v5, s[4:5]
	s_wait_xcnt 0x0
	s_or_b32 exec_lo, exec_lo, s0
	s_delay_alu instid0(SALU_CYCLE_1)
	s_mov_b32 s0, exec_lo
	v_cmpx_gt_i32_e64 s1, v0
	s_cbranch_execz .LBB11_193
.LBB11_215:
	v_add_nc_u32_e32 v5, s2, v0
	v_add_nc_u32_e32 v0, 0x100, v0
	global_store_d16_hi_b8 v5, v2, s[4:5]
	s_wait_xcnt 0x0
	s_or_b32 exec_lo, exec_lo, s0
	s_delay_alu instid0(SALU_CYCLE_1)
	s_mov_b32 s0, exec_lo
	v_cmpx_gt_i32_e64 s1, v0
	s_cbranch_execz .LBB11_194
.LBB11_216:
	v_dual_lshrrev_b32 v2, 24, v2 :: v_dual_add_nc_u32 v5, s2, v0
	v_add_nc_u32_e32 v0, 0x100, v0
	global_store_b8 v5, v2, s[4:5]
	s_wait_xcnt 0x0
	s_or_b32 exec_lo, exec_lo, s0
	s_delay_alu instid0(SALU_CYCLE_1)
	s_mov_b32 s0, exec_lo
	v_cmpx_gt_i32_e64 s1, v0
	s_cbranch_execz .LBB11_195
.LBB11_217:
	v_add_nc_u32_e32 v2, s2, v0
	v_add_nc_u32_e32 v0, 0x100, v0
	global_store_b8 v2, v1, s[4:5]
	s_wait_xcnt 0x0
	s_or_b32 exec_lo, exec_lo, s0
	s_delay_alu instid0(SALU_CYCLE_1)
	s_mov_b32 s0, exec_lo
	v_cmpx_gt_i32_e64 s1, v0
	s_cbranch_execz .LBB11_196
.LBB11_218:
	v_dual_lshrrev_b32 v2, 8, v1 :: v_dual_add_nc_u32 v5, s2, v0
	v_add_nc_u32_e32 v0, 0x100, v0
	global_store_b8 v5, v2, s[4:5]
	s_wait_xcnt 0x0
	s_or_b32 exec_lo, exec_lo, s0
	s_delay_alu instid0(SALU_CYCLE_1)
	s_mov_b32 s0, exec_lo
	v_cmpx_gt_i32_e64 s1, v0
	s_cbranch_execz .LBB11_197
.LBB11_219:
	v_add_nc_u32_e32 v2, s2, v0
	v_add_nc_u32_e32 v0, 0x100, v0
	global_store_d16_hi_b8 v2, v1, s[4:5]
	s_wait_xcnt 0x0
	s_or_b32 exec_lo, exec_lo, s0
	s_delay_alu instid0(SALU_CYCLE_1)
	s_mov_b32 s0, exec_lo
	v_cmpx_gt_i32_e64 s1, v0
	s_cbranch_execz .LBB11_198
.LBB11_220:
	v_dual_lshrrev_b32 v1, 24, v1 :: v_dual_add_nc_u32 v2, s2, v0
	v_add_nc_u32_e32 v0, 0x100, v0
	global_store_b8 v2, v1, s[4:5]
	s_wait_xcnt 0x0
	s_or_b32 exec_lo, exec_lo, s0
	s_delay_alu instid0(SALU_CYCLE_1)
	s_mov_b32 s0, exec_lo
	v_cmpx_gt_i32_e64 s1, v0
	s_cbranch_execz .LBB11_199
.LBB11_221:
	v_add_nc_u32_e32 v1, s2, v0
	v_add_nc_u32_e32 v0, 0x100, v0
	global_store_b8 v1, v4, s[4:5]
	s_wait_xcnt 0x0
	s_or_b32 exec_lo, exec_lo, s0
	s_delay_alu instid0(SALU_CYCLE_1)
	s_mov_b32 s0, exec_lo
	v_cmpx_gt_i32_e64 s1, v0
	s_cbranch_execz .LBB11_200
.LBB11_222:
	v_lshrrev_b32_e32 v1, 8, v4
	v_add_nc_u32_e32 v2, s2, v0
	v_add_nc_u32_e32 v0, 0x100, v0
	global_store_b8 v2, v1, s[4:5]
	s_wait_xcnt 0x0
	s_or_b32 exec_lo, exec_lo, s0
	s_delay_alu instid0(SALU_CYCLE_1)
	s_mov_b32 s0, exec_lo
	v_cmpx_gt_i32_e64 s1, v0
	s_cbranch_execz .LBB11_201
.LBB11_223:
	v_add_nc_u32_e32 v1, s2, v0
	v_add_nc_u32_e32 v0, 0x100, v0
	global_store_d16_hi_b8 v1, v4, s[4:5]
	s_wait_xcnt 0x0
	s_or_b32 exec_lo, exec_lo, s0
	s_delay_alu instid0(SALU_CYCLE_1)
	s_mov_b32 s0, exec_lo
	v_cmpx_gt_i32_e64 s1, v0
	s_cbranch_execz .LBB11_202
.LBB11_224:
	v_lshrrev_b32_e32 v1, 24, v4
	v_add_nc_u32_e32 v2, s2, v0
	v_add_nc_u32_e32 v0, 0x100, v0
	global_store_b8 v2, v1, s[4:5]
	s_wait_xcnt 0x0
	s_or_b32 exec_lo, exec_lo, s0
	s_delay_alu instid0(SALU_CYCLE_1)
	s_mov_b32 s0, exec_lo
	v_cmpx_gt_i32_e64 s1, v0
	s_cbranch_execz .LBB11_203
.LBB11_225:
	v_add_nc_u32_e32 v1, s2, v0
	v_add_nc_u32_e32 v0, 0x100, v0
	global_store_b8 v1, v3, s[4:5]
	s_wait_xcnt 0x0
	s_or_b32 exec_lo, exec_lo, s0
	s_delay_alu instid0(SALU_CYCLE_1)
	s_mov_b32 s0, exec_lo
	v_cmpx_gt_i32_e64 s1, v0
	s_cbranch_execz .LBB11_204
.LBB11_226:
	v_dual_lshrrev_b32 v1, 8, v3 :: v_dual_add_nc_u32 v2, s2, v0
	v_add_nc_u32_e32 v0, 0x100, v0
	global_store_b8 v2, v1, s[4:5]
	s_wait_xcnt 0x0
	s_or_b32 exec_lo, exec_lo, s0
	s_delay_alu instid0(SALU_CYCLE_1)
	s_mov_b32 s0, exec_lo
	v_cmpx_gt_i32_e64 s1, v0
	s_cbranch_execz .LBB11_205
.LBB11_227:
	v_add_nc_u32_e32 v1, s2, v0
	v_add_nc_u32_e32 v0, 0x100, v0
	global_store_d16_hi_b8 v1, v3, s[4:5]
	s_wait_xcnt 0x0
	s_or_b32 exec_lo, exec_lo, s0
	s_delay_alu instid0(SALU_CYCLE_1)
	s_mov_b32 s0, exec_lo
	v_cmpx_gt_i32_e64 s1, v0
	s_cbranch_execnz .LBB11_206
	s_branch .LBB11_207
	.section	.rodata,"a",@progbits
	.p2align	6, 0x0
	.amdhsa_kernel _ZN2at6native29vectorized_elementwise_kernelILi2EZZZNS0_15gcd_kernel_cudaERNS_18TensorIteratorBaseEENKUlvE_clEvENKUlvE0_clEvEUlaaE_St5arrayIPcLm3EEEEviT0_T1_
		.amdhsa_group_segment_fixed_size 0
		.amdhsa_private_segment_fixed_size 0
		.amdhsa_kernarg_size 32
		.amdhsa_user_sgpr_count 2
		.amdhsa_user_sgpr_dispatch_ptr 0
		.amdhsa_user_sgpr_queue_ptr 0
		.amdhsa_user_sgpr_kernarg_segment_ptr 1
		.amdhsa_user_sgpr_dispatch_id 0
		.amdhsa_user_sgpr_kernarg_preload_length 0
		.amdhsa_user_sgpr_kernarg_preload_offset 0
		.amdhsa_user_sgpr_private_segment_size 0
		.amdhsa_wavefront_size32 1
		.amdhsa_uses_dynamic_stack 0
		.amdhsa_enable_private_segment 0
		.amdhsa_system_sgpr_workgroup_id_x 1
		.amdhsa_system_sgpr_workgroup_id_y 0
		.amdhsa_system_sgpr_workgroup_id_z 0
		.amdhsa_system_sgpr_workgroup_info 0
		.amdhsa_system_vgpr_workitem_id 0
		.amdhsa_next_free_vgpr 42
		.amdhsa_next_free_sgpr 21
		.amdhsa_named_barrier_count 0
		.amdhsa_reserve_vcc 1
		.amdhsa_float_round_mode_32 0
		.amdhsa_float_round_mode_16_64 0
		.amdhsa_float_denorm_mode_32 3
		.amdhsa_float_denorm_mode_16_64 3
		.amdhsa_fp16_overflow 0
		.amdhsa_memory_ordered 1
		.amdhsa_forward_progress 1
		.amdhsa_inst_pref_size 109
		.amdhsa_round_robin_scheduling 0
		.amdhsa_exception_fp_ieee_invalid_op 0
		.amdhsa_exception_fp_denorm_src 0
		.amdhsa_exception_fp_ieee_div_zero 0
		.amdhsa_exception_fp_ieee_overflow 0
		.amdhsa_exception_fp_ieee_underflow 0
		.amdhsa_exception_fp_ieee_inexact 0
		.amdhsa_exception_int_div_zero 0
	.end_amdhsa_kernel
	.section	.text._ZN2at6native29vectorized_elementwise_kernelILi2EZZZNS0_15gcd_kernel_cudaERNS_18TensorIteratorBaseEENKUlvE_clEvENKUlvE0_clEvEUlaaE_St5arrayIPcLm3EEEEviT0_T1_,"axG",@progbits,_ZN2at6native29vectorized_elementwise_kernelILi2EZZZNS0_15gcd_kernel_cudaERNS_18TensorIteratorBaseEENKUlvE_clEvENKUlvE0_clEvEUlaaE_St5arrayIPcLm3EEEEviT0_T1_,comdat
.Lfunc_end11:
	.size	_ZN2at6native29vectorized_elementwise_kernelILi2EZZZNS0_15gcd_kernel_cudaERNS_18TensorIteratorBaseEENKUlvE_clEvENKUlvE0_clEvEUlaaE_St5arrayIPcLm3EEEEviT0_T1_, .Lfunc_end11-_ZN2at6native29vectorized_elementwise_kernelILi2EZZZNS0_15gcd_kernel_cudaERNS_18TensorIteratorBaseEENKUlvE_clEvENKUlvE0_clEvEUlaaE_St5arrayIPcLm3EEEEviT0_T1_
                                        ; -- End function
	.set _ZN2at6native29vectorized_elementwise_kernelILi2EZZZNS0_15gcd_kernel_cudaERNS_18TensorIteratorBaseEENKUlvE_clEvENKUlvE0_clEvEUlaaE_St5arrayIPcLm3EEEEviT0_T1_.num_vgpr, 42
	.set _ZN2at6native29vectorized_elementwise_kernelILi2EZZZNS0_15gcd_kernel_cudaERNS_18TensorIteratorBaseEENKUlvE_clEvENKUlvE0_clEvEUlaaE_St5arrayIPcLm3EEEEviT0_T1_.num_agpr, 0
	.set _ZN2at6native29vectorized_elementwise_kernelILi2EZZZNS0_15gcd_kernel_cudaERNS_18TensorIteratorBaseEENKUlvE_clEvENKUlvE0_clEvEUlaaE_St5arrayIPcLm3EEEEviT0_T1_.numbered_sgpr, 21
	.set _ZN2at6native29vectorized_elementwise_kernelILi2EZZZNS0_15gcd_kernel_cudaERNS_18TensorIteratorBaseEENKUlvE_clEvENKUlvE0_clEvEUlaaE_St5arrayIPcLm3EEEEviT0_T1_.num_named_barrier, 0
	.set _ZN2at6native29vectorized_elementwise_kernelILi2EZZZNS0_15gcd_kernel_cudaERNS_18TensorIteratorBaseEENKUlvE_clEvENKUlvE0_clEvEUlaaE_St5arrayIPcLm3EEEEviT0_T1_.private_seg_size, 0
	.set _ZN2at6native29vectorized_elementwise_kernelILi2EZZZNS0_15gcd_kernel_cudaERNS_18TensorIteratorBaseEENKUlvE_clEvENKUlvE0_clEvEUlaaE_St5arrayIPcLm3EEEEviT0_T1_.uses_vcc, 1
	.set _ZN2at6native29vectorized_elementwise_kernelILi2EZZZNS0_15gcd_kernel_cudaERNS_18TensorIteratorBaseEENKUlvE_clEvENKUlvE0_clEvEUlaaE_St5arrayIPcLm3EEEEviT0_T1_.uses_flat_scratch, 0
	.set _ZN2at6native29vectorized_elementwise_kernelILi2EZZZNS0_15gcd_kernel_cudaERNS_18TensorIteratorBaseEENKUlvE_clEvENKUlvE0_clEvEUlaaE_St5arrayIPcLm3EEEEviT0_T1_.has_dyn_sized_stack, 0
	.set _ZN2at6native29vectorized_elementwise_kernelILi2EZZZNS0_15gcd_kernel_cudaERNS_18TensorIteratorBaseEENKUlvE_clEvENKUlvE0_clEvEUlaaE_St5arrayIPcLm3EEEEviT0_T1_.has_recursion, 0
	.set _ZN2at6native29vectorized_elementwise_kernelILi2EZZZNS0_15gcd_kernel_cudaERNS_18TensorIteratorBaseEENKUlvE_clEvENKUlvE0_clEvEUlaaE_St5arrayIPcLm3EEEEviT0_T1_.has_indirect_call, 0
	.section	.AMDGPU.csdata,"",@progbits
; Kernel info:
; codeLenInByte = 13868
; TotalNumSgprs: 23
; NumVgprs: 42
; ScratchSize: 0
; MemoryBound: 0
; FloatMode: 240
; IeeeMode: 1
; LDSByteSize: 0 bytes/workgroup (compile time only)
; SGPRBlocks: 0
; VGPRBlocks: 2
; NumSGPRsForWavesPerEU: 23
; NumVGPRsForWavesPerEU: 42
; NamedBarCnt: 0
; Occupancy: 16
; WaveLimiterHint : 1
; COMPUTE_PGM_RSRC2:SCRATCH_EN: 0
; COMPUTE_PGM_RSRC2:USER_SGPR: 2
; COMPUTE_PGM_RSRC2:TRAP_HANDLER: 0
; COMPUTE_PGM_RSRC2:TGID_X_EN: 1
; COMPUTE_PGM_RSRC2:TGID_Y_EN: 0
; COMPUTE_PGM_RSRC2:TGID_Z_EN: 0
; COMPUTE_PGM_RSRC2:TIDIG_COMP_CNT: 0
	.section	.text._ZN2at6native27unrolled_elementwise_kernelIZZZNS0_15gcd_kernel_cudaERNS_18TensorIteratorBaseEENKUlvE_clEvENKUlvE0_clEvEUlaaE_St5arrayIPcLm3EELi4E23TrivialOffsetCalculatorILi2EjESA_ILi1EjENS0_6memory15LoadWithoutCastENSD_16StoreWithoutCastEEEviT_T0_T2_T3_T4_T5_,"axG",@progbits,_ZN2at6native27unrolled_elementwise_kernelIZZZNS0_15gcd_kernel_cudaERNS_18TensorIteratorBaseEENKUlvE_clEvENKUlvE0_clEvEUlaaE_St5arrayIPcLm3EELi4E23TrivialOffsetCalculatorILi2EjESA_ILi1EjENS0_6memory15LoadWithoutCastENSD_16StoreWithoutCastEEEviT_T0_T2_T3_T4_T5_,comdat
	.globl	_ZN2at6native27unrolled_elementwise_kernelIZZZNS0_15gcd_kernel_cudaERNS_18TensorIteratorBaseEENKUlvE_clEvENKUlvE0_clEvEUlaaE_St5arrayIPcLm3EELi4E23TrivialOffsetCalculatorILi2EjESA_ILi1EjENS0_6memory15LoadWithoutCastENSD_16StoreWithoutCastEEEviT_T0_T2_T3_T4_T5_ ; -- Begin function _ZN2at6native27unrolled_elementwise_kernelIZZZNS0_15gcd_kernel_cudaERNS_18TensorIteratorBaseEENKUlvE_clEvENKUlvE0_clEvEUlaaE_St5arrayIPcLm3EELi4E23TrivialOffsetCalculatorILi2EjESA_ILi1EjENS0_6memory15LoadWithoutCastENSD_16StoreWithoutCastEEEviT_T0_T2_T3_T4_T5_
	.p2align	8
	.type	_ZN2at6native27unrolled_elementwise_kernelIZZZNS0_15gcd_kernel_cudaERNS_18TensorIteratorBaseEENKUlvE_clEvENKUlvE0_clEvEUlaaE_St5arrayIPcLm3EELi4E23TrivialOffsetCalculatorILi2EjESA_ILi1EjENS0_6memory15LoadWithoutCastENSD_16StoreWithoutCastEEEviT_T0_T2_T3_T4_T5_,@function
_ZN2at6native27unrolled_elementwise_kernelIZZZNS0_15gcd_kernel_cudaERNS_18TensorIteratorBaseEENKUlvE_clEvENKUlvE0_clEvEUlaaE_St5arrayIPcLm3EELi4E23TrivialOffsetCalculatorILi2EjESA_ILi1EjENS0_6memory15LoadWithoutCastENSD_16StoreWithoutCastEEEviT_T0_T2_T3_T4_T5_: ; @_ZN2at6native27unrolled_elementwise_kernelIZZZNS0_15gcd_kernel_cudaERNS_18TensorIteratorBaseEENKUlvE_clEvENKUlvE0_clEvEUlaaE_St5arrayIPcLm3EELi4E23TrivialOffsetCalculatorILi2EjESA_ILi1EjENS0_6memory15LoadWithoutCastENSD_16StoreWithoutCastEEEviT_T0_T2_T3_T4_T5_
; %bb.0:
	s_load_b32 s8, s[0:1], 0x0
	s_bfe_u32 s10, ttmp6, 0x4000c
	s_clause 0x1
	s_load_b128 s[4:7], s[0:1], 0x8
	s_load_b64 s[2:3], s[0:1], 0x18
	s_add_co_i32 s10, s10, 1
	s_and_b32 s9, ttmp6, 15
	s_wait_xcnt 0x0
	s_mul_i32 s0, ttmp9, s10
	s_getreg_b32 s11, hwreg(HW_REG_IB_STS2, 6, 4)
	s_add_co_i32 s9, s9, s0
	s_cmp_eq_u32 s11, 0
	v_dual_mov_b32 v3, 0 :: v_dual_mov_b32 v5, 0
	s_cselect_b32 s0, ttmp9, s9
	v_dual_mov_b32 v4, 0 :: v_dual_mov_b32 v6, 0
	s_lshl_b32 s1, s0, 10
	v_dual_mov_b32 v7, 0 :: v_dual_mov_b32 v8, 0
	v_dual_mov_b32 v9, 0 :: v_dual_bitop2_b32 v2, s1, v0 bitop3:0x54
	v_or_b32_e32 v1, 0x100, v0
	s_wait_kmcnt 0x0
	s_sub_co_i32 s8, s8, s1
	v_dual_mov_b32 v10, 0 :: v_dual_mov_b32 v11, 0
	v_cmp_gt_i32_e32 vcc_lo, s8, v0
	s_and_saveexec_b32 s9, vcc_lo
	s_cbranch_execnz .LBB12_3
; %bb.1:
	s_or_b32 exec_lo, exec_lo, s9
	s_and_saveexec_b32 s2, vcc_lo
	s_cbranch_execnz .LBB12_10
.LBB12_2:
	s_or_b32 exec_lo, exec_lo, s2
	s_delay_alu instid0(SALU_CYCLE_1)
	s_mov_b32 s2, exec_lo
	v_cmpx_gt_i32_e64 s8, v1
	s_cbranch_execnz .LBB12_15
	s_branch .LBB12_20
.LBB12_3:
	s_clause 0x1
	global_load_u8 v10, v2, s[6:7]
	global_load_u8 v11, v2, s[2:3]
	v_or_b32_e32 v12, 0x100, v0
	v_dual_mov_b32 v9, 0 :: v_dual_mov_b32 v8, 0
	v_dual_mov_b32 v7, 0 :: v_dual_mov_b32 v6, 0
	;; [unrolled: 1-line block ×3, first 2 shown]
	s_mov_b32 s10, exec_lo
	s_wait_xcnt 0x0
	v_cmpx_gt_u32_e64 s8, v12
	s_cbranch_execz .LBB12_9
; %bb.4:
	v_dual_mov_b32 v7, 0 :: v_dual_add_nc_u32 v4, s1, v12
	v_or_b32_e32 v12, 0x200, v0
	v_dual_mov_b32 v6, 0 :: v_dual_mov_b32 v5, 0
	s_clause 0x1
	global_load_u8 v8, v4, s[6:7]
	global_load_u8 v9, v4, s[2:3]
	s_wait_xcnt 0x0
	v_mov_b32_e32 v4, 0
	s_mov_b32 s11, exec_lo
	v_cmpx_gt_u32_e64 s8, v12
	s_cbranch_execz .LBB12_8
; %bb.5:
	v_dual_mov_b32 v5, 0 :: v_dual_add_nc_u32 v4, s1, v12
	v_or_b32_e32 v12, 0x300, v0
	s_mov_b32 s12, exec_lo
	s_clause 0x1
	global_load_u8 v6, v4, s[6:7]
	global_load_u8 v7, v4, s[2:3]
	s_wait_xcnt 0x0
	v_mov_b32_e32 v4, 0
	v_cmpx_gt_u32_e64 s8, v12
	s_cbranch_execz .LBB12_7
; %bb.6:
	v_add_nc_u32_e32 v4, s1, v12
	s_clause 0x1
	global_load_i8 v12, v4, s[2:3]
	global_load_u8 v5, v4, s[6:7]
	s_wait_loadcnt 0x1
	s_wait_xcnt 0x0
	v_sub_nc_u16 v4, 0, v12
	s_delay_alu instid0(VALU_DEP_1)
	v_max_i16 v4, v12, v4
.LBB12_7:
	s_or_b32 exec_lo, exec_lo, s12
.LBB12_8:
	s_delay_alu instid0(SALU_CYCLE_1)
	s_or_b32 exec_lo, exec_lo, s11
.LBB12_9:
	s_delay_alu instid0(SALU_CYCLE_1) | instskip(NEXT) | instid1(SALU_CYCLE_1)
	s_or_b32 exec_lo, exec_lo, s10
	s_or_b32 exec_lo, exec_lo, s9
	s_and_saveexec_b32 s2, vcc_lo
	s_cbranch_execz .LBB12_2
.LBB12_10:
	s_wait_loadcnt 0x0
	v_bfe_i32 v3, v11, 0, 8
	v_and_b32_e32 v12, 0xff, v10
	s_mov_b32 s6, 0
	s_mov_b32 s3, exec_lo
	s_delay_alu instid0(VALU_DEP_2) | instskip(NEXT) | instid1(VALU_DEP_1)
	v_sub_nc_u16 v11, 0, v3
	v_max_i16 v3, v3, v11
	v_cmpx_ne_u16_e32 0, v12
	s_cbranch_execz .LBB12_14
; %bb.11:
	v_bfe_i32 v10, v10, 0, 8
	s_delay_alu instid0(VALU_DEP_1) | instskip(NEXT) | instid1(VALU_DEP_1)
	v_sub_nc_u16 v11, 0, v10
	v_max_i16 v11, v10, v11
	v_and_b32_e32 v10, 0xff, v3
	s_delay_alu instid0(VALU_DEP_2)
	v_and_b32_e32 v11, 0xffff, v11
.LBB12_12:                              ; =>This Inner Loop Header: Depth=1
	s_delay_alu instid0(VALU_DEP_2) | instskip(NEXT) | instid1(VALU_DEP_2)
	v_bfe_i32 v13, v10, 0, 8
	v_mov_b32_e32 v3, v11
	s_delay_alu instid0(VALU_DEP_2) | instskip(NEXT) | instid1(VALU_DEP_2)
	v_cvt_f32_i32_e32 v15, v13
	v_bfe_i32 v11, v3, 0, 8
	s_delay_alu instid0(VALU_DEP_1) | instskip(SKIP_1) | instid1(VALU_DEP_2)
	v_cvt_f32_i32_e32 v12, v11
	v_xor_b32_e32 v11, v13, v11
	v_rcp_iflag_f32_e32 v14, v12
	v_nop
	s_delay_alu instid0(TRANS32_DEP_1) | instskip(NEXT) | instid1(VALU_DEP_1)
	v_dual_ashrrev_i32 v11, 30, v11 :: v_dual_mul_f32 v13, v15, v14
	v_trunc_f32_e32 v13, v13
	s_delay_alu instid0(VALU_DEP_1) | instskip(SKIP_1) | instid1(VALU_DEP_2)
	v_dual_fma_f32 v14, -v13, v12, v15 :: v_dual_bitop2_b32 v11, 1, v11 bitop3:0x54
	v_cvt_i32_f32_e32 v13, v13
	v_cmp_ge_f32_e64 s0, |v14|, |v12|
	s_delay_alu instid0(VALU_DEP_1) | instskip(NEXT) | instid1(VALU_DEP_1)
	v_cndmask_b32_e64 v11, 0, v11, s0
	v_add_nc_u32_e32 v11, v13, v11
	s_delay_alu instid0(VALU_DEP_1) | instskip(NEXT) | instid1(VALU_DEP_1)
	v_mul_lo_u32 v11, v11, v3
	v_sub_nc_u32_e32 v10, v10, v11
	s_delay_alu instid0(VALU_DEP_1) | instskip(SKIP_1) | instid1(VALU_DEP_2)
	v_bfe_i32 v11, v10, 0, 8
	v_mov_b32_e32 v10, v3
	v_cmp_eq_u16_e64 s0, 0, v11
	v_and_b32_e32 v11, 0xffff, v11
	s_or_b32 s6, s0, s6
	s_delay_alu instid0(SALU_CYCLE_1)
	s_and_not1_b32 exec_lo, exec_lo, s6
	s_cbranch_execnz .LBB12_12
; %bb.13:
	s_or_b32 exec_lo, exec_lo, s6
.LBB12_14:
	s_delay_alu instid0(SALU_CYCLE_1) | instskip(NEXT) | instid1(VALU_DEP_2)
	s_or_b32 exec_lo, exec_lo, s3
	v_and_b32_e32 v3, 0xff, v3
	s_delay_alu instid0(VALU_DEP_1) | instskip(SKIP_1) | instid1(SALU_CYCLE_1)
	v_and_b32_e32 v3, 0xffff, v3
	s_or_b32 exec_lo, exec_lo, s2
	s_mov_b32 s2, exec_lo
	v_cmpx_gt_i32_e64 s8, v1
	s_cbranch_execz .LBB12_20
.LBB12_15:
	s_wait_loadcnt 0x0
	v_bfe_i32 v9, v9, 0, 8
	v_and_b32_e32 v11, 0xff, v8
	s_mov_b32 s6, 0
	s_mov_b32 s3, exec_lo
	s_delay_alu instid0(VALU_DEP_2) | instskip(NEXT) | instid1(VALU_DEP_1)
	v_sub_nc_u16 v10, 0, v9
	v_max_i16 v9, v9, v10
	v_cmpx_ne_u16_e32 0, v11
	s_cbranch_execz .LBB12_19
; %bb.16:
	v_bfe_i32 v8, v8, 0, 8
	s_delay_alu instid0(VALU_DEP_1) | instskip(NEXT) | instid1(VALU_DEP_1)
	v_sub_nc_u16 v10, 0, v8
	v_max_i16 v10, v8, v10
	v_and_b32_e32 v8, 0xff, v9
	s_delay_alu instid0(VALU_DEP_2)
	v_and_b32_e32 v10, 0xffff, v10
.LBB12_17:                              ; =>This Inner Loop Header: Depth=1
	s_delay_alu instid0(VALU_DEP_2) | instskip(NEXT) | instid1(VALU_DEP_2)
	v_bfe_i32 v12, v8, 0, 8
	v_mov_b32_e32 v9, v10
	s_delay_alu instid0(VALU_DEP_2) | instskip(NEXT) | instid1(VALU_DEP_2)
	v_cvt_f32_i32_e32 v14, v12
	v_bfe_i32 v10, v9, 0, 8
	s_delay_alu instid0(VALU_DEP_1) | instskip(SKIP_1) | instid1(VALU_DEP_2)
	v_cvt_f32_i32_e32 v11, v10
	v_xor_b32_e32 v10, v12, v10
	v_rcp_iflag_f32_e32 v13, v11
	v_nop
	s_delay_alu instid0(TRANS32_DEP_1) | instskip(NEXT) | instid1(VALU_DEP_1)
	v_dual_ashrrev_i32 v10, 30, v10 :: v_dual_mul_f32 v12, v14, v13
	v_trunc_f32_e32 v12, v12
	s_delay_alu instid0(VALU_DEP_1) | instskip(SKIP_1) | instid1(VALU_DEP_2)
	v_dual_fma_f32 v13, -v12, v11, v14 :: v_dual_bitop2_b32 v10, 1, v10 bitop3:0x54
	v_cvt_i32_f32_e32 v12, v12
	v_cmp_ge_f32_e64 s0, |v13|, |v11|
	s_delay_alu instid0(VALU_DEP_1) | instskip(NEXT) | instid1(VALU_DEP_1)
	v_cndmask_b32_e64 v10, 0, v10, s0
	v_add_nc_u32_e32 v10, v12, v10
	s_delay_alu instid0(VALU_DEP_1) | instskip(NEXT) | instid1(VALU_DEP_1)
	v_mul_lo_u32 v10, v10, v9
	v_sub_nc_u32_e32 v8, v8, v10
	s_delay_alu instid0(VALU_DEP_1) | instskip(SKIP_1) | instid1(VALU_DEP_2)
	v_bfe_i32 v10, v8, 0, 8
	v_mov_b32_e32 v8, v9
	v_cmp_eq_u16_e64 s0, 0, v10
	v_and_b32_e32 v10, 0xffff, v10
	s_or_b32 s6, s0, s6
	s_delay_alu instid0(SALU_CYCLE_1)
	s_and_not1_b32 exec_lo, exec_lo, s6
	s_cbranch_execnz .LBB12_17
; %bb.18:
	s_or_b32 exec_lo, exec_lo, s6
.LBB12_19:
	s_delay_alu instid0(SALU_CYCLE_1) | instskip(NEXT) | instid1(VALU_DEP_2)
	s_or_b32 exec_lo, exec_lo, s3
	v_lshlrev_b16 v8, 8, v9
	s_delay_alu instid0(VALU_DEP_1) | instskip(NEXT) | instid1(VALU_DEP_1)
	v_or_b32_e32 v3, v3, v8
	v_and_b32_e32 v3, 0xffff, v3
.LBB12_20:
	s_or_b32 exec_lo, exec_lo, s2
	s_wait_loadcnt 0x1
	v_or_b32_e32 v8, 0x200, v0
	s_mov_b32 s2, exec_lo
	s_delay_alu instid0(VALU_DEP_1)
	v_cmpx_gt_i32_e64 s8, v8
	s_cbranch_execz .LBB12_26
; %bb.21:
	s_wait_loadcnt 0x0
	v_bfe_i32 v7, v7, 0, 8
	v_and_b32_e32 v9, 0xff, v6
	s_mov_b32 s6, 0
	s_mov_b32 s3, exec_lo
	s_delay_alu instid0(VALU_DEP_2) | instskip(NEXT) | instid1(VALU_DEP_1)
	v_sub_nc_u16 v8, 0, v7
	v_max_i16 v7, v7, v8
	v_cmpx_ne_u16_e32 0, v9
	s_cbranch_execz .LBB12_25
; %bb.22:
	v_bfe_i32 v6, v6, 0, 8
	s_delay_alu instid0(VALU_DEP_1) | instskip(NEXT) | instid1(VALU_DEP_1)
	v_sub_nc_u16 v8, 0, v6
	v_max_i16 v8, v6, v8
	v_and_b32_e32 v6, 0xff, v7
	s_delay_alu instid0(VALU_DEP_2)
	v_and_b32_e32 v8, 0xffff, v8
.LBB12_23:                              ; =>This Inner Loop Header: Depth=1
	s_delay_alu instid0(VALU_DEP_2) | instskip(NEXT) | instid1(VALU_DEP_2)
	v_bfe_i32 v10, v6, 0, 8
	v_mov_b32_e32 v7, v8
	s_delay_alu instid0(VALU_DEP_2) | instskip(NEXT) | instid1(VALU_DEP_2)
	v_cvt_f32_i32_e32 v12, v10
	v_bfe_i32 v8, v7, 0, 8
	s_delay_alu instid0(VALU_DEP_1) | instskip(SKIP_1) | instid1(VALU_DEP_2)
	v_cvt_f32_i32_e32 v9, v8
	v_xor_b32_e32 v8, v10, v8
	v_rcp_iflag_f32_e32 v11, v9
	v_nop
	s_delay_alu instid0(TRANS32_DEP_1) | instskip(NEXT) | instid1(VALU_DEP_1)
	v_dual_ashrrev_i32 v8, 30, v8 :: v_dual_mul_f32 v10, v12, v11
	v_trunc_f32_e32 v10, v10
	s_delay_alu instid0(VALU_DEP_1) | instskip(SKIP_1) | instid1(VALU_DEP_2)
	v_dual_fma_f32 v11, -v10, v9, v12 :: v_dual_bitop2_b32 v8, 1, v8 bitop3:0x54
	v_cvt_i32_f32_e32 v10, v10
	v_cmp_ge_f32_e64 s0, |v11|, |v9|
	s_delay_alu instid0(VALU_DEP_1) | instskip(NEXT) | instid1(VALU_DEP_1)
	v_cndmask_b32_e64 v8, 0, v8, s0
	v_add_nc_u32_e32 v8, v10, v8
	s_delay_alu instid0(VALU_DEP_1) | instskip(NEXT) | instid1(VALU_DEP_1)
	v_mul_lo_u32 v8, v8, v7
	v_sub_nc_u32_e32 v6, v6, v8
	s_delay_alu instid0(VALU_DEP_1) | instskip(SKIP_1) | instid1(VALU_DEP_2)
	v_bfe_i32 v8, v6, 0, 8
	v_mov_b32_e32 v6, v7
	v_cmp_eq_u16_e64 s0, 0, v8
	v_and_b32_e32 v8, 0xffff, v8
	s_or_b32 s6, s0, s6
	s_delay_alu instid0(SALU_CYCLE_1)
	s_and_not1_b32 exec_lo, exec_lo, s6
	s_cbranch_execnz .LBB12_23
; %bb.24:
	s_or_b32 exec_lo, exec_lo, s6
.LBB12_25:
	s_delay_alu instid0(SALU_CYCLE_1) | instskip(NEXT) | instid1(VALU_DEP_2)
	s_or_b32 exec_lo, exec_lo, s3
	v_and_b32_e32 v6, 0xff, v7
	s_delay_alu instid0(VALU_DEP_1) | instskip(NEXT) | instid1(VALU_DEP_1)
	v_lshlrev_b32_e32 v6, 16, v6
	v_or_b32_e32 v3, v3, v6
.LBB12_26:
	s_or_b32 exec_lo, exec_lo, s2
	v_or_b32_e32 v6, 0x300, v0
	s_mov_b32 s2, exec_lo
	s_delay_alu instid0(VALU_DEP_1)
	v_cmpx_gt_i32_e64 s8, v6
	s_cbranch_execnz .LBB12_32
; %bb.27:
	s_or_b32 exec_lo, exec_lo, s2
	s_and_saveexec_b32 s0, vcc_lo
	s_delay_alu instid0(SALU_CYCLE_1)
	s_xor_b32 s0, exec_lo, s0
	s_cbranch_execnz .LBB12_37
.LBB12_28:
	s_or_b32 exec_lo, exec_lo, s0
	s_delay_alu instid0(SALU_CYCLE_1)
	s_mov_b32 s0, exec_lo
	v_cmpx_gt_i32_e64 s8, v0
	s_cbranch_execnz .LBB12_38
.LBB12_29:
	s_or_b32 exec_lo, exec_lo, s0
	s_delay_alu instid0(SALU_CYCLE_1)
	s_mov_b32 s0, exec_lo
	v_cmpx_gt_i32_e64 s8, v0
	s_cbranch_execnz .LBB12_39
.LBB12_30:
	s_or_b32 exec_lo, exec_lo, s0
	s_delay_alu instid0(SALU_CYCLE_1)
	s_mov_b32 s0, exec_lo
	v_cmpx_gt_i32_e64 s8, v0
	s_cbranch_execnz .LBB12_40
.LBB12_31:
	s_endpgm
.LBB12_32:
	s_wait_loadcnt 0x0
	v_and_b32_e32 v6, 0xff, v5
	s_mov_b32 s6, 0
	s_mov_b32 s3, exec_lo
	s_delay_alu instid0(VALU_DEP_1)
	v_cmpx_ne_u16_e32 0, v6
	s_cbranch_execz .LBB12_36
; %bb.33:
	v_bfe_i32 v5, v5, 0, 8
	s_delay_alu instid0(VALU_DEP_1) | instskip(NEXT) | instid1(VALU_DEP_1)
	v_sub_nc_u16 v6, 0, v5
	v_max_i16 v6, v5, v6
	v_and_b32_e32 v5, 0xff, v4
	s_delay_alu instid0(VALU_DEP_2)
	v_and_b32_e32 v6, 0xffff, v6
.LBB12_34:                              ; =>This Inner Loop Header: Depth=1
	s_delay_alu instid0(VALU_DEP_2) | instskip(NEXT) | instid1(VALU_DEP_2)
	v_bfe_i32 v8, v5, 0, 8
	v_mov_b32_e32 v4, v6
	s_delay_alu instid0(VALU_DEP_2) | instskip(NEXT) | instid1(VALU_DEP_2)
	v_cvt_f32_i32_e32 v10, v8
	v_bfe_i32 v6, v4, 0, 8
	s_delay_alu instid0(VALU_DEP_1) | instskip(SKIP_1) | instid1(VALU_DEP_2)
	v_cvt_f32_i32_e32 v7, v6
	v_xor_b32_e32 v6, v8, v6
	v_rcp_iflag_f32_e32 v9, v7
	v_nop
	s_delay_alu instid0(TRANS32_DEP_1) | instskip(NEXT) | instid1(VALU_DEP_1)
	v_dual_ashrrev_i32 v6, 30, v6 :: v_dual_mul_f32 v8, v10, v9
	v_trunc_f32_e32 v8, v8
	s_delay_alu instid0(VALU_DEP_1) | instskip(SKIP_1) | instid1(VALU_DEP_2)
	v_dual_fma_f32 v9, -v8, v7, v10 :: v_dual_bitop2_b32 v6, 1, v6 bitop3:0x54
	v_cvt_i32_f32_e32 v8, v8
	v_cmp_ge_f32_e64 s0, |v9|, |v7|
	s_delay_alu instid0(VALU_DEP_1) | instskip(NEXT) | instid1(VALU_DEP_1)
	v_cndmask_b32_e64 v6, 0, v6, s0
	v_add_nc_u32_e32 v6, v8, v6
	s_delay_alu instid0(VALU_DEP_1) | instskip(NEXT) | instid1(VALU_DEP_1)
	v_mul_lo_u32 v6, v6, v4
	v_sub_nc_u32_e32 v5, v5, v6
	s_delay_alu instid0(VALU_DEP_1) | instskip(SKIP_1) | instid1(VALU_DEP_2)
	v_bfe_i32 v6, v5, 0, 8
	v_mov_b32_e32 v5, v4
	v_cmp_eq_u16_e64 s0, 0, v6
	v_and_b32_e32 v6, 0xffff, v6
	s_or_b32 s6, s0, s6
	s_delay_alu instid0(SALU_CYCLE_1)
	s_and_not1_b32 exec_lo, exec_lo, s6
	s_cbranch_execnz .LBB12_34
; %bb.35:
	s_or_b32 exec_lo, exec_lo, s6
.LBB12_36:
	s_delay_alu instid0(SALU_CYCLE_1) | instskip(SKIP_2) | instid1(VALU_DEP_1)
	s_or_b32 exec_lo, exec_lo, s3
	v_lshrrev_b32_e32 v5, 16, v3
	v_lshlrev_b16 v4, 8, v4
	v_or_b32_e32 v4, v5, v4
	s_delay_alu instid0(VALU_DEP_1) | instskip(NEXT) | instid1(VALU_DEP_1)
	v_lshlrev_b32_e32 v4, 16, v4
	v_and_or_b32 v3, 0xffff, v3, v4
	s_or_b32 exec_lo, exec_lo, s2
	s_and_saveexec_b32 s0, vcc_lo
	s_delay_alu instid0(SALU_CYCLE_1)
	s_xor_b32 s0, exec_lo, s0
	s_cbranch_execz .LBB12_28
.LBB12_37:
	v_mov_b32_e32 v0, v1
	global_store_b8 v2, v3, s[4:5]
	s_wait_xcnt 0x0
	s_or_b32 exec_lo, exec_lo, s0
	s_delay_alu instid0(SALU_CYCLE_1)
	s_mov_b32 s0, exec_lo
	v_cmpx_gt_i32_e64 s8, v0
	s_cbranch_execz .LBB12_29
.LBB12_38:
	v_add_nc_u32_e32 v1, 0x100, v0
	v_dual_add_nc_u32 v2, s1, v0 :: v_dual_lshrrev_b32 v4, 8, v3
	s_delay_alu instid0(VALU_DEP_2) | instskip(SKIP_3) | instid1(SALU_CYCLE_1)
	v_mov_b32_e32 v0, v1
	global_store_b8 v2, v4, s[4:5]
	s_wait_xcnt 0x0
	s_or_b32 exec_lo, exec_lo, s0
	s_mov_b32 s0, exec_lo
	v_cmpx_gt_i32_e64 s8, v0
	s_cbranch_execz .LBB12_30
.LBB12_39:
	v_add_nc_u32_e32 v1, 0x100, v0
	s_delay_alu instid0(VALU_DEP_1) | instskip(SKIP_3) | instid1(SALU_CYCLE_1)
	v_dual_add_nc_u32 v2, s1, v0 :: v_dual_mov_b32 v0, v1
	global_store_d16_hi_b8 v2, v3, s[4:5]
	s_wait_xcnt 0x0
	s_or_b32 exec_lo, exec_lo, s0
	s_mov_b32 s0, exec_lo
	v_cmpx_gt_i32_e64 s8, v0
	s_cbranch_execz .LBB12_31
.LBB12_40:
	v_dual_add_nc_u32 v0, s1, v0 :: v_dual_lshrrev_b32 v1, 24, v3
	global_store_b8 v0, v1, s[4:5]
	s_endpgm
	.section	.rodata,"a",@progbits
	.p2align	6, 0x0
	.amdhsa_kernel _ZN2at6native27unrolled_elementwise_kernelIZZZNS0_15gcd_kernel_cudaERNS_18TensorIteratorBaseEENKUlvE_clEvENKUlvE0_clEvEUlaaE_St5arrayIPcLm3EELi4E23TrivialOffsetCalculatorILi2EjESA_ILi1EjENS0_6memory15LoadWithoutCastENSD_16StoreWithoutCastEEEviT_T0_T2_T3_T4_T5_
		.amdhsa_group_segment_fixed_size 0
		.amdhsa_private_segment_fixed_size 0
		.amdhsa_kernarg_size 36
		.amdhsa_user_sgpr_count 2
		.amdhsa_user_sgpr_dispatch_ptr 0
		.amdhsa_user_sgpr_queue_ptr 0
		.amdhsa_user_sgpr_kernarg_segment_ptr 1
		.amdhsa_user_sgpr_dispatch_id 0
		.amdhsa_user_sgpr_kernarg_preload_length 0
		.amdhsa_user_sgpr_kernarg_preload_offset 0
		.amdhsa_user_sgpr_private_segment_size 0
		.amdhsa_wavefront_size32 1
		.amdhsa_uses_dynamic_stack 0
		.amdhsa_enable_private_segment 0
		.amdhsa_system_sgpr_workgroup_id_x 1
		.amdhsa_system_sgpr_workgroup_id_y 0
		.amdhsa_system_sgpr_workgroup_id_z 0
		.amdhsa_system_sgpr_workgroup_info 0
		.amdhsa_system_vgpr_workitem_id 0
		.amdhsa_next_free_vgpr 16
		.amdhsa_next_free_sgpr 13
		.amdhsa_named_barrier_count 0
		.amdhsa_reserve_vcc 1
		.amdhsa_float_round_mode_32 0
		.amdhsa_float_round_mode_16_64 0
		.amdhsa_float_denorm_mode_32 3
		.amdhsa_float_denorm_mode_16_64 3
		.amdhsa_fp16_overflow 0
		.amdhsa_memory_ordered 1
		.amdhsa_forward_progress 1
		.amdhsa_inst_pref_size 17
		.amdhsa_round_robin_scheduling 0
		.amdhsa_exception_fp_ieee_invalid_op 0
		.amdhsa_exception_fp_denorm_src 0
		.amdhsa_exception_fp_ieee_div_zero 0
		.amdhsa_exception_fp_ieee_overflow 0
		.amdhsa_exception_fp_ieee_underflow 0
		.amdhsa_exception_fp_ieee_inexact 0
		.amdhsa_exception_int_div_zero 0
	.end_amdhsa_kernel
	.section	.text._ZN2at6native27unrolled_elementwise_kernelIZZZNS0_15gcd_kernel_cudaERNS_18TensorIteratorBaseEENKUlvE_clEvENKUlvE0_clEvEUlaaE_St5arrayIPcLm3EELi4E23TrivialOffsetCalculatorILi2EjESA_ILi1EjENS0_6memory15LoadWithoutCastENSD_16StoreWithoutCastEEEviT_T0_T2_T3_T4_T5_,"axG",@progbits,_ZN2at6native27unrolled_elementwise_kernelIZZZNS0_15gcd_kernel_cudaERNS_18TensorIteratorBaseEENKUlvE_clEvENKUlvE0_clEvEUlaaE_St5arrayIPcLm3EELi4E23TrivialOffsetCalculatorILi2EjESA_ILi1EjENS0_6memory15LoadWithoutCastENSD_16StoreWithoutCastEEEviT_T0_T2_T3_T4_T5_,comdat
.Lfunc_end12:
	.size	_ZN2at6native27unrolled_elementwise_kernelIZZZNS0_15gcd_kernel_cudaERNS_18TensorIteratorBaseEENKUlvE_clEvENKUlvE0_clEvEUlaaE_St5arrayIPcLm3EELi4E23TrivialOffsetCalculatorILi2EjESA_ILi1EjENS0_6memory15LoadWithoutCastENSD_16StoreWithoutCastEEEviT_T0_T2_T3_T4_T5_, .Lfunc_end12-_ZN2at6native27unrolled_elementwise_kernelIZZZNS0_15gcd_kernel_cudaERNS_18TensorIteratorBaseEENKUlvE_clEvENKUlvE0_clEvEUlaaE_St5arrayIPcLm3EELi4E23TrivialOffsetCalculatorILi2EjESA_ILi1EjENS0_6memory15LoadWithoutCastENSD_16StoreWithoutCastEEEviT_T0_T2_T3_T4_T5_
                                        ; -- End function
	.set _ZN2at6native27unrolled_elementwise_kernelIZZZNS0_15gcd_kernel_cudaERNS_18TensorIteratorBaseEENKUlvE_clEvENKUlvE0_clEvEUlaaE_St5arrayIPcLm3EELi4E23TrivialOffsetCalculatorILi2EjESA_ILi1EjENS0_6memory15LoadWithoutCastENSD_16StoreWithoutCastEEEviT_T0_T2_T3_T4_T5_.num_vgpr, 16
	.set _ZN2at6native27unrolled_elementwise_kernelIZZZNS0_15gcd_kernel_cudaERNS_18TensorIteratorBaseEENKUlvE_clEvENKUlvE0_clEvEUlaaE_St5arrayIPcLm3EELi4E23TrivialOffsetCalculatorILi2EjESA_ILi1EjENS0_6memory15LoadWithoutCastENSD_16StoreWithoutCastEEEviT_T0_T2_T3_T4_T5_.num_agpr, 0
	.set _ZN2at6native27unrolled_elementwise_kernelIZZZNS0_15gcd_kernel_cudaERNS_18TensorIteratorBaseEENKUlvE_clEvENKUlvE0_clEvEUlaaE_St5arrayIPcLm3EELi4E23TrivialOffsetCalculatorILi2EjESA_ILi1EjENS0_6memory15LoadWithoutCastENSD_16StoreWithoutCastEEEviT_T0_T2_T3_T4_T5_.numbered_sgpr, 13
	.set _ZN2at6native27unrolled_elementwise_kernelIZZZNS0_15gcd_kernel_cudaERNS_18TensorIteratorBaseEENKUlvE_clEvENKUlvE0_clEvEUlaaE_St5arrayIPcLm3EELi4E23TrivialOffsetCalculatorILi2EjESA_ILi1EjENS0_6memory15LoadWithoutCastENSD_16StoreWithoutCastEEEviT_T0_T2_T3_T4_T5_.num_named_barrier, 0
	.set _ZN2at6native27unrolled_elementwise_kernelIZZZNS0_15gcd_kernel_cudaERNS_18TensorIteratorBaseEENKUlvE_clEvENKUlvE0_clEvEUlaaE_St5arrayIPcLm3EELi4E23TrivialOffsetCalculatorILi2EjESA_ILi1EjENS0_6memory15LoadWithoutCastENSD_16StoreWithoutCastEEEviT_T0_T2_T3_T4_T5_.private_seg_size, 0
	.set _ZN2at6native27unrolled_elementwise_kernelIZZZNS0_15gcd_kernel_cudaERNS_18TensorIteratorBaseEENKUlvE_clEvENKUlvE0_clEvEUlaaE_St5arrayIPcLm3EELi4E23TrivialOffsetCalculatorILi2EjESA_ILi1EjENS0_6memory15LoadWithoutCastENSD_16StoreWithoutCastEEEviT_T0_T2_T3_T4_T5_.uses_vcc, 1
	.set _ZN2at6native27unrolled_elementwise_kernelIZZZNS0_15gcd_kernel_cudaERNS_18TensorIteratorBaseEENKUlvE_clEvENKUlvE0_clEvEUlaaE_St5arrayIPcLm3EELi4E23TrivialOffsetCalculatorILi2EjESA_ILi1EjENS0_6memory15LoadWithoutCastENSD_16StoreWithoutCastEEEviT_T0_T2_T3_T4_T5_.uses_flat_scratch, 0
	.set _ZN2at6native27unrolled_elementwise_kernelIZZZNS0_15gcd_kernel_cudaERNS_18TensorIteratorBaseEENKUlvE_clEvENKUlvE0_clEvEUlaaE_St5arrayIPcLm3EELi4E23TrivialOffsetCalculatorILi2EjESA_ILi1EjENS0_6memory15LoadWithoutCastENSD_16StoreWithoutCastEEEviT_T0_T2_T3_T4_T5_.has_dyn_sized_stack, 0
	.set _ZN2at6native27unrolled_elementwise_kernelIZZZNS0_15gcd_kernel_cudaERNS_18TensorIteratorBaseEENKUlvE_clEvENKUlvE0_clEvEUlaaE_St5arrayIPcLm3EELi4E23TrivialOffsetCalculatorILi2EjESA_ILi1EjENS0_6memory15LoadWithoutCastENSD_16StoreWithoutCastEEEviT_T0_T2_T3_T4_T5_.has_recursion, 0
	.set _ZN2at6native27unrolled_elementwise_kernelIZZZNS0_15gcd_kernel_cudaERNS_18TensorIteratorBaseEENKUlvE_clEvENKUlvE0_clEvEUlaaE_St5arrayIPcLm3EELi4E23TrivialOffsetCalculatorILi2EjESA_ILi1EjENS0_6memory15LoadWithoutCastENSD_16StoreWithoutCastEEEviT_T0_T2_T3_T4_T5_.has_indirect_call, 0
	.section	.AMDGPU.csdata,"",@progbits
; Kernel info:
; codeLenInByte = 2168
; TotalNumSgprs: 15
; NumVgprs: 16
; ScratchSize: 0
; MemoryBound: 0
; FloatMode: 240
; IeeeMode: 1
; LDSByteSize: 0 bytes/workgroup (compile time only)
; SGPRBlocks: 0
; VGPRBlocks: 0
; NumSGPRsForWavesPerEU: 15
; NumVGPRsForWavesPerEU: 16
; NamedBarCnt: 0
; Occupancy: 16
; WaveLimiterHint : 0
; COMPUTE_PGM_RSRC2:SCRATCH_EN: 0
; COMPUTE_PGM_RSRC2:USER_SGPR: 2
; COMPUTE_PGM_RSRC2:TRAP_HANDLER: 0
; COMPUTE_PGM_RSRC2:TGID_X_EN: 1
; COMPUTE_PGM_RSRC2:TGID_Y_EN: 0
; COMPUTE_PGM_RSRC2:TGID_Z_EN: 0
; COMPUTE_PGM_RSRC2:TIDIG_COMP_CNT: 0
	.section	.text._ZN2at6native32elementwise_kernel_manual_unrollILi128ELi8EZNS0_22gpu_kernel_impl_nocastIZZZNS0_15gcd_kernel_cudaERNS_18TensorIteratorBaseEENKUlvE_clEvENKUlvE0_clEvEUlaaE_EEvS4_RKT_EUlibE_EEviT1_,"axG",@progbits,_ZN2at6native32elementwise_kernel_manual_unrollILi128ELi8EZNS0_22gpu_kernel_impl_nocastIZZZNS0_15gcd_kernel_cudaERNS_18TensorIteratorBaseEENKUlvE_clEvENKUlvE0_clEvEUlaaE_EEvS4_RKT_EUlibE_EEviT1_,comdat
	.globl	_ZN2at6native32elementwise_kernel_manual_unrollILi128ELi8EZNS0_22gpu_kernel_impl_nocastIZZZNS0_15gcd_kernel_cudaERNS_18TensorIteratorBaseEENKUlvE_clEvENKUlvE0_clEvEUlaaE_EEvS4_RKT_EUlibE_EEviT1_ ; -- Begin function _ZN2at6native32elementwise_kernel_manual_unrollILi128ELi8EZNS0_22gpu_kernel_impl_nocastIZZZNS0_15gcd_kernel_cudaERNS_18TensorIteratorBaseEENKUlvE_clEvENKUlvE0_clEvEUlaaE_EEvS4_RKT_EUlibE_EEviT1_
	.p2align	8
	.type	_ZN2at6native32elementwise_kernel_manual_unrollILi128ELi8EZNS0_22gpu_kernel_impl_nocastIZZZNS0_15gcd_kernel_cudaERNS_18TensorIteratorBaseEENKUlvE_clEvENKUlvE0_clEvEUlaaE_EEvS4_RKT_EUlibE_EEviT1_,@function
_ZN2at6native32elementwise_kernel_manual_unrollILi128ELi8EZNS0_22gpu_kernel_impl_nocastIZZZNS0_15gcd_kernel_cudaERNS_18TensorIteratorBaseEENKUlvE_clEvENKUlvE0_clEvEUlaaE_EEvS4_RKT_EUlibE_EEviT1_: ; @_ZN2at6native32elementwise_kernel_manual_unrollILi128ELi8EZNS0_22gpu_kernel_impl_nocastIZZZNS0_15gcd_kernel_cudaERNS_18TensorIteratorBaseEENKUlvE_clEvENKUlvE0_clEvEUlaaE_EEvS4_RKT_EUlibE_EEviT1_
; %bb.0:
	s_clause 0x1
	s_load_b32 s26, s[0:1], 0x8
	s_load_b32 s33, s[0:1], 0x0
	s_bfe_u32 s2, ttmp6, 0x4000c
	s_and_b32 s3, ttmp6, 15
	s_add_co_i32 s2, s2, 1
	s_getreg_b32 s4, hwreg(HW_REG_IB_STS2, 6, 4)
	s_mul_i32 s2, ttmp9, s2
	s_add_nc_u64 s[12:13], s[0:1], 8
	s_add_co_i32 s3, s3, s2
	s_cmp_eq_u32 s4, 0
	s_mov_b32 s21, 0
	s_cselect_b32 s2, ttmp9, s3
	s_wait_xcnt 0x0
	s_mov_b32 s0, exec_lo
	v_lshl_or_b32 v0, s2, 10, v0
	s_delay_alu instid0(VALU_DEP_1) | instskip(SKIP_2) | instid1(SALU_CYCLE_1)
	v_or_b32_e32 v4, 0x380, v0
	s_wait_kmcnt 0x0
	s_add_co_i32 s27, s26, -1
	s_cmp_gt_u32 s27, 1
	s_cselect_b32 s28, -1, 0
	v_cmpx_le_i32_e64 s33, v4
	s_xor_b32 s29, exec_lo, s0
	s_cbranch_execz .LBB13_138
; %bb.1:
	s_clause 0x5
	s_load_b128 s[4:7], s[12:13], 0x4
	s_load_b64 s[16:17], s[12:13], 0x14
	s_load_b128 s[8:11], s[12:13], 0xc4
	s_load_b64 s[18:19], s[12:13], 0xd4
	s_load_b64 s[14:15], s[12:13], 0x198
	s_load_b128 s[0:3], s[12:13], 0x188
	s_cmp_lg_u32 s26, 0
	s_mov_b32 s23, s21
	s_cselect_b32 s34, -1, 0
	s_min_u32 s31, s27, 15
	s_cmp_gt_u32 s26, 1
	s_cselect_b32 s30, -1, 0
	s_wait_kmcnt 0x0
	s_mov_b32 s20, s5
	s_mov_b32 s22, s16
	s_mov_b32 s5, exec_lo
	v_cmpx_gt_i32_e64 s33, v0
	s_cbranch_execnz .LBB13_9
; %bb.2:
	s_or_b32 exec_lo, exec_lo, s5
	s_delay_alu instid0(SALU_CYCLE_1)
	s_mov_b32 s5, exec_lo
	v_cmpx_gt_i32_e64 s33, v0
	s_cbranch_execnz .LBB13_25
.LBB13_3:
	s_or_b32 exec_lo, exec_lo, s5
	s_delay_alu instid0(SALU_CYCLE_1)
	s_mov_b32 s5, exec_lo
	v_cmpx_gt_i32_e64 s33, v0
	s_cbranch_execnz .LBB13_41
.LBB13_4:
	s_or_b32 exec_lo, exec_lo, s5
	s_delay_alu instid0(SALU_CYCLE_1)
	s_mov_b32 s5, exec_lo
	v_cmpx_gt_i32_e64 s33, v0
	s_cbranch_execnz .LBB13_57
.LBB13_5:
	s_or_b32 exec_lo, exec_lo, s5
	s_delay_alu instid0(SALU_CYCLE_1)
	s_mov_b32 s5, exec_lo
	v_cmpx_gt_i32_e64 s33, v0
	s_cbranch_execnz .LBB13_73
.LBB13_6:
	s_or_b32 exec_lo, exec_lo, s5
	s_delay_alu instid0(SALU_CYCLE_1)
	s_mov_b32 s5, exec_lo
	v_cmpx_gt_i32_e64 s33, v0
	s_cbranch_execnz .LBB13_89
.LBB13_7:
	s_or_b32 exec_lo, exec_lo, s5
	s_delay_alu instid0(SALU_CYCLE_1)
	s_mov_b32 s5, exec_lo
	v_cmpx_gt_i32_e64 s33, v0
	s_cbranch_execnz .LBB13_105
.LBB13_8:
	s_or_b32 exec_lo, exec_lo, s5
	s_delay_alu instid0(SALU_CYCLE_1)
	s_mov_b32 s5, exec_lo
	v_cmpx_gt_i32_e64 s33, v0
	s_cbranch_execnz .LBB13_121
	s_branch .LBB13_137
.LBB13_9:
	s_and_not1_b32 vcc_lo, exec_lo, s28
	s_cbranch_vccnz .LBB13_15
; %bb.10:
	s_and_not1_b32 vcc_lo, exec_lo, s34
	s_cbranch_vccnz .LBB13_16
; %bb.11:
	v_dual_mov_b32 v4, 0 :: v_dual_mov_b32 v1, v0
	v_dual_mov_b32 v6, 0 :: v_dual_mov_b32 v5, 0
	s_add_co_i32 s16, s31, 1
	s_mov_b64 s[24:25], 0xffffffffffffffe8
	s_and_b32 s16, s16, 30
	s_add_nc_u64 s[24:25], s[12:13], s[24:25]
.LBB13_12:                              ; =>This Inner Loop Header: Depth=1
	s_clause 0x1
	s_load_b128 s[36:39], s[24:25], 0x1c
	s_load_b64 s[44:45], s[24:25], 0x2c
	s_add_co_i32 s16, s16, -2
	s_delay_alu instid0(SALU_CYCLE_1) | instskip(SKIP_2) | instid1(VALU_DEP_1)
	s_cmp_lg_u32 s16, 0
	s_wait_kmcnt 0x0
	v_mul_hi_u32 v2, s37, v1
	v_add_nc_u32_e32 v2, v1, v2
	s_delay_alu instid0(VALU_DEP_1) | instskip(NEXT) | instid1(VALU_DEP_1)
	v_lshrrev_b32_e32 v2, s38, v2
	v_mul_hi_u32 v3, s44, v2
	v_mul_lo_u32 v7, v2, s36
	s_clause 0x1
	s_load_b128 s[40:43], s[24:25], 0xdc
	s_load_b64 s[36:37], s[24:25], 0xec
	s_wait_xcnt 0x0
	s_add_nc_u64 s[24:25], s[24:25], 24
	s_delay_alu instid0(VALU_DEP_2) | instskip(NEXT) | instid1(VALU_DEP_2)
	v_add_nc_u32_e32 v3, v2, v3
	v_sub_nc_u32_e32 v7, v1, v7
	s_delay_alu instid0(VALU_DEP_2) | instskip(SKIP_1) | instid1(VALU_DEP_2)
	v_lshrrev_b32_e32 v1, s45, v3
	s_wait_kmcnt 0x0
	v_mad_u32 v4, v7, s40, v4
	s_delay_alu instid0(VALU_DEP_2) | instskip(SKIP_2) | instid1(VALU_DEP_3)
	v_mul_lo_u32 v3, v1, s39
	v_mad_u32 v5, v7, s42, v5
	v_mad_u32 v6, v7, s41, v6
	v_sub_nc_u32_e32 v2, v2, v3
	s_delay_alu instid0(VALU_DEP_1) | instskip(NEXT) | instid1(VALU_DEP_4)
	v_mad_u32 v4, v2, s43, v4
	v_mad_u32 v5, v2, s37, v5
	s_delay_alu instid0(VALU_DEP_4)
	v_mad_u32 v6, v2, s36, v6
	s_cbranch_scc1 .LBB13_12
; %bb.13:
	s_bitcmp1_b32 s31, 0
	s_cselect_b32 s16, -1, 0
	s_delay_alu instid0(SALU_CYCLE_1)
	s_and_b32 vcc_lo, exec_lo, s16
	s_cbranch_vccnz .LBB13_17
; %bb.14:
	s_clause 0x1
	s_load_b96 s[36:38], s[24:25], 0x1c
	s_load_b96 s[40:42], s[24:25], 0xdc
	s_wait_kmcnt 0x0
	v_mul_hi_u32 v2, s37, v1
	s_delay_alu instid0(VALU_DEP_1) | instskip(NEXT) | instid1(VALU_DEP_1)
	v_add_nc_u32_e32 v2, v1, v2
	v_lshrrev_b32_e32 v2, s38, v2
	s_delay_alu instid0(VALU_DEP_1) | instskip(NEXT) | instid1(VALU_DEP_1)
	v_mul_lo_u32 v2, v2, s36
	v_sub_nc_u32_e32 v1, v1, v2
	s_delay_alu instid0(VALU_DEP_1)
	v_mad_u32 v4, v1, s40, v4
	v_mad_u32 v6, v1, s41, v6
	;; [unrolled: 1-line block ×3, first 2 shown]
	s_cbranch_execz .LBB13_18
	s_branch .LBB13_20
.LBB13_15:
                                        ; implicit-def: $vgpr5
                                        ; implicit-def: $vgpr6
                                        ; implicit-def: $vgpr4
	s_branch .LBB13_18
.LBB13_16:
	v_dual_mov_b32 v5, 0 :: v_dual_mov_b32 v6, 0
	v_mov_b32_e32 v4, 0
.LBB13_17:
	s_cbranch_execnz .LBB13_20
.LBB13_18:
	v_mov_b32_e32 v1, 0
	s_and_not1_b32 vcc_lo, exec_lo, s30
	s_delay_alu instid0(VALU_DEP_1) | instskip(NEXT) | instid1(VALU_DEP_1)
	v_mul_u64_e32 v[2:3], s[20:21], v[0:1]
	v_add_nc_u32_e32 v2, v0, v3
	s_delay_alu instid0(VALU_DEP_1) | instskip(NEXT) | instid1(VALU_DEP_1)
	v_lshrrev_b32_e32 v2, s6, v2
	v_mul_lo_u32 v3, v2, s4
	s_delay_alu instid0(VALU_DEP_1) | instskip(NEXT) | instid1(VALU_DEP_1)
	v_sub_nc_u32_e32 v3, v0, v3
	v_mul_lo_u32 v4, v3, s8
	v_mul_lo_u32 v5, v3, s10
	;; [unrolled: 1-line block ×3, first 2 shown]
	s_cbranch_vccnz .LBB13_20
; %bb.19:
	v_mov_b32_e32 v3, v1
	s_delay_alu instid0(VALU_DEP_1) | instskip(NEXT) | instid1(VALU_DEP_1)
	v_mul_u64_e32 v[8:9], s[22:23], v[2:3]
	v_add_nc_u32_e32 v1, v2, v9
	s_delay_alu instid0(VALU_DEP_1) | instskip(NEXT) | instid1(VALU_DEP_1)
	v_lshrrev_b32_e32 v1, s17, v1
	v_mul_lo_u32 v1, v1, s7
	s_delay_alu instid0(VALU_DEP_1) | instskip(NEXT) | instid1(VALU_DEP_1)
	v_sub_nc_u32_e32 v1, v2, v1
	v_mad_u32 v4, v1, s11, v4
	v_mad_u32 v6, v1, s18, v6
	;; [unrolled: 1-line block ×3, first 2 shown]
.LBB13_20:
	global_load_i8 v1, v5, s[14:15]
	global_load_u8 v2, v6, s[2:3]
	s_mov_b32 s24, 0
	s_mov_b32 s16, exec_lo
	s_wait_loadcnt 0x1
	v_sub_nc_u16 v3, 0, v1
	s_delay_alu instid0(VALU_DEP_1)
	v_max_i16 v1, v1, v3
	s_wait_loadcnt 0x0
	v_cmpx_ne_u16_e32 0, v2
	s_cbranch_execz .LBB13_24
; %bb.21:
	v_bfe_i32 v2, v2, 0, 8
	s_delay_alu instid0(VALU_DEP_1) | instskip(NEXT) | instid1(VALU_DEP_1)
	v_sub_nc_u16 v3, 0, v2
	v_max_i16 v3, v2, v3
	v_and_b32_e32 v2, 0xff, v1
	s_delay_alu instid0(VALU_DEP_2)
	v_and_b32_e32 v3, 0xffff, v3
.LBB13_22:                              ; =>This Inner Loop Header: Depth=1
	s_delay_alu instid0(VALU_DEP_2) | instskip(NEXT) | instid1(VALU_DEP_2)
	v_bfe_i32 v6, v2, 0, 8
	v_mov_b32_e32 v1, v3
	s_delay_alu instid0(VALU_DEP_2) | instskip(NEXT) | instid1(VALU_DEP_2)
	v_cvt_f32_i32_e32 v8, v6
	v_bfe_i32 v3, v1, 0, 8
	s_delay_alu instid0(VALU_DEP_1) | instskip(SKIP_1) | instid1(VALU_DEP_2)
	v_cvt_f32_i32_e32 v5, v3
	v_xor_b32_e32 v3, v6, v3
	v_rcp_iflag_f32_e32 v7, v5
	v_nop
	s_delay_alu instid0(TRANS32_DEP_1) | instskip(NEXT) | instid1(VALU_DEP_1)
	v_mul_f32_e32 v6, v8, v7
	v_trunc_f32_e32 v6, v6
	s_delay_alu instid0(VALU_DEP_1) | instskip(NEXT) | instid1(VALU_DEP_1)
	v_dual_ashrrev_i32 v3, 30, v3 :: v_dual_fma_f32 v7, -v6, v5, v8
	v_or_b32_e32 v3, 1, v3
	v_cvt_i32_f32_e32 v6, v6
	s_delay_alu instid0(VALU_DEP_3) | instskip(NEXT) | instid1(VALU_DEP_3)
	v_cmp_ge_f32_e64 vcc_lo, |v7|, |v5|
	v_cndmask_b32_e32 v3, 0, v3, vcc_lo
	s_delay_alu instid0(VALU_DEP_1) | instskip(NEXT) | instid1(VALU_DEP_1)
	v_add_nc_u32_e32 v3, v6, v3
	v_mul_lo_u32 v3, v3, v1
	s_delay_alu instid0(VALU_DEP_1) | instskip(NEXT) | instid1(VALU_DEP_1)
	v_sub_nc_u32_e32 v2, v2, v3
	v_bfe_i32 v3, v2, 0, 8
	v_mov_b32_e32 v2, v1
	s_delay_alu instid0(VALU_DEP_2) | instskip(SKIP_2) | instid1(SALU_CYCLE_1)
	v_cmp_eq_u16_e32 vcc_lo, 0, v3
	v_and_b32_e32 v3, 0xffff, v3
	s_or_b32 s24, vcc_lo, s24
	s_and_not1_b32 exec_lo, exec_lo, s24
	s_cbranch_execnz .LBB13_22
; %bb.23:
	s_or_b32 exec_lo, exec_lo, s24
.LBB13_24:
	s_delay_alu instid0(SALU_CYCLE_1) | instskip(SKIP_4) | instid1(SALU_CYCLE_1)
	s_or_b32 exec_lo, exec_lo, s16
	v_add_nc_u32_e32 v0, 0x80, v0
	global_store_b8 v4, v1, s[0:1]
	s_wait_xcnt 0x0
	s_or_b32 exec_lo, exec_lo, s5
	s_mov_b32 s5, exec_lo
	v_cmpx_gt_i32_e64 s33, v0
	s_cbranch_execz .LBB13_3
.LBB13_25:
	s_and_not1_b32 vcc_lo, exec_lo, s28
	s_cbranch_vccnz .LBB13_31
; %bb.26:
	s_and_not1_b32 vcc_lo, exec_lo, s34
	s_cbranch_vccnz .LBB13_32
; %bb.27:
	v_dual_mov_b32 v4, 0 :: v_dual_mov_b32 v1, v0
	v_dual_mov_b32 v6, 0 :: v_dual_mov_b32 v5, 0
	s_add_co_i32 s16, s31, 1
	s_mov_b64 s[24:25], 0xffffffffffffffe8
	s_and_b32 s16, s16, 30
	s_add_nc_u64 s[24:25], s[12:13], s[24:25]
.LBB13_28:                              ; =>This Inner Loop Header: Depth=1
	s_clause 0x1
	s_load_b128 s[36:39], s[24:25], 0x1c
	s_load_b64 s[44:45], s[24:25], 0x2c
	s_add_co_i32 s16, s16, -2
	s_delay_alu instid0(SALU_CYCLE_1) | instskip(SKIP_2) | instid1(VALU_DEP_1)
	s_cmp_eq_u32 s16, 0
	s_wait_kmcnt 0x0
	v_mul_hi_u32 v2, s37, v1
	v_add_nc_u32_e32 v2, v1, v2
	s_delay_alu instid0(VALU_DEP_1) | instskip(NEXT) | instid1(VALU_DEP_1)
	v_lshrrev_b32_e32 v2, s38, v2
	v_mul_hi_u32 v3, s44, v2
	v_mul_lo_u32 v7, v2, s36
	s_clause 0x1
	s_load_b128 s[40:43], s[24:25], 0xdc
	s_load_b64 s[36:37], s[24:25], 0xec
	s_wait_xcnt 0x0
	s_add_nc_u64 s[24:25], s[24:25], 24
	s_delay_alu instid0(VALU_DEP_2) | instskip(NEXT) | instid1(VALU_DEP_2)
	v_add_nc_u32_e32 v3, v2, v3
	v_sub_nc_u32_e32 v7, v1, v7
	s_delay_alu instid0(VALU_DEP_2) | instskip(SKIP_1) | instid1(VALU_DEP_2)
	v_lshrrev_b32_e32 v1, s45, v3
	s_wait_kmcnt 0x0
	v_mad_u32 v4, v7, s40, v4
	s_delay_alu instid0(VALU_DEP_2) | instskip(SKIP_2) | instid1(VALU_DEP_3)
	v_mul_lo_u32 v3, v1, s39
	v_mad_u32 v5, v7, s42, v5
	v_mad_u32 v6, v7, s41, v6
	v_sub_nc_u32_e32 v2, v2, v3
	s_delay_alu instid0(VALU_DEP_1) | instskip(NEXT) | instid1(VALU_DEP_4)
	v_mad_u32 v4, v2, s43, v4
	v_mad_u32 v5, v2, s37, v5
	s_delay_alu instid0(VALU_DEP_4)
	v_mad_u32 v6, v2, s36, v6
	s_cbranch_scc0 .LBB13_28
; %bb.29:
	s_bitcmp1_b32 s31, 0
	s_cselect_b32 s16, -1, 0
	s_delay_alu instid0(SALU_CYCLE_1)
	s_and_b32 vcc_lo, exec_lo, s16
	s_cbranch_vccnz .LBB13_33
; %bb.30:
	s_clause 0x1
	s_load_b96 s[36:38], s[24:25], 0x1c
	s_load_b96 s[40:42], s[24:25], 0xdc
	s_wait_kmcnt 0x0
	v_mul_hi_u32 v2, s37, v1
	s_delay_alu instid0(VALU_DEP_1) | instskip(NEXT) | instid1(VALU_DEP_1)
	v_add_nc_u32_e32 v2, v1, v2
	v_lshrrev_b32_e32 v2, s38, v2
	s_delay_alu instid0(VALU_DEP_1) | instskip(NEXT) | instid1(VALU_DEP_1)
	v_mul_lo_u32 v2, v2, s36
	v_sub_nc_u32_e32 v1, v1, v2
	s_delay_alu instid0(VALU_DEP_1)
	v_mad_u32 v4, v1, s40, v4
	v_mad_u32 v6, v1, s41, v6
	;; [unrolled: 1-line block ×3, first 2 shown]
	s_branch .LBB13_33
.LBB13_31:
                                        ; implicit-def: $vgpr5
                                        ; implicit-def: $vgpr6
                                        ; implicit-def: $vgpr4
	s_branch .LBB13_34
.LBB13_32:
	v_dual_mov_b32 v5, 0 :: v_dual_mov_b32 v6, 0
	v_mov_b32_e32 v4, 0
.LBB13_33:
	s_cbranch_execnz .LBB13_36
.LBB13_34:
	v_mov_b32_e32 v1, 0
	s_and_not1_b32 vcc_lo, exec_lo, s30
	s_delay_alu instid0(VALU_DEP_1) | instskip(NEXT) | instid1(VALU_DEP_1)
	v_mul_u64_e32 v[2:3], s[20:21], v[0:1]
	v_add_nc_u32_e32 v2, v0, v3
	s_delay_alu instid0(VALU_DEP_1) | instskip(NEXT) | instid1(VALU_DEP_1)
	v_lshrrev_b32_e32 v2, s6, v2
	v_mul_lo_u32 v3, v2, s4
	s_delay_alu instid0(VALU_DEP_1) | instskip(NEXT) | instid1(VALU_DEP_1)
	v_sub_nc_u32_e32 v3, v0, v3
	v_mul_lo_u32 v4, v3, s8
	v_mul_lo_u32 v5, v3, s10
	;; [unrolled: 1-line block ×3, first 2 shown]
	s_cbranch_vccnz .LBB13_36
; %bb.35:
	v_mov_b32_e32 v3, v1
	s_delay_alu instid0(VALU_DEP_1) | instskip(NEXT) | instid1(VALU_DEP_1)
	v_mul_u64_e32 v[8:9], s[22:23], v[2:3]
	v_add_nc_u32_e32 v1, v2, v9
	s_delay_alu instid0(VALU_DEP_1) | instskip(NEXT) | instid1(VALU_DEP_1)
	v_lshrrev_b32_e32 v1, s17, v1
	v_mul_lo_u32 v1, v1, s7
	s_delay_alu instid0(VALU_DEP_1) | instskip(NEXT) | instid1(VALU_DEP_1)
	v_sub_nc_u32_e32 v1, v2, v1
	v_mad_u32 v4, v1, s11, v4
	v_mad_u32 v6, v1, s18, v6
	;; [unrolled: 1-line block ×3, first 2 shown]
.LBB13_36:
	global_load_i8 v1, v5, s[14:15]
	global_load_u8 v2, v6, s[2:3]
	s_mov_b32 s24, 0
	s_mov_b32 s16, exec_lo
	s_wait_loadcnt 0x1
	v_sub_nc_u16 v3, 0, v1
	s_delay_alu instid0(VALU_DEP_1)
	v_max_i16 v1, v1, v3
	s_wait_loadcnt 0x0
	v_cmpx_ne_u16_e32 0, v2
	s_cbranch_execz .LBB13_40
; %bb.37:
	v_bfe_i32 v2, v2, 0, 8
	s_delay_alu instid0(VALU_DEP_1) | instskip(NEXT) | instid1(VALU_DEP_1)
	v_sub_nc_u16 v3, 0, v2
	v_max_i16 v3, v2, v3
	v_and_b32_e32 v2, 0xff, v1
	s_delay_alu instid0(VALU_DEP_2)
	v_and_b32_e32 v3, 0xffff, v3
.LBB13_38:                              ; =>This Inner Loop Header: Depth=1
	s_delay_alu instid0(VALU_DEP_2) | instskip(NEXT) | instid1(VALU_DEP_2)
	v_bfe_i32 v6, v2, 0, 8
	v_mov_b32_e32 v1, v3
	s_delay_alu instid0(VALU_DEP_2) | instskip(NEXT) | instid1(VALU_DEP_2)
	v_cvt_f32_i32_e32 v8, v6
	v_bfe_i32 v3, v1, 0, 8
	s_delay_alu instid0(VALU_DEP_1) | instskip(SKIP_1) | instid1(VALU_DEP_2)
	v_cvt_f32_i32_e32 v5, v3
	v_xor_b32_e32 v3, v6, v3
	v_rcp_iflag_f32_e32 v7, v5
	v_nop
	s_delay_alu instid0(TRANS32_DEP_1) | instskip(NEXT) | instid1(VALU_DEP_1)
	v_mul_f32_e32 v6, v8, v7
	v_trunc_f32_e32 v6, v6
	s_delay_alu instid0(VALU_DEP_1) | instskip(NEXT) | instid1(VALU_DEP_1)
	v_dual_ashrrev_i32 v3, 30, v3 :: v_dual_fma_f32 v7, -v6, v5, v8
	v_or_b32_e32 v3, 1, v3
	v_cvt_i32_f32_e32 v6, v6
	s_delay_alu instid0(VALU_DEP_3) | instskip(NEXT) | instid1(VALU_DEP_3)
	v_cmp_ge_f32_e64 vcc_lo, |v7|, |v5|
	v_cndmask_b32_e32 v3, 0, v3, vcc_lo
	s_delay_alu instid0(VALU_DEP_1) | instskip(NEXT) | instid1(VALU_DEP_1)
	v_add_nc_u32_e32 v3, v6, v3
	v_mul_lo_u32 v3, v3, v1
	s_delay_alu instid0(VALU_DEP_1) | instskip(NEXT) | instid1(VALU_DEP_1)
	v_sub_nc_u32_e32 v2, v2, v3
	v_bfe_i32 v3, v2, 0, 8
	v_mov_b32_e32 v2, v1
	s_delay_alu instid0(VALU_DEP_2) | instskip(SKIP_2) | instid1(SALU_CYCLE_1)
	v_cmp_eq_u16_e32 vcc_lo, 0, v3
	v_and_b32_e32 v3, 0xffff, v3
	s_or_b32 s24, vcc_lo, s24
	s_and_not1_b32 exec_lo, exec_lo, s24
	s_cbranch_execnz .LBB13_38
; %bb.39:
	s_or_b32 exec_lo, exec_lo, s24
.LBB13_40:
	s_delay_alu instid0(SALU_CYCLE_1) | instskip(SKIP_4) | instid1(SALU_CYCLE_1)
	s_or_b32 exec_lo, exec_lo, s16
	v_add_nc_u32_e32 v0, 0x80, v0
	global_store_b8 v4, v1, s[0:1]
	s_wait_xcnt 0x0
	s_or_b32 exec_lo, exec_lo, s5
	s_mov_b32 s5, exec_lo
	v_cmpx_gt_i32_e64 s33, v0
	s_cbranch_execz .LBB13_4
.LBB13_41:
	s_and_not1_b32 vcc_lo, exec_lo, s28
	s_cbranch_vccnz .LBB13_47
; %bb.42:
	s_and_not1_b32 vcc_lo, exec_lo, s34
	s_cbranch_vccnz .LBB13_48
; %bb.43:
	v_dual_mov_b32 v4, 0 :: v_dual_mov_b32 v1, v0
	v_dual_mov_b32 v6, 0 :: v_dual_mov_b32 v5, 0
	s_add_co_i32 s16, s31, 1
	s_mov_b64 s[24:25], 0xffffffffffffffe8
	s_and_b32 s16, s16, 30
	s_add_nc_u64 s[24:25], s[12:13], s[24:25]
.LBB13_44:                              ; =>This Inner Loop Header: Depth=1
	s_clause 0x1
	s_load_b128 s[36:39], s[24:25], 0x1c
	s_load_b64 s[44:45], s[24:25], 0x2c
	s_add_co_i32 s16, s16, -2
	s_delay_alu instid0(SALU_CYCLE_1) | instskip(SKIP_2) | instid1(VALU_DEP_1)
	s_cmp_eq_u32 s16, 0
	s_wait_kmcnt 0x0
	v_mul_hi_u32 v2, s37, v1
	v_add_nc_u32_e32 v2, v1, v2
	s_delay_alu instid0(VALU_DEP_1) | instskip(NEXT) | instid1(VALU_DEP_1)
	v_lshrrev_b32_e32 v2, s38, v2
	v_mul_hi_u32 v3, s44, v2
	v_mul_lo_u32 v7, v2, s36
	s_clause 0x1
	s_load_b128 s[40:43], s[24:25], 0xdc
	s_load_b64 s[36:37], s[24:25], 0xec
	s_wait_xcnt 0x0
	s_add_nc_u64 s[24:25], s[24:25], 24
	s_delay_alu instid0(VALU_DEP_2) | instskip(NEXT) | instid1(VALU_DEP_2)
	v_add_nc_u32_e32 v3, v2, v3
	v_sub_nc_u32_e32 v7, v1, v7
	s_delay_alu instid0(VALU_DEP_2) | instskip(SKIP_1) | instid1(VALU_DEP_2)
	v_lshrrev_b32_e32 v1, s45, v3
	s_wait_kmcnt 0x0
	v_mad_u32 v4, v7, s40, v4
	s_delay_alu instid0(VALU_DEP_2) | instskip(SKIP_2) | instid1(VALU_DEP_3)
	v_mul_lo_u32 v3, v1, s39
	v_mad_u32 v5, v7, s42, v5
	v_mad_u32 v6, v7, s41, v6
	v_sub_nc_u32_e32 v2, v2, v3
	s_delay_alu instid0(VALU_DEP_1) | instskip(NEXT) | instid1(VALU_DEP_4)
	v_mad_u32 v4, v2, s43, v4
	v_mad_u32 v5, v2, s37, v5
	s_delay_alu instid0(VALU_DEP_4)
	v_mad_u32 v6, v2, s36, v6
	s_cbranch_scc0 .LBB13_44
; %bb.45:
	s_bitcmp1_b32 s31, 0
	s_cselect_b32 s16, -1, 0
	s_delay_alu instid0(SALU_CYCLE_1)
	s_and_b32 vcc_lo, exec_lo, s16
	s_cbranch_vccnz .LBB13_49
; %bb.46:
	s_clause 0x1
	s_load_b96 s[36:38], s[24:25], 0x1c
	s_load_b96 s[40:42], s[24:25], 0xdc
	s_wait_kmcnt 0x0
	v_mul_hi_u32 v2, s37, v1
	s_delay_alu instid0(VALU_DEP_1) | instskip(NEXT) | instid1(VALU_DEP_1)
	v_add_nc_u32_e32 v2, v1, v2
	v_lshrrev_b32_e32 v2, s38, v2
	s_delay_alu instid0(VALU_DEP_1) | instskip(NEXT) | instid1(VALU_DEP_1)
	v_mul_lo_u32 v2, v2, s36
	v_sub_nc_u32_e32 v1, v1, v2
	s_delay_alu instid0(VALU_DEP_1)
	v_mad_u32 v4, v1, s40, v4
	v_mad_u32 v6, v1, s41, v6
	;; [unrolled: 1-line block ×3, first 2 shown]
	s_branch .LBB13_49
.LBB13_47:
                                        ; implicit-def: $vgpr5
                                        ; implicit-def: $vgpr6
                                        ; implicit-def: $vgpr4
	s_branch .LBB13_50
.LBB13_48:
	v_dual_mov_b32 v5, 0 :: v_dual_mov_b32 v6, 0
	v_mov_b32_e32 v4, 0
.LBB13_49:
	s_cbranch_execnz .LBB13_52
.LBB13_50:
	v_mov_b32_e32 v1, 0
	s_and_not1_b32 vcc_lo, exec_lo, s30
	s_delay_alu instid0(VALU_DEP_1) | instskip(NEXT) | instid1(VALU_DEP_1)
	v_mul_u64_e32 v[2:3], s[20:21], v[0:1]
	v_add_nc_u32_e32 v2, v0, v3
	s_delay_alu instid0(VALU_DEP_1) | instskip(NEXT) | instid1(VALU_DEP_1)
	v_lshrrev_b32_e32 v2, s6, v2
	v_mul_lo_u32 v3, v2, s4
	s_delay_alu instid0(VALU_DEP_1) | instskip(NEXT) | instid1(VALU_DEP_1)
	v_sub_nc_u32_e32 v3, v0, v3
	v_mul_lo_u32 v4, v3, s8
	v_mul_lo_u32 v5, v3, s10
	;; [unrolled: 1-line block ×3, first 2 shown]
	s_cbranch_vccnz .LBB13_52
; %bb.51:
	v_mov_b32_e32 v3, v1
	s_delay_alu instid0(VALU_DEP_1) | instskip(NEXT) | instid1(VALU_DEP_1)
	v_mul_u64_e32 v[8:9], s[22:23], v[2:3]
	v_add_nc_u32_e32 v1, v2, v9
	s_delay_alu instid0(VALU_DEP_1) | instskip(NEXT) | instid1(VALU_DEP_1)
	v_lshrrev_b32_e32 v1, s17, v1
	v_mul_lo_u32 v1, v1, s7
	s_delay_alu instid0(VALU_DEP_1) | instskip(NEXT) | instid1(VALU_DEP_1)
	v_sub_nc_u32_e32 v1, v2, v1
	v_mad_u32 v4, v1, s11, v4
	v_mad_u32 v6, v1, s18, v6
	;; [unrolled: 1-line block ×3, first 2 shown]
.LBB13_52:
	global_load_i8 v1, v5, s[14:15]
	global_load_u8 v2, v6, s[2:3]
	s_mov_b32 s24, 0
	s_mov_b32 s16, exec_lo
	s_wait_loadcnt 0x1
	v_sub_nc_u16 v3, 0, v1
	s_delay_alu instid0(VALU_DEP_1)
	v_max_i16 v1, v1, v3
	s_wait_loadcnt 0x0
	v_cmpx_ne_u16_e32 0, v2
	s_cbranch_execz .LBB13_56
; %bb.53:
	v_bfe_i32 v2, v2, 0, 8
	s_delay_alu instid0(VALU_DEP_1) | instskip(NEXT) | instid1(VALU_DEP_1)
	v_sub_nc_u16 v3, 0, v2
	v_max_i16 v3, v2, v3
	v_and_b32_e32 v2, 0xff, v1
	s_delay_alu instid0(VALU_DEP_2)
	v_and_b32_e32 v3, 0xffff, v3
.LBB13_54:                              ; =>This Inner Loop Header: Depth=1
	s_delay_alu instid0(VALU_DEP_2) | instskip(NEXT) | instid1(VALU_DEP_2)
	v_bfe_i32 v6, v2, 0, 8
	v_mov_b32_e32 v1, v3
	s_delay_alu instid0(VALU_DEP_2) | instskip(NEXT) | instid1(VALU_DEP_2)
	v_cvt_f32_i32_e32 v8, v6
	v_bfe_i32 v3, v1, 0, 8
	s_delay_alu instid0(VALU_DEP_1) | instskip(SKIP_1) | instid1(VALU_DEP_2)
	v_cvt_f32_i32_e32 v5, v3
	v_xor_b32_e32 v3, v6, v3
	v_rcp_iflag_f32_e32 v7, v5
	v_nop
	s_delay_alu instid0(TRANS32_DEP_1) | instskip(NEXT) | instid1(VALU_DEP_1)
	v_mul_f32_e32 v6, v8, v7
	v_trunc_f32_e32 v6, v6
	s_delay_alu instid0(VALU_DEP_1) | instskip(NEXT) | instid1(VALU_DEP_1)
	v_dual_ashrrev_i32 v3, 30, v3 :: v_dual_fma_f32 v7, -v6, v5, v8
	v_or_b32_e32 v3, 1, v3
	v_cvt_i32_f32_e32 v6, v6
	s_delay_alu instid0(VALU_DEP_3) | instskip(NEXT) | instid1(VALU_DEP_3)
	v_cmp_ge_f32_e64 vcc_lo, |v7|, |v5|
	v_cndmask_b32_e32 v3, 0, v3, vcc_lo
	s_delay_alu instid0(VALU_DEP_1) | instskip(NEXT) | instid1(VALU_DEP_1)
	v_add_nc_u32_e32 v3, v6, v3
	v_mul_lo_u32 v3, v3, v1
	s_delay_alu instid0(VALU_DEP_1) | instskip(NEXT) | instid1(VALU_DEP_1)
	v_sub_nc_u32_e32 v2, v2, v3
	v_bfe_i32 v3, v2, 0, 8
	v_mov_b32_e32 v2, v1
	s_delay_alu instid0(VALU_DEP_2) | instskip(SKIP_2) | instid1(SALU_CYCLE_1)
	v_cmp_eq_u16_e32 vcc_lo, 0, v3
	v_and_b32_e32 v3, 0xffff, v3
	s_or_b32 s24, vcc_lo, s24
	s_and_not1_b32 exec_lo, exec_lo, s24
	s_cbranch_execnz .LBB13_54
; %bb.55:
	s_or_b32 exec_lo, exec_lo, s24
.LBB13_56:
	s_delay_alu instid0(SALU_CYCLE_1) | instskip(SKIP_4) | instid1(SALU_CYCLE_1)
	s_or_b32 exec_lo, exec_lo, s16
	v_add_nc_u32_e32 v0, 0x80, v0
	global_store_b8 v4, v1, s[0:1]
	s_wait_xcnt 0x0
	s_or_b32 exec_lo, exec_lo, s5
	s_mov_b32 s5, exec_lo
	v_cmpx_gt_i32_e64 s33, v0
	s_cbranch_execz .LBB13_5
.LBB13_57:
	s_and_not1_b32 vcc_lo, exec_lo, s28
	s_cbranch_vccnz .LBB13_63
; %bb.58:
	s_and_not1_b32 vcc_lo, exec_lo, s34
	s_cbranch_vccnz .LBB13_64
; %bb.59:
	v_dual_mov_b32 v4, 0 :: v_dual_mov_b32 v1, v0
	v_dual_mov_b32 v6, 0 :: v_dual_mov_b32 v5, 0
	s_add_co_i32 s16, s31, 1
	s_mov_b64 s[24:25], 0xffffffffffffffe8
	s_and_b32 s16, s16, 30
	s_add_nc_u64 s[24:25], s[12:13], s[24:25]
.LBB13_60:                              ; =>This Inner Loop Header: Depth=1
	s_clause 0x1
	s_load_b128 s[36:39], s[24:25], 0x1c
	s_load_b64 s[44:45], s[24:25], 0x2c
	s_add_co_i32 s16, s16, -2
	s_delay_alu instid0(SALU_CYCLE_1) | instskip(SKIP_2) | instid1(VALU_DEP_1)
	s_cmp_eq_u32 s16, 0
	s_wait_kmcnt 0x0
	v_mul_hi_u32 v2, s37, v1
	v_add_nc_u32_e32 v2, v1, v2
	s_delay_alu instid0(VALU_DEP_1) | instskip(NEXT) | instid1(VALU_DEP_1)
	v_lshrrev_b32_e32 v2, s38, v2
	v_mul_hi_u32 v3, s44, v2
	v_mul_lo_u32 v7, v2, s36
	s_clause 0x1
	s_load_b128 s[40:43], s[24:25], 0xdc
	s_load_b64 s[36:37], s[24:25], 0xec
	s_wait_xcnt 0x0
	s_add_nc_u64 s[24:25], s[24:25], 24
	s_delay_alu instid0(VALU_DEP_2) | instskip(NEXT) | instid1(VALU_DEP_2)
	v_add_nc_u32_e32 v3, v2, v3
	v_sub_nc_u32_e32 v7, v1, v7
	s_delay_alu instid0(VALU_DEP_2) | instskip(SKIP_1) | instid1(VALU_DEP_2)
	v_lshrrev_b32_e32 v1, s45, v3
	s_wait_kmcnt 0x0
	v_mad_u32 v4, v7, s40, v4
	s_delay_alu instid0(VALU_DEP_2) | instskip(SKIP_2) | instid1(VALU_DEP_3)
	v_mul_lo_u32 v3, v1, s39
	v_mad_u32 v5, v7, s42, v5
	v_mad_u32 v6, v7, s41, v6
	v_sub_nc_u32_e32 v2, v2, v3
	s_delay_alu instid0(VALU_DEP_1) | instskip(NEXT) | instid1(VALU_DEP_4)
	v_mad_u32 v4, v2, s43, v4
	v_mad_u32 v5, v2, s37, v5
	s_delay_alu instid0(VALU_DEP_4)
	v_mad_u32 v6, v2, s36, v6
	s_cbranch_scc0 .LBB13_60
; %bb.61:
	s_bitcmp1_b32 s31, 0
	s_cselect_b32 s16, -1, 0
	s_delay_alu instid0(SALU_CYCLE_1)
	s_and_b32 vcc_lo, exec_lo, s16
	s_cbranch_vccnz .LBB13_65
; %bb.62:
	s_clause 0x1
	s_load_b96 s[36:38], s[24:25], 0x1c
	s_load_b96 s[40:42], s[24:25], 0xdc
	s_wait_kmcnt 0x0
	v_mul_hi_u32 v2, s37, v1
	s_delay_alu instid0(VALU_DEP_1) | instskip(NEXT) | instid1(VALU_DEP_1)
	v_add_nc_u32_e32 v2, v1, v2
	v_lshrrev_b32_e32 v2, s38, v2
	s_delay_alu instid0(VALU_DEP_1) | instskip(NEXT) | instid1(VALU_DEP_1)
	v_mul_lo_u32 v2, v2, s36
	v_sub_nc_u32_e32 v1, v1, v2
	s_delay_alu instid0(VALU_DEP_1)
	v_mad_u32 v4, v1, s40, v4
	v_mad_u32 v6, v1, s41, v6
	;; [unrolled: 1-line block ×3, first 2 shown]
	s_branch .LBB13_65
.LBB13_63:
                                        ; implicit-def: $vgpr5
                                        ; implicit-def: $vgpr6
                                        ; implicit-def: $vgpr4
	s_branch .LBB13_66
.LBB13_64:
	v_dual_mov_b32 v5, 0 :: v_dual_mov_b32 v6, 0
	v_mov_b32_e32 v4, 0
.LBB13_65:
	s_cbranch_execnz .LBB13_68
.LBB13_66:
	v_mov_b32_e32 v1, 0
	s_and_not1_b32 vcc_lo, exec_lo, s30
	s_delay_alu instid0(VALU_DEP_1) | instskip(NEXT) | instid1(VALU_DEP_1)
	v_mul_u64_e32 v[2:3], s[20:21], v[0:1]
	v_add_nc_u32_e32 v2, v0, v3
	s_delay_alu instid0(VALU_DEP_1) | instskip(NEXT) | instid1(VALU_DEP_1)
	v_lshrrev_b32_e32 v2, s6, v2
	v_mul_lo_u32 v3, v2, s4
	s_delay_alu instid0(VALU_DEP_1) | instskip(NEXT) | instid1(VALU_DEP_1)
	v_sub_nc_u32_e32 v3, v0, v3
	v_mul_lo_u32 v4, v3, s8
	v_mul_lo_u32 v5, v3, s10
	;; [unrolled: 1-line block ×3, first 2 shown]
	s_cbranch_vccnz .LBB13_68
; %bb.67:
	v_mov_b32_e32 v3, v1
	s_delay_alu instid0(VALU_DEP_1) | instskip(NEXT) | instid1(VALU_DEP_1)
	v_mul_u64_e32 v[8:9], s[22:23], v[2:3]
	v_add_nc_u32_e32 v1, v2, v9
	s_delay_alu instid0(VALU_DEP_1) | instskip(NEXT) | instid1(VALU_DEP_1)
	v_lshrrev_b32_e32 v1, s17, v1
	v_mul_lo_u32 v1, v1, s7
	s_delay_alu instid0(VALU_DEP_1) | instskip(NEXT) | instid1(VALU_DEP_1)
	v_sub_nc_u32_e32 v1, v2, v1
	v_mad_u32 v4, v1, s11, v4
	v_mad_u32 v6, v1, s18, v6
	;; [unrolled: 1-line block ×3, first 2 shown]
.LBB13_68:
	global_load_i8 v1, v5, s[14:15]
	global_load_u8 v2, v6, s[2:3]
	s_mov_b32 s24, 0
	s_mov_b32 s16, exec_lo
	s_wait_loadcnt 0x1
	v_sub_nc_u16 v3, 0, v1
	s_delay_alu instid0(VALU_DEP_1)
	v_max_i16 v1, v1, v3
	s_wait_loadcnt 0x0
	v_cmpx_ne_u16_e32 0, v2
	s_cbranch_execz .LBB13_72
; %bb.69:
	v_bfe_i32 v2, v2, 0, 8
	s_delay_alu instid0(VALU_DEP_1) | instskip(NEXT) | instid1(VALU_DEP_1)
	v_sub_nc_u16 v3, 0, v2
	v_max_i16 v3, v2, v3
	v_and_b32_e32 v2, 0xff, v1
	s_delay_alu instid0(VALU_DEP_2)
	v_and_b32_e32 v3, 0xffff, v3
.LBB13_70:                              ; =>This Inner Loop Header: Depth=1
	s_delay_alu instid0(VALU_DEP_2) | instskip(NEXT) | instid1(VALU_DEP_2)
	v_bfe_i32 v6, v2, 0, 8
	v_mov_b32_e32 v1, v3
	s_delay_alu instid0(VALU_DEP_2) | instskip(NEXT) | instid1(VALU_DEP_2)
	v_cvt_f32_i32_e32 v8, v6
	v_bfe_i32 v3, v1, 0, 8
	s_delay_alu instid0(VALU_DEP_1) | instskip(SKIP_1) | instid1(VALU_DEP_2)
	v_cvt_f32_i32_e32 v5, v3
	v_xor_b32_e32 v3, v6, v3
	v_rcp_iflag_f32_e32 v7, v5
	v_nop
	s_delay_alu instid0(TRANS32_DEP_1) | instskip(NEXT) | instid1(VALU_DEP_1)
	v_mul_f32_e32 v6, v8, v7
	v_trunc_f32_e32 v6, v6
	s_delay_alu instid0(VALU_DEP_1) | instskip(NEXT) | instid1(VALU_DEP_1)
	v_dual_ashrrev_i32 v3, 30, v3 :: v_dual_fma_f32 v7, -v6, v5, v8
	v_or_b32_e32 v3, 1, v3
	v_cvt_i32_f32_e32 v6, v6
	s_delay_alu instid0(VALU_DEP_3) | instskip(NEXT) | instid1(VALU_DEP_3)
	v_cmp_ge_f32_e64 vcc_lo, |v7|, |v5|
	v_cndmask_b32_e32 v3, 0, v3, vcc_lo
	s_delay_alu instid0(VALU_DEP_1) | instskip(NEXT) | instid1(VALU_DEP_1)
	v_add_nc_u32_e32 v3, v6, v3
	v_mul_lo_u32 v3, v3, v1
	s_delay_alu instid0(VALU_DEP_1) | instskip(NEXT) | instid1(VALU_DEP_1)
	v_sub_nc_u32_e32 v2, v2, v3
	v_bfe_i32 v3, v2, 0, 8
	v_mov_b32_e32 v2, v1
	s_delay_alu instid0(VALU_DEP_2) | instskip(SKIP_2) | instid1(SALU_CYCLE_1)
	v_cmp_eq_u16_e32 vcc_lo, 0, v3
	v_and_b32_e32 v3, 0xffff, v3
	s_or_b32 s24, vcc_lo, s24
	s_and_not1_b32 exec_lo, exec_lo, s24
	s_cbranch_execnz .LBB13_70
; %bb.71:
	s_or_b32 exec_lo, exec_lo, s24
.LBB13_72:
	s_delay_alu instid0(SALU_CYCLE_1) | instskip(SKIP_4) | instid1(SALU_CYCLE_1)
	s_or_b32 exec_lo, exec_lo, s16
	v_add_nc_u32_e32 v0, 0x80, v0
	global_store_b8 v4, v1, s[0:1]
	s_wait_xcnt 0x0
	s_or_b32 exec_lo, exec_lo, s5
	s_mov_b32 s5, exec_lo
	v_cmpx_gt_i32_e64 s33, v0
	s_cbranch_execz .LBB13_6
.LBB13_73:
	s_and_not1_b32 vcc_lo, exec_lo, s28
	s_cbranch_vccnz .LBB13_79
; %bb.74:
	s_and_not1_b32 vcc_lo, exec_lo, s34
	s_cbranch_vccnz .LBB13_80
; %bb.75:
	v_dual_mov_b32 v4, 0 :: v_dual_mov_b32 v1, v0
	v_dual_mov_b32 v6, 0 :: v_dual_mov_b32 v5, 0
	s_add_co_i32 s16, s31, 1
	s_mov_b64 s[24:25], 0xffffffffffffffe8
	s_and_b32 s16, s16, 30
	s_add_nc_u64 s[24:25], s[12:13], s[24:25]
.LBB13_76:                              ; =>This Inner Loop Header: Depth=1
	s_clause 0x1
	s_load_b128 s[36:39], s[24:25], 0x1c
	s_load_b64 s[44:45], s[24:25], 0x2c
	s_add_co_i32 s16, s16, -2
	s_delay_alu instid0(SALU_CYCLE_1) | instskip(SKIP_2) | instid1(VALU_DEP_1)
	s_cmp_eq_u32 s16, 0
	s_wait_kmcnt 0x0
	v_mul_hi_u32 v2, s37, v1
	v_add_nc_u32_e32 v2, v1, v2
	s_delay_alu instid0(VALU_DEP_1) | instskip(NEXT) | instid1(VALU_DEP_1)
	v_lshrrev_b32_e32 v2, s38, v2
	v_mul_hi_u32 v3, s44, v2
	v_mul_lo_u32 v7, v2, s36
	s_clause 0x1
	s_load_b128 s[40:43], s[24:25], 0xdc
	s_load_b64 s[36:37], s[24:25], 0xec
	s_wait_xcnt 0x0
	s_add_nc_u64 s[24:25], s[24:25], 24
	s_delay_alu instid0(VALU_DEP_2) | instskip(NEXT) | instid1(VALU_DEP_2)
	v_add_nc_u32_e32 v3, v2, v3
	v_sub_nc_u32_e32 v7, v1, v7
	s_delay_alu instid0(VALU_DEP_2) | instskip(SKIP_1) | instid1(VALU_DEP_2)
	v_lshrrev_b32_e32 v1, s45, v3
	s_wait_kmcnt 0x0
	v_mad_u32 v4, v7, s40, v4
	s_delay_alu instid0(VALU_DEP_2) | instskip(SKIP_2) | instid1(VALU_DEP_3)
	v_mul_lo_u32 v3, v1, s39
	v_mad_u32 v5, v7, s42, v5
	v_mad_u32 v6, v7, s41, v6
	v_sub_nc_u32_e32 v2, v2, v3
	s_delay_alu instid0(VALU_DEP_1) | instskip(NEXT) | instid1(VALU_DEP_4)
	v_mad_u32 v4, v2, s43, v4
	v_mad_u32 v5, v2, s37, v5
	s_delay_alu instid0(VALU_DEP_4)
	v_mad_u32 v6, v2, s36, v6
	s_cbranch_scc0 .LBB13_76
; %bb.77:
	s_bitcmp1_b32 s31, 0
	s_cselect_b32 s16, -1, 0
	s_delay_alu instid0(SALU_CYCLE_1)
	s_and_b32 vcc_lo, exec_lo, s16
	s_cbranch_vccnz .LBB13_81
; %bb.78:
	s_clause 0x1
	s_load_b96 s[36:38], s[24:25], 0x1c
	s_load_b96 s[40:42], s[24:25], 0xdc
	s_wait_kmcnt 0x0
	v_mul_hi_u32 v2, s37, v1
	s_delay_alu instid0(VALU_DEP_1) | instskip(NEXT) | instid1(VALU_DEP_1)
	v_add_nc_u32_e32 v2, v1, v2
	v_lshrrev_b32_e32 v2, s38, v2
	s_delay_alu instid0(VALU_DEP_1) | instskip(NEXT) | instid1(VALU_DEP_1)
	v_mul_lo_u32 v2, v2, s36
	v_sub_nc_u32_e32 v1, v1, v2
	s_delay_alu instid0(VALU_DEP_1)
	v_mad_u32 v4, v1, s40, v4
	v_mad_u32 v6, v1, s41, v6
	;; [unrolled: 1-line block ×3, first 2 shown]
	s_branch .LBB13_81
.LBB13_79:
                                        ; implicit-def: $vgpr5
                                        ; implicit-def: $vgpr6
                                        ; implicit-def: $vgpr4
	s_branch .LBB13_82
.LBB13_80:
	v_dual_mov_b32 v5, 0 :: v_dual_mov_b32 v6, 0
	v_mov_b32_e32 v4, 0
.LBB13_81:
	s_cbranch_execnz .LBB13_84
.LBB13_82:
	v_mov_b32_e32 v1, 0
	s_and_not1_b32 vcc_lo, exec_lo, s30
	s_delay_alu instid0(VALU_DEP_1) | instskip(NEXT) | instid1(VALU_DEP_1)
	v_mul_u64_e32 v[2:3], s[20:21], v[0:1]
	v_add_nc_u32_e32 v2, v0, v3
	s_delay_alu instid0(VALU_DEP_1) | instskip(NEXT) | instid1(VALU_DEP_1)
	v_lshrrev_b32_e32 v2, s6, v2
	v_mul_lo_u32 v3, v2, s4
	s_delay_alu instid0(VALU_DEP_1) | instskip(NEXT) | instid1(VALU_DEP_1)
	v_sub_nc_u32_e32 v3, v0, v3
	v_mul_lo_u32 v4, v3, s8
	v_mul_lo_u32 v5, v3, s10
	;; [unrolled: 1-line block ×3, first 2 shown]
	s_cbranch_vccnz .LBB13_84
; %bb.83:
	v_mov_b32_e32 v3, v1
	s_delay_alu instid0(VALU_DEP_1) | instskip(NEXT) | instid1(VALU_DEP_1)
	v_mul_u64_e32 v[8:9], s[22:23], v[2:3]
	v_add_nc_u32_e32 v1, v2, v9
	s_delay_alu instid0(VALU_DEP_1) | instskip(NEXT) | instid1(VALU_DEP_1)
	v_lshrrev_b32_e32 v1, s17, v1
	v_mul_lo_u32 v1, v1, s7
	s_delay_alu instid0(VALU_DEP_1) | instskip(NEXT) | instid1(VALU_DEP_1)
	v_sub_nc_u32_e32 v1, v2, v1
	v_mad_u32 v4, v1, s11, v4
	v_mad_u32 v6, v1, s18, v6
	;; [unrolled: 1-line block ×3, first 2 shown]
.LBB13_84:
	global_load_i8 v1, v5, s[14:15]
	global_load_u8 v2, v6, s[2:3]
	s_mov_b32 s24, 0
	s_mov_b32 s16, exec_lo
	s_wait_loadcnt 0x1
	v_sub_nc_u16 v3, 0, v1
	s_delay_alu instid0(VALU_DEP_1)
	v_max_i16 v1, v1, v3
	s_wait_loadcnt 0x0
	v_cmpx_ne_u16_e32 0, v2
	s_cbranch_execz .LBB13_88
; %bb.85:
	v_bfe_i32 v2, v2, 0, 8
	s_delay_alu instid0(VALU_DEP_1) | instskip(NEXT) | instid1(VALU_DEP_1)
	v_sub_nc_u16 v3, 0, v2
	v_max_i16 v3, v2, v3
	v_and_b32_e32 v2, 0xff, v1
	s_delay_alu instid0(VALU_DEP_2)
	v_and_b32_e32 v3, 0xffff, v3
.LBB13_86:                              ; =>This Inner Loop Header: Depth=1
	s_delay_alu instid0(VALU_DEP_2) | instskip(NEXT) | instid1(VALU_DEP_2)
	v_bfe_i32 v6, v2, 0, 8
	v_mov_b32_e32 v1, v3
	s_delay_alu instid0(VALU_DEP_2) | instskip(NEXT) | instid1(VALU_DEP_2)
	v_cvt_f32_i32_e32 v8, v6
	v_bfe_i32 v3, v1, 0, 8
	s_delay_alu instid0(VALU_DEP_1) | instskip(SKIP_1) | instid1(VALU_DEP_2)
	v_cvt_f32_i32_e32 v5, v3
	v_xor_b32_e32 v3, v6, v3
	v_rcp_iflag_f32_e32 v7, v5
	v_nop
	s_delay_alu instid0(TRANS32_DEP_1) | instskip(NEXT) | instid1(VALU_DEP_1)
	v_mul_f32_e32 v6, v8, v7
	v_trunc_f32_e32 v6, v6
	s_delay_alu instid0(VALU_DEP_1) | instskip(NEXT) | instid1(VALU_DEP_1)
	v_dual_ashrrev_i32 v3, 30, v3 :: v_dual_fma_f32 v7, -v6, v5, v8
	v_or_b32_e32 v3, 1, v3
	v_cvt_i32_f32_e32 v6, v6
	s_delay_alu instid0(VALU_DEP_3) | instskip(NEXT) | instid1(VALU_DEP_3)
	v_cmp_ge_f32_e64 vcc_lo, |v7|, |v5|
	v_cndmask_b32_e32 v3, 0, v3, vcc_lo
	s_delay_alu instid0(VALU_DEP_1) | instskip(NEXT) | instid1(VALU_DEP_1)
	v_add_nc_u32_e32 v3, v6, v3
	v_mul_lo_u32 v3, v3, v1
	s_delay_alu instid0(VALU_DEP_1) | instskip(NEXT) | instid1(VALU_DEP_1)
	v_sub_nc_u32_e32 v2, v2, v3
	v_bfe_i32 v3, v2, 0, 8
	v_mov_b32_e32 v2, v1
	s_delay_alu instid0(VALU_DEP_2) | instskip(SKIP_2) | instid1(SALU_CYCLE_1)
	v_cmp_eq_u16_e32 vcc_lo, 0, v3
	v_and_b32_e32 v3, 0xffff, v3
	s_or_b32 s24, vcc_lo, s24
	s_and_not1_b32 exec_lo, exec_lo, s24
	s_cbranch_execnz .LBB13_86
; %bb.87:
	s_or_b32 exec_lo, exec_lo, s24
.LBB13_88:
	s_delay_alu instid0(SALU_CYCLE_1) | instskip(SKIP_4) | instid1(SALU_CYCLE_1)
	s_or_b32 exec_lo, exec_lo, s16
	v_add_nc_u32_e32 v0, 0x80, v0
	global_store_b8 v4, v1, s[0:1]
	s_wait_xcnt 0x0
	s_or_b32 exec_lo, exec_lo, s5
	s_mov_b32 s5, exec_lo
	v_cmpx_gt_i32_e64 s33, v0
	s_cbranch_execz .LBB13_7
.LBB13_89:
	s_and_not1_b32 vcc_lo, exec_lo, s28
	s_cbranch_vccnz .LBB13_95
; %bb.90:
	s_and_not1_b32 vcc_lo, exec_lo, s34
	s_cbranch_vccnz .LBB13_96
; %bb.91:
	v_dual_mov_b32 v4, 0 :: v_dual_mov_b32 v1, v0
	v_dual_mov_b32 v6, 0 :: v_dual_mov_b32 v5, 0
	s_add_co_i32 s16, s31, 1
	s_mov_b64 s[24:25], 0xffffffffffffffe8
	s_and_b32 s16, s16, 30
	s_add_nc_u64 s[24:25], s[12:13], s[24:25]
.LBB13_92:                              ; =>This Inner Loop Header: Depth=1
	s_clause 0x1
	s_load_b128 s[36:39], s[24:25], 0x1c
	s_load_b64 s[44:45], s[24:25], 0x2c
	s_add_co_i32 s16, s16, -2
	s_delay_alu instid0(SALU_CYCLE_1) | instskip(SKIP_2) | instid1(VALU_DEP_1)
	s_cmp_eq_u32 s16, 0
	s_wait_kmcnt 0x0
	v_mul_hi_u32 v2, s37, v1
	v_add_nc_u32_e32 v2, v1, v2
	s_delay_alu instid0(VALU_DEP_1) | instskip(NEXT) | instid1(VALU_DEP_1)
	v_lshrrev_b32_e32 v2, s38, v2
	v_mul_hi_u32 v3, s44, v2
	v_mul_lo_u32 v7, v2, s36
	s_clause 0x1
	s_load_b128 s[40:43], s[24:25], 0xdc
	s_load_b64 s[36:37], s[24:25], 0xec
	s_wait_xcnt 0x0
	s_add_nc_u64 s[24:25], s[24:25], 24
	s_delay_alu instid0(VALU_DEP_2) | instskip(NEXT) | instid1(VALU_DEP_2)
	v_add_nc_u32_e32 v3, v2, v3
	v_sub_nc_u32_e32 v7, v1, v7
	s_delay_alu instid0(VALU_DEP_2) | instskip(SKIP_1) | instid1(VALU_DEP_2)
	v_lshrrev_b32_e32 v1, s45, v3
	s_wait_kmcnt 0x0
	v_mad_u32 v4, v7, s40, v4
	s_delay_alu instid0(VALU_DEP_2) | instskip(SKIP_2) | instid1(VALU_DEP_3)
	v_mul_lo_u32 v3, v1, s39
	v_mad_u32 v5, v7, s42, v5
	v_mad_u32 v6, v7, s41, v6
	v_sub_nc_u32_e32 v2, v2, v3
	s_delay_alu instid0(VALU_DEP_1) | instskip(NEXT) | instid1(VALU_DEP_4)
	v_mad_u32 v4, v2, s43, v4
	v_mad_u32 v5, v2, s37, v5
	s_delay_alu instid0(VALU_DEP_4)
	v_mad_u32 v6, v2, s36, v6
	s_cbranch_scc0 .LBB13_92
; %bb.93:
	s_bitcmp1_b32 s31, 0
	s_cselect_b32 s16, -1, 0
	s_delay_alu instid0(SALU_CYCLE_1)
	s_and_b32 vcc_lo, exec_lo, s16
	s_cbranch_vccnz .LBB13_97
; %bb.94:
	s_clause 0x1
	s_load_b96 s[36:38], s[24:25], 0x1c
	s_load_b96 s[40:42], s[24:25], 0xdc
	s_wait_kmcnt 0x0
	v_mul_hi_u32 v2, s37, v1
	s_delay_alu instid0(VALU_DEP_1) | instskip(NEXT) | instid1(VALU_DEP_1)
	v_add_nc_u32_e32 v2, v1, v2
	v_lshrrev_b32_e32 v2, s38, v2
	s_delay_alu instid0(VALU_DEP_1) | instskip(NEXT) | instid1(VALU_DEP_1)
	v_mul_lo_u32 v2, v2, s36
	v_sub_nc_u32_e32 v1, v1, v2
	s_delay_alu instid0(VALU_DEP_1)
	v_mad_u32 v4, v1, s40, v4
	v_mad_u32 v6, v1, s41, v6
	;; [unrolled: 1-line block ×3, first 2 shown]
	s_branch .LBB13_97
.LBB13_95:
                                        ; implicit-def: $vgpr5
                                        ; implicit-def: $vgpr6
                                        ; implicit-def: $vgpr4
	s_branch .LBB13_98
.LBB13_96:
	v_dual_mov_b32 v5, 0 :: v_dual_mov_b32 v6, 0
	v_mov_b32_e32 v4, 0
.LBB13_97:
	s_cbranch_execnz .LBB13_100
.LBB13_98:
	v_mov_b32_e32 v1, 0
	s_and_not1_b32 vcc_lo, exec_lo, s30
	s_delay_alu instid0(VALU_DEP_1) | instskip(NEXT) | instid1(VALU_DEP_1)
	v_mul_u64_e32 v[2:3], s[20:21], v[0:1]
	v_add_nc_u32_e32 v2, v0, v3
	s_delay_alu instid0(VALU_DEP_1) | instskip(NEXT) | instid1(VALU_DEP_1)
	v_lshrrev_b32_e32 v2, s6, v2
	v_mul_lo_u32 v3, v2, s4
	s_delay_alu instid0(VALU_DEP_1) | instskip(NEXT) | instid1(VALU_DEP_1)
	v_sub_nc_u32_e32 v3, v0, v3
	v_mul_lo_u32 v4, v3, s8
	v_mul_lo_u32 v5, v3, s10
	;; [unrolled: 1-line block ×3, first 2 shown]
	s_cbranch_vccnz .LBB13_100
; %bb.99:
	v_mov_b32_e32 v3, v1
	s_delay_alu instid0(VALU_DEP_1) | instskip(NEXT) | instid1(VALU_DEP_1)
	v_mul_u64_e32 v[8:9], s[22:23], v[2:3]
	v_add_nc_u32_e32 v1, v2, v9
	s_delay_alu instid0(VALU_DEP_1) | instskip(NEXT) | instid1(VALU_DEP_1)
	v_lshrrev_b32_e32 v1, s17, v1
	v_mul_lo_u32 v1, v1, s7
	s_delay_alu instid0(VALU_DEP_1) | instskip(NEXT) | instid1(VALU_DEP_1)
	v_sub_nc_u32_e32 v1, v2, v1
	v_mad_u32 v4, v1, s11, v4
	v_mad_u32 v6, v1, s18, v6
	v_mad_u32 v5, v1, s19, v5
.LBB13_100:
	global_load_i8 v1, v5, s[14:15]
	global_load_u8 v2, v6, s[2:3]
	s_mov_b32 s24, 0
	s_mov_b32 s16, exec_lo
	s_wait_loadcnt 0x1
	v_sub_nc_u16 v3, 0, v1
	s_delay_alu instid0(VALU_DEP_1)
	v_max_i16 v1, v1, v3
	s_wait_loadcnt 0x0
	v_cmpx_ne_u16_e32 0, v2
	s_cbranch_execz .LBB13_104
; %bb.101:
	v_bfe_i32 v2, v2, 0, 8
	s_delay_alu instid0(VALU_DEP_1) | instskip(NEXT) | instid1(VALU_DEP_1)
	v_sub_nc_u16 v3, 0, v2
	v_max_i16 v3, v2, v3
	v_and_b32_e32 v2, 0xff, v1
	s_delay_alu instid0(VALU_DEP_2)
	v_and_b32_e32 v3, 0xffff, v3
.LBB13_102:                             ; =>This Inner Loop Header: Depth=1
	s_delay_alu instid0(VALU_DEP_2) | instskip(NEXT) | instid1(VALU_DEP_2)
	v_bfe_i32 v6, v2, 0, 8
	v_mov_b32_e32 v1, v3
	s_delay_alu instid0(VALU_DEP_2) | instskip(NEXT) | instid1(VALU_DEP_2)
	v_cvt_f32_i32_e32 v8, v6
	v_bfe_i32 v3, v1, 0, 8
	s_delay_alu instid0(VALU_DEP_1) | instskip(SKIP_1) | instid1(VALU_DEP_2)
	v_cvt_f32_i32_e32 v5, v3
	v_xor_b32_e32 v3, v6, v3
	v_rcp_iflag_f32_e32 v7, v5
	v_nop
	s_delay_alu instid0(TRANS32_DEP_1) | instskip(NEXT) | instid1(VALU_DEP_1)
	v_mul_f32_e32 v6, v8, v7
	v_trunc_f32_e32 v6, v6
	s_delay_alu instid0(VALU_DEP_1) | instskip(NEXT) | instid1(VALU_DEP_1)
	v_dual_ashrrev_i32 v3, 30, v3 :: v_dual_fma_f32 v7, -v6, v5, v8
	v_or_b32_e32 v3, 1, v3
	v_cvt_i32_f32_e32 v6, v6
	s_delay_alu instid0(VALU_DEP_3) | instskip(NEXT) | instid1(VALU_DEP_3)
	v_cmp_ge_f32_e64 vcc_lo, |v7|, |v5|
	v_cndmask_b32_e32 v3, 0, v3, vcc_lo
	s_delay_alu instid0(VALU_DEP_1) | instskip(NEXT) | instid1(VALU_DEP_1)
	v_add_nc_u32_e32 v3, v6, v3
	v_mul_lo_u32 v3, v3, v1
	s_delay_alu instid0(VALU_DEP_1) | instskip(NEXT) | instid1(VALU_DEP_1)
	v_sub_nc_u32_e32 v2, v2, v3
	v_bfe_i32 v3, v2, 0, 8
	v_mov_b32_e32 v2, v1
	s_delay_alu instid0(VALU_DEP_2) | instskip(SKIP_2) | instid1(SALU_CYCLE_1)
	v_cmp_eq_u16_e32 vcc_lo, 0, v3
	v_and_b32_e32 v3, 0xffff, v3
	s_or_b32 s24, vcc_lo, s24
	s_and_not1_b32 exec_lo, exec_lo, s24
	s_cbranch_execnz .LBB13_102
; %bb.103:
	s_or_b32 exec_lo, exec_lo, s24
.LBB13_104:
	s_delay_alu instid0(SALU_CYCLE_1) | instskip(SKIP_4) | instid1(SALU_CYCLE_1)
	s_or_b32 exec_lo, exec_lo, s16
	v_add_nc_u32_e32 v0, 0x80, v0
	global_store_b8 v4, v1, s[0:1]
	s_wait_xcnt 0x0
	s_or_b32 exec_lo, exec_lo, s5
	s_mov_b32 s5, exec_lo
	v_cmpx_gt_i32_e64 s33, v0
	s_cbranch_execz .LBB13_8
.LBB13_105:
	s_and_not1_b32 vcc_lo, exec_lo, s28
	s_cbranch_vccnz .LBB13_111
; %bb.106:
	s_and_not1_b32 vcc_lo, exec_lo, s34
	s_cbranch_vccnz .LBB13_112
; %bb.107:
	v_dual_mov_b32 v4, 0 :: v_dual_mov_b32 v1, v0
	v_dual_mov_b32 v6, 0 :: v_dual_mov_b32 v5, 0
	s_add_co_i32 s16, s31, 1
	s_mov_b64 s[24:25], 0xffffffffffffffe8
	s_and_b32 s16, s16, 30
	s_add_nc_u64 s[24:25], s[12:13], s[24:25]
.LBB13_108:                             ; =>This Inner Loop Header: Depth=1
	s_clause 0x1
	s_load_b128 s[36:39], s[24:25], 0x1c
	s_load_b64 s[44:45], s[24:25], 0x2c
	s_add_co_i32 s16, s16, -2
	s_delay_alu instid0(SALU_CYCLE_1) | instskip(SKIP_2) | instid1(VALU_DEP_1)
	s_cmp_eq_u32 s16, 0
	s_wait_kmcnt 0x0
	v_mul_hi_u32 v2, s37, v1
	v_add_nc_u32_e32 v2, v1, v2
	s_delay_alu instid0(VALU_DEP_1) | instskip(NEXT) | instid1(VALU_DEP_1)
	v_lshrrev_b32_e32 v2, s38, v2
	v_mul_hi_u32 v3, s44, v2
	v_mul_lo_u32 v7, v2, s36
	s_clause 0x1
	s_load_b128 s[40:43], s[24:25], 0xdc
	s_load_b64 s[36:37], s[24:25], 0xec
	s_wait_xcnt 0x0
	s_add_nc_u64 s[24:25], s[24:25], 24
	s_delay_alu instid0(VALU_DEP_2) | instskip(NEXT) | instid1(VALU_DEP_2)
	v_add_nc_u32_e32 v3, v2, v3
	v_sub_nc_u32_e32 v7, v1, v7
	s_delay_alu instid0(VALU_DEP_2) | instskip(SKIP_1) | instid1(VALU_DEP_2)
	v_lshrrev_b32_e32 v1, s45, v3
	s_wait_kmcnt 0x0
	v_mad_u32 v4, v7, s40, v4
	s_delay_alu instid0(VALU_DEP_2) | instskip(SKIP_2) | instid1(VALU_DEP_3)
	v_mul_lo_u32 v3, v1, s39
	v_mad_u32 v5, v7, s42, v5
	v_mad_u32 v6, v7, s41, v6
	v_sub_nc_u32_e32 v2, v2, v3
	s_delay_alu instid0(VALU_DEP_1) | instskip(NEXT) | instid1(VALU_DEP_4)
	v_mad_u32 v4, v2, s43, v4
	v_mad_u32 v5, v2, s37, v5
	s_delay_alu instid0(VALU_DEP_4)
	v_mad_u32 v6, v2, s36, v6
	s_cbranch_scc0 .LBB13_108
; %bb.109:
	s_bitcmp1_b32 s31, 0
	s_cselect_b32 s16, -1, 0
	s_delay_alu instid0(SALU_CYCLE_1)
	s_and_b32 vcc_lo, exec_lo, s16
	s_cbranch_vccnz .LBB13_113
; %bb.110:
	s_clause 0x1
	s_load_b96 s[36:38], s[24:25], 0x1c
	s_load_b96 s[40:42], s[24:25], 0xdc
	s_wait_kmcnt 0x0
	v_mul_hi_u32 v2, s37, v1
	s_delay_alu instid0(VALU_DEP_1) | instskip(NEXT) | instid1(VALU_DEP_1)
	v_add_nc_u32_e32 v2, v1, v2
	v_lshrrev_b32_e32 v2, s38, v2
	s_delay_alu instid0(VALU_DEP_1) | instskip(NEXT) | instid1(VALU_DEP_1)
	v_mul_lo_u32 v2, v2, s36
	v_sub_nc_u32_e32 v1, v1, v2
	s_delay_alu instid0(VALU_DEP_1)
	v_mad_u32 v4, v1, s40, v4
	v_mad_u32 v6, v1, s41, v6
	;; [unrolled: 1-line block ×3, first 2 shown]
	s_branch .LBB13_113
.LBB13_111:
                                        ; implicit-def: $vgpr5
                                        ; implicit-def: $vgpr6
                                        ; implicit-def: $vgpr4
	s_branch .LBB13_114
.LBB13_112:
	v_dual_mov_b32 v5, 0 :: v_dual_mov_b32 v6, 0
	v_mov_b32_e32 v4, 0
.LBB13_113:
	s_cbranch_execnz .LBB13_116
.LBB13_114:
	v_mov_b32_e32 v1, 0
	s_and_not1_b32 vcc_lo, exec_lo, s30
	s_delay_alu instid0(VALU_DEP_1) | instskip(NEXT) | instid1(VALU_DEP_1)
	v_mul_u64_e32 v[2:3], s[20:21], v[0:1]
	v_add_nc_u32_e32 v2, v0, v3
	s_delay_alu instid0(VALU_DEP_1) | instskip(NEXT) | instid1(VALU_DEP_1)
	v_lshrrev_b32_e32 v2, s6, v2
	v_mul_lo_u32 v3, v2, s4
	s_delay_alu instid0(VALU_DEP_1) | instskip(NEXT) | instid1(VALU_DEP_1)
	v_sub_nc_u32_e32 v3, v0, v3
	v_mul_lo_u32 v4, v3, s8
	v_mul_lo_u32 v5, v3, s10
	;; [unrolled: 1-line block ×3, first 2 shown]
	s_cbranch_vccnz .LBB13_116
; %bb.115:
	v_mov_b32_e32 v3, v1
	s_delay_alu instid0(VALU_DEP_1) | instskip(NEXT) | instid1(VALU_DEP_1)
	v_mul_u64_e32 v[8:9], s[22:23], v[2:3]
	v_add_nc_u32_e32 v1, v2, v9
	s_delay_alu instid0(VALU_DEP_1) | instskip(NEXT) | instid1(VALU_DEP_1)
	v_lshrrev_b32_e32 v1, s17, v1
	v_mul_lo_u32 v1, v1, s7
	s_delay_alu instid0(VALU_DEP_1) | instskip(NEXT) | instid1(VALU_DEP_1)
	v_sub_nc_u32_e32 v1, v2, v1
	v_mad_u32 v4, v1, s11, v4
	v_mad_u32 v6, v1, s18, v6
	;; [unrolled: 1-line block ×3, first 2 shown]
.LBB13_116:
	global_load_i8 v1, v5, s[14:15]
	global_load_u8 v2, v6, s[2:3]
	s_mov_b32 s24, 0
	s_mov_b32 s16, exec_lo
	s_wait_loadcnt 0x1
	v_sub_nc_u16 v3, 0, v1
	s_delay_alu instid0(VALU_DEP_1)
	v_max_i16 v1, v1, v3
	s_wait_loadcnt 0x0
	v_cmpx_ne_u16_e32 0, v2
	s_cbranch_execz .LBB13_120
; %bb.117:
	v_bfe_i32 v2, v2, 0, 8
	s_delay_alu instid0(VALU_DEP_1) | instskip(NEXT) | instid1(VALU_DEP_1)
	v_sub_nc_u16 v3, 0, v2
	v_max_i16 v3, v2, v3
	v_and_b32_e32 v2, 0xff, v1
	s_delay_alu instid0(VALU_DEP_2)
	v_and_b32_e32 v3, 0xffff, v3
.LBB13_118:                             ; =>This Inner Loop Header: Depth=1
	s_delay_alu instid0(VALU_DEP_2) | instskip(NEXT) | instid1(VALU_DEP_2)
	v_bfe_i32 v6, v2, 0, 8
	v_mov_b32_e32 v1, v3
	s_delay_alu instid0(VALU_DEP_2) | instskip(NEXT) | instid1(VALU_DEP_2)
	v_cvt_f32_i32_e32 v8, v6
	v_bfe_i32 v3, v1, 0, 8
	s_delay_alu instid0(VALU_DEP_1) | instskip(SKIP_1) | instid1(VALU_DEP_2)
	v_cvt_f32_i32_e32 v5, v3
	v_xor_b32_e32 v3, v6, v3
	v_rcp_iflag_f32_e32 v7, v5
	v_nop
	s_delay_alu instid0(TRANS32_DEP_1) | instskip(NEXT) | instid1(VALU_DEP_1)
	v_mul_f32_e32 v6, v8, v7
	v_trunc_f32_e32 v6, v6
	s_delay_alu instid0(VALU_DEP_1) | instskip(NEXT) | instid1(VALU_DEP_1)
	v_dual_ashrrev_i32 v3, 30, v3 :: v_dual_fma_f32 v7, -v6, v5, v8
	v_or_b32_e32 v3, 1, v3
	v_cvt_i32_f32_e32 v6, v6
	s_delay_alu instid0(VALU_DEP_3) | instskip(NEXT) | instid1(VALU_DEP_3)
	v_cmp_ge_f32_e64 vcc_lo, |v7|, |v5|
	v_cndmask_b32_e32 v3, 0, v3, vcc_lo
	s_delay_alu instid0(VALU_DEP_1) | instskip(NEXT) | instid1(VALU_DEP_1)
	v_add_nc_u32_e32 v3, v6, v3
	v_mul_lo_u32 v3, v3, v1
	s_delay_alu instid0(VALU_DEP_1) | instskip(NEXT) | instid1(VALU_DEP_1)
	v_sub_nc_u32_e32 v2, v2, v3
	v_bfe_i32 v3, v2, 0, 8
	v_mov_b32_e32 v2, v1
	s_delay_alu instid0(VALU_DEP_2) | instskip(SKIP_2) | instid1(SALU_CYCLE_1)
	v_cmp_eq_u16_e32 vcc_lo, 0, v3
	v_and_b32_e32 v3, 0xffff, v3
	s_or_b32 s24, vcc_lo, s24
	s_and_not1_b32 exec_lo, exec_lo, s24
	s_cbranch_execnz .LBB13_118
; %bb.119:
	s_or_b32 exec_lo, exec_lo, s24
.LBB13_120:
	s_delay_alu instid0(SALU_CYCLE_1) | instskip(SKIP_4) | instid1(SALU_CYCLE_1)
	s_or_b32 exec_lo, exec_lo, s16
	v_add_nc_u32_e32 v0, 0x80, v0
	global_store_b8 v4, v1, s[0:1]
	s_wait_xcnt 0x0
	s_or_b32 exec_lo, exec_lo, s5
	s_mov_b32 s5, exec_lo
	v_cmpx_gt_i32_e64 s33, v0
	s_cbranch_execz .LBB13_137
.LBB13_121:
	s_and_not1_b32 vcc_lo, exec_lo, s28
	s_cbranch_vccnz .LBB13_127
; %bb.122:
	s_and_not1_b32 vcc_lo, exec_lo, s34
	s_cbranch_vccnz .LBB13_128
; %bb.123:
	v_dual_mov_b32 v4, 0 :: v_dual_mov_b32 v1, v0
	v_dual_mov_b32 v6, 0 :: v_dual_mov_b32 v5, 0
	s_add_co_i32 s16, s31, 1
	s_mov_b64 s[24:25], 0xffffffffffffffe8
	s_and_b32 s16, s16, 30
	s_add_nc_u64 s[24:25], s[12:13], s[24:25]
.LBB13_124:                             ; =>This Inner Loop Header: Depth=1
	s_clause 0x1
	s_load_b128 s[36:39], s[24:25], 0x1c
	s_load_b64 s[34:35], s[24:25], 0x2c
	s_add_co_i32 s16, s16, -2
	s_delay_alu instid0(SALU_CYCLE_1) | instskip(SKIP_2) | instid1(VALU_DEP_1)
	s_cmp_eq_u32 s16, 0
	s_wait_kmcnt 0x0
	v_mul_hi_u32 v2, s37, v1
	v_add_nc_u32_e32 v2, v1, v2
	s_delay_alu instid0(VALU_DEP_1) | instskip(NEXT) | instid1(VALU_DEP_1)
	v_lshrrev_b32_e32 v2, s38, v2
	v_mul_hi_u32 v3, s34, v2
	v_mul_lo_u32 v7, v2, s36
	s_clause 0x1
	s_load_b128 s[40:43], s[24:25], 0xdc
	s_load_b64 s[36:37], s[24:25], 0xec
	s_wait_xcnt 0x0
	s_add_nc_u64 s[24:25], s[24:25], 24
	s_delay_alu instid0(VALU_DEP_2) | instskip(NEXT) | instid1(VALU_DEP_2)
	v_add_nc_u32_e32 v3, v2, v3
	v_sub_nc_u32_e32 v7, v1, v7
	s_delay_alu instid0(VALU_DEP_2) | instskip(SKIP_1) | instid1(VALU_DEP_2)
	v_lshrrev_b32_e32 v1, s35, v3
	s_wait_kmcnt 0x0
	v_mad_u32 v4, v7, s40, v4
	s_delay_alu instid0(VALU_DEP_2) | instskip(SKIP_2) | instid1(VALU_DEP_3)
	v_mul_lo_u32 v3, v1, s39
	v_mad_u32 v5, v7, s42, v5
	v_mad_u32 v6, v7, s41, v6
	v_sub_nc_u32_e32 v2, v2, v3
	s_delay_alu instid0(VALU_DEP_1) | instskip(NEXT) | instid1(VALU_DEP_4)
	v_mad_u32 v4, v2, s43, v4
	v_mad_u32 v5, v2, s37, v5
	s_delay_alu instid0(VALU_DEP_4)
	v_mad_u32 v6, v2, s36, v6
	s_cbranch_scc0 .LBB13_124
; %bb.125:
	s_bitcmp1_b32 s31, 0
	s_cselect_b32 s16, -1, 0
	s_delay_alu instid0(SALU_CYCLE_1)
	s_and_b32 vcc_lo, exec_lo, s16
	s_cbranch_vccnz .LBB13_129
; %bb.126:
	s_clause 0x1
	s_load_b96 s[36:38], s[24:25], 0x1c
	s_load_b96 s[40:42], s[24:25], 0xdc
	s_wait_kmcnt 0x0
	v_mul_hi_u32 v2, s37, v1
	s_delay_alu instid0(VALU_DEP_1) | instskip(NEXT) | instid1(VALU_DEP_1)
	v_add_nc_u32_e32 v2, v1, v2
	v_lshrrev_b32_e32 v2, s38, v2
	s_delay_alu instid0(VALU_DEP_1) | instskip(NEXT) | instid1(VALU_DEP_1)
	v_mul_lo_u32 v2, v2, s36
	v_sub_nc_u32_e32 v1, v1, v2
	s_delay_alu instid0(VALU_DEP_1)
	v_mad_u32 v4, v1, s40, v4
	v_mad_u32 v6, v1, s41, v6
	;; [unrolled: 1-line block ×3, first 2 shown]
	s_branch .LBB13_129
.LBB13_127:
                                        ; implicit-def: $vgpr5
                                        ; implicit-def: $vgpr6
                                        ; implicit-def: $vgpr4
	s_branch .LBB13_130
.LBB13_128:
	v_dual_mov_b32 v5, 0 :: v_dual_mov_b32 v6, 0
	v_mov_b32_e32 v4, 0
.LBB13_129:
	s_cbranch_execnz .LBB13_132
.LBB13_130:
	v_mov_b32_e32 v1, 0
	s_and_not1_b32 vcc_lo, exec_lo, s30
	s_delay_alu instid0(VALU_DEP_1) | instskip(NEXT) | instid1(VALU_DEP_1)
	v_mul_u64_e32 v[2:3], s[20:21], v[0:1]
	v_add_nc_u32_e32 v2, v0, v3
	s_delay_alu instid0(VALU_DEP_1) | instskip(NEXT) | instid1(VALU_DEP_1)
	v_lshrrev_b32_e32 v2, s6, v2
	v_mul_lo_u32 v3, v2, s4
	s_delay_alu instid0(VALU_DEP_1) | instskip(NEXT) | instid1(VALU_DEP_1)
	v_sub_nc_u32_e32 v0, v0, v3
	v_mul_lo_u32 v4, v0, s8
	v_mul_lo_u32 v5, v0, s10
	;; [unrolled: 1-line block ×3, first 2 shown]
	s_cbranch_vccnz .LBB13_132
; %bb.131:
	v_mov_b32_e32 v3, v1
	s_delay_alu instid0(VALU_DEP_1) | instskip(NEXT) | instid1(VALU_DEP_1)
	v_mul_u64_e32 v[0:1], s[22:23], v[2:3]
	v_add_nc_u32_e32 v0, v2, v1
	s_delay_alu instid0(VALU_DEP_1) | instskip(NEXT) | instid1(VALU_DEP_1)
	v_lshrrev_b32_e32 v0, s17, v0
	v_mul_lo_u32 v0, v0, s7
	s_delay_alu instid0(VALU_DEP_1) | instskip(NEXT) | instid1(VALU_DEP_1)
	v_sub_nc_u32_e32 v0, v2, v0
	v_mad_u32 v4, v0, s11, v4
	v_mad_u32 v6, v0, s18, v6
	;; [unrolled: 1-line block ×3, first 2 shown]
.LBB13_132:
	global_load_i8 v0, v5, s[14:15]
	global_load_u8 v1, v6, s[2:3]
	s_wait_xcnt 0x0
	s_mov_b32 s3, 0
	s_mov_b32 s2, exec_lo
	s_wait_loadcnt 0x1
	v_sub_nc_u16 v2, 0, v0
	s_delay_alu instid0(VALU_DEP_1)
	v_max_i16 v0, v0, v2
	s_wait_loadcnt 0x0
	v_cmpx_ne_u16_e32 0, v1
	s_cbranch_execz .LBB13_136
; %bb.133:
	v_bfe_i32 v1, v1, 0, 8
	s_delay_alu instid0(VALU_DEP_1) | instskip(NEXT) | instid1(VALU_DEP_1)
	v_sub_nc_u16 v2, 0, v1
	v_max_i16 v2, v1, v2
	v_and_b32_e32 v1, 0xff, v0
	s_delay_alu instid0(VALU_DEP_2)
	v_and_b32_e32 v2, 0xffff, v2
.LBB13_134:                             ; =>This Inner Loop Header: Depth=1
	s_delay_alu instid0(VALU_DEP_2) | instskip(NEXT) | instid1(VALU_DEP_2)
	v_bfe_i32 v5, v1, 0, 8
	v_mov_b32_e32 v0, v2
	s_delay_alu instid0(VALU_DEP_2) | instskip(NEXT) | instid1(VALU_DEP_2)
	v_cvt_f32_i32_e32 v7, v5
	v_bfe_i32 v2, v0, 0, 8
	s_delay_alu instid0(VALU_DEP_1) | instskip(SKIP_1) | instid1(VALU_DEP_2)
	v_cvt_f32_i32_e32 v3, v2
	v_xor_b32_e32 v2, v5, v2
	v_rcp_iflag_f32_e32 v6, v3
	v_nop
	s_delay_alu instid0(TRANS32_DEP_1) | instskip(NEXT) | instid1(VALU_DEP_1)
	v_mul_f32_e32 v5, v7, v6
	v_trunc_f32_e32 v5, v5
	s_delay_alu instid0(VALU_DEP_1) | instskip(NEXT) | instid1(VALU_DEP_1)
	v_dual_ashrrev_i32 v2, 30, v2 :: v_dual_fma_f32 v6, -v5, v3, v7
	v_or_b32_e32 v2, 1, v2
	v_cvt_i32_f32_e32 v5, v5
	s_delay_alu instid0(VALU_DEP_3) | instskip(NEXT) | instid1(VALU_DEP_3)
	v_cmp_ge_f32_e64 vcc_lo, |v6|, |v3|
	v_cndmask_b32_e32 v2, 0, v2, vcc_lo
	s_delay_alu instid0(VALU_DEP_1) | instskip(NEXT) | instid1(VALU_DEP_1)
	v_add_nc_u32_e32 v2, v5, v2
	v_mul_lo_u32 v2, v2, v0
	s_delay_alu instid0(VALU_DEP_1) | instskip(NEXT) | instid1(VALU_DEP_1)
	v_sub_nc_u32_e32 v1, v1, v2
	v_bfe_i32 v2, v1, 0, 8
	v_mov_b32_e32 v1, v0
	s_delay_alu instid0(VALU_DEP_2) | instskip(SKIP_2) | instid1(SALU_CYCLE_1)
	v_cmp_eq_u16_e32 vcc_lo, 0, v2
	v_and_b32_e32 v2, 0xffff, v2
	s_or_b32 s3, vcc_lo, s3
	s_and_not1_b32 exec_lo, exec_lo, s3
	s_cbranch_execnz .LBB13_134
; %bb.135:
	s_or_b32 exec_lo, exec_lo, s3
.LBB13_136:
	s_delay_alu instid0(SALU_CYCLE_1)
	s_or_b32 exec_lo, exec_lo, s2
	global_store_b8 v4, v0, s[0:1]
.LBB13_137:
	s_wait_xcnt 0x0
	s_or_b32 exec_lo, exec_lo, s5
                                        ; implicit-def: $vgpr4
                                        ; implicit-def: $vgpr0
.LBB13_138:
	s_and_not1_saveexec_b32 s0, s29
	s_cbranch_execz .LBB13_145
; %bb.139:
	v_cndmask_b32_e64 v10, 0, 1, s28
	s_and_not1_b32 vcc_lo, exec_lo, s28
	s_cbranch_vccnz .LBB13_146
; %bb.140:
	s_cmp_lg_u32 s26, 0
	s_mov_b32 s2, 0
	s_cbranch_scc0 .LBB13_150
; %bb.141:
	s_min_u32 s3, s27, 15
	v_dual_mov_b32 v1, 0 :: v_dual_mov_b32 v2, v0
	v_dual_mov_b32 v7, 0 :: v_dual_mov_b32 v5, 0
	s_add_co_i32 s4, s3, 1
	s_mov_b64 s[0:1], 0xffffffffffffffe8
	s_and_b32 s4, s4, 30
	s_add_nc_u64 s[0:1], s[12:13], s[0:1]
.LBB13_142:                             ; =>This Inner Loop Header: Depth=1
	s_clause 0x1
	s_load_b128 s[8:11], s[0:1], 0x1c
	s_load_b64 s[6:7], s[0:1], 0x2c
	s_add_co_i32 s4, s4, -2
	s_delay_alu instid0(SALU_CYCLE_1) | instskip(SKIP_2) | instid1(VALU_DEP_1)
	s_cmp_lg_u32 s4, 0
	s_wait_kmcnt 0x0
	v_mul_hi_u32 v3, s9, v2
	v_add_nc_u32_e32 v3, v2, v3
	s_delay_alu instid0(VALU_DEP_1) | instskip(NEXT) | instid1(VALU_DEP_1)
	v_lshrrev_b32_e32 v3, s10, v3
	v_mul_hi_u32 v6, s6, v3
	v_mul_lo_u32 v8, v3, s8
	s_clause 0x1
	s_load_b128 s[16:19], s[0:1], 0xdc
	s_load_b64 s[8:9], s[0:1], 0xec
	s_wait_xcnt 0x0
	s_add_nc_u64 s[0:1], s[0:1], 24
	s_delay_alu instid0(VALU_DEP_1) | instskip(NEXT) | instid1(VALU_DEP_1)
	v_dual_add_nc_u32 v6, v3, v6 :: v_dual_sub_nc_u32 v8, v2, v8
	v_lshrrev_b32_e32 v2, s7, v6
	s_wait_kmcnt 0x0
	s_delay_alu instid0(VALU_DEP_2) | instskip(NEXT) | instid1(VALU_DEP_2)
	v_mad_u32 v1, v8, s16, v1
	v_mul_lo_u32 v6, v2, s11
	v_mad_u32 v5, v8, s18, v5
	v_mad_u32 v7, v8, s17, v7
	s_delay_alu instid0(VALU_DEP_3) | instskip(NEXT) | instid1(VALU_DEP_1)
	v_sub_nc_u32_e32 v3, v3, v6
	v_mad_u32 v1, v3, s19, v1
	s_delay_alu instid0(VALU_DEP_4) | instskip(NEXT) | instid1(VALU_DEP_4)
	v_mad_u32 v5, v3, s9, v5
	v_mad_u32 v7, v3, s8, v7
	s_cbranch_scc1 .LBB13_142
; %bb.143:
	s_bitcmp1_b32 s3, 0
	s_cselect_b32 s3, -1, 0
	s_delay_alu instid0(SALU_CYCLE_1)
	s_and_b32 vcc_lo, exec_lo, s3
	s_cbranch_vccnz .LBB13_147
; %bb.144:
	s_clause 0x1
	s_load_b96 s[4:6], s[0:1], 0x1c
	s_load_b96 s[8:10], s[0:1], 0xdc
	s_wait_kmcnt 0x0
	v_mul_hi_u32 v3, s5, v2
	s_delay_alu instid0(VALU_DEP_1) | instskip(NEXT) | instid1(VALU_DEP_1)
	v_add_nc_u32_e32 v3, v2, v3
	v_lshrrev_b32_e32 v3, s6, v3
	s_delay_alu instid0(VALU_DEP_1) | instskip(NEXT) | instid1(VALU_DEP_1)
	v_mul_lo_u32 v3, v3, s4
	v_sub_nc_u32_e32 v2, v2, v3
	s_delay_alu instid0(VALU_DEP_1)
	v_mad_u32 v1, v2, s8, v1
	v_mad_u32 v7, v2, s9, v7
	;; [unrolled: 1-line block ×3, first 2 shown]
	s_and_not1_b32 vcc_lo, exec_lo, s2
	s_cbranch_vccz .LBB13_148
	s_branch .LBB13_151
.LBB13_145:
	s_endpgm
.LBB13_146:
	s_mov_b32 s2, -1
                                        ; implicit-def: $vgpr5
                                        ; implicit-def: $vgpr7
                                        ; implicit-def: $vgpr1
.LBB13_147:
	s_delay_alu instid0(SALU_CYCLE_1)
	s_and_not1_b32 vcc_lo, exec_lo, s2
	s_cbranch_vccnz .LBB13_151
.LBB13_148:
	s_clause 0x1
	s_load_b96 s[0:2], s[12:13], 0x4
	s_load_b96 s[4:6], s[12:13], 0xc4
	s_cmp_lt_u32 s26, 2
	s_wait_kmcnt 0x0
	v_mul_hi_u32 v1, s1, v0
	s_delay_alu instid0(VALU_DEP_1) | instskip(NEXT) | instid1(VALU_DEP_1)
	v_add_nc_u32_e32 v1, v0, v1
	v_lshrrev_b32_e32 v2, s2, v1
	s_delay_alu instid0(VALU_DEP_1) | instskip(NEXT) | instid1(VALU_DEP_1)
	v_mul_lo_u32 v1, v2, s0
	v_sub_nc_u32_e32 v3, v0, v1
	s_delay_alu instid0(VALU_DEP_1)
	v_mul_lo_u32 v1, v3, s4
	v_mul_lo_u32 v5, v3, s6
	;; [unrolled: 1-line block ×3, first 2 shown]
	s_cbranch_scc1 .LBB13_151
; %bb.149:
	s_clause 0x1
	s_load_b96 s[0:2], s[12:13], 0x10
	s_load_b96 s[4:6], s[12:13], 0xd0
	s_wait_kmcnt 0x0
	v_mul_hi_u32 v3, s1, v2
	s_delay_alu instid0(VALU_DEP_1) | instskip(NEXT) | instid1(VALU_DEP_1)
	v_add_nc_u32_e32 v3, v2, v3
	v_lshrrev_b32_e32 v3, s2, v3
	s_delay_alu instid0(VALU_DEP_1) | instskip(NEXT) | instid1(VALU_DEP_1)
	v_mul_lo_u32 v3, v3, s0
	v_sub_nc_u32_e32 v2, v2, v3
	s_delay_alu instid0(VALU_DEP_1)
	v_mad_u32 v1, v2, s4, v1
	v_mad_u32 v7, v2, s5, v7
	;; [unrolled: 1-line block ×3, first 2 shown]
	s_branch .LBB13_151
.LBB13_150:
	v_dual_mov_b32 v5, 0 :: v_dual_mov_b32 v7, 0
	v_mov_b32_e32 v1, 0
	s_and_not1_b32 vcc_lo, exec_lo, s2
	s_cbranch_vccz .LBB13_148
.LBB13_151:
	v_cmp_ne_u32_e32 vcc_lo, 1, v10
	v_add_nc_u32_e32 v3, 0x80, v0
	s_cbranch_vccnz .LBB13_157
; %bb.152:
	s_cmp_lg_u32 s26, 0
	s_mov_b32 s2, 0
	s_cbranch_scc0 .LBB13_161
; %bb.153:
	s_min_u32 s3, s27, 15
	v_dual_mov_b32 v2, 0 :: v_dual_mov_b32 v6, v3
	v_dual_mov_b32 v9, 0 :: v_dual_mov_b32 v8, 0
	s_add_co_i32 s4, s3, 1
	s_mov_b64 s[0:1], 0xffffffffffffffe8
	s_and_b32 s4, s4, 30
	s_add_nc_u64 s[0:1], s[12:13], s[0:1]
.LBB13_154:                             ; =>This Inner Loop Header: Depth=1
	s_clause 0x1
	s_load_b128 s[8:11], s[0:1], 0x1c
	s_load_b64 s[6:7], s[0:1], 0x2c
	s_add_co_i32 s4, s4, -2
	s_delay_alu instid0(SALU_CYCLE_1) | instskip(SKIP_2) | instid1(VALU_DEP_1)
	s_cmp_lg_u32 s4, 0
	s_wait_kmcnt 0x0
	v_mul_hi_u32 v11, s9, v6
	v_add_nc_u32_e32 v11, v6, v11
	s_delay_alu instid0(VALU_DEP_1) | instskip(NEXT) | instid1(VALU_DEP_1)
	v_lshrrev_b32_e32 v11, s10, v11
	v_mul_hi_u32 v12, s6, v11
	v_mul_lo_u32 v13, v11, s8
	s_clause 0x1
	s_load_b128 s[16:19], s[0:1], 0xdc
	s_load_b64 s[8:9], s[0:1], 0xec
	s_wait_xcnt 0x0
	s_add_nc_u64 s[0:1], s[0:1], 24
	s_delay_alu instid0(VALU_DEP_1) | instskip(NEXT) | instid1(VALU_DEP_1)
	v_dual_add_nc_u32 v12, v11, v12 :: v_dual_sub_nc_u32 v13, v6, v13
	v_lshrrev_b32_e32 v6, s7, v12
	s_wait_kmcnt 0x0
	s_delay_alu instid0(VALU_DEP_2) | instskip(NEXT) | instid1(VALU_DEP_2)
	v_mad_u32 v2, v13, s16, v2
	v_mul_lo_u32 v12, v6, s11
	v_mad_u32 v8, v13, s18, v8
	v_mad_u32 v9, v13, s17, v9
	s_delay_alu instid0(VALU_DEP_3) | instskip(NEXT) | instid1(VALU_DEP_1)
	v_sub_nc_u32_e32 v11, v11, v12
	v_mad_u32 v2, v11, s19, v2
	s_delay_alu instid0(VALU_DEP_4) | instskip(NEXT) | instid1(VALU_DEP_4)
	v_mad_u32 v8, v11, s9, v8
	v_mad_u32 v9, v11, s8, v9
	s_cbranch_scc1 .LBB13_154
; %bb.155:
	s_bitcmp1_b32 s3, 0
	s_cselect_b32 s3, -1, 0
	s_delay_alu instid0(SALU_CYCLE_1)
	s_and_b32 vcc_lo, exec_lo, s3
	s_cbranch_vccnz .LBB13_158
; %bb.156:
	s_clause 0x1
	s_load_b96 s[4:6], s[0:1], 0x1c
	s_load_b96 s[8:10], s[0:1], 0xdc
	s_wait_kmcnt 0x0
	v_mul_hi_u32 v11, s5, v6
	s_delay_alu instid0(VALU_DEP_1) | instskip(NEXT) | instid1(VALU_DEP_1)
	v_add_nc_u32_e32 v11, v6, v11
	v_lshrrev_b32_e32 v11, s6, v11
	s_delay_alu instid0(VALU_DEP_1) | instskip(NEXT) | instid1(VALU_DEP_1)
	v_mul_lo_u32 v11, v11, s4
	v_sub_nc_u32_e32 v6, v6, v11
	s_delay_alu instid0(VALU_DEP_1)
	v_mad_u32 v2, v6, s8, v2
	v_mad_u32 v9, v6, s9, v9
	;; [unrolled: 1-line block ×3, first 2 shown]
	s_and_not1_b32 vcc_lo, exec_lo, s2
	s_cbranch_vccz .LBB13_159
	s_branch .LBB13_162
.LBB13_157:
	s_mov_b32 s2, -1
                                        ; implicit-def: $vgpr8
                                        ; implicit-def: $vgpr9
                                        ; implicit-def: $vgpr2
.LBB13_158:
	s_delay_alu instid0(SALU_CYCLE_1)
	s_and_not1_b32 vcc_lo, exec_lo, s2
	s_cbranch_vccnz .LBB13_162
.LBB13_159:
	s_clause 0x1
	s_load_b96 s[0:2], s[12:13], 0x4
	s_load_b96 s[4:6], s[12:13], 0xc4
	s_cmp_lt_u32 s26, 2
	s_wait_kmcnt 0x0
	v_mul_hi_u32 v2, s1, v3
	s_delay_alu instid0(VALU_DEP_1) | instskip(NEXT) | instid1(VALU_DEP_1)
	v_add_nc_u32_e32 v2, v3, v2
	v_lshrrev_b32_e32 v6, s2, v2
	s_delay_alu instid0(VALU_DEP_1) | instskip(NEXT) | instid1(VALU_DEP_1)
	v_mul_lo_u32 v2, v6, s0
	v_sub_nc_u32_e32 v3, v3, v2
	s_delay_alu instid0(VALU_DEP_1)
	v_mul_lo_u32 v2, v3, s4
	v_mul_lo_u32 v8, v3, s6
	;; [unrolled: 1-line block ×3, first 2 shown]
	s_cbranch_scc1 .LBB13_162
; %bb.160:
	s_clause 0x1
	s_load_b96 s[0:2], s[12:13], 0x10
	s_load_b96 s[4:6], s[12:13], 0xd0
	s_wait_kmcnt 0x0
	v_mul_hi_u32 v3, s1, v6
	s_delay_alu instid0(VALU_DEP_1) | instskip(NEXT) | instid1(VALU_DEP_1)
	v_add_nc_u32_e32 v3, v6, v3
	v_lshrrev_b32_e32 v3, s2, v3
	s_delay_alu instid0(VALU_DEP_1) | instskip(NEXT) | instid1(VALU_DEP_1)
	v_mul_lo_u32 v3, v3, s0
	v_sub_nc_u32_e32 v3, v6, v3
	s_delay_alu instid0(VALU_DEP_1)
	v_mad_u32 v2, v3, s4, v2
	v_mad_u32 v9, v3, s5, v9
	;; [unrolled: 1-line block ×3, first 2 shown]
	s_branch .LBB13_162
.LBB13_161:
	v_dual_mov_b32 v8, 0 :: v_dual_mov_b32 v9, 0
	v_mov_b32_e32 v2, 0
	s_and_not1_b32 vcc_lo, exec_lo, s2
	s_cbranch_vccz .LBB13_159
.LBB13_162:
	v_cmp_ne_u32_e32 vcc_lo, 1, v10
	v_add_nc_u32_e32 v6, 0x100, v0
	s_cbranch_vccnz .LBB13_168
; %bb.163:
	s_cmp_lg_u32 s26, 0
	s_mov_b32 s2, 0
	s_cbranch_scc0 .LBB13_172
; %bb.164:
	s_min_u32 s3, s27, 15
	v_dual_mov_b32 v3, 0 :: v_dual_mov_b32 v11, v6
	v_dual_mov_b32 v13, 0 :: v_dual_mov_b32 v12, 0
	s_add_co_i32 s4, s3, 1
	s_mov_b64 s[0:1], 0xffffffffffffffe8
	s_and_b32 s4, s4, 30
	s_add_nc_u64 s[0:1], s[12:13], s[0:1]
.LBB13_165:                             ; =>This Inner Loop Header: Depth=1
	s_clause 0x1
	s_load_b128 s[8:11], s[0:1], 0x1c
	s_load_b64 s[6:7], s[0:1], 0x2c
	s_add_co_i32 s4, s4, -2
	s_delay_alu instid0(SALU_CYCLE_1) | instskip(SKIP_2) | instid1(VALU_DEP_1)
	s_cmp_lg_u32 s4, 0
	s_wait_kmcnt 0x0
	v_mul_hi_u32 v14, s9, v11
	v_add_nc_u32_e32 v14, v11, v14
	s_delay_alu instid0(VALU_DEP_1) | instskip(NEXT) | instid1(VALU_DEP_1)
	v_lshrrev_b32_e32 v14, s10, v14
	v_mul_hi_u32 v15, s6, v14
	v_mul_lo_u32 v16, v14, s8
	s_clause 0x1
	s_load_b128 s[16:19], s[0:1], 0xdc
	s_load_b64 s[8:9], s[0:1], 0xec
	s_wait_xcnt 0x0
	s_add_nc_u64 s[0:1], s[0:1], 24
	s_delay_alu instid0(VALU_DEP_1) | instskip(NEXT) | instid1(VALU_DEP_1)
	v_dual_add_nc_u32 v15, v14, v15 :: v_dual_sub_nc_u32 v16, v11, v16
	v_lshrrev_b32_e32 v11, s7, v15
	s_wait_kmcnt 0x0
	s_delay_alu instid0(VALU_DEP_2) | instskip(NEXT) | instid1(VALU_DEP_2)
	v_mad_u32 v3, v16, s16, v3
	v_mul_lo_u32 v15, v11, s11
	v_mad_u32 v12, v16, s18, v12
	v_mad_u32 v13, v16, s17, v13
	s_delay_alu instid0(VALU_DEP_3) | instskip(NEXT) | instid1(VALU_DEP_1)
	v_sub_nc_u32_e32 v14, v14, v15
	v_mad_u32 v3, v14, s19, v3
	s_delay_alu instid0(VALU_DEP_4) | instskip(NEXT) | instid1(VALU_DEP_4)
	v_mad_u32 v12, v14, s9, v12
	v_mad_u32 v13, v14, s8, v13
	s_cbranch_scc1 .LBB13_165
; %bb.166:
	s_bitcmp1_b32 s3, 0
	s_cselect_b32 s3, -1, 0
	s_delay_alu instid0(SALU_CYCLE_1)
	s_and_b32 vcc_lo, exec_lo, s3
	s_cbranch_vccnz .LBB13_169
; %bb.167:
	s_clause 0x1
	s_load_b96 s[4:6], s[0:1], 0x1c
	s_load_b96 s[8:10], s[0:1], 0xdc
	s_wait_kmcnt 0x0
	v_mul_hi_u32 v14, s5, v11
	s_delay_alu instid0(VALU_DEP_1) | instskip(NEXT) | instid1(VALU_DEP_1)
	v_add_nc_u32_e32 v14, v11, v14
	v_lshrrev_b32_e32 v14, s6, v14
	s_delay_alu instid0(VALU_DEP_1) | instskip(NEXT) | instid1(VALU_DEP_1)
	v_mul_lo_u32 v14, v14, s4
	v_sub_nc_u32_e32 v11, v11, v14
	s_delay_alu instid0(VALU_DEP_1)
	v_mad_u32 v3, v11, s8, v3
	v_mad_u32 v13, v11, s9, v13
	;; [unrolled: 1-line block ×3, first 2 shown]
	s_and_not1_b32 vcc_lo, exec_lo, s2
	s_cbranch_vccz .LBB13_170
	s_branch .LBB13_173
.LBB13_168:
	s_mov_b32 s2, -1
                                        ; implicit-def: $vgpr12
                                        ; implicit-def: $vgpr13
                                        ; implicit-def: $vgpr3
.LBB13_169:
	s_delay_alu instid0(SALU_CYCLE_1)
	s_and_not1_b32 vcc_lo, exec_lo, s2
	s_cbranch_vccnz .LBB13_173
.LBB13_170:
	s_clause 0x1
	s_load_b96 s[0:2], s[12:13], 0x4
	s_load_b96 s[4:6], s[12:13], 0xc4
	s_cmp_lt_u32 s26, 2
	s_wait_kmcnt 0x0
	v_mul_hi_u32 v3, s1, v6
	s_delay_alu instid0(VALU_DEP_1) | instskip(NEXT) | instid1(VALU_DEP_1)
	v_add_nc_u32_e32 v3, v6, v3
	v_lshrrev_b32_e32 v11, s2, v3
	s_delay_alu instid0(VALU_DEP_1) | instskip(NEXT) | instid1(VALU_DEP_1)
	v_mul_lo_u32 v3, v11, s0
	v_sub_nc_u32_e32 v6, v6, v3
	s_delay_alu instid0(VALU_DEP_1)
	v_mul_lo_u32 v3, v6, s4
	v_mul_lo_u32 v12, v6, s6
	;; [unrolled: 1-line block ×3, first 2 shown]
	s_cbranch_scc1 .LBB13_173
; %bb.171:
	s_clause 0x1
	s_load_b96 s[0:2], s[12:13], 0x10
	s_load_b96 s[4:6], s[12:13], 0xd0
	s_wait_kmcnt 0x0
	v_mul_hi_u32 v6, s1, v11
	s_delay_alu instid0(VALU_DEP_1) | instskip(NEXT) | instid1(VALU_DEP_1)
	v_add_nc_u32_e32 v6, v11, v6
	v_lshrrev_b32_e32 v6, s2, v6
	s_delay_alu instid0(VALU_DEP_1) | instskip(NEXT) | instid1(VALU_DEP_1)
	v_mul_lo_u32 v6, v6, s0
	v_sub_nc_u32_e32 v6, v11, v6
	s_delay_alu instid0(VALU_DEP_1)
	v_mad_u32 v3, v6, s4, v3
	v_mad_u32 v13, v6, s5, v13
	;; [unrolled: 1-line block ×3, first 2 shown]
	s_branch .LBB13_173
.LBB13_172:
	v_dual_mov_b32 v12, 0 :: v_dual_mov_b32 v13, 0
	v_mov_b32_e32 v3, 0
	s_and_not1_b32 vcc_lo, exec_lo, s2
	s_cbranch_vccz .LBB13_170
.LBB13_173:
	v_cmp_ne_u32_e32 vcc_lo, 1, v10
	v_add_nc_u32_e32 v11, 0x180, v0
	s_cbranch_vccnz .LBB13_179
; %bb.174:
	s_cmp_lg_u32 s26, 0
	s_mov_b32 s2, 0
	s_cbranch_scc0 .LBB13_183
; %bb.175:
	s_min_u32 s3, s27, 15
	v_dual_mov_b32 v6, 0 :: v_dual_mov_b32 v16, v11
	v_dual_mov_b32 v15, 0 :: v_dual_mov_b32 v14, 0
	s_add_co_i32 s4, s3, 1
	s_mov_b64 s[0:1], 0xffffffffffffffe8
	s_and_b32 s4, s4, 30
	s_add_nc_u64 s[0:1], s[12:13], s[0:1]
.LBB13_176:                             ; =>This Inner Loop Header: Depth=1
	s_clause 0x1
	s_load_b128 s[8:11], s[0:1], 0x1c
	s_load_b64 s[6:7], s[0:1], 0x2c
	s_add_co_i32 s4, s4, -2
	s_delay_alu instid0(SALU_CYCLE_1) | instskip(SKIP_2) | instid1(VALU_DEP_1)
	s_cmp_lg_u32 s4, 0
	s_wait_kmcnt 0x0
	v_mul_hi_u32 v17, s9, v16
	v_add_nc_u32_e32 v17, v16, v17
	s_delay_alu instid0(VALU_DEP_1) | instskip(NEXT) | instid1(VALU_DEP_1)
	v_lshrrev_b32_e32 v17, s10, v17
	v_mul_hi_u32 v18, s6, v17
	v_mul_lo_u32 v19, v17, s8
	s_clause 0x1
	s_load_b128 s[16:19], s[0:1], 0xdc
	s_load_b64 s[8:9], s[0:1], 0xec
	s_wait_xcnt 0x0
	s_add_nc_u64 s[0:1], s[0:1], 24
	s_delay_alu instid0(VALU_DEP_1) | instskip(NEXT) | instid1(VALU_DEP_1)
	v_dual_add_nc_u32 v18, v17, v18 :: v_dual_sub_nc_u32 v19, v16, v19
	v_lshrrev_b32_e32 v16, s7, v18
	s_wait_kmcnt 0x0
	s_delay_alu instid0(VALU_DEP_2) | instskip(NEXT) | instid1(VALU_DEP_2)
	v_mad_u32 v6, v19, s16, v6
	v_mul_lo_u32 v18, v16, s11
	v_mad_u32 v14, v19, s18, v14
	v_mad_u32 v15, v19, s17, v15
	s_delay_alu instid0(VALU_DEP_3) | instskip(NEXT) | instid1(VALU_DEP_1)
	v_sub_nc_u32_e32 v17, v17, v18
	v_mad_u32 v6, v17, s19, v6
	s_delay_alu instid0(VALU_DEP_4) | instskip(NEXT) | instid1(VALU_DEP_4)
	v_mad_u32 v14, v17, s9, v14
	v_mad_u32 v15, v17, s8, v15
	s_cbranch_scc1 .LBB13_176
; %bb.177:
	s_bitcmp1_b32 s3, 0
	s_cselect_b32 s3, -1, 0
	s_delay_alu instid0(SALU_CYCLE_1)
	s_and_b32 vcc_lo, exec_lo, s3
	s_cbranch_vccnz .LBB13_180
; %bb.178:
	s_clause 0x1
	s_load_b96 s[4:6], s[0:1], 0x1c
	s_load_b96 s[8:10], s[0:1], 0xdc
	s_wait_kmcnt 0x0
	v_mul_hi_u32 v17, s5, v16
	s_delay_alu instid0(VALU_DEP_1) | instskip(NEXT) | instid1(VALU_DEP_1)
	v_add_nc_u32_e32 v17, v16, v17
	v_lshrrev_b32_e32 v17, s6, v17
	s_delay_alu instid0(VALU_DEP_1) | instskip(NEXT) | instid1(VALU_DEP_1)
	v_mul_lo_u32 v17, v17, s4
	v_sub_nc_u32_e32 v16, v16, v17
	s_delay_alu instid0(VALU_DEP_1)
	v_mad_u32 v6, v16, s8, v6
	v_mad_u32 v15, v16, s9, v15
	v_mad_u32 v14, v16, s10, v14
	s_and_not1_b32 vcc_lo, exec_lo, s2
	s_cbranch_vccz .LBB13_181
	s_branch .LBB13_184
.LBB13_179:
	s_mov_b32 s2, -1
                                        ; implicit-def: $vgpr14
                                        ; implicit-def: $vgpr15
                                        ; implicit-def: $vgpr6
.LBB13_180:
	s_delay_alu instid0(SALU_CYCLE_1)
	s_and_not1_b32 vcc_lo, exec_lo, s2
	s_cbranch_vccnz .LBB13_184
.LBB13_181:
	s_clause 0x1
	s_load_b96 s[0:2], s[12:13], 0x4
	s_load_b96 s[4:6], s[12:13], 0xc4
	s_cmp_lt_u32 s26, 2
	s_wait_kmcnt 0x0
	v_mul_hi_u32 v6, s1, v11
	s_delay_alu instid0(VALU_DEP_1) | instskip(NEXT) | instid1(VALU_DEP_1)
	v_add_nc_u32_e32 v6, v11, v6
	v_lshrrev_b32_e32 v16, s2, v6
	s_delay_alu instid0(VALU_DEP_1) | instskip(NEXT) | instid1(VALU_DEP_1)
	v_mul_lo_u32 v6, v16, s0
	v_sub_nc_u32_e32 v11, v11, v6
	s_delay_alu instid0(VALU_DEP_1)
	v_mul_lo_u32 v6, v11, s4
	v_mul_lo_u32 v14, v11, s6
	;; [unrolled: 1-line block ×3, first 2 shown]
	s_cbranch_scc1 .LBB13_184
; %bb.182:
	s_clause 0x1
	s_load_b96 s[0:2], s[12:13], 0x10
	s_load_b96 s[4:6], s[12:13], 0xd0
	s_wait_kmcnt 0x0
	v_mul_hi_u32 v11, s1, v16
	s_delay_alu instid0(VALU_DEP_1) | instskip(NEXT) | instid1(VALU_DEP_1)
	v_add_nc_u32_e32 v11, v16, v11
	v_lshrrev_b32_e32 v11, s2, v11
	s_delay_alu instid0(VALU_DEP_1) | instskip(NEXT) | instid1(VALU_DEP_1)
	v_mul_lo_u32 v11, v11, s0
	v_sub_nc_u32_e32 v11, v16, v11
	s_delay_alu instid0(VALU_DEP_1)
	v_mad_u32 v6, v11, s4, v6
	v_mad_u32 v15, v11, s5, v15
	;; [unrolled: 1-line block ×3, first 2 shown]
	s_branch .LBB13_184
.LBB13_183:
	v_dual_mov_b32 v14, 0 :: v_dual_mov_b32 v15, 0
	v_mov_b32_e32 v6, 0
	s_and_not1_b32 vcc_lo, exec_lo, s2
	s_cbranch_vccz .LBB13_181
.LBB13_184:
	v_cmp_ne_u32_e32 vcc_lo, 1, v10
	v_add_nc_u32_e32 v16, 0x200, v0
	s_cbranch_vccnz .LBB13_190
; %bb.185:
	s_cmp_lg_u32 s26, 0
	s_mov_b32 s2, 0
	s_cbranch_scc0 .LBB13_194
; %bb.186:
	s_min_u32 s3, s27, 15
	v_dual_mov_b32 v11, 0 :: v_dual_mov_b32 v19, v16
	v_dual_mov_b32 v18, 0 :: v_dual_mov_b32 v17, 0
	s_add_co_i32 s4, s3, 1
	s_mov_b64 s[0:1], 0xffffffffffffffe8
	s_and_b32 s4, s4, 30
	s_add_nc_u64 s[0:1], s[12:13], s[0:1]
.LBB13_187:                             ; =>This Inner Loop Header: Depth=1
	s_clause 0x1
	s_load_b128 s[8:11], s[0:1], 0x1c
	s_load_b64 s[6:7], s[0:1], 0x2c
	s_add_co_i32 s4, s4, -2
	s_delay_alu instid0(SALU_CYCLE_1) | instskip(SKIP_2) | instid1(VALU_DEP_1)
	s_cmp_lg_u32 s4, 0
	s_wait_kmcnt 0x0
	v_mul_hi_u32 v20, s9, v19
	v_add_nc_u32_e32 v20, v19, v20
	s_delay_alu instid0(VALU_DEP_1) | instskip(NEXT) | instid1(VALU_DEP_1)
	v_lshrrev_b32_e32 v20, s10, v20
	v_mul_hi_u32 v21, s6, v20
	v_mul_lo_u32 v22, v20, s8
	s_clause 0x1
	s_load_b128 s[16:19], s[0:1], 0xdc
	s_load_b64 s[8:9], s[0:1], 0xec
	s_wait_xcnt 0x0
	s_add_nc_u64 s[0:1], s[0:1], 24
	s_delay_alu instid0(VALU_DEP_1) | instskip(NEXT) | instid1(VALU_DEP_1)
	v_dual_add_nc_u32 v21, v20, v21 :: v_dual_sub_nc_u32 v22, v19, v22
	v_lshrrev_b32_e32 v19, s7, v21
	s_wait_kmcnt 0x0
	s_delay_alu instid0(VALU_DEP_2) | instskip(NEXT) | instid1(VALU_DEP_2)
	v_mad_u32 v11, v22, s16, v11
	v_mul_lo_u32 v21, v19, s11
	v_mad_u32 v17, v22, s18, v17
	v_mad_u32 v18, v22, s17, v18
	s_delay_alu instid0(VALU_DEP_3) | instskip(NEXT) | instid1(VALU_DEP_1)
	v_sub_nc_u32_e32 v20, v20, v21
	v_mad_u32 v11, v20, s19, v11
	s_delay_alu instid0(VALU_DEP_4) | instskip(NEXT) | instid1(VALU_DEP_4)
	v_mad_u32 v17, v20, s9, v17
	v_mad_u32 v18, v20, s8, v18
	s_cbranch_scc1 .LBB13_187
; %bb.188:
	s_bitcmp1_b32 s3, 0
	s_cselect_b32 s3, -1, 0
	s_delay_alu instid0(SALU_CYCLE_1)
	s_and_b32 vcc_lo, exec_lo, s3
	s_cbranch_vccnz .LBB13_191
; %bb.189:
	s_clause 0x1
	s_load_b96 s[4:6], s[0:1], 0x1c
	s_load_b96 s[8:10], s[0:1], 0xdc
	s_wait_kmcnt 0x0
	v_mul_hi_u32 v20, s5, v19
	s_delay_alu instid0(VALU_DEP_1) | instskip(NEXT) | instid1(VALU_DEP_1)
	v_add_nc_u32_e32 v20, v19, v20
	v_lshrrev_b32_e32 v20, s6, v20
	s_delay_alu instid0(VALU_DEP_1) | instskip(NEXT) | instid1(VALU_DEP_1)
	v_mul_lo_u32 v20, v20, s4
	v_sub_nc_u32_e32 v19, v19, v20
	s_delay_alu instid0(VALU_DEP_1)
	v_mad_u32 v11, v19, s8, v11
	v_mad_u32 v18, v19, s9, v18
	;; [unrolled: 1-line block ×3, first 2 shown]
	s_and_not1_b32 vcc_lo, exec_lo, s2
	s_cbranch_vccz .LBB13_192
	s_branch .LBB13_195
.LBB13_190:
	s_mov_b32 s2, -1
                                        ; implicit-def: $vgpr17
                                        ; implicit-def: $vgpr18
                                        ; implicit-def: $vgpr11
.LBB13_191:
	s_delay_alu instid0(SALU_CYCLE_1)
	s_and_not1_b32 vcc_lo, exec_lo, s2
	s_cbranch_vccnz .LBB13_195
.LBB13_192:
	s_clause 0x1
	s_load_b96 s[0:2], s[12:13], 0x4
	s_load_b96 s[4:6], s[12:13], 0xc4
	s_cmp_lt_u32 s26, 2
	s_wait_kmcnt 0x0
	v_mul_hi_u32 v11, s1, v16
	s_delay_alu instid0(VALU_DEP_1) | instskip(NEXT) | instid1(VALU_DEP_1)
	v_add_nc_u32_e32 v11, v16, v11
	v_lshrrev_b32_e32 v19, s2, v11
	s_delay_alu instid0(VALU_DEP_1) | instskip(NEXT) | instid1(VALU_DEP_1)
	v_mul_lo_u32 v11, v19, s0
	v_sub_nc_u32_e32 v16, v16, v11
	s_delay_alu instid0(VALU_DEP_1)
	v_mul_lo_u32 v11, v16, s4
	v_mul_lo_u32 v17, v16, s6
	;; [unrolled: 1-line block ×3, first 2 shown]
	s_cbranch_scc1 .LBB13_195
; %bb.193:
	s_clause 0x1
	s_load_b96 s[0:2], s[12:13], 0x10
	s_load_b96 s[4:6], s[12:13], 0xd0
	s_wait_kmcnt 0x0
	v_mul_hi_u32 v16, s1, v19
	s_delay_alu instid0(VALU_DEP_1) | instskip(NEXT) | instid1(VALU_DEP_1)
	v_add_nc_u32_e32 v16, v19, v16
	v_lshrrev_b32_e32 v16, s2, v16
	s_delay_alu instid0(VALU_DEP_1) | instskip(NEXT) | instid1(VALU_DEP_1)
	v_mul_lo_u32 v16, v16, s0
	v_sub_nc_u32_e32 v16, v19, v16
	s_delay_alu instid0(VALU_DEP_1)
	v_mad_u32 v11, v16, s4, v11
	v_mad_u32 v18, v16, s5, v18
	;; [unrolled: 1-line block ×3, first 2 shown]
	s_branch .LBB13_195
.LBB13_194:
	v_dual_mov_b32 v17, 0 :: v_dual_mov_b32 v18, 0
	v_mov_b32_e32 v11, 0
	s_and_not1_b32 vcc_lo, exec_lo, s2
	s_cbranch_vccz .LBB13_192
.LBB13_195:
	v_cmp_ne_u32_e32 vcc_lo, 1, v10
	v_add_nc_u32_e32 v21, 0x280, v0
	s_cbranch_vccnz .LBB13_201
; %bb.196:
	s_cmp_lg_u32 s26, 0
	s_mov_b32 s2, 0
	s_cbranch_scc0 .LBB13_205
; %bb.197:
	s_min_u32 s3, s27, 15
	v_dual_mov_b32 v16, 0 :: v_dual_mov_b32 v22, v21
	v_dual_mov_b32 v20, 0 :: v_dual_mov_b32 v19, 0
	s_add_co_i32 s4, s3, 1
	s_mov_b64 s[0:1], 0xffffffffffffffe8
	s_and_b32 s4, s4, 30
	s_add_nc_u64 s[0:1], s[12:13], s[0:1]
.LBB13_198:                             ; =>This Inner Loop Header: Depth=1
	s_clause 0x1
	s_load_b128 s[8:11], s[0:1], 0x1c
	s_load_b64 s[6:7], s[0:1], 0x2c
	s_add_co_i32 s4, s4, -2
	s_delay_alu instid0(SALU_CYCLE_1) | instskip(SKIP_2) | instid1(VALU_DEP_1)
	s_cmp_lg_u32 s4, 0
	s_wait_kmcnt 0x0
	v_mul_hi_u32 v23, s9, v22
	v_add_nc_u32_e32 v23, v22, v23
	s_delay_alu instid0(VALU_DEP_1) | instskip(NEXT) | instid1(VALU_DEP_1)
	v_lshrrev_b32_e32 v23, s10, v23
	v_mul_hi_u32 v24, s6, v23
	v_mul_lo_u32 v25, v23, s8
	s_clause 0x1
	s_load_b128 s[16:19], s[0:1], 0xdc
	s_load_b64 s[8:9], s[0:1], 0xec
	s_wait_xcnt 0x0
	s_add_nc_u64 s[0:1], s[0:1], 24
	s_delay_alu instid0(VALU_DEP_1) | instskip(NEXT) | instid1(VALU_DEP_1)
	v_dual_add_nc_u32 v24, v23, v24 :: v_dual_sub_nc_u32 v25, v22, v25
	v_lshrrev_b32_e32 v22, s7, v24
	s_wait_kmcnt 0x0
	s_delay_alu instid0(VALU_DEP_2) | instskip(NEXT) | instid1(VALU_DEP_2)
	v_mad_u32 v16, v25, s16, v16
	v_mul_lo_u32 v24, v22, s11
	v_mad_u32 v19, v25, s18, v19
	v_mad_u32 v20, v25, s17, v20
	s_delay_alu instid0(VALU_DEP_3) | instskip(NEXT) | instid1(VALU_DEP_1)
	v_sub_nc_u32_e32 v23, v23, v24
	v_mad_u32 v16, v23, s19, v16
	s_delay_alu instid0(VALU_DEP_4) | instskip(NEXT) | instid1(VALU_DEP_4)
	v_mad_u32 v19, v23, s9, v19
	v_mad_u32 v20, v23, s8, v20
	s_cbranch_scc1 .LBB13_198
; %bb.199:
	s_bitcmp1_b32 s3, 0
	s_cselect_b32 s3, -1, 0
	s_delay_alu instid0(SALU_CYCLE_1)
	s_and_b32 vcc_lo, exec_lo, s3
	s_cbranch_vccnz .LBB13_202
; %bb.200:
	s_clause 0x1
	s_load_b96 s[4:6], s[0:1], 0x1c
	s_load_b96 s[8:10], s[0:1], 0xdc
	s_wait_kmcnt 0x0
	v_mul_hi_u32 v23, s5, v22
	s_delay_alu instid0(VALU_DEP_1) | instskip(NEXT) | instid1(VALU_DEP_1)
	v_add_nc_u32_e32 v23, v22, v23
	v_lshrrev_b32_e32 v23, s6, v23
	s_delay_alu instid0(VALU_DEP_1) | instskip(NEXT) | instid1(VALU_DEP_1)
	v_mul_lo_u32 v23, v23, s4
	v_sub_nc_u32_e32 v22, v22, v23
	s_delay_alu instid0(VALU_DEP_1)
	v_mad_u32 v16, v22, s8, v16
	v_mad_u32 v20, v22, s9, v20
	;; [unrolled: 1-line block ×3, first 2 shown]
	s_and_not1_b32 vcc_lo, exec_lo, s2
	s_cbranch_vccz .LBB13_203
	s_branch .LBB13_206
.LBB13_201:
	s_mov_b32 s2, -1
                                        ; implicit-def: $vgpr19
                                        ; implicit-def: $vgpr20
                                        ; implicit-def: $vgpr16
.LBB13_202:
	s_delay_alu instid0(SALU_CYCLE_1)
	s_and_not1_b32 vcc_lo, exec_lo, s2
	s_cbranch_vccnz .LBB13_206
.LBB13_203:
	s_clause 0x1
	s_load_b96 s[0:2], s[12:13], 0x4
	s_load_b96 s[4:6], s[12:13], 0xc4
	s_cmp_lt_u32 s26, 2
	s_wait_kmcnt 0x0
	v_mul_hi_u32 v16, s1, v21
	s_delay_alu instid0(VALU_DEP_1) | instskip(NEXT) | instid1(VALU_DEP_1)
	v_add_nc_u32_e32 v16, v21, v16
	v_lshrrev_b32_e32 v22, s2, v16
	s_delay_alu instid0(VALU_DEP_1) | instskip(NEXT) | instid1(VALU_DEP_1)
	v_mul_lo_u32 v16, v22, s0
	v_sub_nc_u32_e32 v20, v21, v16
	s_delay_alu instid0(VALU_DEP_1)
	v_mul_lo_u32 v16, v20, s4
	v_mul_lo_u32 v19, v20, s6
	;; [unrolled: 1-line block ×3, first 2 shown]
	s_cbranch_scc1 .LBB13_206
; %bb.204:
	s_clause 0x1
	s_load_b96 s[0:2], s[12:13], 0x10
	s_load_b96 s[4:6], s[12:13], 0xd0
	s_wait_kmcnt 0x0
	v_mul_hi_u32 v21, s1, v22
	s_delay_alu instid0(VALU_DEP_1) | instskip(NEXT) | instid1(VALU_DEP_1)
	v_add_nc_u32_e32 v21, v22, v21
	v_lshrrev_b32_e32 v21, s2, v21
	s_delay_alu instid0(VALU_DEP_1) | instskip(NEXT) | instid1(VALU_DEP_1)
	v_mul_lo_u32 v21, v21, s0
	v_sub_nc_u32_e32 v21, v22, v21
	s_delay_alu instid0(VALU_DEP_1)
	v_mad_u32 v16, v21, s4, v16
	v_mad_u32 v20, v21, s5, v20
	;; [unrolled: 1-line block ×3, first 2 shown]
	s_branch .LBB13_206
.LBB13_205:
	v_dual_mov_b32 v19, 0 :: v_dual_mov_b32 v20, 0
	v_mov_b32_e32 v16, 0
	s_and_not1_b32 vcc_lo, exec_lo, s2
	s_cbranch_vccz .LBB13_203
.LBB13_206:
	v_cmp_ne_u32_e32 vcc_lo, 1, v10
	v_add_nc_u32_e32 v23, 0x300, v0
	s_cbranch_vccnz .LBB13_212
; %bb.207:
	s_cmp_lg_u32 s26, 0
	s_mov_b32 s2, 0
	s_cbranch_scc0 .LBB13_216
; %bb.208:
	s_min_u32 s3, s27, 15
	v_dual_mov_b32 v0, 0 :: v_dual_mov_b32 v24, v23
	v_dual_mov_b32 v22, 0 :: v_dual_mov_b32 v21, 0
	s_add_co_i32 s4, s3, 1
	s_mov_b64 s[0:1], 0xffffffffffffffe8
	s_and_b32 s4, s4, 30
	s_add_nc_u64 s[0:1], s[12:13], s[0:1]
.LBB13_209:                             ; =>This Inner Loop Header: Depth=1
	s_clause 0x1
	s_load_b128 s[8:11], s[0:1], 0x1c
	s_load_b64 s[6:7], s[0:1], 0x2c
	s_add_co_i32 s4, s4, -2
	s_delay_alu instid0(SALU_CYCLE_1) | instskip(SKIP_2) | instid1(VALU_DEP_1)
	s_cmp_lg_u32 s4, 0
	s_wait_kmcnt 0x0
	v_mul_hi_u32 v25, s9, v24
	v_add_nc_u32_e32 v25, v24, v25
	s_delay_alu instid0(VALU_DEP_1) | instskip(NEXT) | instid1(VALU_DEP_1)
	v_lshrrev_b32_e32 v25, s10, v25
	v_mul_hi_u32 v26, s6, v25
	v_mul_lo_u32 v27, v25, s8
	s_clause 0x1
	s_load_b128 s[16:19], s[0:1], 0xdc
	s_load_b64 s[8:9], s[0:1], 0xec
	s_wait_xcnt 0x0
	s_add_nc_u64 s[0:1], s[0:1], 24
	s_delay_alu instid0(VALU_DEP_1) | instskip(NEXT) | instid1(VALU_DEP_1)
	v_dual_add_nc_u32 v26, v25, v26 :: v_dual_sub_nc_u32 v27, v24, v27
	v_lshrrev_b32_e32 v24, s7, v26
	s_wait_kmcnt 0x0
	s_delay_alu instid0(VALU_DEP_2) | instskip(NEXT) | instid1(VALU_DEP_2)
	v_mad_u32 v0, v27, s16, v0
	v_mul_lo_u32 v26, v24, s11
	v_mad_u32 v21, v27, s18, v21
	v_mad_u32 v22, v27, s17, v22
	s_delay_alu instid0(VALU_DEP_3) | instskip(NEXT) | instid1(VALU_DEP_1)
	v_sub_nc_u32_e32 v25, v25, v26
	v_mad_u32 v0, v25, s19, v0
	s_delay_alu instid0(VALU_DEP_4) | instskip(NEXT) | instid1(VALU_DEP_4)
	v_mad_u32 v21, v25, s9, v21
	v_mad_u32 v22, v25, s8, v22
	s_cbranch_scc1 .LBB13_209
; %bb.210:
	s_bitcmp1_b32 s3, 0
	s_cselect_b32 s3, -1, 0
	s_delay_alu instid0(SALU_CYCLE_1)
	s_and_b32 vcc_lo, exec_lo, s3
	s_cbranch_vccnz .LBB13_213
; %bb.211:
	s_clause 0x1
	s_load_b96 s[4:6], s[0:1], 0x1c
	s_load_b96 s[8:10], s[0:1], 0xdc
	s_wait_kmcnt 0x0
	v_mul_hi_u32 v25, s5, v24
	s_delay_alu instid0(VALU_DEP_1) | instskip(NEXT) | instid1(VALU_DEP_1)
	v_add_nc_u32_e32 v25, v24, v25
	v_lshrrev_b32_e32 v25, s6, v25
	s_delay_alu instid0(VALU_DEP_1) | instskip(NEXT) | instid1(VALU_DEP_1)
	v_mul_lo_u32 v25, v25, s4
	v_sub_nc_u32_e32 v24, v24, v25
	s_delay_alu instid0(VALU_DEP_1)
	v_mad_u32 v0, v24, s8, v0
	v_mad_u32 v22, v24, s9, v22
	;; [unrolled: 1-line block ×3, first 2 shown]
	s_and_not1_b32 vcc_lo, exec_lo, s2
	s_cbranch_vccz .LBB13_214
	s_branch .LBB13_217
.LBB13_212:
	s_mov_b32 s2, -1
                                        ; implicit-def: $vgpr21
                                        ; implicit-def: $vgpr22
                                        ; implicit-def: $vgpr0
.LBB13_213:
	s_delay_alu instid0(SALU_CYCLE_1)
	s_and_not1_b32 vcc_lo, exec_lo, s2
	s_cbranch_vccnz .LBB13_217
.LBB13_214:
	s_clause 0x1
	s_load_b96 s[0:2], s[12:13], 0x4
	s_load_b96 s[4:6], s[12:13], 0xc4
	s_cmp_lt_u32 s26, 2
	s_wait_kmcnt 0x0
	v_mul_hi_u32 v0, s1, v23
	s_delay_alu instid0(VALU_DEP_1) | instskip(NEXT) | instid1(VALU_DEP_1)
	v_add_nc_u32_e32 v0, v23, v0
	v_lshrrev_b32_e32 v24, s2, v0
	s_delay_alu instid0(VALU_DEP_1) | instskip(NEXT) | instid1(VALU_DEP_1)
	v_mul_lo_u32 v0, v24, s0
	v_sub_nc_u32_e32 v22, v23, v0
	s_delay_alu instid0(VALU_DEP_1)
	v_mul_lo_u32 v0, v22, s4
	v_mul_lo_u32 v21, v22, s6
	;; [unrolled: 1-line block ×3, first 2 shown]
	s_cbranch_scc1 .LBB13_217
; %bb.215:
	s_clause 0x1
	s_load_b96 s[0:2], s[12:13], 0x10
	s_load_b96 s[4:6], s[12:13], 0xd0
	s_wait_kmcnt 0x0
	v_mul_hi_u32 v23, s1, v24
	s_delay_alu instid0(VALU_DEP_1) | instskip(NEXT) | instid1(VALU_DEP_1)
	v_add_nc_u32_e32 v23, v24, v23
	v_lshrrev_b32_e32 v23, s2, v23
	s_delay_alu instid0(VALU_DEP_1) | instskip(NEXT) | instid1(VALU_DEP_1)
	v_mul_lo_u32 v23, v23, s0
	v_sub_nc_u32_e32 v23, v24, v23
	s_delay_alu instid0(VALU_DEP_1)
	v_mad_u32 v0, v23, s4, v0
	v_mad_u32 v22, v23, s5, v22
	;; [unrolled: 1-line block ×3, first 2 shown]
	s_branch .LBB13_217
.LBB13_216:
	v_dual_mov_b32 v21, 0 :: v_dual_mov_b32 v22, 0
	v_mov_b32_e32 v0, 0
	s_and_not1_b32 vcc_lo, exec_lo, s2
	s_cbranch_vccz .LBB13_214
.LBB13_217:
	v_cmp_ne_u32_e32 vcc_lo, 1, v10
	s_cbranch_vccnz .LBB13_223
; %bb.218:
	s_cmp_lg_u32 s26, 0
	s_mov_b32 s2, 0
	s_cbranch_scc0 .LBB13_227
; %bb.219:
	s_min_u32 s3, s27, 15
	v_dual_mov_b32 v10, 0 :: v_dual_mov_b32 v25, v4
	v_dual_mov_b32 v24, 0 :: v_dual_mov_b32 v23, 0
	s_add_co_i32 s4, s3, 1
	s_mov_b64 s[0:1], 0xffffffffffffffe8
	s_and_b32 s4, s4, 30
	s_add_nc_u64 s[0:1], s[12:13], s[0:1]
.LBB13_220:                             ; =>This Inner Loop Header: Depth=1
	s_clause 0x1
	s_load_b128 s[8:11], s[0:1], 0x1c
	s_load_b64 s[6:7], s[0:1], 0x2c
	s_add_co_i32 s4, s4, -2
	s_delay_alu instid0(SALU_CYCLE_1) | instskip(SKIP_2) | instid1(VALU_DEP_1)
	s_cmp_lg_u32 s4, 0
	s_wait_kmcnt 0x0
	v_mul_hi_u32 v26, s9, v25
	v_add_nc_u32_e32 v26, v25, v26
	s_delay_alu instid0(VALU_DEP_1) | instskip(NEXT) | instid1(VALU_DEP_1)
	v_lshrrev_b32_e32 v26, s10, v26
	v_mul_hi_u32 v27, s6, v26
	v_mul_lo_u32 v28, v26, s8
	s_clause 0x1
	s_load_b128 s[16:19], s[0:1], 0xdc
	s_load_b64 s[8:9], s[0:1], 0xec
	s_wait_xcnt 0x0
	s_add_nc_u64 s[0:1], s[0:1], 24
	s_delay_alu instid0(VALU_DEP_1) | instskip(NEXT) | instid1(VALU_DEP_1)
	v_dual_add_nc_u32 v27, v26, v27 :: v_dual_sub_nc_u32 v28, v25, v28
	v_lshrrev_b32_e32 v25, s7, v27
	s_wait_kmcnt 0x0
	s_delay_alu instid0(VALU_DEP_2) | instskip(NEXT) | instid1(VALU_DEP_2)
	v_mad_u32 v10, v28, s16, v10
	v_mul_lo_u32 v27, v25, s11
	v_mad_u32 v23, v28, s18, v23
	v_mad_u32 v24, v28, s17, v24
	s_delay_alu instid0(VALU_DEP_3) | instskip(NEXT) | instid1(VALU_DEP_1)
	v_sub_nc_u32_e32 v26, v26, v27
	v_mad_u32 v10, v26, s19, v10
	s_delay_alu instid0(VALU_DEP_4) | instskip(NEXT) | instid1(VALU_DEP_4)
	v_mad_u32 v23, v26, s9, v23
	v_mad_u32 v24, v26, s8, v24
	s_cbranch_scc1 .LBB13_220
; %bb.221:
	s_bitcmp1_b32 s3, 0
	s_cselect_b32 s3, -1, 0
	s_delay_alu instid0(SALU_CYCLE_1)
	s_and_b32 vcc_lo, exec_lo, s3
	s_cbranch_vccnz .LBB13_224
; %bb.222:
	s_clause 0x1
	s_load_b96 s[4:6], s[0:1], 0x1c
	s_load_b96 s[8:10], s[0:1], 0xdc
	s_wait_kmcnt 0x0
	v_mul_hi_u32 v26, s5, v25
	s_delay_alu instid0(VALU_DEP_1) | instskip(NEXT) | instid1(VALU_DEP_1)
	v_add_nc_u32_e32 v26, v25, v26
	v_lshrrev_b32_e32 v26, s6, v26
	s_delay_alu instid0(VALU_DEP_1) | instskip(NEXT) | instid1(VALU_DEP_1)
	v_mul_lo_u32 v26, v26, s4
	v_sub_nc_u32_e32 v25, v25, v26
	s_delay_alu instid0(VALU_DEP_1)
	v_mad_u32 v10, v25, s8, v10
	v_mad_u32 v24, v25, s9, v24
	;; [unrolled: 1-line block ×3, first 2 shown]
	s_and_not1_b32 vcc_lo, exec_lo, s2
	s_cbranch_vccz .LBB13_225
	s_branch .LBB13_228
.LBB13_223:
	s_mov_b32 s2, -1
                                        ; implicit-def: $vgpr23
                                        ; implicit-def: $vgpr24
                                        ; implicit-def: $vgpr10
.LBB13_224:
	s_delay_alu instid0(SALU_CYCLE_1)
	s_and_not1_b32 vcc_lo, exec_lo, s2
	s_cbranch_vccnz .LBB13_228
.LBB13_225:
	s_clause 0x1
	s_load_b96 s[0:2], s[12:13], 0x4
	s_load_b96 s[4:6], s[12:13], 0xc4
	s_cmp_lt_u32 s26, 2
	s_wait_kmcnt 0x0
	v_mul_hi_u32 v10, s1, v4
	s_delay_alu instid0(VALU_DEP_1) | instskip(NEXT) | instid1(VALU_DEP_1)
	v_add_nc_u32_e32 v10, v4, v10
	v_lshrrev_b32_e32 v25, s2, v10
	s_delay_alu instid0(VALU_DEP_1) | instskip(NEXT) | instid1(VALU_DEP_1)
	v_mul_lo_u32 v10, v25, s0
	v_sub_nc_u32_e32 v4, v4, v10
	s_delay_alu instid0(VALU_DEP_1)
	v_mul_lo_u32 v10, v4, s4
	v_mul_lo_u32 v23, v4, s6
	;; [unrolled: 1-line block ×3, first 2 shown]
	s_cbranch_scc1 .LBB13_228
; %bb.226:
	s_clause 0x1
	s_load_b96 s[0:2], s[12:13], 0x10
	s_load_b96 s[4:6], s[12:13], 0xd0
	s_wait_kmcnt 0x0
	v_mul_hi_u32 v4, s1, v25
	s_delay_alu instid0(VALU_DEP_1) | instskip(NEXT) | instid1(VALU_DEP_1)
	v_add_nc_u32_e32 v4, v25, v4
	v_lshrrev_b32_e32 v4, s2, v4
	s_delay_alu instid0(VALU_DEP_1) | instskip(NEXT) | instid1(VALU_DEP_1)
	v_mul_lo_u32 v4, v4, s0
	v_sub_nc_u32_e32 v4, v25, v4
	s_delay_alu instid0(VALU_DEP_1)
	v_mad_u32 v10, v4, s4, v10
	v_mad_u32 v24, v4, s5, v24
	;; [unrolled: 1-line block ×3, first 2 shown]
	s_branch .LBB13_228
.LBB13_227:
	v_dual_mov_b32 v23, 0 :: v_dual_mov_b32 v24, 0
	v_mov_b32_e32 v10, 0
	s_and_not1_b32 vcc_lo, exec_lo, s2
	s_cbranch_vccz .LBB13_225
.LBB13_228:
	s_clause 0x1
	s_load_b64 s[4:5], s[12:13], 0x198
	s_load_b128 s[0:3], s[12:13], 0x188
	s_mov_b32 s7, 0
	s_mov_b32 s6, exec_lo
	s_wait_kmcnt 0x0
	global_load_i8 v4, v5, s[4:5]
	global_load_u8 v25, v7, s[2:3]
	s_wait_loadcnt 0x1
	s_wait_xcnt 0x1
	v_sub_nc_u16 v5, 0, v4
	s_delay_alu instid0(VALU_DEP_1)
	v_max_i16 v4, v4, v5
	s_wait_loadcnt 0x0
	v_cmpx_ne_u16_e32 0, v25
	s_cbranch_execz .LBB13_232
; %bb.229:
	v_bfe_i32 v5, v25, 0, 8
	s_delay_alu instid0(VALU_DEP_1) | instskip(NEXT) | instid1(VALU_DEP_1)
	v_sub_nc_u16 v7, 0, v5
	v_max_i16 v7, v5, v7
	v_and_b32_e32 v5, 0xff, v4
	s_delay_alu instid0(VALU_DEP_2)
	v_and_b32_e32 v7, 0xffff, v7
.LBB13_230:                             ; =>This Inner Loop Header: Depth=1
	s_delay_alu instid0(VALU_DEP_2) | instskip(NEXT) | instid1(VALU_DEP_2)
	v_bfe_i32 v26, v5, 0, 8
	v_mov_b32_e32 v4, v7
	s_delay_alu instid0(VALU_DEP_2) | instskip(NEXT) | instid1(VALU_DEP_2)
	v_cvt_f32_i32_e32 v28, v26
	v_bfe_i32 v7, v4, 0, 8
	s_delay_alu instid0(VALU_DEP_1) | instskip(SKIP_1) | instid1(VALU_DEP_2)
	v_cvt_f32_i32_e32 v25, v7
	v_xor_b32_e32 v7, v26, v7
	v_rcp_iflag_f32_e32 v27, v25
	v_nop
	s_delay_alu instid0(TRANS32_DEP_1) | instskip(NEXT) | instid1(VALU_DEP_1)
	v_mul_f32_e32 v26, v28, v27
	v_trunc_f32_e32 v26, v26
	s_delay_alu instid0(VALU_DEP_1) | instskip(NEXT) | instid1(VALU_DEP_1)
	v_dual_ashrrev_i32 v7, 30, v7 :: v_dual_fma_f32 v27, -v26, v25, v28
	v_or_b32_e32 v7, 1, v7
	v_cvt_i32_f32_e32 v26, v26
	s_delay_alu instid0(VALU_DEP_3) | instskip(NEXT) | instid1(VALU_DEP_3)
	v_cmp_ge_f32_e64 vcc_lo, |v27|, |v25|
	v_cndmask_b32_e32 v7, 0, v7, vcc_lo
	s_delay_alu instid0(VALU_DEP_1) | instskip(NEXT) | instid1(VALU_DEP_1)
	v_add_nc_u32_e32 v7, v26, v7
	v_mul_lo_u32 v7, v7, v4
	s_delay_alu instid0(VALU_DEP_1) | instskip(NEXT) | instid1(VALU_DEP_1)
	v_sub_nc_u32_e32 v5, v5, v7
	v_bfe_i32 v7, v5, 0, 8
	v_mov_b32_e32 v5, v4
	s_delay_alu instid0(VALU_DEP_2) | instskip(SKIP_2) | instid1(SALU_CYCLE_1)
	v_cmp_eq_u16_e32 vcc_lo, 0, v7
	v_and_b32_e32 v7, 0xffff, v7
	s_or_b32 s7, vcc_lo, s7
	s_and_not1_b32 exec_lo, exec_lo, s7
	s_cbranch_execnz .LBB13_230
; %bb.231:
	s_or_b32 exec_lo, exec_lo, s7
.LBB13_232:
	s_delay_alu instid0(SALU_CYCLE_1)
	s_or_b32 exec_lo, exec_lo, s6
	global_load_i8 v5, v8, s[4:5]
	global_load_u8 v7, v9, s[2:3]
	s_mov_b32 s7, 0
	s_mov_b32 s6, exec_lo
	s_wait_loadcnt 0x1
	s_wait_xcnt 0x1
	v_sub_nc_u16 v8, 0, v5
	s_delay_alu instid0(VALU_DEP_1)
	v_max_i16 v5, v5, v8
	s_wait_loadcnt 0x0
	v_cmpx_ne_u16_e32 0, v7
	s_cbranch_execz .LBB13_236
; %bb.233:
	v_bfe_i32 v7, v7, 0, 8
	s_delay_alu instid0(VALU_DEP_1) | instskip(NEXT) | instid1(VALU_DEP_1)
	v_sub_nc_u16 v8, 0, v7
	v_max_i16 v8, v7, v8
	v_and_b32_e32 v7, 0xff, v5
	s_delay_alu instid0(VALU_DEP_2)
	v_and_b32_e32 v8, 0xffff, v8
.LBB13_234:                             ; =>This Inner Loop Header: Depth=1
	s_delay_alu instid0(VALU_DEP_2) | instskip(NEXT) | instid1(VALU_DEP_2)
	v_bfe_i32 v25, v7, 0, 8
	v_mov_b32_e32 v5, v8
	s_delay_alu instid0(VALU_DEP_2) | instskip(NEXT) | instid1(VALU_DEP_2)
	v_cvt_f32_i32_e32 v27, v25
	v_bfe_i32 v8, v5, 0, 8
	s_delay_alu instid0(VALU_DEP_1) | instskip(SKIP_1) | instid1(VALU_DEP_2)
	v_cvt_f32_i32_e32 v9, v8
	v_xor_b32_e32 v8, v25, v8
	v_rcp_iflag_f32_e32 v26, v9
	v_nop
	s_delay_alu instid0(TRANS32_DEP_1) | instskip(NEXT) | instid1(VALU_DEP_1)
	v_dual_mul_f32 v25, v27, v26 :: v_dual_ashrrev_i32 v8, 30, v8
	v_trunc_f32_e32 v25, v25
	s_delay_alu instid0(VALU_DEP_1) | instskip(SKIP_1) | instid1(VALU_DEP_2)
	v_dual_fma_f32 v26, -v25, v9, v27 :: v_dual_bitop2_b32 v8, 1, v8 bitop3:0x54
	v_cvt_i32_f32_e32 v25, v25
	v_cmp_ge_f32_e64 vcc_lo, |v26|, |v9|
	s_delay_alu instid0(VALU_DEP_3) | instskip(NEXT) | instid1(VALU_DEP_1)
	v_cndmask_b32_e32 v8, 0, v8, vcc_lo
	v_add_nc_u32_e32 v8, v25, v8
	s_delay_alu instid0(VALU_DEP_1) | instskip(NEXT) | instid1(VALU_DEP_1)
	v_mul_lo_u32 v8, v8, v5
	v_sub_nc_u32_e32 v7, v7, v8
	s_delay_alu instid0(VALU_DEP_1) | instskip(SKIP_1) | instid1(VALU_DEP_2)
	v_bfe_i32 v8, v7, 0, 8
	v_mov_b32_e32 v7, v5
	v_cmp_eq_u16_e32 vcc_lo, 0, v8
	v_and_b32_e32 v8, 0xffff, v8
	s_or_b32 s7, vcc_lo, s7
	s_delay_alu instid0(SALU_CYCLE_1)
	s_and_not1_b32 exec_lo, exec_lo, s7
	s_cbranch_execnz .LBB13_234
; %bb.235:
	s_or_b32 exec_lo, exec_lo, s7
.LBB13_236:
	s_delay_alu instid0(SALU_CYCLE_1)
	s_or_b32 exec_lo, exec_lo, s6
	global_load_i8 v7, v12, s[4:5]
	global_load_u8 v8, v13, s[2:3]
	s_mov_b32 s7, 0
	s_mov_b32 s6, exec_lo
	s_wait_loadcnt 0x1
	v_sub_nc_u16 v9, 0, v7
	s_delay_alu instid0(VALU_DEP_1)
	v_max_i16 v7, v7, v9
	s_wait_loadcnt 0x0
	v_cmpx_ne_u16_e32 0, v8
	s_cbranch_execz .LBB13_240
; %bb.237:
	v_bfe_i32 v8, v8, 0, 8
	s_delay_alu instid0(VALU_DEP_1) | instskip(NEXT) | instid1(VALU_DEP_1)
	v_sub_nc_u16 v9, 0, v8
	v_max_i16 v9, v8, v9
	v_and_b32_e32 v8, 0xff, v7
	s_delay_alu instid0(VALU_DEP_2)
	v_and_b32_e32 v9, 0xffff, v9
.LBB13_238:                             ; =>This Inner Loop Header: Depth=1
	s_delay_alu instid0(VALU_DEP_2) | instskip(NEXT) | instid1(VALU_DEP_1)
	v_bfe_i32 v13, v8, 0, 8
	v_cvt_f32_i32_e32 v26, v13
	s_delay_alu instid0(VALU_DEP_3) | instskip(NEXT) | instid1(VALU_DEP_1)
	v_mov_b32_e32 v7, v9
	v_bfe_i32 v9, v7, 0, 8
	s_delay_alu instid0(VALU_DEP_1) | instskip(SKIP_1) | instid1(VALU_DEP_2)
	v_cvt_f32_i32_e32 v12, v9
	v_xor_b32_e32 v9, v13, v9
	v_rcp_iflag_f32_e32 v25, v12
	v_nop
	s_delay_alu instid0(TRANS32_DEP_1) | instskip(NEXT) | instid1(VALU_DEP_1)
	v_mul_f32_e32 v13, v26, v25
	v_trunc_f32_e32 v13, v13
	s_delay_alu instid0(VALU_DEP_1) | instskip(SKIP_1) | instid1(VALU_DEP_2)
	v_dual_fma_f32 v25, -v13, v12, v26 :: v_dual_ashrrev_i32 v9, 30, v9
	v_cvt_i32_f32_e32 v13, v13
	v_cmp_ge_f32_e64 vcc_lo, |v25|, |v12|
	s_delay_alu instid0(VALU_DEP_3) | instskip(NEXT) | instid1(VALU_DEP_1)
	v_or_b32_e32 v9, 1, v9
	v_cndmask_b32_e32 v9, 0, v9, vcc_lo
	s_delay_alu instid0(VALU_DEP_1) | instskip(NEXT) | instid1(VALU_DEP_1)
	v_add_nc_u32_e32 v9, v13, v9
	v_mul_lo_u32 v9, v9, v7
	s_delay_alu instid0(VALU_DEP_1) | instskip(NEXT) | instid1(VALU_DEP_1)
	v_sub_nc_u32_e32 v8, v8, v9
	v_bfe_i32 v9, v8, 0, 8
	v_mov_b32_e32 v8, v7
	s_delay_alu instid0(VALU_DEP_2) | instskip(SKIP_2) | instid1(SALU_CYCLE_1)
	v_cmp_eq_u16_e32 vcc_lo, 0, v9
	v_and_b32_e32 v9, 0xffff, v9
	s_or_b32 s7, vcc_lo, s7
	s_and_not1_b32 exec_lo, exec_lo, s7
	s_cbranch_execnz .LBB13_238
; %bb.239:
	s_or_b32 exec_lo, exec_lo, s7
.LBB13_240:
	s_delay_alu instid0(SALU_CYCLE_1)
	s_or_b32 exec_lo, exec_lo, s6
	global_load_i8 v8, v14, s[4:5]
	global_load_u8 v9, v15, s[2:3]
	s_mov_b32 s7, 0
	s_mov_b32 s6, exec_lo
	s_wait_loadcnt 0x1
	v_sub_nc_u16 v12, 0, v8
	s_delay_alu instid0(VALU_DEP_1)
	v_max_i16 v8, v8, v12
	s_wait_loadcnt 0x0
	v_cmpx_ne_u16_e32 0, v9
	s_cbranch_execz .LBB13_244
; %bb.241:
	v_bfe_i32 v9, v9, 0, 8
	s_delay_alu instid0(VALU_DEP_1) | instskip(NEXT) | instid1(VALU_DEP_1)
	v_sub_nc_u16 v12, 0, v9
	v_max_i16 v12, v9, v12
	v_and_b32_e32 v9, 0xff, v8
	s_delay_alu instid0(VALU_DEP_2)
	v_and_b32_e32 v12, 0xffff, v12
.LBB13_242:                             ; =>This Inner Loop Header: Depth=1
	s_delay_alu instid0(VALU_DEP_2) | instskip(NEXT) | instid1(VALU_DEP_2)
	v_bfe_i32 v14, v9, 0, 8
	v_mov_b32_e32 v8, v12
	s_delay_alu instid0(VALU_DEP_2) | instskip(NEXT) | instid1(VALU_DEP_2)
	v_cvt_f32_i32_e32 v25, v14
	v_bfe_i32 v12, v8, 0, 8
	s_delay_alu instid0(VALU_DEP_1) | instskip(SKIP_1) | instid1(VALU_DEP_2)
	v_cvt_f32_i32_e32 v13, v12
	v_xor_b32_e32 v12, v14, v12
	v_rcp_iflag_f32_e32 v15, v13
	v_nop
	s_delay_alu instid0(TRANS32_DEP_1) | instskip(NEXT) | instid1(VALU_DEP_1)
	v_dual_ashrrev_i32 v12, 30, v12 :: v_dual_mul_f32 v14, v25, v15
	v_trunc_f32_e32 v14, v14
	s_delay_alu instid0(VALU_DEP_1) | instskip(SKIP_1) | instid1(VALU_DEP_2)
	v_dual_fma_f32 v15, -v14, v13, v25 :: v_dual_bitop2_b32 v12, 1, v12 bitop3:0x54
	v_cvt_i32_f32_e32 v14, v14
	v_cmp_ge_f32_e64 vcc_lo, |v15|, |v13|
	s_delay_alu instid0(VALU_DEP_3) | instskip(NEXT) | instid1(VALU_DEP_1)
	v_cndmask_b32_e32 v12, 0, v12, vcc_lo
	v_add_nc_u32_e32 v12, v14, v12
	s_delay_alu instid0(VALU_DEP_1) | instskip(NEXT) | instid1(VALU_DEP_1)
	v_mul_lo_u32 v12, v12, v8
	v_sub_nc_u32_e32 v9, v9, v12
	s_delay_alu instid0(VALU_DEP_1) | instskip(SKIP_1) | instid1(VALU_DEP_2)
	v_bfe_i32 v12, v9, 0, 8
	v_mov_b32_e32 v9, v8
	v_cmp_eq_u16_e32 vcc_lo, 0, v12
	v_and_b32_e32 v12, 0xffff, v12
	s_or_b32 s7, vcc_lo, s7
	s_delay_alu instid0(SALU_CYCLE_1)
	s_and_not1_b32 exec_lo, exec_lo, s7
	s_cbranch_execnz .LBB13_242
; %bb.243:
	s_or_b32 exec_lo, exec_lo, s7
.LBB13_244:
	s_delay_alu instid0(SALU_CYCLE_1)
	s_or_b32 exec_lo, exec_lo, s6
	global_load_i8 v9, v17, s[4:5]
	global_load_u8 v12, v18, s[2:3]
	s_mov_b32 s7, 0
	s_mov_b32 s6, exec_lo
	s_wait_loadcnt 0x1
	v_sub_nc_u16 v13, 0, v9
	s_delay_alu instid0(VALU_DEP_1)
	v_max_i16 v9, v9, v13
	s_wait_loadcnt 0x0
	v_cmpx_ne_u16_e32 0, v12
	s_cbranch_execz .LBB13_248
; %bb.245:
	v_bfe_i32 v12, v12, 0, 8
	s_delay_alu instid0(VALU_DEP_1) | instskip(NEXT) | instid1(VALU_DEP_1)
	v_sub_nc_u16 v13, 0, v12
	v_max_i16 v13, v12, v13
	v_and_b32_e32 v12, 0xff, v9
	s_delay_alu instid0(VALU_DEP_2)
	v_and_b32_e32 v13, 0xffff, v13
.LBB13_246:                             ; =>This Inner Loop Header: Depth=1
	s_delay_alu instid0(VALU_DEP_2) | instskip(NEXT) | instid1(VALU_DEP_2)
	v_bfe_i32 v15, v12, 0, 8
	v_mov_b32_e32 v9, v13
	s_delay_alu instid0(VALU_DEP_2) | instskip(NEXT) | instid1(VALU_DEP_2)
	v_cvt_f32_i32_e32 v18, v15
	v_bfe_i32 v13, v9, 0, 8
	s_delay_alu instid0(VALU_DEP_1) | instskip(SKIP_1) | instid1(VALU_DEP_2)
	v_cvt_f32_i32_e32 v14, v13
	v_xor_b32_e32 v13, v15, v13
	v_rcp_iflag_f32_e32 v17, v14
	v_nop
	s_delay_alu instid0(TRANS32_DEP_1) | instskip(NEXT) | instid1(VALU_DEP_1)
	v_mul_f32_e32 v15, v18, v17
	v_trunc_f32_e32 v15, v15
	s_delay_alu instid0(VALU_DEP_1) | instskip(NEXT) | instid1(VALU_DEP_1)
	v_dual_ashrrev_i32 v13, 30, v13 :: v_dual_fma_f32 v17, -v15, v14, v18
	v_or_b32_e32 v13, 1, v13
	v_cvt_i32_f32_e32 v15, v15
	s_delay_alu instid0(VALU_DEP_3) | instskip(NEXT) | instid1(VALU_DEP_3)
	v_cmp_ge_f32_e64 vcc_lo, |v17|, |v14|
	v_cndmask_b32_e32 v13, 0, v13, vcc_lo
	s_delay_alu instid0(VALU_DEP_1) | instskip(NEXT) | instid1(VALU_DEP_1)
	v_add_nc_u32_e32 v13, v15, v13
	v_mul_lo_u32 v13, v13, v9
	s_delay_alu instid0(VALU_DEP_1) | instskip(NEXT) | instid1(VALU_DEP_1)
	v_sub_nc_u32_e32 v12, v12, v13
	v_bfe_i32 v13, v12, 0, 8
	v_mov_b32_e32 v12, v9
	s_delay_alu instid0(VALU_DEP_2) | instskip(SKIP_2) | instid1(SALU_CYCLE_1)
	v_cmp_eq_u16_e32 vcc_lo, 0, v13
	v_and_b32_e32 v13, 0xffff, v13
	s_or_b32 s7, vcc_lo, s7
	s_and_not1_b32 exec_lo, exec_lo, s7
	s_cbranch_execnz .LBB13_246
; %bb.247:
	s_or_b32 exec_lo, exec_lo, s7
.LBB13_248:
	s_delay_alu instid0(SALU_CYCLE_1)
	s_or_b32 exec_lo, exec_lo, s6
	global_load_i8 v12, v19, s[4:5]
	global_load_u8 v13, v20, s[2:3]
	s_mov_b32 s7, 0
	s_mov_b32 s6, exec_lo
	s_wait_loadcnt 0x1
	v_sub_nc_u16 v14, 0, v12
	s_delay_alu instid0(VALU_DEP_1)
	v_max_i16 v12, v12, v14
	s_wait_loadcnt 0x0
	v_cmpx_ne_u16_e32 0, v13
	s_cbranch_execz .LBB13_252
; %bb.249:
	v_bfe_i32 v13, v13, 0, 8
	s_delay_alu instid0(VALU_DEP_1) | instskip(NEXT) | instid1(VALU_DEP_1)
	v_sub_nc_u16 v14, 0, v13
	v_max_i16 v14, v13, v14
	v_and_b32_e32 v13, 0xff, v12
	s_delay_alu instid0(VALU_DEP_2)
	v_and_b32_e32 v14, 0xffff, v14
.LBB13_250:                             ; =>This Inner Loop Header: Depth=1
	s_delay_alu instid0(VALU_DEP_2) | instskip(NEXT) | instid1(VALU_DEP_2)
	v_bfe_i32 v17, v13, 0, 8
	v_mov_b32_e32 v12, v14
	s_delay_alu instid0(VALU_DEP_2) | instskip(NEXT) | instid1(VALU_DEP_2)
	v_cvt_f32_i32_e32 v19, v17
	v_bfe_i32 v14, v12, 0, 8
	s_delay_alu instid0(VALU_DEP_1) | instskip(SKIP_1) | instid1(VALU_DEP_2)
	v_cvt_f32_i32_e32 v15, v14
	v_xor_b32_e32 v14, v17, v14
	v_rcp_iflag_f32_e32 v18, v15
	v_nop
	s_delay_alu instid0(TRANS32_DEP_1) | instskip(NEXT) | instid1(VALU_DEP_1)
	v_mul_f32_e32 v17, v19, v18
	v_trunc_f32_e32 v17, v17
	s_delay_alu instid0(VALU_DEP_1) | instskip(NEXT) | instid1(VALU_DEP_1)
	v_dual_ashrrev_i32 v14, 30, v14 :: v_dual_fma_f32 v18, -v17, v15, v19
	v_or_b32_e32 v14, 1, v14
	v_cvt_i32_f32_e32 v17, v17
	s_delay_alu instid0(VALU_DEP_3) | instskip(NEXT) | instid1(VALU_DEP_3)
	v_cmp_ge_f32_e64 vcc_lo, |v18|, |v15|
	v_cndmask_b32_e32 v14, 0, v14, vcc_lo
	s_delay_alu instid0(VALU_DEP_1) | instskip(NEXT) | instid1(VALU_DEP_1)
	v_add_nc_u32_e32 v14, v17, v14
	v_mul_lo_u32 v14, v14, v12
	s_delay_alu instid0(VALU_DEP_1) | instskip(NEXT) | instid1(VALU_DEP_1)
	v_sub_nc_u32_e32 v13, v13, v14
	v_bfe_i32 v14, v13, 0, 8
	v_mov_b32_e32 v13, v12
	s_delay_alu instid0(VALU_DEP_2) | instskip(SKIP_2) | instid1(SALU_CYCLE_1)
	v_cmp_eq_u16_e32 vcc_lo, 0, v14
	v_and_b32_e32 v14, 0xffff, v14
	s_or_b32 s7, vcc_lo, s7
	s_and_not1_b32 exec_lo, exec_lo, s7
	s_cbranch_execnz .LBB13_250
; %bb.251:
	s_or_b32 exec_lo, exec_lo, s7
.LBB13_252:
	;; [unrolled: 59-line block ×3, first 2 shown]
	s_delay_alu instid0(SALU_CYCLE_1)
	s_or_b32 exec_lo, exec_lo, s6
	global_load_i8 v14, v23, s[4:5]
	global_load_u8 v15, v24, s[2:3]
	s_wait_xcnt 0x0
	s_mov_b32 s3, 0
	s_mov_b32 s2, exec_lo
	s_wait_loadcnt 0x1
	v_sub_nc_u16 v17, 0, v14
	s_delay_alu instid0(VALU_DEP_1)
	v_max_i16 v14, v14, v17
	s_wait_loadcnt 0x0
	v_cmpx_ne_u16_e32 0, v15
	s_cbranch_execz .LBB13_260
; %bb.257:
	v_bfe_i32 v15, v15, 0, 8
	s_delay_alu instid0(VALU_DEP_1) | instskip(NEXT) | instid1(VALU_DEP_1)
	v_sub_nc_u16 v17, 0, v15
	v_max_i16 v17, v15, v17
	v_and_b32_e32 v15, 0xff, v14
	s_delay_alu instid0(VALU_DEP_2)
	v_and_b32_e32 v17, 0xffff, v17
.LBB13_258:                             ; =>This Inner Loop Header: Depth=1
	s_delay_alu instid0(VALU_DEP_2) | instskip(NEXT) | instid1(VALU_DEP_2)
	v_bfe_i32 v19, v15, 0, 8
	v_mov_b32_e32 v14, v17
	s_delay_alu instid0(VALU_DEP_2) | instskip(NEXT) | instid1(VALU_DEP_2)
	v_cvt_f32_i32_e32 v21, v19
	v_bfe_i32 v17, v14, 0, 8
	s_delay_alu instid0(VALU_DEP_1) | instskip(SKIP_1) | instid1(VALU_DEP_2)
	v_cvt_f32_i32_e32 v18, v17
	v_xor_b32_e32 v17, v19, v17
	v_rcp_iflag_f32_e32 v20, v18
	v_nop
	s_delay_alu instid0(TRANS32_DEP_1) | instskip(NEXT) | instid1(VALU_DEP_1)
	v_dual_ashrrev_i32 v17, 30, v17 :: v_dual_mul_f32 v19, v21, v20
	v_trunc_f32_e32 v19, v19
	s_delay_alu instid0(VALU_DEP_1) | instskip(SKIP_1) | instid1(VALU_DEP_2)
	v_dual_fma_f32 v20, -v19, v18, v21 :: v_dual_bitop2_b32 v17, 1, v17 bitop3:0x54
	v_cvt_i32_f32_e32 v19, v19
	v_cmp_ge_f32_e64 vcc_lo, |v20|, |v18|
	s_delay_alu instid0(VALU_DEP_3) | instskip(NEXT) | instid1(VALU_DEP_1)
	v_cndmask_b32_e32 v17, 0, v17, vcc_lo
	v_add_nc_u32_e32 v17, v19, v17
	s_delay_alu instid0(VALU_DEP_1) | instskip(NEXT) | instid1(VALU_DEP_1)
	v_mul_lo_u32 v17, v17, v14
	v_sub_nc_u32_e32 v15, v15, v17
	s_delay_alu instid0(VALU_DEP_1) | instskip(SKIP_1) | instid1(VALU_DEP_2)
	v_bfe_i32 v17, v15, 0, 8
	v_mov_b32_e32 v15, v14
	v_cmp_eq_u16_e32 vcc_lo, 0, v17
	v_and_b32_e32 v17, 0xffff, v17
	s_or_b32 s3, vcc_lo, s3
	s_delay_alu instid0(SALU_CYCLE_1)
	s_and_not1_b32 exec_lo, exec_lo, s3
	s_cbranch_execnz .LBB13_258
; %bb.259:
	s_or_b32 exec_lo, exec_lo, s3
.LBB13_260:
	s_delay_alu instid0(SALU_CYCLE_1)
	s_or_b32 exec_lo, exec_lo, s2
	s_clause 0x7
	global_store_b8 v1, v4, s[0:1]
	global_store_b8 v2, v5, s[0:1]
	;; [unrolled: 1-line block ×8, first 2 shown]
	s_endpgm
	.section	.rodata,"a",@progbits
	.p2align	6, 0x0
	.amdhsa_kernel _ZN2at6native32elementwise_kernel_manual_unrollILi128ELi8EZNS0_22gpu_kernel_impl_nocastIZZZNS0_15gcd_kernel_cudaERNS_18TensorIteratorBaseEENKUlvE_clEvENKUlvE0_clEvEUlaaE_EEvS4_RKT_EUlibE_EEviT1_
		.amdhsa_group_segment_fixed_size 0
		.amdhsa_private_segment_fixed_size 0
		.amdhsa_kernarg_size 432
		.amdhsa_user_sgpr_count 2
		.amdhsa_user_sgpr_dispatch_ptr 0
		.amdhsa_user_sgpr_queue_ptr 0
		.amdhsa_user_sgpr_kernarg_segment_ptr 1
		.amdhsa_user_sgpr_dispatch_id 0
		.amdhsa_user_sgpr_kernarg_preload_length 0
		.amdhsa_user_sgpr_kernarg_preload_offset 0
		.amdhsa_user_sgpr_private_segment_size 0
		.amdhsa_wavefront_size32 1
		.amdhsa_uses_dynamic_stack 0
		.amdhsa_enable_private_segment 0
		.amdhsa_system_sgpr_workgroup_id_x 1
		.amdhsa_system_sgpr_workgroup_id_y 0
		.amdhsa_system_sgpr_workgroup_id_z 0
		.amdhsa_system_sgpr_workgroup_info 0
		.amdhsa_system_vgpr_workitem_id 0
		.amdhsa_next_free_vgpr 29
		.amdhsa_next_free_sgpr 46
		.amdhsa_named_barrier_count 0
		.amdhsa_reserve_vcc 1
		.amdhsa_float_round_mode_32 0
		.amdhsa_float_round_mode_16_64 0
		.amdhsa_float_denorm_mode_32 3
		.amdhsa_float_denorm_mode_16_64 3
		.amdhsa_fp16_overflow 0
		.amdhsa_memory_ordered 1
		.amdhsa_forward_progress 1
		.amdhsa_inst_pref_size 115
		.amdhsa_round_robin_scheduling 0
		.amdhsa_exception_fp_ieee_invalid_op 0
		.amdhsa_exception_fp_denorm_src 0
		.amdhsa_exception_fp_ieee_div_zero 0
		.amdhsa_exception_fp_ieee_overflow 0
		.amdhsa_exception_fp_ieee_underflow 0
		.amdhsa_exception_fp_ieee_inexact 0
		.amdhsa_exception_int_div_zero 0
	.end_amdhsa_kernel
	.section	.text._ZN2at6native32elementwise_kernel_manual_unrollILi128ELi8EZNS0_22gpu_kernel_impl_nocastIZZZNS0_15gcd_kernel_cudaERNS_18TensorIteratorBaseEENKUlvE_clEvENKUlvE0_clEvEUlaaE_EEvS4_RKT_EUlibE_EEviT1_,"axG",@progbits,_ZN2at6native32elementwise_kernel_manual_unrollILi128ELi8EZNS0_22gpu_kernel_impl_nocastIZZZNS0_15gcd_kernel_cudaERNS_18TensorIteratorBaseEENKUlvE_clEvENKUlvE0_clEvEUlaaE_EEvS4_RKT_EUlibE_EEviT1_,comdat
.Lfunc_end13:
	.size	_ZN2at6native32elementwise_kernel_manual_unrollILi128ELi8EZNS0_22gpu_kernel_impl_nocastIZZZNS0_15gcd_kernel_cudaERNS_18TensorIteratorBaseEENKUlvE_clEvENKUlvE0_clEvEUlaaE_EEvS4_RKT_EUlibE_EEviT1_, .Lfunc_end13-_ZN2at6native32elementwise_kernel_manual_unrollILi128ELi8EZNS0_22gpu_kernel_impl_nocastIZZZNS0_15gcd_kernel_cudaERNS_18TensorIteratorBaseEENKUlvE_clEvENKUlvE0_clEvEUlaaE_EEvS4_RKT_EUlibE_EEviT1_
                                        ; -- End function
	.set _ZN2at6native32elementwise_kernel_manual_unrollILi128ELi8EZNS0_22gpu_kernel_impl_nocastIZZZNS0_15gcd_kernel_cudaERNS_18TensorIteratorBaseEENKUlvE_clEvENKUlvE0_clEvEUlaaE_EEvS4_RKT_EUlibE_EEviT1_.num_vgpr, 29
	.set _ZN2at6native32elementwise_kernel_manual_unrollILi128ELi8EZNS0_22gpu_kernel_impl_nocastIZZZNS0_15gcd_kernel_cudaERNS_18TensorIteratorBaseEENKUlvE_clEvENKUlvE0_clEvEUlaaE_EEvS4_RKT_EUlibE_EEviT1_.num_agpr, 0
	.set _ZN2at6native32elementwise_kernel_manual_unrollILi128ELi8EZNS0_22gpu_kernel_impl_nocastIZZZNS0_15gcd_kernel_cudaERNS_18TensorIteratorBaseEENKUlvE_clEvENKUlvE0_clEvEUlaaE_EEvS4_RKT_EUlibE_EEviT1_.numbered_sgpr, 46
	.set _ZN2at6native32elementwise_kernel_manual_unrollILi128ELi8EZNS0_22gpu_kernel_impl_nocastIZZZNS0_15gcd_kernel_cudaERNS_18TensorIteratorBaseEENKUlvE_clEvENKUlvE0_clEvEUlaaE_EEvS4_RKT_EUlibE_EEviT1_.num_named_barrier, 0
	.set _ZN2at6native32elementwise_kernel_manual_unrollILi128ELi8EZNS0_22gpu_kernel_impl_nocastIZZZNS0_15gcd_kernel_cudaERNS_18TensorIteratorBaseEENKUlvE_clEvENKUlvE0_clEvEUlaaE_EEvS4_RKT_EUlibE_EEviT1_.private_seg_size, 0
	.set _ZN2at6native32elementwise_kernel_manual_unrollILi128ELi8EZNS0_22gpu_kernel_impl_nocastIZZZNS0_15gcd_kernel_cudaERNS_18TensorIteratorBaseEENKUlvE_clEvENKUlvE0_clEvEUlaaE_EEvS4_RKT_EUlibE_EEviT1_.uses_vcc, 1
	.set _ZN2at6native32elementwise_kernel_manual_unrollILi128ELi8EZNS0_22gpu_kernel_impl_nocastIZZZNS0_15gcd_kernel_cudaERNS_18TensorIteratorBaseEENKUlvE_clEvENKUlvE0_clEvEUlaaE_EEvS4_RKT_EUlibE_EEviT1_.uses_flat_scratch, 0
	.set _ZN2at6native32elementwise_kernel_manual_unrollILi128ELi8EZNS0_22gpu_kernel_impl_nocastIZZZNS0_15gcd_kernel_cudaERNS_18TensorIteratorBaseEENKUlvE_clEvENKUlvE0_clEvEUlaaE_EEvS4_RKT_EUlibE_EEviT1_.has_dyn_sized_stack, 0
	.set _ZN2at6native32elementwise_kernel_manual_unrollILi128ELi8EZNS0_22gpu_kernel_impl_nocastIZZZNS0_15gcd_kernel_cudaERNS_18TensorIteratorBaseEENKUlvE_clEvENKUlvE0_clEvEUlaaE_EEvS4_RKT_EUlibE_EEviT1_.has_recursion, 0
	.set _ZN2at6native32elementwise_kernel_manual_unrollILi128ELi8EZNS0_22gpu_kernel_impl_nocastIZZZNS0_15gcd_kernel_cudaERNS_18TensorIteratorBaseEENKUlvE_clEvENKUlvE0_clEvEUlaaE_EEvS4_RKT_EUlibE_EEviT1_.has_indirect_call, 0
	.section	.AMDGPU.csdata,"",@progbits
; Kernel info:
; codeLenInByte = 14712
; TotalNumSgprs: 48
; NumVgprs: 29
; ScratchSize: 0
; MemoryBound: 0
; FloatMode: 240
; IeeeMode: 1
; LDSByteSize: 0 bytes/workgroup (compile time only)
; SGPRBlocks: 0
; VGPRBlocks: 1
; NumSGPRsForWavesPerEU: 48
; NumVGPRsForWavesPerEU: 29
; NamedBarCnt: 0
; Occupancy: 16
; WaveLimiterHint : 1
; COMPUTE_PGM_RSRC2:SCRATCH_EN: 0
; COMPUTE_PGM_RSRC2:USER_SGPR: 2
; COMPUTE_PGM_RSRC2:TRAP_HANDLER: 0
; COMPUTE_PGM_RSRC2:TGID_X_EN: 1
; COMPUTE_PGM_RSRC2:TGID_Y_EN: 0
; COMPUTE_PGM_RSRC2:TGID_Z_EN: 0
; COMPUTE_PGM_RSRC2:TIDIG_COMP_CNT: 0
	.section	.text._ZN2at6native32elementwise_kernel_manual_unrollILi128ELi4EZNS0_15gpu_kernel_implIZZZNS0_15gcd_kernel_cudaERNS_18TensorIteratorBaseEENKUlvE_clEvENKUlvE0_clEvEUlaaE_EEvS4_RKT_EUlibE_EEviT1_,"axG",@progbits,_ZN2at6native32elementwise_kernel_manual_unrollILi128ELi4EZNS0_15gpu_kernel_implIZZZNS0_15gcd_kernel_cudaERNS_18TensorIteratorBaseEENKUlvE_clEvENKUlvE0_clEvEUlaaE_EEvS4_RKT_EUlibE_EEviT1_,comdat
	.globl	_ZN2at6native32elementwise_kernel_manual_unrollILi128ELi4EZNS0_15gpu_kernel_implIZZZNS0_15gcd_kernel_cudaERNS_18TensorIteratorBaseEENKUlvE_clEvENKUlvE0_clEvEUlaaE_EEvS4_RKT_EUlibE_EEviT1_ ; -- Begin function _ZN2at6native32elementwise_kernel_manual_unrollILi128ELi4EZNS0_15gpu_kernel_implIZZZNS0_15gcd_kernel_cudaERNS_18TensorIteratorBaseEENKUlvE_clEvENKUlvE0_clEvEUlaaE_EEvS4_RKT_EUlibE_EEviT1_
	.p2align	8
	.type	_ZN2at6native32elementwise_kernel_manual_unrollILi128ELi4EZNS0_15gpu_kernel_implIZZZNS0_15gcd_kernel_cudaERNS_18TensorIteratorBaseEENKUlvE_clEvENKUlvE0_clEvEUlaaE_EEvS4_RKT_EUlibE_EEviT1_,@function
_ZN2at6native32elementwise_kernel_manual_unrollILi128ELi4EZNS0_15gpu_kernel_implIZZZNS0_15gcd_kernel_cudaERNS_18TensorIteratorBaseEENKUlvE_clEvENKUlvE0_clEvEUlaaE_EEvS4_RKT_EUlibE_EEviT1_: ; @_ZN2at6native32elementwise_kernel_manual_unrollILi128ELi4EZNS0_15gpu_kernel_implIZZZNS0_15gcd_kernel_cudaERNS_18TensorIteratorBaseEENKUlvE_clEvENKUlvE0_clEvEUlaaE_EEvS4_RKT_EUlibE_EEviT1_
; %bb.0:
	v_mov_b32_e32 v1, 0
	s_bfe_u32 s4, ttmp6, 0x4000c
	s_load_b32 s16, s[0:1], 0x0
	s_add_co_i32 s13, s4, 1
	s_load_b128 s[4:7], s[0:1], 0x8
	s_clause 0x1
	global_load_u16 v2, v1, s[0:1] offset:45
	global_load_i8 v3, v1, s[0:1] offset:47
	s_clause 0x1
	s_load_b64 s[2:3], s[0:1], 0x18
	s_load_b96 s[8:10], s[0:1], 0x20
	s_and_b32 s12, ttmp6, 15
	s_wait_xcnt 0x0
	s_mul_i32 s0, ttmp9, s13
	s_getreg_b32 s14, hwreg(HW_REG_IB_STS2, 6, 4)
	s_add_co_i32 s12, s12, s0
	s_mov_b32 s15, 0
	s_wait_loadcnt 0x1
	v_readfirstlane_b32 s11, v2
	s_wait_loadcnt 0x0
	v_readfirstlane_b32 s1, v3
	s_lshr_b32 s13, s11, 8
	s_cmp_eq_u32 s14, 0
	s_cselect_b32 s0, ttmp9, s12
	s_mov_b32 s12, 0
	v_lshl_or_b32 v10, s0, 9, v0
	s_mov_b32 s0, exec_lo
	s_delay_alu instid0(VALU_DEP_1) | instskip(SKIP_1) | instid1(VALU_DEP_1)
	v_or_b32_e32 v0, 0x180, v10
	s_wait_kmcnt 0x0
	v_cmpx_le_i32_e64 s16, v0
	s_xor_b32 s14, exec_lo, s0
	s_cbranch_execz .LBB14_1531
; %bb.1:
	s_mov_b32 s23, -1
	s_mov_b32 s20, 0
	s_mov_b32 s18, 0
	;; [unrolled: 1-line block ×3, first 2 shown]
	s_mov_b32 s19, exec_lo
	v_cmpx_gt_i32_e64 s16, v10
	s_cbranch_execz .LBB14_378
; %bb.2:
	v_mul_lo_u32 v0, v10, s9
	s_and_b32 s0, s13, 0xff
	s_delay_alu instid0(SALU_CYCLE_1) | instskip(NEXT) | instid1(VALU_DEP_1)
	s_cmp_lt_i32 s0, 11
	v_ashrrev_i32_e32 v1, 31, v0
	s_delay_alu instid0(VALU_DEP_1)
	v_add_nc_u64_e32 v[2:3], s[6:7], v[0:1]
	s_cbranch_scc1 .LBB14_9
; %bb.3:
	s_and_b32 s15, 0xffff, s0
	s_delay_alu instid0(SALU_CYCLE_1)
	s_cmp_gt_i32 s15, 25
	s_cbranch_scc0 .LBB14_18
; %bb.4:
	s_cmp_gt_i32 s15, 28
	s_cbranch_scc0 .LBB14_32
; %bb.5:
	;; [unrolled: 3-line block ×4, first 2 shown]
	s_cmp_eq_u32 s15, 46
	s_mov_b32 s21, 0
	s_cbranch_scc0 .LBB14_41
; %bb.8:
	global_load_b32 v0, v[2:3], off
	s_mov_b32 s17, -1
	s_wait_loadcnt 0x0
	v_lshlrev_b32_e32 v0, 16, v0
	s_delay_alu instid0(VALU_DEP_1)
	v_cvt_i32_f32_e32 v0, v0
	s_branch .LBB14_43
.LBB14_9:
                                        ; implicit-def: $vgpr0
	s_cbranch_execnz .LBB14_105
.LBB14_10:
	s_and_not1_b32 vcc_lo, exec_lo, s17
	s_cbranch_vccnz .LBB14_152
.LBB14_11:
	s_wait_xcnt 0x0
	v_mul_lo_u32 v2, v10, s10
	s_and_b32 s0, s1, 0xff
	s_delay_alu instid0(SALU_CYCLE_1) | instskip(NEXT) | instid1(VALU_DEP_1)
	s_cmp_lt_i32 s0, 11
	v_ashrrev_i32_e32 v3, 31, v2
	s_delay_alu instid0(VALU_DEP_1)
	v_add_nc_u64_e32 v[2:3], s[2:3], v[2:3]
	s_cbranch_scc1 .LBB14_19
; %bb.12:
	s_and_b32 s15, 0xffff, s0
	s_delay_alu instid0(SALU_CYCLE_1)
	s_cmp_gt_i32 s15, 25
	s_cbranch_scc0 .LBB14_33
; %bb.13:
	s_cmp_gt_i32 s15, 28
	s_cbranch_scc0 .LBB14_36
; %bb.14:
	;; [unrolled: 3-line block ×4, first 2 shown]
	s_cmp_eq_u32 s15, 46
	s_mov_b32 s22, 0
	s_cbranch_scc0 .LBB14_153
; %bb.17:
	s_wait_loadcnt 0x0
	global_load_b32 v1, v[2:3], off
	s_mov_b32 s21, -1
	s_mov_b32 s17, 0
	s_wait_loadcnt 0x0
	v_lshlrev_b32_e32 v1, 16, v1
	s_delay_alu instid0(VALU_DEP_1)
	v_cvt_i32_f32_e32 v4, v1
	s_branch .LBB14_155
.LBB14_18:
                                        ; implicit-def: $vgpr0
	s_cbranch_execnz .LBB14_72
	s_branch .LBB14_104
.LBB14_19:
	s_mov_b32 s17, 0
	s_mov_b32 s21, 0
                                        ; implicit-def: $vgpr4
	s_cbranch_execnz .LBB14_327
.LBB14_20:
	s_and_not1_b32 vcc_lo, exec_lo, s21
	s_cbranch_vccnz .LBB14_375
.LBB14_21:
	s_wait_loadcnt 0x0
	s_delay_alu instid0(VALU_DEP_1) | instskip(SKIP_3) | instid1(VALU_DEP_2)
	v_bfe_i32 v1, v4, 0, 8
	v_and_b32_e32 v3, 0xff, v0
	s_mov_b32 s15, 0
	s_mov_b32 s0, exec_lo
	v_sub_nc_u16 v2, 0, v1
	s_delay_alu instid0(VALU_DEP_1)
	v_max_i16 v2, v1, v2
	v_cmpx_ne_u16_e32 0, v3
	s_cbranch_execz .LBB14_25
; %bb.22:
	v_bfe_i32 v0, v0, 0, 8
	s_delay_alu instid0(VALU_DEP_1) | instskip(NEXT) | instid1(VALU_DEP_1)
	v_sub_nc_u16 v1, 0, v0
	v_max_i16 v1, v0, v1
	v_and_b32_e32 v0, 0xff, v2
	s_delay_alu instid0(VALU_DEP_2)
	v_and_b32_e32 v1, 0xffff, v1
.LBB14_23:                              ; =>This Inner Loop Header: Depth=1
	s_delay_alu instid0(VALU_DEP_2) | instskip(NEXT) | instid1(VALU_DEP_2)
	v_bfe_i32 v4, v0, 0, 8
	v_mov_b32_e32 v2, v1
	s_delay_alu instid0(VALU_DEP_2) | instskip(NEXT) | instid1(VALU_DEP_2)
	v_cvt_f32_i32_e32 v6, v4
	v_bfe_i32 v1, v2, 0, 8
	s_delay_alu instid0(VALU_DEP_1) | instskip(SKIP_1) | instid1(VALU_DEP_2)
	v_cvt_f32_i32_e32 v3, v1
	v_xor_b32_e32 v1, v4, v1
	v_rcp_iflag_f32_e32 v5, v3
	v_nop
	s_delay_alu instid0(TRANS32_DEP_1) | instskip(NEXT) | instid1(VALU_DEP_1)
	v_mul_f32_e32 v4, v6, v5
	v_trunc_f32_e32 v4, v4
	s_delay_alu instid0(VALU_DEP_1) | instskip(NEXT) | instid1(VALU_DEP_1)
	v_dual_ashrrev_i32 v1, 30, v1 :: v_dual_fma_f32 v5, -v4, v3, v6
	v_or_b32_e32 v1, 1, v1
	v_cvt_i32_f32_e32 v4, v4
	s_delay_alu instid0(VALU_DEP_3) | instskip(NEXT) | instid1(VALU_DEP_3)
	v_cmp_ge_f32_e64 vcc_lo, |v5|, |v3|
	v_cndmask_b32_e32 v1, 0, v1, vcc_lo
	s_delay_alu instid0(VALU_DEP_1) | instskip(NEXT) | instid1(VALU_DEP_1)
	v_add_nc_u32_e32 v1, v4, v1
	v_mul_lo_u32 v1, v1, v2
	s_delay_alu instid0(VALU_DEP_1) | instskip(NEXT) | instid1(VALU_DEP_1)
	v_sub_nc_u32_e32 v0, v0, v1
	v_bfe_i32 v1, v0, 0, 8
	v_mov_b32_e32 v0, v2
	s_delay_alu instid0(VALU_DEP_2) | instskip(SKIP_2) | instid1(SALU_CYCLE_1)
	v_cmp_eq_u16_e32 vcc_lo, 0, v1
	v_and_b32_e32 v1, 0xffff, v1
	s_or_b32 s15, vcc_lo, s15
	s_and_not1_b32 exec_lo, exec_lo, s15
	s_cbranch_execnz .LBB14_23
; %bb.24:
	s_or_b32 exec_lo, exec_lo, s15
.LBB14_25:
	s_delay_alu instid0(SALU_CYCLE_1) | instskip(SKIP_2) | instid1(SALU_CYCLE_1)
	s_or_b32 exec_lo, exec_lo, s0
	v_mul_lo_u32 v0, v10, s8
	s_and_b32 s15, s11, 0xff
	s_cmp_lt_i32 s15, 11
	s_delay_alu instid0(VALU_DEP_1) | instskip(NEXT) | instid1(VALU_DEP_1)
	v_ashrrev_i32_e32 v1, 31, v0
	v_add_nc_u64_e32 v[0:1], s[4:5], v[0:1]
	s_cbranch_scc1 .LBB14_34
; %bb.26:
	s_and_b32 s21, 0xffff, s15
	s_delay_alu instid0(SALU_CYCLE_1)
	s_cmp_gt_i32 s21, 25
	s_cbranch_scc0 .LBB14_37
; %bb.27:
	s_cmp_gt_i32 s21, 28
	s_cbranch_scc0 .LBB14_40
; %bb.28:
	;; [unrolled: 3-line block ×4, first 2 shown]
	s_mov_b32 s23, 0
	s_mov_b32 s0, -1
	s_cmp_eq_u32 s21, 46
	s_mov_b32 s22, 0
	s_cbranch_scc0 .LBB14_159
; %bb.31:
	v_bfe_i32 v3, v2, 0, 8
	s_mov_b32 s22, -1
	s_mov_b32 s0, 0
	s_delay_alu instid0(VALU_DEP_1) | instskip(NEXT) | instid1(VALU_DEP_1)
	v_bfe_i32 v3, v3, 0, 16
	v_cvt_f32_i32_e32 v3, v3
	s_delay_alu instid0(VALU_DEP_1) | instskip(NEXT) | instid1(VALU_DEP_1)
	v_bfe_u32 v4, v3, 16, 1
	v_add3_u32 v3, v3, v4, 0x7fff
	s_delay_alu instid0(VALU_DEP_1)
	v_lshrrev_b32_e32 v3, 16, v3
	global_store_b32 v[0:1], v3, off
	s_branch .LBB14_159
.LBB14_32:
	s_mov_b32 s21, -1
                                        ; implicit-def: $vgpr0
	s_branch .LBB14_55
.LBB14_33:
	s_mov_b32 s22, -1
	s_mov_b32 s17, 0
	s_mov_b32 s21, 0
                                        ; implicit-def: $vgpr4
	s_branch .LBB14_293
.LBB14_34:
	s_mov_b32 s21, -1
	s_mov_b32 s0, 0
	s_mov_b32 s22, 0
	s_branch .LBB14_228
.LBB14_35:
	s_mov_b32 s21, -1
                                        ; implicit-def: $vgpr0
	s_branch .LBB14_50
.LBB14_36:
	s_mov_b32 s22, -1
	s_mov_b32 s17, 0
	s_mov_b32 s21, 0
                                        ; implicit-def: $vgpr4
	s_branch .LBB14_276
.LBB14_37:
	s_mov_b32 s23, -1
	s_mov_b32 s0, 0
	s_mov_b32 s22, 0
	s_branch .LBB14_186
.LBB14_38:
	s_mov_b32 s21, -1
	s_branch .LBB14_42
.LBB14_39:
	s_mov_b32 s22, -1
	s_mov_b32 s17, 0
	s_mov_b32 s21, 0
                                        ; implicit-def: $vgpr4
	s_branch .LBB14_271
.LBB14_40:
	s_mov_b32 s23, -1
	s_mov_b32 s0, 0
	s_mov_b32 s22, 0
	s_branch .LBB14_169
.LBB14_41:
	s_mov_b32 s18, -1
.LBB14_42:
                                        ; implicit-def: $vgpr0
.LBB14_43:
	s_and_b32 vcc_lo, exec_lo, s21
	s_cbranch_vccz .LBB14_49
; %bb.44:
	s_cmp_eq_u32 s15, 44
	s_cbranch_scc0 .LBB14_48
; %bb.45:
	global_load_u8 v0, v[2:3], off
	s_mov_b32 s18, 0
	s_mov_b32 s17, -1
	s_wait_loadcnt 0x0
	v_lshlrev_b32_e32 v1, 23, v0
	v_cmp_ne_u32_e32 vcc_lo, 0, v0
	s_delay_alu instid0(VALU_DEP_2) | instskip(NEXT) | instid1(VALU_DEP_1)
	v_cvt_i32_f32_e32 v1, v1
	v_cndmask_b32_e32 v0, 0, v1, vcc_lo
	s_branch .LBB14_49
.LBB14_46:
	s_mov_b32 s22, -1
	s_mov_b32 s17, 0
	s_branch .LBB14_154
.LBB14_47:
	s_mov_b32 s23, -1
	s_mov_b32 s0, 0
	s_mov_b32 s22, 0
	s_branch .LBB14_165
.LBB14_48:
	s_mov_b32 s18, -1
                                        ; implicit-def: $vgpr0
.LBB14_49:
	s_mov_b32 s21, 0
.LBB14_50:
	s_delay_alu instid0(SALU_CYCLE_1)
	s_and_b32 vcc_lo, exec_lo, s21
	s_cbranch_vccz .LBB14_54
; %bb.51:
	s_cmp_eq_u32 s15, 29
	s_cbranch_scc0 .LBB14_53
; %bb.52:
	global_load_b64 v[0:1], v[2:3], off
	s_mov_b32 s17, -1
	s_mov_b32 s18, 0
	s_branch .LBB14_54
.LBB14_53:
	s_mov_b32 s18, -1
                                        ; implicit-def: $vgpr0
.LBB14_54:
	s_mov_b32 s21, 0
.LBB14_55:
	s_delay_alu instid0(SALU_CYCLE_1)
	s_and_b32 vcc_lo, exec_lo, s21
	s_cbranch_vccz .LBB14_71
; %bb.56:
	s_cmp_lt_i32 s15, 27
	s_cbranch_scc1 .LBB14_59
; %bb.57:
	s_cmp_gt_i32 s15, 27
	s_cbranch_scc0 .LBB14_60
; %bb.58:
	s_wait_loadcnt 0x0
	global_load_b32 v0, v[2:3], off
	s_mov_b32 s17, 0
	s_branch .LBB14_61
.LBB14_59:
	s_mov_b32 s17, -1
                                        ; implicit-def: $vgpr0
	s_branch .LBB14_64
.LBB14_60:
	s_mov_b32 s17, -1
                                        ; implicit-def: $vgpr0
.LBB14_61:
	s_delay_alu instid0(SALU_CYCLE_1)
	s_and_not1_b32 vcc_lo, exec_lo, s17
	s_cbranch_vccnz .LBB14_63
; %bb.62:
	s_wait_loadcnt 0x0
	global_load_u16 v0, v[2:3], off
.LBB14_63:
	s_mov_b32 s17, 0
.LBB14_64:
	s_delay_alu instid0(SALU_CYCLE_1)
	s_and_not1_b32 vcc_lo, exec_lo, s17
	s_cbranch_vccnz .LBB14_70
; %bb.65:
	s_wait_loadcnt 0x0
	global_load_u8 v1, v[2:3], off
	s_mov_b32 s21, 0
	s_mov_b32 s17, exec_lo
	s_wait_loadcnt 0x0
	v_cmpx_lt_i16_e32 0x7f, v1
	s_xor_b32 s17, exec_lo, s17
	s_cbranch_execz .LBB14_81
; %bb.66:
	v_cmp_ne_u16_e32 vcc_lo, 0x80, v1
	s_and_b32 s21, vcc_lo, exec_lo
	s_and_not1_saveexec_b32 s17, s17
	s_cbranch_execnz .LBB14_82
.LBB14_67:
	s_or_b32 exec_lo, exec_lo, s17
	v_mov_b32_e32 v0, 0
	s_and_saveexec_b32 s17, s21
	s_cbranch_execz .LBB14_69
.LBB14_68:
	v_and_b32_e32 v0, 0xffff, v1
	s_delay_alu instid0(VALU_DEP_1) | instskip(SKIP_1) | instid1(VALU_DEP_2)
	v_and_b32_e32 v4, 7, v0
	v_bfe_u32 v7, v0, 3, 4
	v_clz_i32_u32_e32 v5, v4
	s_delay_alu instid0(VALU_DEP_2) | instskip(NEXT) | instid1(VALU_DEP_2)
	v_cmp_eq_u32_e32 vcc_lo, 0, v7
	v_min_u32_e32 v5, 32, v5
	s_delay_alu instid0(VALU_DEP_1) | instskip(NEXT) | instid1(VALU_DEP_1)
	v_subrev_nc_u32_e32 v6, 28, v5
	v_dual_lshlrev_b32 v0, v6, v0 :: v_dual_sub_nc_u32 v5, 29, v5
	s_delay_alu instid0(VALU_DEP_1) | instskip(NEXT) | instid1(VALU_DEP_1)
	v_dual_lshlrev_b32 v1, 24, v1 :: v_dual_bitop2_b32 v0, 7, v0 bitop3:0x40
	v_dual_cndmask_b32 v0, v4, v0 :: v_dual_cndmask_b32 v5, v7, v5
	s_delay_alu instid0(VALU_DEP_2) | instskip(NEXT) | instid1(VALU_DEP_2)
	v_and_b32_e32 v1, 0x80000000, v1
	v_lshlrev_b32_e32 v0, 20, v0
	s_delay_alu instid0(VALU_DEP_3) | instskip(NEXT) | instid1(VALU_DEP_1)
	v_lshl_add_u32 v4, v5, 23, 0x3b800000
	v_or3_b32 v0, v1, v4, v0
	s_delay_alu instid0(VALU_DEP_1)
	v_cvt_i32_f32_e32 v0, v0
.LBB14_69:
	s_or_b32 exec_lo, exec_lo, s17
.LBB14_70:
	s_mov_b32 s17, -1
.LBB14_71:
	s_branch .LBB14_104
.LBB14_72:
	s_cmp_gt_i32 s15, 22
	s_cbranch_scc0 .LBB14_80
; %bb.73:
	s_cmp_lt_i32 s15, 24
	s_cbranch_scc1 .LBB14_83
; %bb.74:
	s_cmp_gt_i32 s15, 24
	s_cbranch_scc0 .LBB14_84
; %bb.75:
	s_wait_loadcnt 0x0
	global_load_u8 v1, v[2:3], off
	s_mov_b32 s21, 0
	s_mov_b32 s17, exec_lo
	s_wait_loadcnt 0x0
	v_cmpx_lt_i16_e32 0x7f, v1
	s_xor_b32 s17, exec_lo, s17
	s_cbranch_execz .LBB14_96
; %bb.76:
	v_cmp_ne_u16_e32 vcc_lo, 0x80, v1
	s_and_b32 s21, vcc_lo, exec_lo
	s_and_not1_saveexec_b32 s17, s17
	s_cbranch_execnz .LBB14_97
.LBB14_77:
	s_or_b32 exec_lo, exec_lo, s17
	v_mov_b32_e32 v0, 0
	s_and_saveexec_b32 s17, s21
	s_cbranch_execz .LBB14_79
.LBB14_78:
	v_and_b32_e32 v0, 0xffff, v1
	s_delay_alu instid0(VALU_DEP_1) | instskip(SKIP_1) | instid1(VALU_DEP_2)
	v_and_b32_e32 v4, 3, v0
	v_bfe_u32 v7, v0, 2, 5
	v_clz_i32_u32_e32 v5, v4
	s_delay_alu instid0(VALU_DEP_2) | instskip(NEXT) | instid1(VALU_DEP_2)
	v_cmp_eq_u32_e32 vcc_lo, 0, v7
	v_min_u32_e32 v5, 32, v5
	s_delay_alu instid0(VALU_DEP_1) | instskip(NEXT) | instid1(VALU_DEP_1)
	v_subrev_nc_u32_e32 v6, 29, v5
	v_dual_lshlrev_b32 v0, v6, v0 :: v_dual_sub_nc_u32 v5, 30, v5
	s_delay_alu instid0(VALU_DEP_1) | instskip(NEXT) | instid1(VALU_DEP_1)
	v_dual_lshlrev_b32 v1, 24, v1 :: v_dual_bitop2_b32 v0, 3, v0 bitop3:0x40
	v_dual_cndmask_b32 v0, v4, v0 :: v_dual_cndmask_b32 v5, v7, v5
	s_delay_alu instid0(VALU_DEP_2) | instskip(NEXT) | instid1(VALU_DEP_2)
	v_and_b32_e32 v1, 0x80000000, v1
	v_lshlrev_b32_e32 v0, 21, v0
	s_delay_alu instid0(VALU_DEP_3) | instskip(NEXT) | instid1(VALU_DEP_1)
	v_lshl_add_u32 v4, v5, 23, 0x37800000
	v_or3_b32 v0, v1, v4, v0
	s_delay_alu instid0(VALU_DEP_1)
	v_cvt_i32_f32_e32 v0, v0
.LBB14_79:
	s_or_b32 exec_lo, exec_lo, s17
	s_mov_b32 s17, 0
	s_branch .LBB14_85
.LBB14_80:
	s_mov_b32 s21, -1
                                        ; implicit-def: $vgpr0
	s_branch .LBB14_91
.LBB14_81:
	s_and_not1_saveexec_b32 s17, s17
	s_cbranch_execz .LBB14_67
.LBB14_82:
	v_cmp_ne_u16_e32 vcc_lo, 0, v1
	s_and_not1_b32 s21, s21, exec_lo
	s_and_b32 s22, vcc_lo, exec_lo
	s_delay_alu instid0(SALU_CYCLE_1)
	s_or_b32 s21, s21, s22
	s_or_b32 exec_lo, exec_lo, s17
	v_mov_b32_e32 v0, 0
	s_and_saveexec_b32 s17, s21
	s_cbranch_execnz .LBB14_68
	s_branch .LBB14_69
.LBB14_83:
	s_mov_b32 s17, -1
                                        ; implicit-def: $vgpr0
	s_branch .LBB14_88
.LBB14_84:
	s_mov_b32 s17, -1
                                        ; implicit-def: $vgpr0
.LBB14_85:
	s_delay_alu instid0(SALU_CYCLE_1)
	s_and_b32 vcc_lo, exec_lo, s17
	s_cbranch_vccz .LBB14_87
; %bb.86:
	s_wait_loadcnt 0x0
	global_load_u8 v0, v[2:3], off
	s_wait_loadcnt 0x0
	v_lshlrev_b32_e32 v0, 24, v0
	s_delay_alu instid0(VALU_DEP_1) | instskip(NEXT) | instid1(VALU_DEP_1)
	v_and_b32_e32 v1, 0x7f000000, v0
	v_clz_i32_u32_e32 v4, v1
	v_cmp_ne_u32_e32 vcc_lo, 0, v1
	v_add_nc_u32_e32 v6, 0x1000000, v1
	s_delay_alu instid0(VALU_DEP_3) | instskip(NEXT) | instid1(VALU_DEP_1)
	v_min_u32_e32 v4, 32, v4
	v_sub_nc_u32_e64 v4, v4, 4 clamp
	s_delay_alu instid0(VALU_DEP_1) | instskip(NEXT) | instid1(VALU_DEP_1)
	v_dual_lshlrev_b32 v5, v4, v1 :: v_dual_lshlrev_b32 v4, 23, v4
	v_lshrrev_b32_e32 v5, 4, v5
	s_delay_alu instid0(VALU_DEP_1) | instskip(NEXT) | instid1(VALU_DEP_1)
	v_dual_sub_nc_u32 v4, v5, v4 :: v_dual_ashrrev_i32 v5, 8, v6
	v_add_nc_u32_e32 v4, 0x3c000000, v4
	s_delay_alu instid0(VALU_DEP_1) | instskip(NEXT) | instid1(VALU_DEP_1)
	v_and_or_b32 v4, 0x7f800000, v5, v4
	v_cndmask_b32_e32 v1, 0, v4, vcc_lo
	s_delay_alu instid0(VALU_DEP_1) | instskip(NEXT) | instid1(VALU_DEP_1)
	v_and_or_b32 v0, 0x80000000, v0, v1
	v_cvt_i32_f32_e32 v0, v0
.LBB14_87:
	s_mov_b32 s17, 0
.LBB14_88:
	s_delay_alu instid0(SALU_CYCLE_1)
	s_and_not1_b32 vcc_lo, exec_lo, s17
	s_cbranch_vccnz .LBB14_90
; %bb.89:
	s_wait_loadcnt 0x0
	global_load_u8 v0, v[2:3], off
	s_wait_loadcnt 0x0
	v_lshlrev_b32_e32 v1, 25, v0
	v_lshlrev_b16 v0, 8, v0
	s_delay_alu instid0(VALU_DEP_1) | instskip(SKIP_1) | instid1(VALU_DEP_2)
	v_and_or_b32 v5, 0x7f00, v0, 0.5
	v_bfe_i32 v0, v0, 0, 16
	v_add_f32_e32 v5, -0.5, v5
	v_lshrrev_b32_e32 v4, 4, v1
	v_cmp_gt_u32_e32 vcc_lo, 0x8000000, v1
	s_delay_alu instid0(VALU_DEP_2) | instskip(NEXT) | instid1(VALU_DEP_1)
	v_or_b32_e32 v4, 0x70000000, v4
	v_mul_f32_e32 v4, 0x7800000, v4
	s_delay_alu instid0(VALU_DEP_1) | instskip(NEXT) | instid1(VALU_DEP_1)
	v_cndmask_b32_e32 v1, v4, v5, vcc_lo
	v_and_or_b32 v0, 0x80000000, v0, v1
	s_delay_alu instid0(VALU_DEP_1)
	v_cvt_i32_f32_e32 v0, v0
.LBB14_90:
	s_mov_b32 s21, 0
	s_mov_b32 s17, -1
.LBB14_91:
	s_and_not1_b32 vcc_lo, exec_lo, s21
	s_cbranch_vccnz .LBB14_104
; %bb.92:
	s_cmp_gt_i32 s15, 14
	s_cbranch_scc0 .LBB14_95
; %bb.93:
	s_cmp_eq_u32 s15, 15
	s_cbranch_scc0 .LBB14_98
; %bb.94:
	s_wait_loadcnt 0x0
	global_load_u16 v0, v[2:3], off
	s_mov_b32 s17, -1
	s_mov_b32 s18, 0
	s_wait_loadcnt 0x0
	v_lshlrev_b32_e32 v0, 16, v0
	s_delay_alu instid0(VALU_DEP_1)
	v_cvt_i32_f32_e32 v0, v0
	s_branch .LBB14_99
.LBB14_95:
	s_mov_b32 s21, -1
                                        ; implicit-def: $vgpr0
	s_branch .LBB14_100
.LBB14_96:
	s_and_not1_saveexec_b32 s17, s17
	s_cbranch_execz .LBB14_77
.LBB14_97:
	v_cmp_ne_u16_e32 vcc_lo, 0, v1
	s_and_not1_b32 s21, s21, exec_lo
	s_and_b32 s22, vcc_lo, exec_lo
	s_delay_alu instid0(SALU_CYCLE_1)
	s_or_b32 s21, s21, s22
	s_or_b32 exec_lo, exec_lo, s17
	v_mov_b32_e32 v0, 0
	s_and_saveexec_b32 s17, s21
	s_cbranch_execnz .LBB14_78
	s_branch .LBB14_79
.LBB14_98:
	s_mov_b32 s18, -1
                                        ; implicit-def: $vgpr0
.LBB14_99:
	s_mov_b32 s21, 0
.LBB14_100:
	s_delay_alu instid0(SALU_CYCLE_1)
	s_and_b32 vcc_lo, exec_lo, s21
	s_cbranch_vccz .LBB14_104
; %bb.101:
	s_cmp_eq_u32 s15, 11
	s_cbranch_scc0 .LBB14_103
; %bb.102:
	s_wait_loadcnt 0x0
	global_load_u8 v0, v[2:3], off
	s_mov_b32 s18, 0
	s_mov_b32 s17, -1
	s_wait_loadcnt 0x0
	v_cmp_ne_u16_e32 vcc_lo, 0, v0
	v_cndmask_b32_e64 v0, 0, 1, vcc_lo
	s_branch .LBB14_104
.LBB14_103:
	s_mov_b32 s18, -1
                                        ; implicit-def: $vgpr0
.LBB14_104:
	s_branch .LBB14_10
.LBB14_105:
	s_and_b32 s0, 0xffff, s0
	s_delay_alu instid0(SALU_CYCLE_1)
	s_cmp_lt_i32 s0, 5
	s_cbranch_scc1 .LBB14_110
; %bb.106:
	s_cmp_lt_i32 s0, 8
	s_cbranch_scc1 .LBB14_111
; %bb.107:
	s_cmp_lt_i32 s0, 9
	s_cbranch_scc1 .LBB14_112
; %bb.108:
	s_cmp_gt_i32 s0, 9
	s_cbranch_scc0 .LBB14_113
; %bb.109:
	s_wait_loadcnt 0x0
	global_load_b64 v[0:1], v[2:3], off
	s_mov_b32 s15, 0
	s_wait_loadcnt 0x0
	v_cvt_i32_f64_e32 v0, v[0:1]
	s_branch .LBB14_114
.LBB14_110:
                                        ; implicit-def: $vgpr0
	s_branch .LBB14_132
.LBB14_111:
	s_mov_b32 s15, -1
                                        ; implicit-def: $vgpr0
	s_branch .LBB14_120
.LBB14_112:
	s_mov_b32 s15, -1
                                        ; implicit-def: $vgpr0
	s_branch .LBB14_117
.LBB14_113:
	s_mov_b32 s15, -1
                                        ; implicit-def: $vgpr0
.LBB14_114:
	s_delay_alu instid0(SALU_CYCLE_1)
	s_and_not1_b32 vcc_lo, exec_lo, s15
	s_cbranch_vccnz .LBB14_116
; %bb.115:
	s_wait_loadcnt 0x0
	global_load_b32 v0, v[2:3], off
	s_wait_loadcnt 0x0
	v_cvt_i32_f32_e32 v0, v0
.LBB14_116:
	s_mov_b32 s15, 0
.LBB14_117:
	s_delay_alu instid0(SALU_CYCLE_1)
	s_and_not1_b32 vcc_lo, exec_lo, s15
	s_cbranch_vccnz .LBB14_119
; %bb.118:
	s_wait_loadcnt 0x0
	global_load_b32 v0, v[2:3], off
	s_wait_loadcnt 0x0
	v_cvt_i16_f16_e32 v0, v0
.LBB14_119:
	s_mov_b32 s15, 0
.LBB14_120:
	s_delay_alu instid0(SALU_CYCLE_1)
	s_and_not1_b32 vcc_lo, exec_lo, s15
	s_cbranch_vccnz .LBB14_131
; %bb.121:
	s_cmp_lt_i32 s0, 6
	s_cbranch_scc1 .LBB14_124
; %bb.122:
	s_cmp_gt_i32 s0, 6
	s_cbranch_scc0 .LBB14_125
; %bb.123:
	s_wait_loadcnt 0x0
	global_load_b64 v[0:1], v[2:3], off
	s_mov_b32 s15, 0
	s_wait_loadcnt 0x0
	v_cvt_i32_f64_e32 v0, v[0:1]
	s_branch .LBB14_126
.LBB14_124:
	s_mov_b32 s15, -1
                                        ; implicit-def: $vgpr0
	s_branch .LBB14_129
.LBB14_125:
	s_mov_b32 s15, -1
                                        ; implicit-def: $vgpr0
.LBB14_126:
	s_delay_alu instid0(SALU_CYCLE_1)
	s_and_not1_b32 vcc_lo, exec_lo, s15
	s_cbranch_vccnz .LBB14_128
; %bb.127:
	s_wait_loadcnt 0x0
	global_load_b32 v0, v[2:3], off
	s_wait_loadcnt 0x0
	v_cvt_i32_f32_e32 v0, v0
.LBB14_128:
	s_mov_b32 s15, 0
.LBB14_129:
	s_delay_alu instid0(SALU_CYCLE_1)
	s_and_not1_b32 vcc_lo, exec_lo, s15
	s_cbranch_vccnz .LBB14_131
; %bb.130:
	s_wait_loadcnt 0x0
	global_load_u16 v0, v[2:3], off
	s_wait_loadcnt 0x0
	v_cvt_i16_f16_e32 v0, v0
.LBB14_131:
	s_cbranch_execnz .LBB14_151
.LBB14_132:
	s_cmp_lt_i32 s0, 2
	s_cbranch_scc1 .LBB14_136
; %bb.133:
	s_cmp_lt_i32 s0, 3
	s_cbranch_scc1 .LBB14_137
; %bb.134:
	s_cmp_gt_i32 s0, 3
	s_cbranch_scc0 .LBB14_138
; %bb.135:
	s_wait_loadcnt 0x0
	global_load_b64 v[0:1], v[2:3], off
	s_mov_b32 s15, 0
	s_branch .LBB14_139
.LBB14_136:
	s_mov_b32 s15, -1
                                        ; implicit-def: $vgpr0
	s_branch .LBB14_145
.LBB14_137:
	s_mov_b32 s15, -1
                                        ; implicit-def: $vgpr0
	s_branch .LBB14_142
.LBB14_138:
	s_mov_b32 s15, -1
                                        ; implicit-def: $vgpr0
.LBB14_139:
	s_delay_alu instid0(SALU_CYCLE_1)
	s_and_not1_b32 vcc_lo, exec_lo, s15
	s_cbranch_vccnz .LBB14_141
; %bb.140:
	s_wait_loadcnt 0x0
	global_load_b32 v0, v[2:3], off
.LBB14_141:
	s_mov_b32 s15, 0
.LBB14_142:
	s_delay_alu instid0(SALU_CYCLE_1)
	s_and_not1_b32 vcc_lo, exec_lo, s15
	s_cbranch_vccnz .LBB14_144
; %bb.143:
	s_wait_loadcnt 0x0
	global_load_u16 v0, v[2:3], off
.LBB14_144:
	s_mov_b32 s15, 0
.LBB14_145:
	s_delay_alu instid0(SALU_CYCLE_1)
	s_and_not1_b32 vcc_lo, exec_lo, s15
	s_cbranch_vccnz .LBB14_151
; %bb.146:
	s_cmp_gt_i32 s0, 0
	s_mov_b32 s0, 0
	s_cbranch_scc0 .LBB14_148
; %bb.147:
	s_wait_loadcnt 0x0
	global_load_u8 v0, v[2:3], off
	s_branch .LBB14_149
.LBB14_148:
	s_mov_b32 s0, -1
                                        ; implicit-def: $vgpr0
.LBB14_149:
	s_delay_alu instid0(SALU_CYCLE_1)
	s_and_not1_b32 vcc_lo, exec_lo, s0
	s_cbranch_vccnz .LBB14_151
; %bb.150:
	s_wait_loadcnt 0x0
	global_load_u8 v0, v[2:3], off
.LBB14_151:
	s_branch .LBB14_11
.LBB14_152:
	s_mov_b32 s0, 0
	s_mov_b32 s17, 0
	s_branch .LBB14_376
.LBB14_153:
	s_mov_b32 s17, -1
.LBB14_154:
	s_mov_b32 s21, 0
                                        ; implicit-def: $vgpr4
.LBB14_155:
	s_and_b32 vcc_lo, exec_lo, s22
	s_cbranch_vccz .LBB14_270
; %bb.156:
	s_cmp_eq_u32 s15, 44
	s_cbranch_scc0 .LBB14_269
; %bb.157:
	s_wait_loadcnt 0x0
	global_load_u8 v1, v[2:3], off
	s_mov_b32 s17, 0
	s_mov_b32 s21, -1
	s_wait_loadcnt 0x0
	v_lshlrev_b32_e32 v4, 23, v1
	v_cmp_ne_u32_e32 vcc_lo, 0, v1
	s_delay_alu instid0(VALU_DEP_2) | instskip(NEXT) | instid1(VALU_DEP_1)
	v_cvt_i32_f32_e32 v4, v4
	v_cndmask_b32_e32 v4, 0, v4, vcc_lo
	s_branch .LBB14_270
.LBB14_158:
	s_mov_b32 s23, -1
	s_mov_b32 s0, 0
	s_mov_b32 s22, 0
.LBB14_159:
	s_and_b32 vcc_lo, exec_lo, s23
	s_cbranch_vccz .LBB14_164
; %bb.160:
	s_cmp_eq_u32 s21, 44
	s_mov_b32 s0, -1
	s_cbranch_scc0 .LBB14_164
; %bb.161:
	s_wait_xcnt 0x0
	v_bfe_i32 v3, v2, 0, 8
	v_mov_b32_e32 v4, 0xff
	s_mov_b32 s22, exec_lo
	s_delay_alu instid0(VALU_DEP_2) | instskip(NEXT) | instid1(VALU_DEP_1)
	v_bfe_i32 v3, v3, 0, 16
	v_cvt_f32_i32_e32 v3, v3
	s_delay_alu instid0(VALU_DEP_1) | instskip(NEXT) | instid1(VALU_DEP_1)
	v_bfe_u32 v5, v3, 23, 8
	v_cmpx_ne_u32_e32 0xff, v5
	s_cbranch_execz .LBB14_163
; %bb.162:
	v_and_b32_e32 v4, 0x400000, v3
	v_and_or_b32 v5, 0x3fffff, v3, v5
	v_lshrrev_b32_e32 v3, 23, v3
	s_delay_alu instid0(VALU_DEP_3) | instskip(NEXT) | instid1(VALU_DEP_3)
	v_cmp_ne_u32_e32 vcc_lo, 0, v4
	v_cmp_ne_u32_e64 s0, 0, v5
	s_and_b32 s0, vcc_lo, s0
	s_delay_alu instid0(SALU_CYCLE_1) | instskip(NEXT) | instid1(VALU_DEP_1)
	v_cndmask_b32_e64 v4, 0, 1, s0
	v_add_nc_u32_e32 v4, v3, v4
.LBB14_163:
	s_or_b32 exec_lo, exec_lo, s22
	s_mov_b32 s22, -1
	s_mov_b32 s0, 0
	global_store_b8 v[0:1], v4, off
.LBB14_164:
	s_mov_b32 s23, 0
.LBB14_165:
	s_delay_alu instid0(SALU_CYCLE_1)
	s_and_b32 vcc_lo, exec_lo, s23
	s_cbranch_vccz .LBB14_168
; %bb.166:
	s_cmp_eq_u32 s21, 29
	s_mov_b32 s0, -1
	s_cbranch_scc0 .LBB14_168
; %bb.167:
	s_wait_xcnt 0x0
	v_bfe_i32 v4, v2, 0, 8
	s_mov_b32 s22, -1
	s_mov_b32 s0, 0
	s_mov_b32 s23, 0
	s_delay_alu instid0(VALU_DEP_1)
	v_ashrrev_i32_e32 v5, 31, v4
	global_store_b64 v[0:1], v[4:5], off
	s_branch .LBB14_169
.LBB14_168:
	s_mov_b32 s23, 0
.LBB14_169:
	s_delay_alu instid0(SALU_CYCLE_1)
	s_and_b32 vcc_lo, exec_lo, s23
	s_cbranch_vccz .LBB14_185
; %bb.170:
	s_cmp_lt_i32 s21, 27
	s_mov_b32 s22, -1
	s_cbranch_scc1 .LBB14_176
; %bb.171:
	s_cmp_gt_i32 s21, 27
	s_cbranch_scc0 .LBB14_173
; %bb.172:
	s_wait_xcnt 0x0
	v_bfe_i32 v3, v2, 0, 8
	s_mov_b32 s22, 0
	global_store_b32 v[0:1], v3, off
.LBB14_173:
	s_and_not1_b32 vcc_lo, exec_lo, s22
	s_cbranch_vccnz .LBB14_175
; %bb.174:
	s_wait_xcnt 0x0
	v_bfe_i32 v3, v2, 0, 8
	global_store_b16 v[0:1], v3, off
.LBB14_175:
	s_mov_b32 s22, 0
.LBB14_176:
	s_delay_alu instid0(SALU_CYCLE_1)
	s_and_not1_b32 vcc_lo, exec_lo, s22
	s_cbranch_vccnz .LBB14_184
; %bb.177:
	s_wait_xcnt 0x0
	v_bfe_i32 v3, v2, 0, 8
	v_mov_b32_e32 v5, 0x80
	s_mov_b32 s22, exec_lo
	s_delay_alu instid0(VALU_DEP_2) | instskip(NEXT) | instid1(VALU_DEP_1)
	v_bfe_i32 v3, v3, 0, 16
	v_cvt_f32_i32_e32 v3, v3
	s_delay_alu instid0(VALU_DEP_1) | instskip(NEXT) | instid1(VALU_DEP_1)
	v_and_b32_e32 v4, 0x7fffffff, v3
	v_cmpx_gt_u32_e32 0x43800000, v4
	s_cbranch_execz .LBB14_183
; %bb.178:
	v_cmp_lt_u32_e32 vcc_lo, 0x3bffffff, v4
	s_mov_b32 s23, 0
                                        ; implicit-def: $vgpr4
	s_and_saveexec_b32 s24, vcc_lo
	s_delay_alu instid0(SALU_CYCLE_1)
	s_xor_b32 s24, exec_lo, s24
	s_cbranch_execz .LBB14_407
; %bb.179:
	v_bfe_u32 v4, v3, 20, 1
	s_mov_b32 s23, exec_lo
	s_delay_alu instid0(VALU_DEP_1) | instskip(NEXT) | instid1(VALU_DEP_1)
	v_add3_u32 v4, v3, v4, 0x487ffff
	v_lshrrev_b32_e32 v4, 20, v4
	s_and_not1_saveexec_b32 s24, s24
	s_cbranch_execnz .LBB14_408
.LBB14_180:
	s_or_b32 exec_lo, exec_lo, s24
	v_mov_b32_e32 v5, 0
	s_and_saveexec_b32 s24, s23
.LBB14_181:
	v_lshrrev_b32_e32 v3, 24, v3
	s_delay_alu instid0(VALU_DEP_1)
	v_and_or_b32 v5, 0x80, v3, v4
.LBB14_182:
	s_or_b32 exec_lo, exec_lo, s24
.LBB14_183:
	s_delay_alu instid0(SALU_CYCLE_1)
	s_or_b32 exec_lo, exec_lo, s22
	global_store_b8 v[0:1], v5, off
.LBB14_184:
	s_mov_b32 s22, -1
.LBB14_185:
	s_mov_b32 s23, 0
.LBB14_186:
	s_delay_alu instid0(SALU_CYCLE_1)
	s_and_b32 vcc_lo, exec_lo, s23
	s_cbranch_vccz .LBB14_227
; %bb.187:
	s_cmp_gt_i32 s21, 22
	s_mov_b32 s23, -1
	s_cbranch_scc0 .LBB14_219
; %bb.188:
	s_cmp_lt_i32 s21, 24
	s_mov_b32 s22, -1
	s_cbranch_scc1 .LBB14_208
; %bb.189:
	s_cmp_gt_i32 s21, 24
	s_cbranch_scc0 .LBB14_197
; %bb.190:
	s_wait_xcnt 0x0
	v_bfe_i32 v3, v2, 0, 8
	v_mov_b32_e32 v5, 0x80
	s_mov_b32 s22, exec_lo
	s_delay_alu instid0(VALU_DEP_2) | instskip(NEXT) | instid1(VALU_DEP_1)
	v_bfe_i32 v3, v3, 0, 16
	v_cvt_f32_i32_e32 v3, v3
	s_delay_alu instid0(VALU_DEP_1) | instskip(NEXT) | instid1(VALU_DEP_1)
	v_and_b32_e32 v4, 0x7fffffff, v3
	v_cmpx_gt_u32_e32 0x47800000, v4
	s_cbranch_execz .LBB14_196
; %bb.191:
	v_cmp_lt_u32_e32 vcc_lo, 0x37ffffff, v4
	s_mov_b32 s23, 0
                                        ; implicit-def: $vgpr4
	s_and_saveexec_b32 s24, vcc_lo
	s_delay_alu instid0(SALU_CYCLE_1)
	s_xor_b32 s24, exec_lo, s24
	s_cbranch_execz .LBB14_522
; %bb.192:
	v_bfe_u32 v4, v3, 21, 1
	s_mov_b32 s23, exec_lo
	s_delay_alu instid0(VALU_DEP_1) | instskip(NEXT) | instid1(VALU_DEP_1)
	v_add3_u32 v4, v3, v4, 0x88fffff
	v_lshrrev_b32_e32 v4, 21, v4
	s_and_not1_saveexec_b32 s24, s24
	s_cbranch_execnz .LBB14_523
.LBB14_193:
	s_or_b32 exec_lo, exec_lo, s24
	v_mov_b32_e32 v5, 0
	s_and_saveexec_b32 s24, s23
.LBB14_194:
	v_lshrrev_b32_e32 v3, 24, v3
	s_delay_alu instid0(VALU_DEP_1)
	v_and_or_b32 v5, 0x80, v3, v4
.LBB14_195:
	s_or_b32 exec_lo, exec_lo, s24
.LBB14_196:
	s_delay_alu instid0(SALU_CYCLE_1)
	s_or_b32 exec_lo, exec_lo, s22
	s_mov_b32 s22, 0
	global_store_b8 v[0:1], v5, off
.LBB14_197:
	s_and_b32 vcc_lo, exec_lo, s22
	s_cbranch_vccz .LBB14_207
; %bb.198:
	s_wait_xcnt 0x0
	v_bfe_i32 v3, v2, 0, 8
	s_mov_b32 s22, exec_lo
                                        ; implicit-def: $vgpr4
	s_delay_alu instid0(VALU_DEP_1) | instskip(NEXT) | instid1(VALU_DEP_1)
	v_bfe_i32 v3, v3, 0, 16
	v_cvt_f32_i32_e32 v3, v3
	s_delay_alu instid0(VALU_DEP_1) | instskip(NEXT) | instid1(VALU_DEP_1)
	v_and_b32_e32 v5, 0x7fffffff, v3
	v_cmpx_gt_u32_e32 0x43f00000, v5
	s_xor_b32 s22, exec_lo, s22
	s_cbranch_execz .LBB14_204
; %bb.199:
	s_mov_b32 s23, exec_lo
                                        ; implicit-def: $vgpr4
	v_cmpx_lt_u32_e32 0x3c7fffff, v5
	s_xor_b32 s23, exec_lo, s23
; %bb.200:
	v_bfe_u32 v4, v3, 20, 1
	s_delay_alu instid0(VALU_DEP_1) | instskip(NEXT) | instid1(VALU_DEP_1)
	v_add3_u32 v4, v3, v4, 0x407ffff
	v_and_b32_e32 v5, 0xff00000, v4
	v_lshrrev_b32_e32 v4, 20, v4
	s_delay_alu instid0(VALU_DEP_2) | instskip(NEXT) | instid1(VALU_DEP_2)
	v_cmp_ne_u32_e32 vcc_lo, 0x7f00000, v5
	v_cndmask_b32_e32 v4, 0x7e, v4, vcc_lo
; %bb.201:
	s_and_not1_saveexec_b32 s23, s23
; %bb.202:
	v_add_f32_e64 v4, 0x46800000, |v3|
; %bb.203:
	s_or_b32 exec_lo, exec_lo, s23
                                        ; implicit-def: $vgpr5
.LBB14_204:
	s_and_not1_saveexec_b32 s22, s22
; %bb.205:
	v_mov_b32_e32 v4, 0x7f
	v_cmp_lt_u32_e32 vcc_lo, 0x7f800000, v5
	s_delay_alu instid0(VALU_DEP_2)
	v_cndmask_b32_e32 v4, 0x7e, v4, vcc_lo
; %bb.206:
	s_or_b32 exec_lo, exec_lo, s22
	v_lshrrev_b32_e32 v3, 24, v3
	s_delay_alu instid0(VALU_DEP_1)
	v_and_or_b32 v3, 0x80, v3, v4
	global_store_b8 v[0:1], v3, off
.LBB14_207:
	s_mov_b32 s22, 0
.LBB14_208:
	s_delay_alu instid0(SALU_CYCLE_1)
	s_and_not1_b32 vcc_lo, exec_lo, s22
	s_cbranch_vccnz .LBB14_218
; %bb.209:
	s_wait_xcnt 0x0
	v_bfe_i32 v3, v2, 0, 8
	s_mov_b32 s22, exec_lo
                                        ; implicit-def: $vgpr4
	s_delay_alu instid0(VALU_DEP_1) | instskip(NEXT) | instid1(VALU_DEP_1)
	v_bfe_i32 v3, v3, 0, 16
	v_cvt_f32_i32_e32 v3, v3
	s_delay_alu instid0(VALU_DEP_1) | instskip(NEXT) | instid1(VALU_DEP_1)
	v_and_b32_e32 v5, 0x7fffffff, v3
	v_cmpx_gt_u32_e32 0x47800000, v5
	s_xor_b32 s22, exec_lo, s22
	s_cbranch_execz .LBB14_215
; %bb.210:
	s_mov_b32 s23, exec_lo
                                        ; implicit-def: $vgpr4
	v_cmpx_lt_u32_e32 0x387fffff, v5
	s_xor_b32 s23, exec_lo, s23
; %bb.211:
	v_bfe_u32 v4, v3, 21, 1
	s_delay_alu instid0(VALU_DEP_1) | instskip(NEXT) | instid1(VALU_DEP_1)
	v_add3_u32 v4, v3, v4, 0x80fffff
	v_lshrrev_b32_e32 v4, 21, v4
; %bb.212:
	s_and_not1_saveexec_b32 s23, s23
; %bb.213:
	v_add_f32_e64 v4, 0x43000000, |v3|
; %bb.214:
	s_or_b32 exec_lo, exec_lo, s23
                                        ; implicit-def: $vgpr5
.LBB14_215:
	s_and_not1_saveexec_b32 s22, s22
; %bb.216:
	v_mov_b32_e32 v4, 0x7f
	v_cmp_lt_u32_e32 vcc_lo, 0x7f800000, v5
	s_delay_alu instid0(VALU_DEP_2)
	v_cndmask_b32_e32 v4, 0x7c, v4, vcc_lo
; %bb.217:
	s_or_b32 exec_lo, exec_lo, s22
	v_lshrrev_b32_e32 v3, 24, v3
	s_delay_alu instid0(VALU_DEP_1)
	v_and_or_b32 v3, 0x80, v3, v4
	global_store_b8 v[0:1], v3, off
.LBB14_218:
	s_mov_b32 s23, 0
	s_mov_b32 s22, -1
.LBB14_219:
	s_and_not1_b32 vcc_lo, exec_lo, s23
	s_cbranch_vccnz .LBB14_227
; %bb.220:
	s_cmp_gt_i32 s21, 14
	s_mov_b32 s23, -1
	s_cbranch_scc0 .LBB14_224
; %bb.221:
	s_cmp_eq_u32 s21, 15
	s_mov_b32 s0, -1
	s_cbranch_scc0 .LBB14_223
; %bb.222:
	s_wait_xcnt 0x0
	v_bfe_i32 v3, v2, 0, 8
	s_mov_b32 s22, -1
	s_mov_b32 s0, 0
	s_delay_alu instid0(VALU_DEP_1) | instskip(NEXT) | instid1(VALU_DEP_1)
	v_bfe_i32 v3, v3, 0, 16
	v_cvt_f32_i32_e32 v3, v3
	s_delay_alu instid0(VALU_DEP_1) | instskip(NEXT) | instid1(VALU_DEP_1)
	v_bfe_u32 v4, v3, 16, 1
	v_add3_u32 v3, v3, v4, 0x7fff
	global_store_d16_hi_b16 v[0:1], v3, off
.LBB14_223:
	s_mov_b32 s23, 0
.LBB14_224:
	s_delay_alu instid0(SALU_CYCLE_1)
	s_and_b32 vcc_lo, exec_lo, s23
	s_cbranch_vccz .LBB14_227
; %bb.225:
	s_cmp_eq_u32 s21, 11
	s_mov_b32 s0, -1
	s_cbranch_scc0 .LBB14_227
; %bb.226:
	s_wait_xcnt 0x0
	v_and_b32_e32 v3, 0xff, v2
	s_mov_b32 s0, 0
	s_mov_b32 s22, -1
	s_delay_alu instid0(VALU_DEP_1)
	v_cmp_ne_u16_e32 vcc_lo, 0, v3
	v_cndmask_b32_e64 v3, 0, 1, vcc_lo
	global_store_b8 v[0:1], v3, off
.LBB14_227:
	s_mov_b32 s21, 0
.LBB14_228:
	s_delay_alu instid0(SALU_CYCLE_1)
	s_and_b32 vcc_lo, exec_lo, s21
	s_cbranch_vccz .LBB14_267
; %bb.229:
	s_and_b32 s15, 0xffff, s15
	s_mov_b32 s21, -1
	s_cmp_lt_i32 s15, 5
	s_cbranch_scc1 .LBB14_250
; %bb.230:
	s_cmp_lt_i32 s15, 8
	s_cbranch_scc1 .LBB14_240
; %bb.231:
	;; [unrolled: 3-line block ×3, first 2 shown]
	s_cmp_gt_i32 s15, 9
	s_cbranch_scc0 .LBB14_234
; %bb.233:
	s_wait_xcnt 0x0
	v_bfe_i32 v3, v2, 0, 8
	v_mov_b32_e32 v6, 0
	s_mov_b32 s21, 0
	s_delay_alu instid0(VALU_DEP_2) | instskip(NEXT) | instid1(VALU_DEP_2)
	v_bfe_i32 v3, v3, 0, 16
	v_mov_b32_e32 v7, v6
	s_delay_alu instid0(VALU_DEP_2)
	v_cvt_f64_i32_e32 v[4:5], v3
	global_store_b128 v[0:1], v[4:7], off
.LBB14_234:
	s_and_not1_b32 vcc_lo, exec_lo, s21
	s_cbranch_vccnz .LBB14_236
; %bb.235:
	s_wait_xcnt 0x0
	v_bfe_i32 v3, v2, 0, 8
	v_mov_b32_e32 v5, 0
	s_delay_alu instid0(VALU_DEP_2) | instskip(NEXT) | instid1(VALU_DEP_1)
	v_bfe_i32 v3, v3, 0, 16
	v_cvt_f32_i32_e32 v4, v3
	global_store_b64 v[0:1], v[4:5], off
.LBB14_236:
	s_mov_b32 s21, 0
.LBB14_237:
	s_delay_alu instid0(SALU_CYCLE_1)
	s_and_not1_b32 vcc_lo, exec_lo, s21
	s_cbranch_vccnz .LBB14_239
; %bb.238:
	s_wait_xcnt 0x0
	v_bfe_i32 v3, v2, 0, 8
	s_delay_alu instid0(VALU_DEP_1) | instskip(NEXT) | instid1(VALU_DEP_1)
	v_cvt_f16_i16_e32 v3, v3
	v_and_b32_e32 v3, 0xffff, v3
	global_store_b32 v[0:1], v3, off
.LBB14_239:
	s_mov_b32 s21, 0
.LBB14_240:
	s_delay_alu instid0(SALU_CYCLE_1)
	s_and_not1_b32 vcc_lo, exec_lo, s21
	s_cbranch_vccnz .LBB14_249
; %bb.241:
	s_cmp_lt_i32 s15, 6
	s_mov_b32 s21, -1
	s_cbranch_scc1 .LBB14_247
; %bb.242:
	s_cmp_gt_i32 s15, 6
	s_cbranch_scc0 .LBB14_244
; %bb.243:
	s_wait_xcnt 0x0
	v_bfe_i32 v3, v2, 0, 8
	s_mov_b32 s21, 0
	s_delay_alu instid0(VALU_DEP_1) | instskip(NEXT) | instid1(VALU_DEP_1)
	v_bfe_i32 v3, v3, 0, 16
	v_cvt_f64_i32_e32 v[4:5], v3
	global_store_b64 v[0:1], v[4:5], off
.LBB14_244:
	s_and_not1_b32 vcc_lo, exec_lo, s21
	s_cbranch_vccnz .LBB14_246
; %bb.245:
	s_wait_xcnt 0x0
	v_bfe_i32 v3, v2, 0, 8
	s_delay_alu instid0(VALU_DEP_1) | instskip(NEXT) | instid1(VALU_DEP_1)
	v_bfe_i32 v3, v3, 0, 16
	v_cvt_f32_i32_e32 v3, v3
	global_store_b32 v[0:1], v3, off
.LBB14_246:
	s_mov_b32 s21, 0
.LBB14_247:
	s_delay_alu instid0(SALU_CYCLE_1)
	s_and_not1_b32 vcc_lo, exec_lo, s21
	s_cbranch_vccnz .LBB14_249
; %bb.248:
	s_wait_xcnt 0x0
	v_bfe_i32 v3, v2, 0, 8
	s_delay_alu instid0(VALU_DEP_1)
	v_cvt_f16_i16_e32 v3, v3
	global_store_b16 v[0:1], v3, off
.LBB14_249:
	s_mov_b32 s21, 0
.LBB14_250:
	s_delay_alu instid0(SALU_CYCLE_1)
	s_and_not1_b32 vcc_lo, exec_lo, s21
	s_cbranch_vccnz .LBB14_266
; %bb.251:
	s_cmp_lt_i32 s15, 2
	s_mov_b32 s21, -1
	s_cbranch_scc1 .LBB14_261
; %bb.252:
	s_cmp_lt_i32 s15, 3
	s_cbranch_scc1 .LBB14_258
; %bb.253:
	s_cmp_gt_i32 s15, 3
	s_cbranch_scc0 .LBB14_255
; %bb.254:
	s_wait_xcnt 0x0
	v_bfe_i32 v4, v2, 0, 8
	s_mov_b32 s21, 0
	s_delay_alu instid0(VALU_DEP_1)
	v_ashrrev_i32_e32 v5, 31, v4
	global_store_b64 v[0:1], v[4:5], off
.LBB14_255:
	s_and_not1_b32 vcc_lo, exec_lo, s21
	s_cbranch_vccnz .LBB14_257
; %bb.256:
	s_wait_xcnt 0x0
	v_bfe_i32 v3, v2, 0, 8
	global_store_b32 v[0:1], v3, off
.LBB14_257:
	s_mov_b32 s21, 0
.LBB14_258:
	s_delay_alu instid0(SALU_CYCLE_1)
	s_and_not1_b32 vcc_lo, exec_lo, s21
	s_cbranch_vccnz .LBB14_260
; %bb.259:
	s_wait_xcnt 0x0
	v_bfe_i32 v3, v2, 0, 8
	global_store_b16 v[0:1], v3, off
.LBB14_260:
	s_mov_b32 s21, 0
.LBB14_261:
	s_delay_alu instid0(SALU_CYCLE_1)
	s_and_not1_b32 vcc_lo, exec_lo, s21
	s_cbranch_vccnz .LBB14_266
; %bb.262:
	s_cmp_gt_i32 s15, 0
	s_mov_b32 s15, -1
	s_cbranch_scc0 .LBB14_264
; %bb.263:
	s_mov_b32 s15, 0
	global_store_b8 v[0:1], v2, off
.LBB14_264:
	s_and_not1_b32 vcc_lo, exec_lo, s15
	s_cbranch_vccnz .LBB14_266
; %bb.265:
	global_store_b8 v[0:1], v2, off
.LBB14_266:
	s_mov_b32 s22, -1
.LBB14_267:
	s_delay_alu instid0(SALU_CYCLE_1)
	s_and_not1_b32 vcc_lo, exec_lo, s22
	s_cbranch_vccnz .LBB14_376
; %bb.268:
	v_add_nc_u32_e32 v10, 0x80, v10
	s_mov_b32 s21, -1
	s_branch .LBB14_377
.LBB14_269:
	s_mov_b32 s17, -1
                                        ; implicit-def: $vgpr4
.LBB14_270:
	s_mov_b32 s22, 0
.LBB14_271:
	s_delay_alu instid0(SALU_CYCLE_1)
	s_and_b32 vcc_lo, exec_lo, s22
	s_cbranch_vccz .LBB14_275
; %bb.272:
	s_cmp_eq_u32 s15, 29
	s_cbranch_scc0 .LBB14_274
; %bb.273:
	global_load_b64 v[4:5], v[2:3], off
	s_mov_b32 s21, -1
	s_mov_b32 s17, 0
	s_branch .LBB14_275
.LBB14_274:
	s_mov_b32 s17, -1
                                        ; implicit-def: $vgpr4
.LBB14_275:
	s_mov_b32 s22, 0
.LBB14_276:
	s_delay_alu instid0(SALU_CYCLE_1)
	s_and_b32 vcc_lo, exec_lo, s22
	s_cbranch_vccz .LBB14_292
; %bb.277:
	s_cmp_lt_i32 s15, 27
	s_cbranch_scc1 .LBB14_280
; %bb.278:
	s_cmp_gt_i32 s15, 27
	s_cbranch_scc0 .LBB14_281
; %bb.279:
	s_wait_loadcnt 0x0
	global_load_b32 v4, v[2:3], off
	s_mov_b32 s21, 0
	s_branch .LBB14_282
.LBB14_280:
	s_mov_b32 s21, -1
                                        ; implicit-def: $vgpr4
	s_branch .LBB14_285
.LBB14_281:
	s_mov_b32 s21, -1
                                        ; implicit-def: $vgpr4
.LBB14_282:
	s_delay_alu instid0(SALU_CYCLE_1)
	s_and_not1_b32 vcc_lo, exec_lo, s21
	s_cbranch_vccnz .LBB14_284
; %bb.283:
	s_wait_loadcnt 0x0
	global_load_u16 v4, v[2:3], off
.LBB14_284:
	s_mov_b32 s21, 0
.LBB14_285:
	s_delay_alu instid0(SALU_CYCLE_1)
	s_and_not1_b32 vcc_lo, exec_lo, s21
	s_cbranch_vccnz .LBB14_291
; %bb.286:
	s_wait_loadcnt 0x0
	global_load_u8 v1, v[2:3], off
	s_mov_b32 s22, 0
	s_mov_b32 s21, exec_lo
	s_wait_loadcnt 0x0
	v_cmpx_lt_i16_e32 0x7f, v1
	s_xor_b32 s21, exec_lo, s21
	s_cbranch_execz .LBB14_303
; %bb.287:
	v_cmp_ne_u16_e32 vcc_lo, 0x80, v1
	s_and_b32 s22, vcc_lo, exec_lo
	s_and_not1_saveexec_b32 s21, s21
	s_cbranch_execnz .LBB14_304
.LBB14_288:
	s_or_b32 exec_lo, exec_lo, s21
	v_mov_b32_e32 v4, 0
	s_and_saveexec_b32 s21, s22
	s_cbranch_execz .LBB14_290
.LBB14_289:
	v_and_b32_e32 v4, 0xffff, v1
	s_delay_alu instid0(VALU_DEP_1) | instskip(SKIP_1) | instid1(VALU_DEP_2)
	v_and_b32_e32 v5, 7, v4
	v_bfe_u32 v8, v4, 3, 4
	v_clz_i32_u32_e32 v6, v5
	s_delay_alu instid0(VALU_DEP_2) | instskip(NEXT) | instid1(VALU_DEP_2)
	v_cmp_eq_u32_e32 vcc_lo, 0, v8
	v_min_u32_e32 v6, 32, v6
	s_delay_alu instid0(VALU_DEP_1) | instskip(NEXT) | instid1(VALU_DEP_1)
	v_subrev_nc_u32_e32 v7, 28, v6
	v_dual_lshlrev_b32 v4, v7, v4 :: v_dual_sub_nc_u32 v6, 29, v6
	s_delay_alu instid0(VALU_DEP_1) | instskip(NEXT) | instid1(VALU_DEP_1)
	v_dual_lshlrev_b32 v1, 24, v1 :: v_dual_bitop2_b32 v4, 7, v4 bitop3:0x40
	v_dual_cndmask_b32 v6, v8, v6, vcc_lo :: v_dual_cndmask_b32 v4, v5, v4, vcc_lo
	s_delay_alu instid0(VALU_DEP_2) | instskip(NEXT) | instid1(VALU_DEP_2)
	v_and_b32_e32 v1, 0x80000000, v1
	v_lshl_add_u32 v5, v6, 23, 0x3b800000
	s_delay_alu instid0(VALU_DEP_3) | instskip(NEXT) | instid1(VALU_DEP_1)
	v_lshlrev_b32_e32 v4, 20, v4
	v_or3_b32 v1, v1, v5, v4
	s_delay_alu instid0(VALU_DEP_1)
	v_cvt_i32_f32_e32 v4, v1
.LBB14_290:
	s_or_b32 exec_lo, exec_lo, s21
.LBB14_291:
	s_mov_b32 s21, -1
.LBB14_292:
	s_mov_b32 s22, 0
.LBB14_293:
	s_delay_alu instid0(SALU_CYCLE_1)
	s_and_b32 vcc_lo, exec_lo, s22
	s_cbranch_vccz .LBB14_326
; %bb.294:
	s_cmp_gt_i32 s15, 22
	s_cbranch_scc0 .LBB14_302
; %bb.295:
	s_cmp_lt_i32 s15, 24
	s_cbranch_scc1 .LBB14_305
; %bb.296:
	s_cmp_gt_i32 s15, 24
	s_cbranch_scc0 .LBB14_306
; %bb.297:
	s_wait_loadcnt 0x0
	global_load_u8 v1, v[2:3], off
	s_mov_b32 s22, 0
	s_mov_b32 s21, exec_lo
	s_wait_loadcnt 0x0
	v_cmpx_lt_i16_e32 0x7f, v1
	s_xor_b32 s21, exec_lo, s21
	s_cbranch_execz .LBB14_318
; %bb.298:
	v_cmp_ne_u16_e32 vcc_lo, 0x80, v1
	s_and_b32 s22, vcc_lo, exec_lo
	s_and_not1_saveexec_b32 s21, s21
	s_cbranch_execnz .LBB14_319
.LBB14_299:
	s_or_b32 exec_lo, exec_lo, s21
	v_mov_b32_e32 v4, 0
	s_and_saveexec_b32 s21, s22
	s_cbranch_execz .LBB14_301
.LBB14_300:
	v_and_b32_e32 v4, 0xffff, v1
	s_delay_alu instid0(VALU_DEP_1) | instskip(SKIP_1) | instid1(VALU_DEP_2)
	v_and_b32_e32 v5, 3, v4
	v_bfe_u32 v8, v4, 2, 5
	v_clz_i32_u32_e32 v6, v5
	s_delay_alu instid0(VALU_DEP_2) | instskip(NEXT) | instid1(VALU_DEP_2)
	v_cmp_eq_u32_e32 vcc_lo, 0, v8
	v_min_u32_e32 v6, 32, v6
	s_delay_alu instid0(VALU_DEP_1) | instskip(NEXT) | instid1(VALU_DEP_1)
	v_subrev_nc_u32_e32 v7, 29, v6
	v_dual_lshlrev_b32 v4, v7, v4 :: v_dual_sub_nc_u32 v6, 30, v6
	s_delay_alu instid0(VALU_DEP_1) | instskip(NEXT) | instid1(VALU_DEP_1)
	v_dual_lshlrev_b32 v1, 24, v1 :: v_dual_bitop2_b32 v4, 3, v4 bitop3:0x40
	v_dual_cndmask_b32 v6, v8, v6, vcc_lo :: v_dual_cndmask_b32 v4, v5, v4, vcc_lo
	s_delay_alu instid0(VALU_DEP_2) | instskip(NEXT) | instid1(VALU_DEP_2)
	v_and_b32_e32 v1, 0x80000000, v1
	v_lshl_add_u32 v5, v6, 23, 0x37800000
	s_delay_alu instid0(VALU_DEP_3) | instskip(NEXT) | instid1(VALU_DEP_1)
	v_lshlrev_b32_e32 v4, 21, v4
	v_or3_b32 v1, v1, v5, v4
	s_delay_alu instid0(VALU_DEP_1)
	v_cvt_i32_f32_e32 v4, v1
.LBB14_301:
	s_or_b32 exec_lo, exec_lo, s21
	s_mov_b32 s21, 0
	s_branch .LBB14_307
.LBB14_302:
	s_mov_b32 s22, -1
                                        ; implicit-def: $vgpr4
	s_branch .LBB14_313
.LBB14_303:
	s_and_not1_saveexec_b32 s21, s21
	s_cbranch_execz .LBB14_288
.LBB14_304:
	v_cmp_ne_u16_e32 vcc_lo, 0, v1
	s_and_not1_b32 s22, s22, exec_lo
	s_and_b32 s23, vcc_lo, exec_lo
	s_delay_alu instid0(SALU_CYCLE_1)
	s_or_b32 s22, s22, s23
	s_or_b32 exec_lo, exec_lo, s21
	v_mov_b32_e32 v4, 0
	s_and_saveexec_b32 s21, s22
	s_cbranch_execnz .LBB14_289
	s_branch .LBB14_290
.LBB14_305:
	s_mov_b32 s21, -1
                                        ; implicit-def: $vgpr4
	s_branch .LBB14_310
.LBB14_306:
	s_mov_b32 s21, -1
                                        ; implicit-def: $vgpr4
.LBB14_307:
	s_delay_alu instid0(SALU_CYCLE_1)
	s_and_b32 vcc_lo, exec_lo, s21
	s_cbranch_vccz .LBB14_309
; %bb.308:
	s_wait_loadcnt 0x0
	global_load_u8 v1, v[2:3], off
	s_wait_loadcnt 0x0
	v_lshlrev_b32_e32 v1, 24, v1
	s_delay_alu instid0(VALU_DEP_1) | instskip(NEXT) | instid1(VALU_DEP_1)
	v_and_b32_e32 v4, 0x7f000000, v1
	v_clz_i32_u32_e32 v5, v4
	v_cmp_ne_u32_e32 vcc_lo, 0, v4
	v_add_nc_u32_e32 v7, 0x1000000, v4
	s_delay_alu instid0(VALU_DEP_3) | instskip(NEXT) | instid1(VALU_DEP_1)
	v_min_u32_e32 v5, 32, v5
	v_sub_nc_u32_e64 v5, v5, 4 clamp
	s_delay_alu instid0(VALU_DEP_1) | instskip(NEXT) | instid1(VALU_DEP_1)
	v_dual_lshlrev_b32 v6, v5, v4 :: v_dual_lshlrev_b32 v5, 23, v5
	v_lshrrev_b32_e32 v6, 4, v6
	s_delay_alu instid0(VALU_DEP_1) | instskip(NEXT) | instid1(VALU_DEP_1)
	v_dual_sub_nc_u32 v5, v6, v5 :: v_dual_ashrrev_i32 v6, 8, v7
	v_add_nc_u32_e32 v5, 0x3c000000, v5
	s_delay_alu instid0(VALU_DEP_1) | instskip(NEXT) | instid1(VALU_DEP_1)
	v_and_or_b32 v5, 0x7f800000, v6, v5
	v_cndmask_b32_e32 v4, 0, v5, vcc_lo
	s_delay_alu instid0(VALU_DEP_1) | instskip(NEXT) | instid1(VALU_DEP_1)
	v_and_or_b32 v1, 0x80000000, v1, v4
	v_cvt_i32_f32_e32 v4, v1
.LBB14_309:
	s_mov_b32 s21, 0
.LBB14_310:
	s_delay_alu instid0(SALU_CYCLE_1)
	s_and_not1_b32 vcc_lo, exec_lo, s21
	s_cbranch_vccnz .LBB14_312
; %bb.311:
	s_wait_loadcnt 0x0
	global_load_u8 v1, v[2:3], off
	s_wait_loadcnt 0x0
	v_lshlrev_b32_e32 v4, 25, v1
	v_lshlrev_b16 v1, 8, v1
	s_delay_alu instid0(VALU_DEP_1) | instskip(SKIP_1) | instid1(VALU_DEP_2)
	v_and_or_b32 v6, 0x7f00, v1, 0.5
	v_bfe_i32 v1, v1, 0, 16
	v_dual_add_f32 v6, -0.5, v6 :: v_dual_lshrrev_b32 v5, 4, v4
	v_cmp_gt_u32_e32 vcc_lo, 0x8000000, v4
	s_delay_alu instid0(VALU_DEP_2) | instskip(NEXT) | instid1(VALU_DEP_1)
	v_or_b32_e32 v5, 0x70000000, v5
	v_mul_f32_e32 v5, 0x7800000, v5
	s_delay_alu instid0(VALU_DEP_1) | instskip(NEXT) | instid1(VALU_DEP_1)
	v_cndmask_b32_e32 v4, v5, v6, vcc_lo
	v_and_or_b32 v1, 0x80000000, v1, v4
	s_delay_alu instid0(VALU_DEP_1)
	v_cvt_i32_f32_e32 v4, v1
.LBB14_312:
	s_mov_b32 s22, 0
	s_mov_b32 s21, -1
.LBB14_313:
	s_and_not1_b32 vcc_lo, exec_lo, s22
	s_cbranch_vccnz .LBB14_326
; %bb.314:
	s_cmp_gt_i32 s15, 14
	s_cbranch_scc0 .LBB14_317
; %bb.315:
	s_cmp_eq_u32 s15, 15
	s_cbranch_scc0 .LBB14_320
; %bb.316:
	s_wait_loadcnt 0x0
	global_load_u16 v1, v[2:3], off
	s_mov_b32 s21, -1
	s_mov_b32 s17, 0
	s_wait_loadcnt 0x0
	v_lshlrev_b32_e32 v1, 16, v1
	s_delay_alu instid0(VALU_DEP_1)
	v_cvt_i32_f32_e32 v4, v1
	s_branch .LBB14_321
.LBB14_317:
	s_mov_b32 s22, -1
                                        ; implicit-def: $vgpr4
	s_branch .LBB14_322
.LBB14_318:
	s_and_not1_saveexec_b32 s21, s21
	s_cbranch_execz .LBB14_299
.LBB14_319:
	v_cmp_ne_u16_e32 vcc_lo, 0, v1
	s_and_not1_b32 s22, s22, exec_lo
	s_and_b32 s23, vcc_lo, exec_lo
	s_delay_alu instid0(SALU_CYCLE_1)
	s_or_b32 s22, s22, s23
	s_or_b32 exec_lo, exec_lo, s21
	v_mov_b32_e32 v4, 0
	s_and_saveexec_b32 s21, s22
	s_cbranch_execnz .LBB14_300
	s_branch .LBB14_301
.LBB14_320:
	s_mov_b32 s17, -1
                                        ; implicit-def: $vgpr4
.LBB14_321:
	s_mov_b32 s22, 0
.LBB14_322:
	s_delay_alu instid0(SALU_CYCLE_1)
	s_and_b32 vcc_lo, exec_lo, s22
	s_cbranch_vccz .LBB14_326
; %bb.323:
	s_cmp_eq_u32 s15, 11
	s_cbranch_scc0 .LBB14_325
; %bb.324:
	s_wait_loadcnt 0x0
	global_load_u8 v1, v[2:3], off
	s_mov_b32 s17, 0
	s_mov_b32 s21, -1
	s_wait_loadcnt 0x0
	v_cmp_ne_u16_e32 vcc_lo, 0, v1
	v_cndmask_b32_e64 v4, 0, 1, vcc_lo
	s_branch .LBB14_326
.LBB14_325:
	s_mov_b32 s17, -1
                                        ; implicit-def: $vgpr4
.LBB14_326:
	s_branch .LBB14_20
.LBB14_327:
	s_and_b32 s0, 0xffff, s0
	s_delay_alu instid0(SALU_CYCLE_1)
	s_cmp_lt_i32 s0, 5
	s_cbranch_scc1 .LBB14_332
; %bb.328:
	s_cmp_lt_i32 s0, 8
	s_cbranch_scc1 .LBB14_333
; %bb.329:
	;; [unrolled: 3-line block ×3, first 2 shown]
	s_cmp_gt_i32 s0, 9
	s_cbranch_scc0 .LBB14_335
; %bb.331:
	s_wait_loadcnt 0x0
	global_load_b64 v[4:5], v[2:3], off
	s_mov_b32 s15, 0
	s_wait_loadcnt 0x0
	v_cvt_i32_f64_e32 v4, v[4:5]
	s_branch .LBB14_336
.LBB14_332:
	s_mov_b32 s15, -1
                                        ; implicit-def: $vgpr4
	s_branch .LBB14_354
.LBB14_333:
	s_mov_b32 s15, -1
                                        ; implicit-def: $vgpr4
	s_branch .LBB14_342
.LBB14_334:
	s_mov_b32 s15, -1
                                        ; implicit-def: $vgpr4
	s_branch .LBB14_339
.LBB14_335:
	s_mov_b32 s15, -1
                                        ; implicit-def: $vgpr4
.LBB14_336:
	s_delay_alu instid0(SALU_CYCLE_1)
	s_and_not1_b32 vcc_lo, exec_lo, s15
	s_cbranch_vccnz .LBB14_338
; %bb.337:
	s_wait_loadcnt 0x0
	global_load_b32 v1, v[2:3], off
	s_wait_loadcnt 0x0
	v_cvt_i32_f32_e32 v4, v1
.LBB14_338:
	s_mov_b32 s15, 0
.LBB14_339:
	s_delay_alu instid0(SALU_CYCLE_1)
	s_and_not1_b32 vcc_lo, exec_lo, s15
	s_cbranch_vccnz .LBB14_341
; %bb.340:
	s_wait_loadcnt 0x0
	global_load_b32 v1, v[2:3], off
	s_wait_loadcnt 0x0
	v_cvt_i16_f16_e32 v4, v1
.LBB14_341:
	s_mov_b32 s15, 0
.LBB14_342:
	s_delay_alu instid0(SALU_CYCLE_1)
	s_and_not1_b32 vcc_lo, exec_lo, s15
	s_cbranch_vccnz .LBB14_353
; %bb.343:
	s_cmp_lt_i32 s0, 6
	s_cbranch_scc1 .LBB14_346
; %bb.344:
	s_cmp_gt_i32 s0, 6
	s_cbranch_scc0 .LBB14_347
; %bb.345:
	s_wait_loadcnt 0x0
	global_load_b64 v[4:5], v[2:3], off
	s_mov_b32 s15, 0
	s_wait_loadcnt 0x0
	v_cvt_i32_f64_e32 v4, v[4:5]
	s_branch .LBB14_348
.LBB14_346:
	s_mov_b32 s15, -1
                                        ; implicit-def: $vgpr4
	s_branch .LBB14_351
.LBB14_347:
	s_mov_b32 s15, -1
                                        ; implicit-def: $vgpr4
.LBB14_348:
	s_delay_alu instid0(SALU_CYCLE_1)
	s_and_not1_b32 vcc_lo, exec_lo, s15
	s_cbranch_vccnz .LBB14_350
; %bb.349:
	s_wait_loadcnt 0x0
	global_load_b32 v1, v[2:3], off
	s_wait_loadcnt 0x0
	v_cvt_i32_f32_e32 v4, v1
.LBB14_350:
	s_mov_b32 s15, 0
.LBB14_351:
	s_delay_alu instid0(SALU_CYCLE_1)
	s_and_not1_b32 vcc_lo, exec_lo, s15
	s_cbranch_vccnz .LBB14_353
; %bb.352:
	s_wait_loadcnt 0x0
	global_load_u16 v1, v[2:3], off
	s_wait_loadcnt 0x0
	v_cvt_i16_f16_e32 v4, v1
.LBB14_353:
	s_mov_b32 s15, 0
.LBB14_354:
	s_delay_alu instid0(SALU_CYCLE_1)
	s_and_not1_b32 vcc_lo, exec_lo, s15
	s_cbranch_vccnz .LBB14_374
; %bb.355:
	s_cmp_lt_i32 s0, 2
	s_cbranch_scc1 .LBB14_359
; %bb.356:
	s_cmp_lt_i32 s0, 3
	s_cbranch_scc1 .LBB14_360
; %bb.357:
	s_cmp_gt_i32 s0, 3
	s_cbranch_scc0 .LBB14_361
; %bb.358:
	s_wait_loadcnt 0x0
	global_load_b64 v[4:5], v[2:3], off
	s_mov_b32 s15, 0
	s_branch .LBB14_362
.LBB14_359:
	s_mov_b32 s15, -1
                                        ; implicit-def: $vgpr4
	s_branch .LBB14_368
.LBB14_360:
	s_mov_b32 s15, -1
                                        ; implicit-def: $vgpr4
	s_branch .LBB14_365
.LBB14_361:
	s_mov_b32 s15, -1
                                        ; implicit-def: $vgpr4
.LBB14_362:
	s_delay_alu instid0(SALU_CYCLE_1)
	s_and_not1_b32 vcc_lo, exec_lo, s15
	s_cbranch_vccnz .LBB14_364
; %bb.363:
	s_wait_loadcnt 0x0
	global_load_b32 v4, v[2:3], off
.LBB14_364:
	s_mov_b32 s15, 0
.LBB14_365:
	s_delay_alu instid0(SALU_CYCLE_1)
	s_and_not1_b32 vcc_lo, exec_lo, s15
	s_cbranch_vccnz .LBB14_367
; %bb.366:
	s_wait_loadcnt 0x0
	global_load_u16 v4, v[2:3], off
.LBB14_367:
	s_mov_b32 s15, 0
.LBB14_368:
	s_delay_alu instid0(SALU_CYCLE_1)
	s_and_not1_b32 vcc_lo, exec_lo, s15
	s_cbranch_vccnz .LBB14_374
; %bb.369:
	s_cmp_gt_i32 s0, 0
	s_mov_b32 s0, 0
	s_cbranch_scc0 .LBB14_371
; %bb.370:
	s_wait_loadcnt 0x0
	global_load_u8 v4, v[2:3], off
	s_branch .LBB14_372
.LBB14_371:
	s_mov_b32 s0, -1
                                        ; implicit-def: $vgpr4
.LBB14_372:
	s_delay_alu instid0(SALU_CYCLE_1)
	s_and_not1_b32 vcc_lo, exec_lo, s0
	s_cbranch_vccnz .LBB14_374
; %bb.373:
	s_wait_loadcnt 0x0
	global_load_u8 v4, v[2:3], off
.LBB14_374:
	s_branch .LBB14_21
.LBB14_375:
	s_mov_b32 s0, 0
.LBB14_376:
	s_mov_b32 s21, 0
                                        ; implicit-def: $vgpr10
.LBB14_377:
	s_and_b32 s15, s0, exec_lo
	s_and_b32 s17, s17, exec_lo
	;; [unrolled: 1-line block ×3, first 2 shown]
	s_or_not1_b32 s23, s21, exec_lo
.LBB14_378:
	s_wait_xcnt 0x0
	s_or_b32 exec_lo, exec_lo, s19
	s_mov_b32 s22, 0
	s_mov_b32 s21, 0
                                        ; implicit-def: $sgpr0
                                        ; implicit-def: $vgpr2_vgpr3
                                        ; implicit-def: $vgpr0
	s_and_saveexec_b32 s19, s23
	s_cbranch_execz .LBB14_387
; %bb.379:
	s_mov_b32 s25, -1
	s_mov_b32 s20, s18
	s_mov_b32 s22, s17
	;; [unrolled: 1-line block ×3, first 2 shown]
	s_mov_b32 s23, exec_lo
	v_cmpx_gt_i32_e64 s16, v10
	s_cbranch_execz .LBB14_767
; %bb.380:
	s_wait_loadcnt 0x0
	v_mul_lo_u32 v0, v10, s9
	s_and_b32 s0, s13, 0xff
	s_delay_alu instid0(SALU_CYCLE_1) | instskip(NEXT) | instid1(VALU_DEP_1)
	s_cmp_lt_i32 s0, 11
	v_ashrrev_i32_e32 v1, 31, v0
	s_delay_alu instid0(VALU_DEP_1)
	v_add_nc_u64_e32 v[2:3], s[6:7], v[0:1]
	s_cbranch_scc1 .LBB14_390
; %bb.381:
	s_and_b32 s21, 0xffff, s0
	s_delay_alu instid0(SALU_CYCLE_1)
	s_cmp_gt_i32 s21, 25
	s_cbranch_scc0 .LBB14_399
; %bb.382:
	s_cmp_gt_i32 s21, 28
	s_cbranch_scc0 .LBB14_401
; %bb.383:
	;; [unrolled: 3-line block ×4, first 2 shown]
	s_cmp_eq_u32 s21, 46
	s_mov_b32 s24, 0
	s_cbranch_scc0 .LBB14_409
; %bb.386:
	global_load_b32 v0, v[2:3], off
	s_mov_b32 s22, -1
	s_mov_b32 s20, 0
	s_wait_loadcnt 0x0
	v_lshlrev_b32_e32 v0, 16, v0
	s_delay_alu instid0(VALU_DEP_1)
	v_cvt_i32_f32_e32 v0, v0
	s_branch .LBB14_411
.LBB14_387:
	s_or_b32 exec_lo, exec_lo, s19
	s_mov_b32 s16, 0
	s_and_saveexec_b32 s19, s18
	s_cbranch_execnz .LBB14_1235
.LBB14_388:
	s_or_b32 exec_lo, exec_lo, s19
	s_and_saveexec_b32 s18, s20
	s_delay_alu instid0(SALU_CYCLE_1)
	s_xor_b32 s18, exec_lo, s18
	s_cbranch_execz .LBB14_1236
.LBB14_389:
	s_wait_loadcnt 0x0
	global_load_u8 v0, v[2:3], off
	s_or_b32 s21, s21, exec_lo
	s_wait_loadcnt 0x0
	v_cmp_ne_u16_e32 vcc_lo, 0, v0
	v_cndmask_b32_e64 v0, 0, 1, vcc_lo
	s_wait_xcnt 0x0
	s_or_b32 exec_lo, exec_lo, s18
	s_and_saveexec_b32 s18, s22
	s_cbranch_execz .LBB14_1282
	s_branch .LBB14_1237
.LBB14_390:
	s_mov_b32 s22, 0
	s_mov_b32 s20, s18
                                        ; implicit-def: $vgpr0
	s_cbranch_execnz .LBB14_473
.LBB14_391:
	s_and_not1_b32 vcc_lo, exec_lo, s22
	s_cbranch_vccnz .LBB14_521
.LBB14_392:
	s_wait_xcnt 0x0
	v_mul_lo_u32 v2, v10, s10
	s_and_b32 s0, s1, 0xff
	s_delay_alu instid0(SALU_CYCLE_1) | instskip(NEXT) | instid1(VALU_DEP_1)
	s_cmp_lt_i32 s0, 11
	v_ashrrev_i32_e32 v3, 31, v2
	s_delay_alu instid0(VALU_DEP_1)
	v_add_nc_u64_e32 v[2:3], s[2:3], v[2:3]
	s_cbranch_scc1 .LBB14_400
; %bb.393:
	s_and_b32 s21, 0xffff, s0
	s_delay_alu instid0(SALU_CYCLE_1)
	s_cmp_gt_i32 s21, 25
	s_cbranch_scc0 .LBB14_402
; %bb.394:
	s_cmp_gt_i32 s21, 28
	s_cbranch_scc0 .LBB14_404
; %bb.395:
	;; [unrolled: 3-line block ×4, first 2 shown]
	s_cmp_eq_u32 s21, 46
	s_mov_b32 s25, 0
	s_cbranch_scc0 .LBB14_524
; %bb.398:
	s_wait_loadcnt 0x0
	global_load_b32 v1, v[2:3], off
	s_mov_b32 s24, -1
	s_mov_b32 s22, 0
	s_wait_loadcnt 0x0
	v_lshlrev_b32_e32 v1, 16, v1
	s_delay_alu instid0(VALU_DEP_1)
	v_cvt_i32_f32_e32 v4, v1
	s_branch .LBB14_526
.LBB14_399:
	s_mov_b32 s24, -1
	s_mov_b32 s22, 0
	s_mov_b32 s20, s18
                                        ; implicit-def: $vgpr0
	s_branch .LBB14_439
.LBB14_400:
	s_mov_b32 s21, -1
	s_mov_b32 s24, 0
	s_mov_b32 s22, s17
                                        ; implicit-def: $vgpr4
	s_branch .LBB14_587
.LBB14_401:
	s_mov_b32 s24, -1
	s_mov_b32 s22, 0
	s_mov_b32 s20, s18
                                        ; implicit-def: $vgpr0
	s_branch .LBB14_422
.LBB14_402:
	s_mov_b32 s25, -1
	s_mov_b32 s24, 0
	s_mov_b32 s22, s17
                                        ; implicit-def: $vgpr4
	s_branch .LBB14_553
.LBB14_403:
	s_mov_b32 s24, -1
	s_mov_b32 s22, 0
	s_mov_b32 s20, s18
                                        ; implicit-def: $vgpr0
	s_branch .LBB14_417
.LBB14_404:
	s_mov_b32 s25, -1
	s_mov_b32 s24, 0
	s_mov_b32 s22, s17
                                        ; implicit-def: $vgpr4
	s_branch .LBB14_536
.LBB14_405:
	s_mov_b32 s24, -1
	s_mov_b32 s22, 0
	s_mov_b32 s20, s18
	s_branch .LBB14_410
.LBB14_406:
	s_mov_b32 s25, -1
	s_mov_b32 s24, 0
	s_mov_b32 s22, s17
                                        ; implicit-def: $vgpr4
	s_branch .LBB14_531
.LBB14_407:
	s_and_not1_saveexec_b32 s24, s24
	s_cbranch_execz .LBB14_180
.LBB14_408:
	v_add_f32_e64 v4, 0x46000000, |v3|
	s_and_not1_b32 s23, s23, exec_lo
	s_delay_alu instid0(VALU_DEP_1) | instskip(NEXT) | instid1(VALU_DEP_1)
	v_and_b32_e32 v4, 0xff, v4
	v_cmp_ne_u32_e32 vcc_lo, 0, v4
	s_and_b32 s25, vcc_lo, exec_lo
	s_delay_alu instid0(SALU_CYCLE_1)
	s_or_b32 s23, s23, s25
	s_or_b32 exec_lo, exec_lo, s24
	v_mov_b32_e32 v5, 0
	s_and_saveexec_b32 s24, s23
	s_cbranch_execnz .LBB14_181
	s_branch .LBB14_182
.LBB14_409:
	s_mov_b32 s20, -1
	s_mov_b32 s22, 0
.LBB14_410:
                                        ; implicit-def: $vgpr0
.LBB14_411:
	s_and_b32 vcc_lo, exec_lo, s24
	s_cbranch_vccz .LBB14_416
; %bb.412:
	s_cmp_eq_u32 s21, 44
	s_cbranch_scc0 .LBB14_415
; %bb.413:
	global_load_u8 v0, v[2:3], off
	s_mov_b32 s20, 0
	s_mov_b32 s22, -1
	s_wait_loadcnt 0x0
	v_lshlrev_b32_e32 v1, 23, v0
	v_cmp_ne_u32_e32 vcc_lo, 0, v0
	s_delay_alu instid0(VALU_DEP_2) | instskip(NEXT) | instid1(VALU_DEP_1)
	v_cvt_i32_f32_e32 v1, v1
	v_cndmask_b32_e32 v0, 0, v1, vcc_lo
	s_branch .LBB14_416
.LBB14_414:
	s_mov_b32 s25, -1
	s_mov_b32 s24, 0
	s_mov_b32 s22, s17
	s_branch .LBB14_525
.LBB14_415:
	s_mov_b32 s20, -1
                                        ; implicit-def: $vgpr0
.LBB14_416:
	s_mov_b32 s24, 0
.LBB14_417:
	s_delay_alu instid0(SALU_CYCLE_1)
	s_and_b32 vcc_lo, exec_lo, s24
	s_cbranch_vccz .LBB14_421
; %bb.418:
	s_cmp_eq_u32 s21, 29
	s_cbranch_scc0 .LBB14_420
; %bb.419:
	global_load_b64 v[0:1], v[2:3], off
	s_mov_b32 s22, -1
	s_mov_b32 s20, 0
	s_branch .LBB14_421
.LBB14_420:
	s_mov_b32 s20, -1
                                        ; implicit-def: $vgpr0
.LBB14_421:
	s_mov_b32 s24, 0
.LBB14_422:
	s_delay_alu instid0(SALU_CYCLE_1)
	s_and_b32 vcc_lo, exec_lo, s24
	s_cbranch_vccz .LBB14_438
; %bb.423:
	s_cmp_lt_i32 s21, 27
	s_cbranch_scc1 .LBB14_426
; %bb.424:
	s_cmp_gt_i32 s21, 27
	s_cbranch_scc0 .LBB14_427
; %bb.425:
	s_wait_loadcnt 0x0
	global_load_b32 v0, v[2:3], off
	s_mov_b32 s22, 0
	s_branch .LBB14_428
.LBB14_426:
	s_mov_b32 s22, -1
                                        ; implicit-def: $vgpr0
	s_branch .LBB14_431
.LBB14_427:
	s_mov_b32 s22, -1
                                        ; implicit-def: $vgpr0
.LBB14_428:
	s_delay_alu instid0(SALU_CYCLE_1)
	s_and_not1_b32 vcc_lo, exec_lo, s22
	s_cbranch_vccnz .LBB14_430
; %bb.429:
	s_wait_loadcnt 0x0
	global_load_u16 v0, v[2:3], off
.LBB14_430:
	s_mov_b32 s22, 0
.LBB14_431:
	s_delay_alu instid0(SALU_CYCLE_1)
	s_and_not1_b32 vcc_lo, exec_lo, s22
	s_cbranch_vccnz .LBB14_437
; %bb.432:
	s_wait_loadcnt 0x0
	global_load_u8 v1, v[2:3], off
	s_mov_b32 s24, 0
	s_mov_b32 s22, exec_lo
	s_wait_loadcnt 0x0
	v_cmpx_lt_i16_e32 0x7f, v1
	s_xor_b32 s22, exec_lo, s22
	s_cbranch_execz .LBB14_449
; %bb.433:
	v_cmp_ne_u16_e32 vcc_lo, 0x80, v1
	s_and_b32 s24, vcc_lo, exec_lo
	s_and_not1_saveexec_b32 s22, s22
	s_cbranch_execnz .LBB14_450
.LBB14_434:
	s_or_b32 exec_lo, exec_lo, s22
	v_mov_b32_e32 v0, 0
	s_and_saveexec_b32 s22, s24
	s_cbranch_execz .LBB14_436
.LBB14_435:
	v_and_b32_e32 v0, 0xffff, v1
	s_delay_alu instid0(VALU_DEP_1) | instskip(SKIP_1) | instid1(VALU_DEP_2)
	v_and_b32_e32 v4, 7, v0
	v_bfe_u32 v7, v0, 3, 4
	v_clz_i32_u32_e32 v5, v4
	s_delay_alu instid0(VALU_DEP_2) | instskip(NEXT) | instid1(VALU_DEP_2)
	v_cmp_eq_u32_e32 vcc_lo, 0, v7
	v_min_u32_e32 v5, 32, v5
	s_delay_alu instid0(VALU_DEP_1) | instskip(NEXT) | instid1(VALU_DEP_1)
	v_subrev_nc_u32_e32 v6, 28, v5
	v_dual_lshlrev_b32 v0, v6, v0 :: v_dual_sub_nc_u32 v5, 29, v5
	s_delay_alu instid0(VALU_DEP_1) | instskip(NEXT) | instid1(VALU_DEP_1)
	v_dual_lshlrev_b32 v1, 24, v1 :: v_dual_bitop2_b32 v0, 7, v0 bitop3:0x40
	v_dual_cndmask_b32 v0, v4, v0 :: v_dual_cndmask_b32 v5, v7, v5
	s_delay_alu instid0(VALU_DEP_2) | instskip(NEXT) | instid1(VALU_DEP_2)
	v_and_b32_e32 v1, 0x80000000, v1
	v_lshlrev_b32_e32 v0, 20, v0
	s_delay_alu instid0(VALU_DEP_3) | instskip(NEXT) | instid1(VALU_DEP_1)
	v_lshl_add_u32 v4, v5, 23, 0x3b800000
	v_or3_b32 v0, v1, v4, v0
	s_delay_alu instid0(VALU_DEP_1)
	v_cvt_i32_f32_e32 v0, v0
.LBB14_436:
	s_or_b32 exec_lo, exec_lo, s22
.LBB14_437:
	s_mov_b32 s22, -1
.LBB14_438:
	s_mov_b32 s24, 0
.LBB14_439:
	s_delay_alu instid0(SALU_CYCLE_1)
	s_and_b32 vcc_lo, exec_lo, s24
	s_cbranch_vccz .LBB14_472
; %bb.440:
	s_cmp_gt_i32 s21, 22
	s_cbranch_scc0 .LBB14_448
; %bb.441:
	s_cmp_lt_i32 s21, 24
	s_cbranch_scc1 .LBB14_451
; %bb.442:
	s_cmp_gt_i32 s21, 24
	s_cbranch_scc0 .LBB14_452
; %bb.443:
	s_wait_loadcnt 0x0
	global_load_u8 v1, v[2:3], off
	s_mov_b32 s24, 0
	s_mov_b32 s22, exec_lo
	s_wait_loadcnt 0x0
	v_cmpx_lt_i16_e32 0x7f, v1
	s_xor_b32 s22, exec_lo, s22
	s_cbranch_execz .LBB14_464
; %bb.444:
	v_cmp_ne_u16_e32 vcc_lo, 0x80, v1
	s_and_b32 s24, vcc_lo, exec_lo
	s_and_not1_saveexec_b32 s22, s22
	s_cbranch_execnz .LBB14_465
.LBB14_445:
	s_or_b32 exec_lo, exec_lo, s22
	v_mov_b32_e32 v0, 0
	s_and_saveexec_b32 s22, s24
	s_cbranch_execz .LBB14_447
.LBB14_446:
	v_and_b32_e32 v0, 0xffff, v1
	s_delay_alu instid0(VALU_DEP_1) | instskip(SKIP_1) | instid1(VALU_DEP_2)
	v_and_b32_e32 v4, 3, v0
	v_bfe_u32 v7, v0, 2, 5
	v_clz_i32_u32_e32 v5, v4
	s_delay_alu instid0(VALU_DEP_2) | instskip(NEXT) | instid1(VALU_DEP_2)
	v_cmp_eq_u32_e32 vcc_lo, 0, v7
	v_min_u32_e32 v5, 32, v5
	s_delay_alu instid0(VALU_DEP_1) | instskip(NEXT) | instid1(VALU_DEP_1)
	v_subrev_nc_u32_e32 v6, 29, v5
	v_dual_lshlrev_b32 v0, v6, v0 :: v_dual_sub_nc_u32 v5, 30, v5
	s_delay_alu instid0(VALU_DEP_1) | instskip(NEXT) | instid1(VALU_DEP_1)
	v_dual_lshlrev_b32 v1, 24, v1 :: v_dual_bitop2_b32 v0, 3, v0 bitop3:0x40
	v_dual_cndmask_b32 v0, v4, v0 :: v_dual_cndmask_b32 v5, v7, v5
	s_delay_alu instid0(VALU_DEP_2) | instskip(NEXT) | instid1(VALU_DEP_2)
	v_and_b32_e32 v1, 0x80000000, v1
	v_lshlrev_b32_e32 v0, 21, v0
	s_delay_alu instid0(VALU_DEP_3) | instskip(NEXT) | instid1(VALU_DEP_1)
	v_lshl_add_u32 v4, v5, 23, 0x37800000
	v_or3_b32 v0, v1, v4, v0
	s_delay_alu instid0(VALU_DEP_1)
	v_cvt_i32_f32_e32 v0, v0
.LBB14_447:
	s_or_b32 exec_lo, exec_lo, s22
	s_mov_b32 s22, 0
	s_branch .LBB14_453
.LBB14_448:
	s_mov_b32 s24, -1
                                        ; implicit-def: $vgpr0
	s_branch .LBB14_459
.LBB14_449:
	s_and_not1_saveexec_b32 s22, s22
	s_cbranch_execz .LBB14_434
.LBB14_450:
	v_cmp_ne_u16_e32 vcc_lo, 0, v1
	s_and_not1_b32 s24, s24, exec_lo
	s_and_b32 s25, vcc_lo, exec_lo
	s_delay_alu instid0(SALU_CYCLE_1)
	s_or_b32 s24, s24, s25
	s_or_b32 exec_lo, exec_lo, s22
	v_mov_b32_e32 v0, 0
	s_and_saveexec_b32 s22, s24
	s_cbranch_execnz .LBB14_435
	s_branch .LBB14_436
.LBB14_451:
	s_mov_b32 s22, -1
                                        ; implicit-def: $vgpr0
	s_branch .LBB14_456
.LBB14_452:
	s_mov_b32 s22, -1
                                        ; implicit-def: $vgpr0
.LBB14_453:
	s_delay_alu instid0(SALU_CYCLE_1)
	s_and_b32 vcc_lo, exec_lo, s22
	s_cbranch_vccz .LBB14_455
; %bb.454:
	s_wait_loadcnt 0x0
	global_load_u8 v0, v[2:3], off
	s_wait_loadcnt 0x0
	v_lshlrev_b32_e32 v0, 24, v0
	s_delay_alu instid0(VALU_DEP_1) | instskip(NEXT) | instid1(VALU_DEP_1)
	v_and_b32_e32 v1, 0x7f000000, v0
	v_clz_i32_u32_e32 v4, v1
	v_cmp_ne_u32_e32 vcc_lo, 0, v1
	v_add_nc_u32_e32 v6, 0x1000000, v1
	s_delay_alu instid0(VALU_DEP_3) | instskip(NEXT) | instid1(VALU_DEP_1)
	v_min_u32_e32 v4, 32, v4
	v_sub_nc_u32_e64 v4, v4, 4 clamp
	s_delay_alu instid0(VALU_DEP_1) | instskip(NEXT) | instid1(VALU_DEP_1)
	v_dual_lshlrev_b32 v5, v4, v1 :: v_dual_lshlrev_b32 v4, 23, v4
	v_lshrrev_b32_e32 v5, 4, v5
	s_delay_alu instid0(VALU_DEP_1) | instskip(NEXT) | instid1(VALU_DEP_1)
	v_dual_sub_nc_u32 v4, v5, v4 :: v_dual_ashrrev_i32 v5, 8, v6
	v_add_nc_u32_e32 v4, 0x3c000000, v4
	s_delay_alu instid0(VALU_DEP_1) | instskip(NEXT) | instid1(VALU_DEP_1)
	v_and_or_b32 v4, 0x7f800000, v5, v4
	v_cndmask_b32_e32 v1, 0, v4, vcc_lo
	s_delay_alu instid0(VALU_DEP_1) | instskip(NEXT) | instid1(VALU_DEP_1)
	v_and_or_b32 v0, 0x80000000, v0, v1
	v_cvt_i32_f32_e32 v0, v0
.LBB14_455:
	s_mov_b32 s22, 0
.LBB14_456:
	s_delay_alu instid0(SALU_CYCLE_1)
	s_and_not1_b32 vcc_lo, exec_lo, s22
	s_cbranch_vccnz .LBB14_458
; %bb.457:
	s_wait_loadcnt 0x0
	global_load_u8 v0, v[2:3], off
	s_wait_loadcnt 0x0
	v_lshlrev_b32_e32 v1, 25, v0
	v_lshlrev_b16 v0, 8, v0
	s_delay_alu instid0(VALU_DEP_1) | instskip(SKIP_1) | instid1(VALU_DEP_2)
	v_and_or_b32 v5, 0x7f00, v0, 0.5
	v_bfe_i32 v0, v0, 0, 16
	v_add_f32_e32 v5, -0.5, v5
	v_lshrrev_b32_e32 v4, 4, v1
	v_cmp_gt_u32_e32 vcc_lo, 0x8000000, v1
	s_delay_alu instid0(VALU_DEP_2) | instskip(NEXT) | instid1(VALU_DEP_1)
	v_or_b32_e32 v4, 0x70000000, v4
	v_mul_f32_e32 v4, 0x7800000, v4
	s_delay_alu instid0(VALU_DEP_1) | instskip(NEXT) | instid1(VALU_DEP_1)
	v_cndmask_b32_e32 v1, v4, v5, vcc_lo
	v_and_or_b32 v0, 0x80000000, v0, v1
	s_delay_alu instid0(VALU_DEP_1)
	v_cvt_i32_f32_e32 v0, v0
.LBB14_458:
	s_mov_b32 s24, 0
	s_mov_b32 s22, -1
.LBB14_459:
	s_and_not1_b32 vcc_lo, exec_lo, s24
	s_cbranch_vccnz .LBB14_472
; %bb.460:
	s_cmp_gt_i32 s21, 14
	s_cbranch_scc0 .LBB14_463
; %bb.461:
	s_cmp_eq_u32 s21, 15
	s_cbranch_scc0 .LBB14_466
; %bb.462:
	s_wait_loadcnt 0x0
	global_load_u16 v0, v[2:3], off
	s_mov_b32 s22, -1
	s_mov_b32 s20, 0
	s_wait_loadcnt 0x0
	v_lshlrev_b32_e32 v0, 16, v0
	s_delay_alu instid0(VALU_DEP_1)
	v_cvt_i32_f32_e32 v0, v0
	s_branch .LBB14_467
.LBB14_463:
	s_mov_b32 s24, -1
                                        ; implicit-def: $vgpr0
	s_branch .LBB14_468
.LBB14_464:
	s_and_not1_saveexec_b32 s22, s22
	s_cbranch_execz .LBB14_445
.LBB14_465:
	v_cmp_ne_u16_e32 vcc_lo, 0, v1
	s_and_not1_b32 s24, s24, exec_lo
	s_and_b32 s25, vcc_lo, exec_lo
	s_delay_alu instid0(SALU_CYCLE_1)
	s_or_b32 s24, s24, s25
	s_or_b32 exec_lo, exec_lo, s22
	v_mov_b32_e32 v0, 0
	s_and_saveexec_b32 s22, s24
	s_cbranch_execnz .LBB14_446
	s_branch .LBB14_447
.LBB14_466:
	s_mov_b32 s20, -1
                                        ; implicit-def: $vgpr0
.LBB14_467:
	s_mov_b32 s24, 0
.LBB14_468:
	s_delay_alu instid0(SALU_CYCLE_1)
	s_and_b32 vcc_lo, exec_lo, s24
	s_cbranch_vccz .LBB14_472
; %bb.469:
	s_cmp_eq_u32 s21, 11
	s_cbranch_scc0 .LBB14_471
; %bb.470:
	s_wait_loadcnt 0x0
	global_load_u8 v0, v[2:3], off
	s_mov_b32 s20, 0
	s_mov_b32 s22, -1
	s_wait_loadcnt 0x0
	v_cmp_ne_u16_e32 vcc_lo, 0, v0
	v_cndmask_b32_e64 v0, 0, 1, vcc_lo
	s_branch .LBB14_472
.LBB14_471:
	s_mov_b32 s20, -1
                                        ; implicit-def: $vgpr0
.LBB14_472:
	s_branch .LBB14_391
.LBB14_473:
	s_and_b32 s0, 0xffff, s0
	s_delay_alu instid0(SALU_CYCLE_1)
	s_cmp_lt_i32 s0, 5
	s_cbranch_scc1 .LBB14_478
; %bb.474:
	s_cmp_lt_i32 s0, 8
	s_cbranch_scc1 .LBB14_479
; %bb.475:
	;; [unrolled: 3-line block ×3, first 2 shown]
	s_cmp_gt_i32 s0, 9
	s_cbranch_scc0 .LBB14_481
; %bb.477:
	s_wait_loadcnt 0x0
	global_load_b64 v[0:1], v[2:3], off
	s_mov_b32 s21, 0
	s_wait_loadcnt 0x0
	v_cvt_i32_f64_e32 v0, v[0:1]
	s_branch .LBB14_482
.LBB14_478:
	s_mov_b32 s21, -1
                                        ; implicit-def: $vgpr0
	s_branch .LBB14_500
.LBB14_479:
	s_mov_b32 s21, -1
                                        ; implicit-def: $vgpr0
	s_branch .LBB14_488
.LBB14_480:
	s_mov_b32 s21, -1
                                        ; implicit-def: $vgpr0
	s_branch .LBB14_485
.LBB14_481:
	s_mov_b32 s21, -1
                                        ; implicit-def: $vgpr0
.LBB14_482:
	s_delay_alu instid0(SALU_CYCLE_1)
	s_and_not1_b32 vcc_lo, exec_lo, s21
	s_cbranch_vccnz .LBB14_484
; %bb.483:
	s_wait_loadcnt 0x0
	global_load_b32 v0, v[2:3], off
	s_wait_loadcnt 0x0
	v_cvt_i32_f32_e32 v0, v0
.LBB14_484:
	s_mov_b32 s21, 0
.LBB14_485:
	s_delay_alu instid0(SALU_CYCLE_1)
	s_and_not1_b32 vcc_lo, exec_lo, s21
	s_cbranch_vccnz .LBB14_487
; %bb.486:
	s_wait_loadcnt 0x0
	global_load_b32 v0, v[2:3], off
	s_wait_loadcnt 0x0
	v_cvt_i16_f16_e32 v0, v0
.LBB14_487:
	s_mov_b32 s21, 0
.LBB14_488:
	s_delay_alu instid0(SALU_CYCLE_1)
	s_and_not1_b32 vcc_lo, exec_lo, s21
	s_cbranch_vccnz .LBB14_499
; %bb.489:
	s_cmp_lt_i32 s0, 6
	s_cbranch_scc1 .LBB14_492
; %bb.490:
	s_cmp_gt_i32 s0, 6
	s_cbranch_scc0 .LBB14_493
; %bb.491:
	s_wait_loadcnt 0x0
	global_load_b64 v[0:1], v[2:3], off
	s_mov_b32 s21, 0
	s_wait_loadcnt 0x0
	v_cvt_i32_f64_e32 v0, v[0:1]
	s_branch .LBB14_494
.LBB14_492:
	s_mov_b32 s21, -1
                                        ; implicit-def: $vgpr0
	s_branch .LBB14_497
.LBB14_493:
	s_mov_b32 s21, -1
                                        ; implicit-def: $vgpr0
.LBB14_494:
	s_delay_alu instid0(SALU_CYCLE_1)
	s_and_not1_b32 vcc_lo, exec_lo, s21
	s_cbranch_vccnz .LBB14_496
; %bb.495:
	s_wait_loadcnt 0x0
	global_load_b32 v0, v[2:3], off
	s_wait_loadcnt 0x0
	v_cvt_i32_f32_e32 v0, v0
.LBB14_496:
	s_mov_b32 s21, 0
.LBB14_497:
	s_delay_alu instid0(SALU_CYCLE_1)
	s_and_not1_b32 vcc_lo, exec_lo, s21
	s_cbranch_vccnz .LBB14_499
; %bb.498:
	s_wait_loadcnt 0x0
	global_load_u16 v0, v[2:3], off
	s_wait_loadcnt 0x0
	v_cvt_i16_f16_e32 v0, v0
.LBB14_499:
	s_mov_b32 s21, 0
.LBB14_500:
	s_delay_alu instid0(SALU_CYCLE_1)
	s_and_not1_b32 vcc_lo, exec_lo, s21
	s_cbranch_vccnz .LBB14_520
; %bb.501:
	s_cmp_lt_i32 s0, 2
	s_cbranch_scc1 .LBB14_505
; %bb.502:
	s_cmp_lt_i32 s0, 3
	s_cbranch_scc1 .LBB14_506
; %bb.503:
	s_cmp_gt_i32 s0, 3
	s_cbranch_scc0 .LBB14_507
; %bb.504:
	s_wait_loadcnt 0x0
	global_load_b64 v[0:1], v[2:3], off
	s_mov_b32 s21, 0
	s_branch .LBB14_508
.LBB14_505:
	s_mov_b32 s21, -1
                                        ; implicit-def: $vgpr0
	s_branch .LBB14_514
.LBB14_506:
	s_mov_b32 s21, -1
                                        ; implicit-def: $vgpr0
	s_branch .LBB14_511
.LBB14_507:
	s_mov_b32 s21, -1
                                        ; implicit-def: $vgpr0
.LBB14_508:
	s_delay_alu instid0(SALU_CYCLE_1)
	s_and_not1_b32 vcc_lo, exec_lo, s21
	s_cbranch_vccnz .LBB14_510
; %bb.509:
	s_wait_loadcnt 0x0
	global_load_b32 v0, v[2:3], off
.LBB14_510:
	s_mov_b32 s21, 0
.LBB14_511:
	s_delay_alu instid0(SALU_CYCLE_1)
	s_and_not1_b32 vcc_lo, exec_lo, s21
	s_cbranch_vccnz .LBB14_513
; %bb.512:
	s_wait_loadcnt 0x0
	global_load_u16 v0, v[2:3], off
.LBB14_513:
	s_mov_b32 s21, 0
.LBB14_514:
	s_delay_alu instid0(SALU_CYCLE_1)
	s_and_not1_b32 vcc_lo, exec_lo, s21
	s_cbranch_vccnz .LBB14_520
; %bb.515:
	s_cmp_gt_i32 s0, 0
	s_mov_b32 s0, 0
	s_cbranch_scc0 .LBB14_517
; %bb.516:
	s_wait_loadcnt 0x0
	global_load_u8 v0, v[2:3], off
	s_branch .LBB14_518
.LBB14_517:
	s_mov_b32 s0, -1
                                        ; implicit-def: $vgpr0
.LBB14_518:
	s_delay_alu instid0(SALU_CYCLE_1)
	s_and_not1_b32 vcc_lo, exec_lo, s0
	s_cbranch_vccnz .LBB14_520
; %bb.519:
	s_wait_loadcnt 0x0
	global_load_u8 v0, v[2:3], off
.LBB14_520:
	s_branch .LBB14_392
.LBB14_521:
	s_mov_b32 s24, 0
	s_mov_b32 s0, s15
	;; [unrolled: 1-line block ×3, first 2 shown]
	s_branch .LBB14_765
.LBB14_522:
	s_and_not1_saveexec_b32 s24, s24
	s_cbranch_execz .LBB14_193
.LBB14_523:
	v_add_f32_e64 v4, 0x42800000, |v3|
	s_and_not1_b32 s23, s23, exec_lo
	s_delay_alu instid0(VALU_DEP_1) | instskip(NEXT) | instid1(VALU_DEP_1)
	v_and_b32_e32 v4, 0xff, v4
	v_cmp_ne_u32_e32 vcc_lo, 0, v4
	s_and_b32 s25, vcc_lo, exec_lo
	s_delay_alu instid0(SALU_CYCLE_1)
	s_or_b32 s23, s23, s25
	s_or_b32 exec_lo, exec_lo, s24
	v_mov_b32_e32 v5, 0
	s_and_saveexec_b32 s24, s23
	s_cbranch_execnz .LBB14_194
	s_branch .LBB14_195
.LBB14_524:
	s_mov_b32 s22, -1
	s_mov_b32 s24, 0
.LBB14_525:
                                        ; implicit-def: $vgpr4
.LBB14_526:
	s_and_b32 vcc_lo, exec_lo, s25
	s_cbranch_vccz .LBB14_530
; %bb.527:
	s_cmp_eq_u32 s21, 44
	s_cbranch_scc0 .LBB14_529
; %bb.528:
	s_wait_loadcnt 0x0
	global_load_u8 v1, v[2:3], off
	s_mov_b32 s22, 0
	s_mov_b32 s24, -1
	s_wait_loadcnt 0x0
	v_lshlrev_b32_e32 v4, 23, v1
	v_cmp_ne_u32_e32 vcc_lo, 0, v1
	s_delay_alu instid0(VALU_DEP_2) | instskip(NEXT) | instid1(VALU_DEP_1)
	v_cvt_i32_f32_e32 v4, v4
	v_cndmask_b32_e32 v4, 0, v4, vcc_lo
	s_branch .LBB14_530
.LBB14_529:
	s_mov_b32 s22, -1
                                        ; implicit-def: $vgpr4
.LBB14_530:
	s_mov_b32 s25, 0
.LBB14_531:
	s_delay_alu instid0(SALU_CYCLE_1)
	s_and_b32 vcc_lo, exec_lo, s25
	s_cbranch_vccz .LBB14_535
; %bb.532:
	s_cmp_eq_u32 s21, 29
	s_cbranch_scc0 .LBB14_534
; %bb.533:
	global_load_b64 v[4:5], v[2:3], off
	s_mov_b32 s24, -1
	s_mov_b32 s22, 0
	s_branch .LBB14_535
.LBB14_534:
	s_mov_b32 s22, -1
                                        ; implicit-def: $vgpr4
.LBB14_535:
	s_mov_b32 s25, 0
.LBB14_536:
	s_delay_alu instid0(SALU_CYCLE_1)
	s_and_b32 vcc_lo, exec_lo, s25
	s_cbranch_vccz .LBB14_552
; %bb.537:
	s_cmp_lt_i32 s21, 27
	s_cbranch_scc1 .LBB14_540
; %bb.538:
	s_cmp_gt_i32 s21, 27
	s_cbranch_scc0 .LBB14_541
; %bb.539:
	s_wait_loadcnt 0x0
	global_load_b32 v4, v[2:3], off
	s_mov_b32 s24, 0
	s_branch .LBB14_542
.LBB14_540:
	s_mov_b32 s24, -1
                                        ; implicit-def: $vgpr4
	s_branch .LBB14_545
.LBB14_541:
	s_mov_b32 s24, -1
                                        ; implicit-def: $vgpr4
.LBB14_542:
	s_delay_alu instid0(SALU_CYCLE_1)
	s_and_not1_b32 vcc_lo, exec_lo, s24
	s_cbranch_vccnz .LBB14_544
; %bb.543:
	s_wait_loadcnt 0x0
	global_load_u16 v4, v[2:3], off
.LBB14_544:
	s_mov_b32 s24, 0
.LBB14_545:
	s_delay_alu instid0(SALU_CYCLE_1)
	s_and_not1_b32 vcc_lo, exec_lo, s24
	s_cbranch_vccnz .LBB14_551
; %bb.546:
	s_wait_loadcnt 0x0
	global_load_u8 v1, v[2:3], off
	s_mov_b32 s25, 0
	s_mov_b32 s24, exec_lo
	s_wait_loadcnt 0x0
	v_cmpx_lt_i16_e32 0x7f, v1
	s_xor_b32 s24, exec_lo, s24
	s_cbranch_execz .LBB14_563
; %bb.547:
	v_cmp_ne_u16_e32 vcc_lo, 0x80, v1
	s_and_b32 s25, vcc_lo, exec_lo
	s_and_not1_saveexec_b32 s24, s24
	s_cbranch_execnz .LBB14_564
.LBB14_548:
	s_or_b32 exec_lo, exec_lo, s24
	v_mov_b32_e32 v4, 0
	s_and_saveexec_b32 s24, s25
	s_cbranch_execz .LBB14_550
.LBB14_549:
	v_and_b32_e32 v4, 0xffff, v1
	s_delay_alu instid0(VALU_DEP_1) | instskip(SKIP_1) | instid1(VALU_DEP_2)
	v_and_b32_e32 v5, 7, v4
	v_bfe_u32 v8, v4, 3, 4
	v_clz_i32_u32_e32 v6, v5
	s_delay_alu instid0(VALU_DEP_2) | instskip(NEXT) | instid1(VALU_DEP_2)
	v_cmp_eq_u32_e32 vcc_lo, 0, v8
	v_min_u32_e32 v6, 32, v6
	s_delay_alu instid0(VALU_DEP_1) | instskip(NEXT) | instid1(VALU_DEP_1)
	v_subrev_nc_u32_e32 v7, 28, v6
	v_dual_lshlrev_b32 v4, v7, v4 :: v_dual_sub_nc_u32 v6, 29, v6
	s_delay_alu instid0(VALU_DEP_1) | instskip(NEXT) | instid1(VALU_DEP_1)
	v_dual_lshlrev_b32 v1, 24, v1 :: v_dual_bitop2_b32 v4, 7, v4 bitop3:0x40
	v_dual_cndmask_b32 v6, v8, v6, vcc_lo :: v_dual_cndmask_b32 v4, v5, v4, vcc_lo
	s_delay_alu instid0(VALU_DEP_2) | instskip(NEXT) | instid1(VALU_DEP_2)
	v_and_b32_e32 v1, 0x80000000, v1
	v_lshl_add_u32 v5, v6, 23, 0x3b800000
	s_delay_alu instid0(VALU_DEP_3) | instskip(NEXT) | instid1(VALU_DEP_1)
	v_lshlrev_b32_e32 v4, 20, v4
	v_or3_b32 v1, v1, v5, v4
	s_delay_alu instid0(VALU_DEP_1)
	v_cvt_i32_f32_e32 v4, v1
.LBB14_550:
	s_or_b32 exec_lo, exec_lo, s24
.LBB14_551:
	s_mov_b32 s24, -1
.LBB14_552:
	s_mov_b32 s25, 0
.LBB14_553:
	s_delay_alu instid0(SALU_CYCLE_1)
	s_and_b32 vcc_lo, exec_lo, s25
	s_cbranch_vccz .LBB14_586
; %bb.554:
	s_cmp_gt_i32 s21, 22
	s_cbranch_scc0 .LBB14_562
; %bb.555:
	s_cmp_lt_i32 s21, 24
	s_cbranch_scc1 .LBB14_565
; %bb.556:
	s_cmp_gt_i32 s21, 24
	s_cbranch_scc0 .LBB14_566
; %bb.557:
	s_wait_loadcnt 0x0
	global_load_u8 v1, v[2:3], off
	s_mov_b32 s25, 0
	s_mov_b32 s24, exec_lo
	s_wait_loadcnt 0x0
	v_cmpx_lt_i16_e32 0x7f, v1
	s_xor_b32 s24, exec_lo, s24
	s_cbranch_execz .LBB14_578
; %bb.558:
	v_cmp_ne_u16_e32 vcc_lo, 0x80, v1
	s_and_b32 s25, vcc_lo, exec_lo
	s_and_not1_saveexec_b32 s24, s24
	s_cbranch_execnz .LBB14_579
.LBB14_559:
	s_or_b32 exec_lo, exec_lo, s24
	v_mov_b32_e32 v4, 0
	s_and_saveexec_b32 s24, s25
	s_cbranch_execz .LBB14_561
.LBB14_560:
	v_and_b32_e32 v4, 0xffff, v1
	s_delay_alu instid0(VALU_DEP_1) | instskip(SKIP_1) | instid1(VALU_DEP_2)
	v_and_b32_e32 v5, 3, v4
	v_bfe_u32 v8, v4, 2, 5
	v_clz_i32_u32_e32 v6, v5
	s_delay_alu instid0(VALU_DEP_2) | instskip(NEXT) | instid1(VALU_DEP_2)
	v_cmp_eq_u32_e32 vcc_lo, 0, v8
	v_min_u32_e32 v6, 32, v6
	s_delay_alu instid0(VALU_DEP_1) | instskip(NEXT) | instid1(VALU_DEP_1)
	v_subrev_nc_u32_e32 v7, 29, v6
	v_dual_lshlrev_b32 v4, v7, v4 :: v_dual_sub_nc_u32 v6, 30, v6
	s_delay_alu instid0(VALU_DEP_1) | instskip(NEXT) | instid1(VALU_DEP_1)
	v_dual_lshlrev_b32 v1, 24, v1 :: v_dual_bitop2_b32 v4, 3, v4 bitop3:0x40
	v_dual_cndmask_b32 v6, v8, v6, vcc_lo :: v_dual_cndmask_b32 v4, v5, v4, vcc_lo
	s_delay_alu instid0(VALU_DEP_2) | instskip(NEXT) | instid1(VALU_DEP_2)
	v_and_b32_e32 v1, 0x80000000, v1
	v_lshl_add_u32 v5, v6, 23, 0x37800000
	s_delay_alu instid0(VALU_DEP_3) | instskip(NEXT) | instid1(VALU_DEP_1)
	v_lshlrev_b32_e32 v4, 21, v4
	v_or3_b32 v1, v1, v5, v4
	s_delay_alu instid0(VALU_DEP_1)
	v_cvt_i32_f32_e32 v4, v1
.LBB14_561:
	s_or_b32 exec_lo, exec_lo, s24
	s_mov_b32 s24, 0
	s_branch .LBB14_567
.LBB14_562:
	s_mov_b32 s25, -1
                                        ; implicit-def: $vgpr4
	s_branch .LBB14_573
.LBB14_563:
	s_and_not1_saveexec_b32 s24, s24
	s_cbranch_execz .LBB14_548
.LBB14_564:
	v_cmp_ne_u16_e32 vcc_lo, 0, v1
	s_and_not1_b32 s25, s25, exec_lo
	s_and_b32 s26, vcc_lo, exec_lo
	s_delay_alu instid0(SALU_CYCLE_1)
	s_or_b32 s25, s25, s26
	s_or_b32 exec_lo, exec_lo, s24
	v_mov_b32_e32 v4, 0
	s_and_saveexec_b32 s24, s25
	s_cbranch_execnz .LBB14_549
	s_branch .LBB14_550
.LBB14_565:
	s_mov_b32 s24, -1
                                        ; implicit-def: $vgpr4
	s_branch .LBB14_570
.LBB14_566:
	s_mov_b32 s24, -1
                                        ; implicit-def: $vgpr4
.LBB14_567:
	s_delay_alu instid0(SALU_CYCLE_1)
	s_and_b32 vcc_lo, exec_lo, s24
	s_cbranch_vccz .LBB14_569
; %bb.568:
	s_wait_loadcnt 0x0
	global_load_u8 v1, v[2:3], off
	s_wait_loadcnt 0x0
	v_lshlrev_b32_e32 v1, 24, v1
	s_delay_alu instid0(VALU_DEP_1) | instskip(NEXT) | instid1(VALU_DEP_1)
	v_and_b32_e32 v4, 0x7f000000, v1
	v_clz_i32_u32_e32 v5, v4
	v_cmp_ne_u32_e32 vcc_lo, 0, v4
	v_add_nc_u32_e32 v7, 0x1000000, v4
	s_delay_alu instid0(VALU_DEP_3) | instskip(NEXT) | instid1(VALU_DEP_1)
	v_min_u32_e32 v5, 32, v5
	v_sub_nc_u32_e64 v5, v5, 4 clamp
	s_delay_alu instid0(VALU_DEP_1) | instskip(NEXT) | instid1(VALU_DEP_1)
	v_dual_lshlrev_b32 v6, v5, v4 :: v_dual_lshlrev_b32 v5, 23, v5
	v_lshrrev_b32_e32 v6, 4, v6
	s_delay_alu instid0(VALU_DEP_1) | instskip(NEXT) | instid1(VALU_DEP_1)
	v_dual_sub_nc_u32 v5, v6, v5 :: v_dual_ashrrev_i32 v6, 8, v7
	v_add_nc_u32_e32 v5, 0x3c000000, v5
	s_delay_alu instid0(VALU_DEP_1) | instskip(NEXT) | instid1(VALU_DEP_1)
	v_and_or_b32 v5, 0x7f800000, v6, v5
	v_cndmask_b32_e32 v4, 0, v5, vcc_lo
	s_delay_alu instid0(VALU_DEP_1) | instskip(NEXT) | instid1(VALU_DEP_1)
	v_and_or_b32 v1, 0x80000000, v1, v4
	v_cvt_i32_f32_e32 v4, v1
.LBB14_569:
	s_mov_b32 s24, 0
.LBB14_570:
	s_delay_alu instid0(SALU_CYCLE_1)
	s_and_not1_b32 vcc_lo, exec_lo, s24
	s_cbranch_vccnz .LBB14_572
; %bb.571:
	s_wait_loadcnt 0x0
	global_load_u8 v1, v[2:3], off
	s_wait_loadcnt 0x0
	v_lshlrev_b32_e32 v4, 25, v1
	v_lshlrev_b16 v1, 8, v1
	s_delay_alu instid0(VALU_DEP_1) | instskip(SKIP_1) | instid1(VALU_DEP_2)
	v_and_or_b32 v6, 0x7f00, v1, 0.5
	v_bfe_i32 v1, v1, 0, 16
	v_dual_add_f32 v6, -0.5, v6 :: v_dual_lshrrev_b32 v5, 4, v4
	v_cmp_gt_u32_e32 vcc_lo, 0x8000000, v4
	s_delay_alu instid0(VALU_DEP_2) | instskip(NEXT) | instid1(VALU_DEP_1)
	v_or_b32_e32 v5, 0x70000000, v5
	v_mul_f32_e32 v5, 0x7800000, v5
	s_delay_alu instid0(VALU_DEP_1) | instskip(NEXT) | instid1(VALU_DEP_1)
	v_cndmask_b32_e32 v4, v5, v6, vcc_lo
	v_and_or_b32 v1, 0x80000000, v1, v4
	s_delay_alu instid0(VALU_DEP_1)
	v_cvt_i32_f32_e32 v4, v1
.LBB14_572:
	s_mov_b32 s25, 0
	s_mov_b32 s24, -1
.LBB14_573:
	s_and_not1_b32 vcc_lo, exec_lo, s25
	s_cbranch_vccnz .LBB14_586
; %bb.574:
	s_cmp_gt_i32 s21, 14
	s_cbranch_scc0 .LBB14_577
; %bb.575:
	s_cmp_eq_u32 s21, 15
	s_cbranch_scc0 .LBB14_580
; %bb.576:
	s_wait_loadcnt 0x0
	global_load_u16 v1, v[2:3], off
	s_mov_b32 s24, -1
	s_mov_b32 s22, 0
	s_wait_loadcnt 0x0
	v_lshlrev_b32_e32 v1, 16, v1
	s_delay_alu instid0(VALU_DEP_1)
	v_cvt_i32_f32_e32 v4, v1
	s_branch .LBB14_581
.LBB14_577:
	s_mov_b32 s25, -1
                                        ; implicit-def: $vgpr4
	s_branch .LBB14_582
.LBB14_578:
	s_and_not1_saveexec_b32 s24, s24
	s_cbranch_execz .LBB14_559
.LBB14_579:
	v_cmp_ne_u16_e32 vcc_lo, 0, v1
	s_and_not1_b32 s25, s25, exec_lo
	s_and_b32 s26, vcc_lo, exec_lo
	s_delay_alu instid0(SALU_CYCLE_1)
	s_or_b32 s25, s25, s26
	s_or_b32 exec_lo, exec_lo, s24
	v_mov_b32_e32 v4, 0
	s_and_saveexec_b32 s24, s25
	s_cbranch_execnz .LBB14_560
	s_branch .LBB14_561
.LBB14_580:
	s_mov_b32 s22, -1
                                        ; implicit-def: $vgpr4
.LBB14_581:
	s_mov_b32 s25, 0
.LBB14_582:
	s_delay_alu instid0(SALU_CYCLE_1)
	s_and_b32 vcc_lo, exec_lo, s25
	s_cbranch_vccz .LBB14_586
; %bb.583:
	s_cmp_eq_u32 s21, 11
	s_cbranch_scc0 .LBB14_585
; %bb.584:
	s_wait_loadcnt 0x0
	global_load_u8 v1, v[2:3], off
	s_mov_b32 s22, 0
	s_mov_b32 s24, -1
	s_wait_loadcnt 0x0
	v_cmp_ne_u16_e32 vcc_lo, 0, v1
	v_cndmask_b32_e64 v4, 0, 1, vcc_lo
	s_branch .LBB14_586
.LBB14_585:
	s_mov_b32 s22, -1
                                        ; implicit-def: $vgpr4
.LBB14_586:
	s_mov_b32 s21, 0
.LBB14_587:
	s_delay_alu instid0(SALU_CYCLE_1)
	s_and_b32 vcc_lo, exec_lo, s21
	s_cbranch_vccz .LBB14_636
; %bb.588:
	s_and_b32 s0, 0xffff, s0
	s_delay_alu instid0(SALU_CYCLE_1)
	s_cmp_lt_i32 s0, 5
	s_cbranch_scc1 .LBB14_593
; %bb.589:
	s_cmp_lt_i32 s0, 8
	s_cbranch_scc1 .LBB14_594
; %bb.590:
	;; [unrolled: 3-line block ×3, first 2 shown]
	s_cmp_gt_i32 s0, 9
	s_cbranch_scc0 .LBB14_596
; %bb.592:
	s_wait_loadcnt 0x0
	global_load_b64 v[4:5], v[2:3], off
	s_mov_b32 s21, 0
	s_wait_loadcnt 0x0
	v_cvt_i32_f64_e32 v4, v[4:5]
	s_branch .LBB14_597
.LBB14_593:
	s_mov_b32 s21, -1
                                        ; implicit-def: $vgpr4
	s_branch .LBB14_615
.LBB14_594:
	s_mov_b32 s21, -1
                                        ; implicit-def: $vgpr4
	s_branch .LBB14_603
.LBB14_595:
	s_mov_b32 s21, -1
                                        ; implicit-def: $vgpr4
	s_branch .LBB14_600
.LBB14_596:
	s_mov_b32 s21, -1
                                        ; implicit-def: $vgpr4
.LBB14_597:
	s_delay_alu instid0(SALU_CYCLE_1)
	s_and_not1_b32 vcc_lo, exec_lo, s21
	s_cbranch_vccnz .LBB14_599
; %bb.598:
	s_wait_loadcnt 0x0
	global_load_b32 v1, v[2:3], off
	s_wait_loadcnt 0x0
	v_cvt_i32_f32_e32 v4, v1
.LBB14_599:
	s_mov_b32 s21, 0
.LBB14_600:
	s_delay_alu instid0(SALU_CYCLE_1)
	s_and_not1_b32 vcc_lo, exec_lo, s21
	s_cbranch_vccnz .LBB14_602
; %bb.601:
	s_wait_loadcnt 0x0
	global_load_b32 v1, v[2:3], off
	s_wait_loadcnt 0x0
	v_cvt_i16_f16_e32 v4, v1
.LBB14_602:
	s_mov_b32 s21, 0
.LBB14_603:
	s_delay_alu instid0(SALU_CYCLE_1)
	s_and_not1_b32 vcc_lo, exec_lo, s21
	s_cbranch_vccnz .LBB14_614
; %bb.604:
	s_cmp_lt_i32 s0, 6
	s_cbranch_scc1 .LBB14_607
; %bb.605:
	s_cmp_gt_i32 s0, 6
	s_cbranch_scc0 .LBB14_608
; %bb.606:
	s_wait_loadcnt 0x0
	global_load_b64 v[4:5], v[2:3], off
	s_mov_b32 s21, 0
	s_wait_loadcnt 0x0
	v_cvt_i32_f64_e32 v4, v[4:5]
	s_branch .LBB14_609
.LBB14_607:
	s_mov_b32 s21, -1
                                        ; implicit-def: $vgpr4
	s_branch .LBB14_612
.LBB14_608:
	s_mov_b32 s21, -1
                                        ; implicit-def: $vgpr4
.LBB14_609:
	s_delay_alu instid0(SALU_CYCLE_1)
	s_and_not1_b32 vcc_lo, exec_lo, s21
	s_cbranch_vccnz .LBB14_611
; %bb.610:
	s_wait_loadcnt 0x0
	global_load_b32 v1, v[2:3], off
	s_wait_loadcnt 0x0
	v_cvt_i32_f32_e32 v4, v1
.LBB14_611:
	s_mov_b32 s21, 0
.LBB14_612:
	s_delay_alu instid0(SALU_CYCLE_1)
	s_and_not1_b32 vcc_lo, exec_lo, s21
	s_cbranch_vccnz .LBB14_614
; %bb.613:
	s_wait_loadcnt 0x0
	global_load_u16 v1, v[2:3], off
	s_wait_loadcnt 0x0
	v_cvt_i16_f16_e32 v4, v1
.LBB14_614:
	s_mov_b32 s21, 0
.LBB14_615:
	s_delay_alu instid0(SALU_CYCLE_1)
	s_and_not1_b32 vcc_lo, exec_lo, s21
	s_cbranch_vccnz .LBB14_635
; %bb.616:
	s_cmp_lt_i32 s0, 2
	s_cbranch_scc1 .LBB14_620
; %bb.617:
	s_cmp_lt_i32 s0, 3
	s_cbranch_scc1 .LBB14_621
; %bb.618:
	s_cmp_gt_i32 s0, 3
	s_cbranch_scc0 .LBB14_622
; %bb.619:
	s_wait_loadcnt 0x0
	global_load_b64 v[4:5], v[2:3], off
	s_mov_b32 s21, 0
	s_branch .LBB14_623
.LBB14_620:
	s_mov_b32 s21, -1
                                        ; implicit-def: $vgpr4
	s_branch .LBB14_629
.LBB14_621:
	s_mov_b32 s21, -1
                                        ; implicit-def: $vgpr4
	s_branch .LBB14_626
.LBB14_622:
	s_mov_b32 s21, -1
                                        ; implicit-def: $vgpr4
.LBB14_623:
	s_delay_alu instid0(SALU_CYCLE_1)
	s_and_not1_b32 vcc_lo, exec_lo, s21
	s_cbranch_vccnz .LBB14_625
; %bb.624:
	s_wait_loadcnt 0x0
	global_load_b32 v4, v[2:3], off
.LBB14_625:
	s_mov_b32 s21, 0
.LBB14_626:
	s_delay_alu instid0(SALU_CYCLE_1)
	s_and_not1_b32 vcc_lo, exec_lo, s21
	s_cbranch_vccnz .LBB14_628
; %bb.627:
	s_wait_loadcnt 0x0
	global_load_u16 v4, v[2:3], off
.LBB14_628:
	s_mov_b32 s21, 0
.LBB14_629:
	s_delay_alu instid0(SALU_CYCLE_1)
	s_and_not1_b32 vcc_lo, exec_lo, s21
	s_cbranch_vccnz .LBB14_635
; %bb.630:
	s_cmp_gt_i32 s0, 0
	s_mov_b32 s0, 0
	s_cbranch_scc0 .LBB14_632
; %bb.631:
	s_wait_loadcnt 0x0
	global_load_u8 v4, v[2:3], off
	s_branch .LBB14_633
.LBB14_632:
	s_mov_b32 s0, -1
                                        ; implicit-def: $vgpr4
.LBB14_633:
	s_delay_alu instid0(SALU_CYCLE_1)
	s_and_not1_b32 vcc_lo, exec_lo, s0
	s_cbranch_vccnz .LBB14_635
; %bb.634:
	s_wait_loadcnt 0x0
	global_load_u8 v4, v[2:3], off
.LBB14_635:
	s_mov_b32 s24, -1
.LBB14_636:
	s_delay_alu instid0(SALU_CYCLE_1)
	s_and_not1_b32 vcc_lo, exec_lo, s24
	s_cbranch_vccnz .LBB14_648
; %bb.637:
	s_wait_loadcnt 0x0
	s_delay_alu instid0(VALU_DEP_1)
	v_bfe_i32 v1, v4, 0, 8
	s_wait_xcnt 0x0
	v_and_b32_e32 v3, 0xff, v0
	s_mov_b32 s21, 0
	s_mov_b32 s0, exec_lo
	v_sub_nc_u16 v2, 0, v1
	s_delay_alu instid0(VALU_DEP_1)
	v_max_i16 v2, v1, v2
	v_cmpx_ne_u16_e32 0, v3
	s_cbranch_execz .LBB14_641
; %bb.638:
	v_bfe_i32 v0, v0, 0, 8
	s_delay_alu instid0(VALU_DEP_1) | instskip(NEXT) | instid1(VALU_DEP_1)
	v_sub_nc_u16 v1, 0, v0
	v_max_i16 v1, v0, v1
	v_and_b32_e32 v0, 0xff, v2
	s_delay_alu instid0(VALU_DEP_2)
	v_and_b32_e32 v1, 0xffff, v1
.LBB14_639:                             ; =>This Inner Loop Header: Depth=1
	s_delay_alu instid0(VALU_DEP_2) | instskip(NEXT) | instid1(VALU_DEP_2)
	v_bfe_i32 v4, v0, 0, 8
	v_mov_b32_e32 v2, v1
	s_delay_alu instid0(VALU_DEP_2) | instskip(NEXT) | instid1(VALU_DEP_2)
	v_cvt_f32_i32_e32 v6, v4
	v_bfe_i32 v1, v2, 0, 8
	s_delay_alu instid0(VALU_DEP_1) | instskip(SKIP_1) | instid1(VALU_DEP_2)
	v_cvt_f32_i32_e32 v3, v1
	v_xor_b32_e32 v1, v4, v1
	v_rcp_iflag_f32_e32 v5, v3
	v_nop
	s_delay_alu instid0(TRANS32_DEP_1) | instskip(NEXT) | instid1(VALU_DEP_1)
	v_mul_f32_e32 v4, v6, v5
	v_trunc_f32_e32 v4, v4
	s_delay_alu instid0(VALU_DEP_1) | instskip(NEXT) | instid1(VALU_DEP_1)
	v_dual_ashrrev_i32 v1, 30, v1 :: v_dual_fma_f32 v5, -v4, v3, v6
	v_or_b32_e32 v1, 1, v1
	v_cvt_i32_f32_e32 v4, v4
	s_delay_alu instid0(VALU_DEP_3) | instskip(NEXT) | instid1(VALU_DEP_3)
	v_cmp_ge_f32_e64 vcc_lo, |v5|, |v3|
	v_cndmask_b32_e32 v1, 0, v1, vcc_lo
	s_delay_alu instid0(VALU_DEP_1) | instskip(NEXT) | instid1(VALU_DEP_1)
	v_add_nc_u32_e32 v1, v4, v1
	v_mul_lo_u32 v1, v1, v2
	s_delay_alu instid0(VALU_DEP_1) | instskip(NEXT) | instid1(VALU_DEP_1)
	v_sub_nc_u32_e32 v0, v0, v1
	v_bfe_i32 v1, v0, 0, 8
	v_mov_b32_e32 v0, v2
	s_delay_alu instid0(VALU_DEP_2) | instskip(SKIP_2) | instid1(SALU_CYCLE_1)
	v_cmp_eq_u16_e32 vcc_lo, 0, v1
	v_and_b32_e32 v1, 0xffff, v1
	s_or_b32 s21, vcc_lo, s21
	s_and_not1_b32 exec_lo, exec_lo, s21
	s_cbranch_execnz .LBB14_639
; %bb.640:
	s_or_b32 exec_lo, exec_lo, s21
.LBB14_641:
	s_delay_alu instid0(SALU_CYCLE_1) | instskip(SKIP_2) | instid1(SALU_CYCLE_1)
	s_or_b32 exec_lo, exec_lo, s0
	v_mul_lo_u32 v0, v10, s8
	s_and_b32 s21, s11, 0xff
	s_cmp_lt_i32 s21, 11
	s_delay_alu instid0(VALU_DEP_1) | instskip(NEXT) | instid1(VALU_DEP_1)
	v_ashrrev_i32_e32 v1, 31, v0
	v_add_nc_u64_e32 v[0:1], s[4:5], v[0:1]
	s_cbranch_scc1 .LBB14_649
; %bb.642:
	s_and_b32 s24, 0xffff, s21
	s_delay_alu instid0(SALU_CYCLE_1)
	s_cmp_gt_i32 s24, 25
	s_cbranch_scc0 .LBB14_650
; %bb.643:
	s_cmp_gt_i32 s24, 28
	s_cbranch_scc0 .LBB14_651
; %bb.644:
	;; [unrolled: 3-line block ×4, first 2 shown]
	s_mov_b32 s26, 0
	s_mov_b32 s0, -1
	s_cmp_eq_u32 s24, 46
	s_mov_b32 s25, 0
	s_cbranch_scc0 .LBB14_654
; %bb.647:
	v_bfe_i32 v3, v2, 0, 8
	s_mov_b32 s25, -1
	s_mov_b32 s0, 0
	s_delay_alu instid0(VALU_DEP_1) | instskip(NEXT) | instid1(VALU_DEP_1)
	v_bfe_i32 v3, v3, 0, 16
	v_cvt_f32_i32_e32 v3, v3
	s_delay_alu instid0(VALU_DEP_1) | instskip(NEXT) | instid1(VALU_DEP_1)
	v_bfe_u32 v4, v3, 16, 1
	v_add3_u32 v3, v3, v4, 0x7fff
	s_delay_alu instid0(VALU_DEP_1)
	v_lshrrev_b32_e32 v3, 16, v3
	global_store_b32 v[0:1], v3, off
	s_branch .LBB14_654
.LBB14_648:
	s_mov_b32 s24, 0
	s_mov_b32 s0, s15
	s_branch .LBB14_765
.LBB14_649:
	s_mov_b32 s24, -1
	s_mov_b32 s25, 0
	s_mov_b32 s0, s15
	s_branch .LBB14_723
.LBB14_650:
	s_mov_b32 s26, -1
	s_mov_b32 s25, 0
	s_mov_b32 s0, s15
	s_branch .LBB14_681
.LBB14_651:
	s_mov_b32 s26, -1
	s_mov_b32 s25, 0
	s_mov_b32 s0, s15
	s_branch .LBB14_664
.LBB14_652:
	s_mov_b32 s26, -1
	s_mov_b32 s25, 0
	s_mov_b32 s0, s15
	s_branch .LBB14_660
.LBB14_653:
	s_mov_b32 s26, -1
	s_mov_b32 s25, 0
	s_mov_b32 s0, s15
.LBB14_654:
	s_and_b32 vcc_lo, exec_lo, s26
	s_cbranch_vccz .LBB14_659
; %bb.655:
	s_cmp_eq_u32 s24, 44
	s_mov_b32 s0, -1
	s_cbranch_scc0 .LBB14_659
; %bb.656:
	s_wait_xcnt 0x0
	v_bfe_i32 v3, v2, 0, 8
	v_mov_b32_e32 v4, 0xff
	s_mov_b32 s25, exec_lo
	s_delay_alu instid0(VALU_DEP_2) | instskip(NEXT) | instid1(VALU_DEP_1)
	v_bfe_i32 v3, v3, 0, 16
	v_cvt_f32_i32_e32 v3, v3
	s_delay_alu instid0(VALU_DEP_1) | instskip(NEXT) | instid1(VALU_DEP_1)
	v_bfe_u32 v5, v3, 23, 8
	v_cmpx_ne_u32_e32 0xff, v5
	s_cbranch_execz .LBB14_658
; %bb.657:
	v_and_b32_e32 v4, 0x400000, v3
	v_and_or_b32 v5, 0x3fffff, v3, v5
	v_lshrrev_b32_e32 v3, 23, v3
	s_delay_alu instid0(VALU_DEP_3) | instskip(NEXT) | instid1(VALU_DEP_3)
	v_cmp_ne_u32_e32 vcc_lo, 0, v4
	v_cmp_ne_u32_e64 s0, 0, v5
	s_and_b32 s0, vcc_lo, s0
	s_delay_alu instid0(SALU_CYCLE_1) | instskip(NEXT) | instid1(VALU_DEP_1)
	v_cndmask_b32_e64 v4, 0, 1, s0
	v_add_nc_u32_e32 v4, v3, v4
.LBB14_658:
	s_or_b32 exec_lo, exec_lo, s25
	s_mov_b32 s25, -1
	s_mov_b32 s0, 0
	global_store_b8 v[0:1], v4, off
.LBB14_659:
	s_mov_b32 s26, 0
.LBB14_660:
	s_delay_alu instid0(SALU_CYCLE_1)
	s_and_b32 vcc_lo, exec_lo, s26
	s_cbranch_vccz .LBB14_663
; %bb.661:
	s_cmp_eq_u32 s24, 29
	s_mov_b32 s0, -1
	s_cbranch_scc0 .LBB14_663
; %bb.662:
	s_wait_xcnt 0x0
	v_bfe_i32 v4, v2, 0, 8
	s_mov_b32 s25, -1
	s_mov_b32 s0, 0
	s_mov_b32 s26, 0
	s_delay_alu instid0(VALU_DEP_1)
	v_ashrrev_i32_e32 v5, 31, v4
	global_store_b64 v[0:1], v[4:5], off
	s_branch .LBB14_664
.LBB14_663:
	s_mov_b32 s26, 0
.LBB14_664:
	s_delay_alu instid0(SALU_CYCLE_1)
	s_and_b32 vcc_lo, exec_lo, s26
	s_cbranch_vccz .LBB14_680
; %bb.665:
	s_cmp_lt_i32 s24, 27
	s_mov_b32 s25, -1
	s_cbranch_scc1 .LBB14_671
; %bb.666:
	s_cmp_gt_i32 s24, 27
	s_cbranch_scc0 .LBB14_668
; %bb.667:
	s_wait_xcnt 0x0
	v_bfe_i32 v3, v2, 0, 8
	s_mov_b32 s25, 0
	global_store_b32 v[0:1], v3, off
.LBB14_668:
	s_and_not1_b32 vcc_lo, exec_lo, s25
	s_cbranch_vccnz .LBB14_670
; %bb.669:
	s_wait_xcnt 0x0
	v_bfe_i32 v3, v2, 0, 8
	global_store_b16 v[0:1], v3, off
.LBB14_670:
	s_mov_b32 s25, 0
.LBB14_671:
	s_delay_alu instid0(SALU_CYCLE_1)
	s_and_not1_b32 vcc_lo, exec_lo, s25
	s_cbranch_vccnz .LBB14_679
; %bb.672:
	s_wait_xcnt 0x0
	v_bfe_i32 v3, v2, 0, 8
	v_mov_b32_e32 v5, 0x80
	s_mov_b32 s25, exec_lo
	s_delay_alu instid0(VALU_DEP_2) | instskip(NEXT) | instid1(VALU_DEP_1)
	v_bfe_i32 v3, v3, 0, 16
	v_cvt_f32_i32_e32 v3, v3
	s_delay_alu instid0(VALU_DEP_1) | instskip(NEXT) | instid1(VALU_DEP_1)
	v_and_b32_e32 v4, 0x7fffffff, v3
	v_cmpx_gt_u32_e32 0x43800000, v4
	s_cbranch_execz .LBB14_678
; %bb.673:
	v_cmp_lt_u32_e32 vcc_lo, 0x3bffffff, v4
	s_mov_b32 s26, 0
                                        ; implicit-def: $vgpr4
	s_and_saveexec_b32 s27, vcc_lo
	s_delay_alu instid0(SALU_CYCLE_1)
	s_xor_b32 s27, exec_lo, s27
	s_cbranch_execz .LBB14_781
; %bb.674:
	v_bfe_u32 v4, v3, 20, 1
	s_mov_b32 s26, exec_lo
	s_delay_alu instid0(VALU_DEP_1) | instskip(NEXT) | instid1(VALU_DEP_1)
	v_add3_u32 v4, v3, v4, 0x487ffff
	v_lshrrev_b32_e32 v4, 20, v4
	s_and_not1_saveexec_b32 s27, s27
	s_cbranch_execnz .LBB14_782
.LBB14_675:
	s_or_b32 exec_lo, exec_lo, s27
	v_mov_b32_e32 v5, 0
	s_and_saveexec_b32 s27, s26
.LBB14_676:
	v_lshrrev_b32_e32 v3, 24, v3
	s_delay_alu instid0(VALU_DEP_1)
	v_and_or_b32 v5, 0x80, v3, v4
.LBB14_677:
	s_or_b32 exec_lo, exec_lo, s27
.LBB14_678:
	s_delay_alu instid0(SALU_CYCLE_1)
	s_or_b32 exec_lo, exec_lo, s25
	global_store_b8 v[0:1], v5, off
.LBB14_679:
	s_mov_b32 s25, -1
.LBB14_680:
	s_mov_b32 s26, 0
.LBB14_681:
	s_delay_alu instid0(SALU_CYCLE_1)
	s_and_b32 vcc_lo, exec_lo, s26
	s_cbranch_vccz .LBB14_722
; %bb.682:
	s_cmp_gt_i32 s24, 22
	s_mov_b32 s26, -1
	s_cbranch_scc0 .LBB14_714
; %bb.683:
	s_cmp_lt_i32 s24, 24
	s_mov_b32 s25, -1
	s_cbranch_scc1 .LBB14_703
; %bb.684:
	s_cmp_gt_i32 s24, 24
	s_cbranch_scc0 .LBB14_692
; %bb.685:
	s_wait_xcnt 0x0
	v_bfe_i32 v3, v2, 0, 8
	v_mov_b32_e32 v5, 0x80
	s_mov_b32 s25, exec_lo
	s_delay_alu instid0(VALU_DEP_2) | instskip(NEXT) | instid1(VALU_DEP_1)
	v_bfe_i32 v3, v3, 0, 16
	v_cvt_f32_i32_e32 v3, v3
	s_delay_alu instid0(VALU_DEP_1) | instskip(NEXT) | instid1(VALU_DEP_1)
	v_and_b32_e32 v4, 0x7fffffff, v3
	v_cmpx_gt_u32_e32 0x47800000, v4
	s_cbranch_execz .LBB14_691
; %bb.686:
	v_cmp_lt_u32_e32 vcc_lo, 0x37ffffff, v4
	s_mov_b32 s26, 0
                                        ; implicit-def: $vgpr4
	s_and_saveexec_b32 s27, vcc_lo
	s_delay_alu instid0(SALU_CYCLE_1)
	s_xor_b32 s27, exec_lo, s27
	s_cbranch_execz .LBB14_909
; %bb.687:
	v_bfe_u32 v4, v3, 21, 1
	s_mov_b32 s26, exec_lo
	s_delay_alu instid0(VALU_DEP_1) | instskip(NEXT) | instid1(VALU_DEP_1)
	v_add3_u32 v4, v3, v4, 0x88fffff
	v_lshrrev_b32_e32 v4, 21, v4
	s_and_not1_saveexec_b32 s27, s27
	s_cbranch_execnz .LBB14_910
.LBB14_688:
	s_or_b32 exec_lo, exec_lo, s27
	v_mov_b32_e32 v5, 0
	s_and_saveexec_b32 s27, s26
.LBB14_689:
	v_lshrrev_b32_e32 v3, 24, v3
	s_delay_alu instid0(VALU_DEP_1)
	v_and_or_b32 v5, 0x80, v3, v4
.LBB14_690:
	s_or_b32 exec_lo, exec_lo, s27
.LBB14_691:
	s_delay_alu instid0(SALU_CYCLE_1)
	s_or_b32 exec_lo, exec_lo, s25
	s_mov_b32 s25, 0
	global_store_b8 v[0:1], v5, off
.LBB14_692:
	s_and_b32 vcc_lo, exec_lo, s25
	s_cbranch_vccz .LBB14_702
; %bb.693:
	s_wait_xcnt 0x0
	v_bfe_i32 v3, v2, 0, 8
	s_mov_b32 s25, exec_lo
                                        ; implicit-def: $vgpr4
	s_delay_alu instid0(VALU_DEP_1) | instskip(NEXT) | instid1(VALU_DEP_1)
	v_bfe_i32 v3, v3, 0, 16
	v_cvt_f32_i32_e32 v3, v3
	s_delay_alu instid0(VALU_DEP_1) | instskip(NEXT) | instid1(VALU_DEP_1)
	v_and_b32_e32 v5, 0x7fffffff, v3
	v_cmpx_gt_u32_e32 0x43f00000, v5
	s_xor_b32 s25, exec_lo, s25
	s_cbranch_execz .LBB14_699
; %bb.694:
	s_mov_b32 s26, exec_lo
                                        ; implicit-def: $vgpr4
	v_cmpx_lt_u32_e32 0x3c7fffff, v5
	s_xor_b32 s26, exec_lo, s26
; %bb.695:
	v_bfe_u32 v4, v3, 20, 1
	s_delay_alu instid0(VALU_DEP_1) | instskip(NEXT) | instid1(VALU_DEP_1)
	v_add3_u32 v4, v3, v4, 0x407ffff
	v_and_b32_e32 v5, 0xff00000, v4
	v_lshrrev_b32_e32 v4, 20, v4
	s_delay_alu instid0(VALU_DEP_2) | instskip(NEXT) | instid1(VALU_DEP_2)
	v_cmp_ne_u32_e32 vcc_lo, 0x7f00000, v5
	v_cndmask_b32_e32 v4, 0x7e, v4, vcc_lo
; %bb.696:
	s_and_not1_saveexec_b32 s26, s26
; %bb.697:
	v_add_f32_e64 v4, 0x46800000, |v3|
; %bb.698:
	s_or_b32 exec_lo, exec_lo, s26
                                        ; implicit-def: $vgpr5
.LBB14_699:
	s_and_not1_saveexec_b32 s25, s25
; %bb.700:
	v_mov_b32_e32 v4, 0x7f
	v_cmp_lt_u32_e32 vcc_lo, 0x7f800000, v5
	s_delay_alu instid0(VALU_DEP_2)
	v_cndmask_b32_e32 v4, 0x7e, v4, vcc_lo
; %bb.701:
	s_or_b32 exec_lo, exec_lo, s25
	v_lshrrev_b32_e32 v3, 24, v3
	s_delay_alu instid0(VALU_DEP_1)
	v_and_or_b32 v3, 0x80, v3, v4
	global_store_b8 v[0:1], v3, off
.LBB14_702:
	s_mov_b32 s25, 0
.LBB14_703:
	s_delay_alu instid0(SALU_CYCLE_1)
	s_and_not1_b32 vcc_lo, exec_lo, s25
	s_cbranch_vccnz .LBB14_713
; %bb.704:
	s_wait_xcnt 0x0
	v_bfe_i32 v3, v2, 0, 8
	s_mov_b32 s25, exec_lo
                                        ; implicit-def: $vgpr4
	s_delay_alu instid0(VALU_DEP_1) | instskip(NEXT) | instid1(VALU_DEP_1)
	v_bfe_i32 v3, v3, 0, 16
	v_cvt_f32_i32_e32 v3, v3
	s_delay_alu instid0(VALU_DEP_1) | instskip(NEXT) | instid1(VALU_DEP_1)
	v_and_b32_e32 v5, 0x7fffffff, v3
	v_cmpx_gt_u32_e32 0x47800000, v5
	s_xor_b32 s25, exec_lo, s25
	s_cbranch_execz .LBB14_710
; %bb.705:
	s_mov_b32 s26, exec_lo
                                        ; implicit-def: $vgpr4
	v_cmpx_lt_u32_e32 0x387fffff, v5
	s_xor_b32 s26, exec_lo, s26
; %bb.706:
	v_bfe_u32 v4, v3, 21, 1
	s_delay_alu instid0(VALU_DEP_1) | instskip(NEXT) | instid1(VALU_DEP_1)
	v_add3_u32 v4, v3, v4, 0x80fffff
	v_lshrrev_b32_e32 v4, 21, v4
; %bb.707:
	s_and_not1_saveexec_b32 s26, s26
; %bb.708:
	v_add_f32_e64 v4, 0x43000000, |v3|
; %bb.709:
	s_or_b32 exec_lo, exec_lo, s26
                                        ; implicit-def: $vgpr5
.LBB14_710:
	s_and_not1_saveexec_b32 s25, s25
; %bb.711:
	v_mov_b32_e32 v4, 0x7f
	v_cmp_lt_u32_e32 vcc_lo, 0x7f800000, v5
	s_delay_alu instid0(VALU_DEP_2)
	v_cndmask_b32_e32 v4, 0x7c, v4, vcc_lo
; %bb.712:
	s_or_b32 exec_lo, exec_lo, s25
	v_lshrrev_b32_e32 v3, 24, v3
	s_delay_alu instid0(VALU_DEP_1)
	v_and_or_b32 v3, 0x80, v3, v4
	global_store_b8 v[0:1], v3, off
.LBB14_713:
	s_mov_b32 s26, 0
	s_mov_b32 s25, -1
.LBB14_714:
	s_and_not1_b32 vcc_lo, exec_lo, s26
	s_cbranch_vccnz .LBB14_722
; %bb.715:
	s_cmp_gt_i32 s24, 14
	s_mov_b32 s26, -1
	s_cbranch_scc0 .LBB14_719
; %bb.716:
	s_cmp_eq_u32 s24, 15
	s_mov_b32 s0, -1
	s_cbranch_scc0 .LBB14_718
; %bb.717:
	s_wait_xcnt 0x0
	v_bfe_i32 v3, v2, 0, 8
	s_mov_b32 s25, -1
	s_mov_b32 s0, 0
	s_delay_alu instid0(VALU_DEP_1) | instskip(NEXT) | instid1(VALU_DEP_1)
	v_bfe_i32 v3, v3, 0, 16
	v_cvt_f32_i32_e32 v3, v3
	s_delay_alu instid0(VALU_DEP_1) | instskip(NEXT) | instid1(VALU_DEP_1)
	v_bfe_u32 v4, v3, 16, 1
	v_add3_u32 v3, v3, v4, 0x7fff
	global_store_d16_hi_b16 v[0:1], v3, off
.LBB14_718:
	s_mov_b32 s26, 0
.LBB14_719:
	s_delay_alu instid0(SALU_CYCLE_1)
	s_and_b32 vcc_lo, exec_lo, s26
	s_cbranch_vccz .LBB14_722
; %bb.720:
	s_cmp_eq_u32 s24, 11
	s_mov_b32 s0, -1
	s_cbranch_scc0 .LBB14_722
; %bb.721:
	s_wait_xcnt 0x0
	v_and_b32_e32 v3, 0xff, v2
	s_mov_b32 s0, 0
	s_mov_b32 s25, -1
	s_delay_alu instid0(VALU_DEP_1)
	v_cmp_ne_u16_e32 vcc_lo, 0, v3
	v_cndmask_b32_e64 v3, 0, 1, vcc_lo
	global_store_b8 v[0:1], v3, off
.LBB14_722:
	s_mov_b32 s24, 0
.LBB14_723:
	s_delay_alu instid0(SALU_CYCLE_1)
	s_and_b32 vcc_lo, exec_lo, s24
	s_cbranch_vccz .LBB14_762
; %bb.724:
	s_and_b32 s21, 0xffff, s21
	s_mov_b32 s24, -1
	s_cmp_lt_i32 s21, 5
	s_cbranch_scc1 .LBB14_745
; %bb.725:
	s_cmp_lt_i32 s21, 8
	s_cbranch_scc1 .LBB14_735
; %bb.726:
	;; [unrolled: 3-line block ×3, first 2 shown]
	s_cmp_gt_i32 s21, 9
	s_cbranch_scc0 .LBB14_729
; %bb.728:
	s_wait_xcnt 0x0
	v_bfe_i32 v3, v2, 0, 8
	v_mov_b32_e32 v6, 0
	s_mov_b32 s24, 0
	s_delay_alu instid0(VALU_DEP_2) | instskip(NEXT) | instid1(VALU_DEP_2)
	v_bfe_i32 v3, v3, 0, 16
	v_mov_b32_e32 v7, v6
	s_delay_alu instid0(VALU_DEP_2)
	v_cvt_f64_i32_e32 v[4:5], v3
	global_store_b128 v[0:1], v[4:7], off
.LBB14_729:
	s_and_not1_b32 vcc_lo, exec_lo, s24
	s_cbranch_vccnz .LBB14_731
; %bb.730:
	s_wait_xcnt 0x0
	v_bfe_i32 v3, v2, 0, 8
	v_mov_b32_e32 v5, 0
	s_delay_alu instid0(VALU_DEP_2) | instskip(NEXT) | instid1(VALU_DEP_1)
	v_bfe_i32 v3, v3, 0, 16
	v_cvt_f32_i32_e32 v4, v3
	global_store_b64 v[0:1], v[4:5], off
.LBB14_731:
	s_mov_b32 s24, 0
.LBB14_732:
	s_delay_alu instid0(SALU_CYCLE_1)
	s_and_not1_b32 vcc_lo, exec_lo, s24
	s_cbranch_vccnz .LBB14_734
; %bb.733:
	s_wait_xcnt 0x0
	v_bfe_i32 v3, v2, 0, 8
	s_delay_alu instid0(VALU_DEP_1) | instskip(NEXT) | instid1(VALU_DEP_1)
	v_cvt_f16_i16_e32 v3, v3
	v_and_b32_e32 v3, 0xffff, v3
	global_store_b32 v[0:1], v3, off
.LBB14_734:
	s_mov_b32 s24, 0
.LBB14_735:
	s_delay_alu instid0(SALU_CYCLE_1)
	s_and_not1_b32 vcc_lo, exec_lo, s24
	s_cbranch_vccnz .LBB14_744
; %bb.736:
	s_cmp_lt_i32 s21, 6
	s_mov_b32 s24, -1
	s_cbranch_scc1 .LBB14_742
; %bb.737:
	s_cmp_gt_i32 s21, 6
	s_cbranch_scc0 .LBB14_739
; %bb.738:
	s_wait_xcnt 0x0
	v_bfe_i32 v3, v2, 0, 8
	s_mov_b32 s24, 0
	s_delay_alu instid0(VALU_DEP_1) | instskip(NEXT) | instid1(VALU_DEP_1)
	v_bfe_i32 v3, v3, 0, 16
	v_cvt_f64_i32_e32 v[4:5], v3
	global_store_b64 v[0:1], v[4:5], off
.LBB14_739:
	s_and_not1_b32 vcc_lo, exec_lo, s24
	s_cbranch_vccnz .LBB14_741
; %bb.740:
	s_wait_xcnt 0x0
	v_bfe_i32 v3, v2, 0, 8
	s_delay_alu instid0(VALU_DEP_1) | instskip(NEXT) | instid1(VALU_DEP_1)
	v_bfe_i32 v3, v3, 0, 16
	v_cvt_f32_i32_e32 v3, v3
	global_store_b32 v[0:1], v3, off
.LBB14_741:
	s_mov_b32 s24, 0
.LBB14_742:
	s_delay_alu instid0(SALU_CYCLE_1)
	s_and_not1_b32 vcc_lo, exec_lo, s24
	s_cbranch_vccnz .LBB14_744
; %bb.743:
	s_wait_xcnt 0x0
	v_bfe_i32 v3, v2, 0, 8
	s_delay_alu instid0(VALU_DEP_1)
	v_cvt_f16_i16_e32 v3, v3
	global_store_b16 v[0:1], v3, off
.LBB14_744:
	s_mov_b32 s24, 0
.LBB14_745:
	s_delay_alu instid0(SALU_CYCLE_1)
	s_and_not1_b32 vcc_lo, exec_lo, s24
	s_cbranch_vccnz .LBB14_761
; %bb.746:
	s_cmp_lt_i32 s21, 2
	s_mov_b32 s24, -1
	s_cbranch_scc1 .LBB14_756
; %bb.747:
	s_cmp_lt_i32 s21, 3
	s_cbranch_scc1 .LBB14_753
; %bb.748:
	s_cmp_gt_i32 s21, 3
	s_cbranch_scc0 .LBB14_750
; %bb.749:
	s_wait_xcnt 0x0
	v_bfe_i32 v4, v2, 0, 8
	s_mov_b32 s24, 0
	s_delay_alu instid0(VALU_DEP_1)
	v_ashrrev_i32_e32 v5, 31, v4
	global_store_b64 v[0:1], v[4:5], off
.LBB14_750:
	s_and_not1_b32 vcc_lo, exec_lo, s24
	s_cbranch_vccnz .LBB14_752
; %bb.751:
	s_wait_xcnt 0x0
	v_bfe_i32 v3, v2, 0, 8
	global_store_b32 v[0:1], v3, off
.LBB14_752:
	s_mov_b32 s24, 0
.LBB14_753:
	s_delay_alu instid0(SALU_CYCLE_1)
	s_and_not1_b32 vcc_lo, exec_lo, s24
	s_cbranch_vccnz .LBB14_755
; %bb.754:
	s_wait_xcnt 0x0
	v_bfe_i32 v3, v2, 0, 8
	global_store_b16 v[0:1], v3, off
.LBB14_755:
	s_mov_b32 s24, 0
.LBB14_756:
	s_delay_alu instid0(SALU_CYCLE_1)
	s_and_not1_b32 vcc_lo, exec_lo, s24
	s_cbranch_vccnz .LBB14_761
; %bb.757:
	s_cmp_gt_i32 s21, 0
	s_mov_b32 s21, -1
	s_cbranch_scc0 .LBB14_759
; %bb.758:
	s_mov_b32 s21, 0
	global_store_b8 v[0:1], v2, off
.LBB14_759:
	s_and_not1_b32 vcc_lo, exec_lo, s21
	s_cbranch_vccnz .LBB14_761
; %bb.760:
	global_store_b8 v[0:1], v2, off
.LBB14_761:
	s_mov_b32 s25, -1
.LBB14_762:
	s_delay_alu instid0(SALU_CYCLE_1)
	s_and_not1_b32 vcc_lo, exec_lo, s25
	s_cbranch_vccnz .LBB14_764
; %bb.763:
	v_add_nc_u32_e32 v10, 0x80, v10
	s_mov_b32 s24, -1
	s_branch .LBB14_766
.LBB14_764:
	s_mov_b32 s24, 0
.LBB14_765:
                                        ; implicit-def: $vgpr10
.LBB14_766:
	s_and_not1_b32 s21, s15, exec_lo
	s_and_b32 s0, s0, exec_lo
	s_and_b32 s22, s22, exec_lo
	s_or_b32 s21, s21, s0
	s_and_not1_b32 s0, s17, exec_lo
	s_and_not1_b32 s25, s18, exec_lo
	s_and_b32 s20, s20, exec_lo
	s_or_b32 s22, s0, s22
	s_or_b32 s20, s25, s20
	s_or_not1_b32 s25, s24, exec_lo
.LBB14_767:
	s_wait_xcnt 0x0
	s_or_b32 exec_lo, exec_lo, s23
	s_mov_b32 s24, 0
	s_mov_b32 s26, 0
	;; [unrolled: 1-line block ×3, first 2 shown]
                                        ; implicit-def: $sgpr0
                                        ; implicit-def: $vgpr2_vgpr3
                                        ; implicit-def: $vgpr0
	s_and_saveexec_b32 s23, s25
	s_cbranch_execz .LBB14_1234
; %bb.768:
	s_mov_b32 s31, -1
	s_mov_b32 s25, s20
	s_mov_b32 s26, s22
	;; [unrolled: 1-line block ×3, first 2 shown]
	s_mov_b32 s24, exec_lo
	v_cmpx_gt_i32_e64 s16, v10
	s_cbranch_execz .LBB14_1154
; %bb.769:
	s_wait_loadcnt 0x0
	v_mul_lo_u32 v0, v10, s9
	s_and_b32 s0, s13, 0xff
	s_delay_alu instid0(SALU_CYCLE_1) | instskip(NEXT) | instid1(VALU_DEP_1)
	s_cmp_lt_i32 s0, 11
	v_ashrrev_i32_e32 v1, 31, v0
	s_delay_alu instid0(VALU_DEP_1)
	v_add_nc_u64_e32 v[2:3], s[6:7], v[0:1]
	s_cbranch_scc1 .LBB14_776
; %bb.770:
	s_and_b32 s26, 0xffff, s0
	s_delay_alu instid0(SALU_CYCLE_1)
	s_cmp_gt_i32 s26, 25
	s_cbranch_scc0 .LBB14_777
; %bb.771:
	s_cmp_gt_i32 s26, 28
	s_cbranch_scc0 .LBB14_778
; %bb.772:
	;; [unrolled: 3-line block ×4, first 2 shown]
	s_cmp_eq_u32 s26, 46
	s_mov_b32 s28, 0
	s_cbranch_scc0 .LBB14_783
; %bb.775:
	global_load_b32 v0, v[2:3], off
	s_mov_b32 s27, -1
	s_mov_b32 s25, 0
	s_wait_loadcnt 0x0
	v_lshlrev_b32_e32 v0, 16, v0
	s_delay_alu instid0(VALU_DEP_1)
	v_cvt_i32_f32_e32 v0, v0
	s_branch .LBB14_785
.LBB14_776:
	s_mov_b32 s26, -1
	s_mov_b32 s27, 0
	s_mov_b32 s25, s20
                                        ; implicit-def: $vgpr0
	s_branch .LBB14_846
.LBB14_777:
	s_mov_b32 s28, -1
	s_mov_b32 s27, 0
	s_mov_b32 s25, s20
                                        ; implicit-def: $vgpr0
	s_branch .LBB14_812
.LBB14_778:
	s_mov_b32 s28, -1
	s_mov_b32 s27, 0
	s_mov_b32 s25, s20
                                        ; implicit-def: $vgpr0
	s_branch .LBB14_795
.LBB14_779:
	s_mov_b32 s28, -1
	s_mov_b32 s27, 0
	s_mov_b32 s25, s20
                                        ; implicit-def: $vgpr0
	s_branch .LBB14_790
.LBB14_780:
	s_mov_b32 s28, -1
	s_mov_b32 s27, 0
	s_mov_b32 s25, s20
	s_branch .LBB14_784
.LBB14_781:
	s_and_not1_saveexec_b32 s27, s27
	s_cbranch_execz .LBB14_675
.LBB14_782:
	v_add_f32_e64 v4, 0x46000000, |v3|
	s_and_not1_b32 s26, s26, exec_lo
	s_delay_alu instid0(VALU_DEP_1) | instskip(NEXT) | instid1(VALU_DEP_1)
	v_and_b32_e32 v4, 0xff, v4
	v_cmp_ne_u32_e32 vcc_lo, 0, v4
	s_and_b32 s28, vcc_lo, exec_lo
	s_delay_alu instid0(SALU_CYCLE_1)
	s_or_b32 s26, s26, s28
	s_or_b32 exec_lo, exec_lo, s27
	v_mov_b32_e32 v5, 0
	s_and_saveexec_b32 s27, s26
	s_cbranch_execnz .LBB14_676
	s_branch .LBB14_677
.LBB14_783:
	s_mov_b32 s25, -1
	s_mov_b32 s27, 0
.LBB14_784:
                                        ; implicit-def: $vgpr0
.LBB14_785:
	s_and_b32 vcc_lo, exec_lo, s28
	s_cbranch_vccz .LBB14_789
; %bb.786:
	s_cmp_eq_u32 s26, 44
	s_cbranch_scc0 .LBB14_788
; %bb.787:
	global_load_u8 v0, v[2:3], off
	s_mov_b32 s25, 0
	s_mov_b32 s27, -1
	s_wait_loadcnt 0x0
	v_lshlrev_b32_e32 v1, 23, v0
	v_cmp_ne_u32_e32 vcc_lo, 0, v0
	s_delay_alu instid0(VALU_DEP_2) | instskip(NEXT) | instid1(VALU_DEP_1)
	v_cvt_i32_f32_e32 v1, v1
	v_cndmask_b32_e32 v0, 0, v1, vcc_lo
	s_branch .LBB14_789
.LBB14_788:
	s_mov_b32 s25, -1
                                        ; implicit-def: $vgpr0
.LBB14_789:
	s_mov_b32 s28, 0
.LBB14_790:
	s_delay_alu instid0(SALU_CYCLE_1)
	s_and_b32 vcc_lo, exec_lo, s28
	s_cbranch_vccz .LBB14_794
; %bb.791:
	s_cmp_eq_u32 s26, 29
	s_cbranch_scc0 .LBB14_793
; %bb.792:
	global_load_b64 v[0:1], v[2:3], off
	s_mov_b32 s27, -1
	s_mov_b32 s25, 0
	s_branch .LBB14_794
.LBB14_793:
	s_mov_b32 s25, -1
                                        ; implicit-def: $vgpr0
.LBB14_794:
	s_mov_b32 s28, 0
.LBB14_795:
	s_delay_alu instid0(SALU_CYCLE_1)
	s_and_b32 vcc_lo, exec_lo, s28
	s_cbranch_vccz .LBB14_811
; %bb.796:
	s_cmp_lt_i32 s26, 27
	s_cbranch_scc1 .LBB14_799
; %bb.797:
	s_cmp_gt_i32 s26, 27
	s_cbranch_scc0 .LBB14_800
; %bb.798:
	s_wait_loadcnt 0x0
	global_load_b32 v0, v[2:3], off
	s_mov_b32 s27, 0
	s_branch .LBB14_801
.LBB14_799:
	s_mov_b32 s27, -1
                                        ; implicit-def: $vgpr0
	s_branch .LBB14_804
.LBB14_800:
	s_mov_b32 s27, -1
                                        ; implicit-def: $vgpr0
.LBB14_801:
	s_delay_alu instid0(SALU_CYCLE_1)
	s_and_not1_b32 vcc_lo, exec_lo, s27
	s_cbranch_vccnz .LBB14_803
; %bb.802:
	s_wait_loadcnt 0x0
	global_load_u16 v0, v[2:3], off
.LBB14_803:
	s_mov_b32 s27, 0
.LBB14_804:
	s_delay_alu instid0(SALU_CYCLE_1)
	s_and_not1_b32 vcc_lo, exec_lo, s27
	s_cbranch_vccnz .LBB14_810
; %bb.805:
	s_wait_loadcnt 0x0
	global_load_u8 v1, v[2:3], off
	s_mov_b32 s28, 0
	s_mov_b32 s27, exec_lo
	s_wait_loadcnt 0x0
	v_cmpx_lt_i16_e32 0x7f, v1
	s_xor_b32 s27, exec_lo, s27
	s_cbranch_execz .LBB14_822
; %bb.806:
	v_cmp_ne_u16_e32 vcc_lo, 0x80, v1
	s_and_b32 s28, vcc_lo, exec_lo
	s_and_not1_saveexec_b32 s27, s27
	s_cbranch_execnz .LBB14_823
.LBB14_807:
	s_or_b32 exec_lo, exec_lo, s27
	v_mov_b32_e32 v0, 0
	s_and_saveexec_b32 s27, s28
	s_cbranch_execz .LBB14_809
.LBB14_808:
	v_and_b32_e32 v0, 0xffff, v1
	s_delay_alu instid0(VALU_DEP_1) | instskip(SKIP_1) | instid1(VALU_DEP_2)
	v_and_b32_e32 v4, 7, v0
	v_bfe_u32 v7, v0, 3, 4
	v_clz_i32_u32_e32 v5, v4
	s_delay_alu instid0(VALU_DEP_2) | instskip(NEXT) | instid1(VALU_DEP_2)
	v_cmp_eq_u32_e32 vcc_lo, 0, v7
	v_min_u32_e32 v5, 32, v5
	s_delay_alu instid0(VALU_DEP_1) | instskip(NEXT) | instid1(VALU_DEP_1)
	v_subrev_nc_u32_e32 v6, 28, v5
	v_dual_lshlrev_b32 v0, v6, v0 :: v_dual_sub_nc_u32 v5, 29, v5
	s_delay_alu instid0(VALU_DEP_1) | instskip(NEXT) | instid1(VALU_DEP_1)
	v_dual_lshlrev_b32 v1, 24, v1 :: v_dual_bitop2_b32 v0, 7, v0 bitop3:0x40
	v_dual_cndmask_b32 v0, v4, v0 :: v_dual_cndmask_b32 v5, v7, v5
	s_delay_alu instid0(VALU_DEP_2) | instskip(NEXT) | instid1(VALU_DEP_2)
	v_and_b32_e32 v1, 0x80000000, v1
	v_lshlrev_b32_e32 v0, 20, v0
	s_delay_alu instid0(VALU_DEP_3) | instskip(NEXT) | instid1(VALU_DEP_1)
	v_lshl_add_u32 v4, v5, 23, 0x3b800000
	v_or3_b32 v0, v1, v4, v0
	s_delay_alu instid0(VALU_DEP_1)
	v_cvt_i32_f32_e32 v0, v0
.LBB14_809:
	s_or_b32 exec_lo, exec_lo, s27
.LBB14_810:
	s_mov_b32 s27, -1
.LBB14_811:
	s_mov_b32 s28, 0
.LBB14_812:
	s_delay_alu instid0(SALU_CYCLE_1)
	s_and_b32 vcc_lo, exec_lo, s28
	s_cbranch_vccz .LBB14_845
; %bb.813:
	s_cmp_gt_i32 s26, 22
	s_cbranch_scc0 .LBB14_821
; %bb.814:
	s_cmp_lt_i32 s26, 24
	s_cbranch_scc1 .LBB14_824
; %bb.815:
	s_cmp_gt_i32 s26, 24
	s_cbranch_scc0 .LBB14_825
; %bb.816:
	s_wait_loadcnt 0x0
	global_load_u8 v1, v[2:3], off
	s_mov_b32 s28, 0
	s_mov_b32 s27, exec_lo
	s_wait_loadcnt 0x0
	v_cmpx_lt_i16_e32 0x7f, v1
	s_xor_b32 s27, exec_lo, s27
	s_cbranch_execz .LBB14_837
; %bb.817:
	v_cmp_ne_u16_e32 vcc_lo, 0x80, v1
	s_and_b32 s28, vcc_lo, exec_lo
	s_and_not1_saveexec_b32 s27, s27
	s_cbranch_execnz .LBB14_838
.LBB14_818:
	s_or_b32 exec_lo, exec_lo, s27
	v_mov_b32_e32 v0, 0
	s_and_saveexec_b32 s27, s28
	s_cbranch_execz .LBB14_820
.LBB14_819:
	v_and_b32_e32 v0, 0xffff, v1
	s_delay_alu instid0(VALU_DEP_1) | instskip(SKIP_1) | instid1(VALU_DEP_2)
	v_and_b32_e32 v4, 3, v0
	v_bfe_u32 v7, v0, 2, 5
	v_clz_i32_u32_e32 v5, v4
	s_delay_alu instid0(VALU_DEP_2) | instskip(NEXT) | instid1(VALU_DEP_2)
	v_cmp_eq_u32_e32 vcc_lo, 0, v7
	v_min_u32_e32 v5, 32, v5
	s_delay_alu instid0(VALU_DEP_1) | instskip(NEXT) | instid1(VALU_DEP_1)
	v_subrev_nc_u32_e32 v6, 29, v5
	v_dual_lshlrev_b32 v0, v6, v0 :: v_dual_sub_nc_u32 v5, 30, v5
	s_delay_alu instid0(VALU_DEP_1) | instskip(NEXT) | instid1(VALU_DEP_1)
	v_dual_lshlrev_b32 v1, 24, v1 :: v_dual_bitop2_b32 v0, 3, v0 bitop3:0x40
	v_dual_cndmask_b32 v0, v4, v0 :: v_dual_cndmask_b32 v5, v7, v5
	s_delay_alu instid0(VALU_DEP_2) | instskip(NEXT) | instid1(VALU_DEP_2)
	v_and_b32_e32 v1, 0x80000000, v1
	v_lshlrev_b32_e32 v0, 21, v0
	s_delay_alu instid0(VALU_DEP_3) | instskip(NEXT) | instid1(VALU_DEP_1)
	v_lshl_add_u32 v4, v5, 23, 0x37800000
	v_or3_b32 v0, v1, v4, v0
	s_delay_alu instid0(VALU_DEP_1)
	v_cvt_i32_f32_e32 v0, v0
.LBB14_820:
	s_or_b32 exec_lo, exec_lo, s27
	s_mov_b32 s27, 0
	s_branch .LBB14_826
.LBB14_821:
	s_mov_b32 s28, -1
                                        ; implicit-def: $vgpr0
	s_branch .LBB14_832
.LBB14_822:
	s_and_not1_saveexec_b32 s27, s27
	s_cbranch_execz .LBB14_807
.LBB14_823:
	v_cmp_ne_u16_e32 vcc_lo, 0, v1
	s_and_not1_b32 s28, s28, exec_lo
	s_and_b32 s29, vcc_lo, exec_lo
	s_delay_alu instid0(SALU_CYCLE_1)
	s_or_b32 s28, s28, s29
	s_or_b32 exec_lo, exec_lo, s27
	v_mov_b32_e32 v0, 0
	s_and_saveexec_b32 s27, s28
	s_cbranch_execnz .LBB14_808
	s_branch .LBB14_809
.LBB14_824:
	s_mov_b32 s27, -1
                                        ; implicit-def: $vgpr0
	s_branch .LBB14_829
.LBB14_825:
	s_mov_b32 s27, -1
                                        ; implicit-def: $vgpr0
.LBB14_826:
	s_delay_alu instid0(SALU_CYCLE_1)
	s_and_b32 vcc_lo, exec_lo, s27
	s_cbranch_vccz .LBB14_828
; %bb.827:
	s_wait_loadcnt 0x0
	global_load_u8 v0, v[2:3], off
	s_wait_loadcnt 0x0
	v_lshlrev_b32_e32 v0, 24, v0
	s_delay_alu instid0(VALU_DEP_1) | instskip(NEXT) | instid1(VALU_DEP_1)
	v_and_b32_e32 v1, 0x7f000000, v0
	v_clz_i32_u32_e32 v4, v1
	v_cmp_ne_u32_e32 vcc_lo, 0, v1
	v_add_nc_u32_e32 v6, 0x1000000, v1
	s_delay_alu instid0(VALU_DEP_3) | instskip(NEXT) | instid1(VALU_DEP_1)
	v_min_u32_e32 v4, 32, v4
	v_sub_nc_u32_e64 v4, v4, 4 clamp
	s_delay_alu instid0(VALU_DEP_1) | instskip(NEXT) | instid1(VALU_DEP_1)
	v_dual_lshlrev_b32 v5, v4, v1 :: v_dual_lshlrev_b32 v4, 23, v4
	v_lshrrev_b32_e32 v5, 4, v5
	s_delay_alu instid0(VALU_DEP_1) | instskip(NEXT) | instid1(VALU_DEP_1)
	v_dual_sub_nc_u32 v4, v5, v4 :: v_dual_ashrrev_i32 v5, 8, v6
	v_add_nc_u32_e32 v4, 0x3c000000, v4
	s_delay_alu instid0(VALU_DEP_1) | instskip(NEXT) | instid1(VALU_DEP_1)
	v_and_or_b32 v4, 0x7f800000, v5, v4
	v_cndmask_b32_e32 v1, 0, v4, vcc_lo
	s_delay_alu instid0(VALU_DEP_1) | instskip(NEXT) | instid1(VALU_DEP_1)
	v_and_or_b32 v0, 0x80000000, v0, v1
	v_cvt_i32_f32_e32 v0, v0
.LBB14_828:
	s_mov_b32 s27, 0
.LBB14_829:
	s_delay_alu instid0(SALU_CYCLE_1)
	s_and_not1_b32 vcc_lo, exec_lo, s27
	s_cbranch_vccnz .LBB14_831
; %bb.830:
	s_wait_loadcnt 0x0
	global_load_u8 v0, v[2:3], off
	s_wait_loadcnt 0x0
	v_lshlrev_b32_e32 v1, 25, v0
	v_lshlrev_b16 v0, 8, v0
	s_delay_alu instid0(VALU_DEP_1) | instskip(SKIP_1) | instid1(VALU_DEP_2)
	v_and_or_b32 v5, 0x7f00, v0, 0.5
	v_bfe_i32 v0, v0, 0, 16
	v_add_f32_e32 v5, -0.5, v5
	v_lshrrev_b32_e32 v4, 4, v1
	v_cmp_gt_u32_e32 vcc_lo, 0x8000000, v1
	s_delay_alu instid0(VALU_DEP_2) | instskip(NEXT) | instid1(VALU_DEP_1)
	v_or_b32_e32 v4, 0x70000000, v4
	v_mul_f32_e32 v4, 0x7800000, v4
	s_delay_alu instid0(VALU_DEP_1) | instskip(NEXT) | instid1(VALU_DEP_1)
	v_cndmask_b32_e32 v1, v4, v5, vcc_lo
	v_and_or_b32 v0, 0x80000000, v0, v1
	s_delay_alu instid0(VALU_DEP_1)
	v_cvt_i32_f32_e32 v0, v0
.LBB14_831:
	s_mov_b32 s28, 0
	s_mov_b32 s27, -1
.LBB14_832:
	s_and_not1_b32 vcc_lo, exec_lo, s28
	s_cbranch_vccnz .LBB14_845
; %bb.833:
	s_cmp_gt_i32 s26, 14
	s_cbranch_scc0 .LBB14_836
; %bb.834:
	s_cmp_eq_u32 s26, 15
	s_cbranch_scc0 .LBB14_839
; %bb.835:
	s_wait_loadcnt 0x0
	global_load_u16 v0, v[2:3], off
	s_mov_b32 s27, -1
	s_mov_b32 s25, 0
	s_wait_loadcnt 0x0
	v_lshlrev_b32_e32 v0, 16, v0
	s_delay_alu instid0(VALU_DEP_1)
	v_cvt_i32_f32_e32 v0, v0
	s_branch .LBB14_840
.LBB14_836:
	s_mov_b32 s28, -1
                                        ; implicit-def: $vgpr0
	s_branch .LBB14_841
.LBB14_837:
	s_and_not1_saveexec_b32 s27, s27
	s_cbranch_execz .LBB14_818
.LBB14_838:
	v_cmp_ne_u16_e32 vcc_lo, 0, v1
	s_and_not1_b32 s28, s28, exec_lo
	s_and_b32 s29, vcc_lo, exec_lo
	s_delay_alu instid0(SALU_CYCLE_1)
	s_or_b32 s28, s28, s29
	s_or_b32 exec_lo, exec_lo, s27
	v_mov_b32_e32 v0, 0
	s_and_saveexec_b32 s27, s28
	s_cbranch_execnz .LBB14_819
	s_branch .LBB14_820
.LBB14_839:
	s_mov_b32 s25, -1
                                        ; implicit-def: $vgpr0
.LBB14_840:
	s_mov_b32 s28, 0
.LBB14_841:
	s_delay_alu instid0(SALU_CYCLE_1)
	s_and_b32 vcc_lo, exec_lo, s28
	s_cbranch_vccz .LBB14_845
; %bb.842:
	s_cmp_eq_u32 s26, 11
	s_cbranch_scc0 .LBB14_844
; %bb.843:
	s_wait_loadcnt 0x0
	global_load_u8 v0, v[2:3], off
	s_mov_b32 s25, 0
	s_mov_b32 s27, -1
	s_wait_loadcnt 0x0
	v_cmp_ne_u16_e32 vcc_lo, 0, v0
	v_cndmask_b32_e64 v0, 0, 1, vcc_lo
	s_branch .LBB14_845
.LBB14_844:
	s_mov_b32 s25, -1
                                        ; implicit-def: $vgpr0
.LBB14_845:
	s_mov_b32 s26, 0
.LBB14_846:
	s_delay_alu instid0(SALU_CYCLE_1)
	s_and_b32 vcc_lo, exec_lo, s26
	s_cbranch_vccz .LBB14_895
; %bb.847:
	s_and_b32 s0, 0xffff, s0
	s_delay_alu instid0(SALU_CYCLE_1)
	s_cmp_lt_i32 s0, 5
	s_cbranch_scc1 .LBB14_852
; %bb.848:
	s_cmp_lt_i32 s0, 8
	s_cbranch_scc1 .LBB14_853
; %bb.849:
	;; [unrolled: 3-line block ×3, first 2 shown]
	s_cmp_gt_i32 s0, 9
	s_cbranch_scc0 .LBB14_855
; %bb.851:
	s_wait_loadcnt 0x0
	global_load_b64 v[0:1], v[2:3], off
	s_mov_b32 s26, 0
	s_wait_loadcnt 0x0
	v_cvt_i32_f64_e32 v0, v[0:1]
	s_branch .LBB14_856
.LBB14_852:
	s_mov_b32 s26, -1
                                        ; implicit-def: $vgpr0
	s_branch .LBB14_874
.LBB14_853:
	s_mov_b32 s26, -1
                                        ; implicit-def: $vgpr0
	s_branch .LBB14_862
.LBB14_854:
	s_mov_b32 s26, -1
                                        ; implicit-def: $vgpr0
	s_branch .LBB14_859
.LBB14_855:
	s_mov_b32 s26, -1
                                        ; implicit-def: $vgpr0
.LBB14_856:
	s_delay_alu instid0(SALU_CYCLE_1)
	s_and_not1_b32 vcc_lo, exec_lo, s26
	s_cbranch_vccnz .LBB14_858
; %bb.857:
	s_wait_loadcnt 0x0
	global_load_b32 v0, v[2:3], off
	s_wait_loadcnt 0x0
	v_cvt_i32_f32_e32 v0, v0
.LBB14_858:
	s_mov_b32 s26, 0
.LBB14_859:
	s_delay_alu instid0(SALU_CYCLE_1)
	s_and_not1_b32 vcc_lo, exec_lo, s26
	s_cbranch_vccnz .LBB14_861
; %bb.860:
	s_wait_loadcnt 0x0
	global_load_b32 v0, v[2:3], off
	s_wait_loadcnt 0x0
	v_cvt_i16_f16_e32 v0, v0
.LBB14_861:
	s_mov_b32 s26, 0
.LBB14_862:
	s_delay_alu instid0(SALU_CYCLE_1)
	s_and_not1_b32 vcc_lo, exec_lo, s26
	s_cbranch_vccnz .LBB14_873
; %bb.863:
	s_cmp_lt_i32 s0, 6
	s_cbranch_scc1 .LBB14_866
; %bb.864:
	s_cmp_gt_i32 s0, 6
	s_cbranch_scc0 .LBB14_867
; %bb.865:
	s_wait_loadcnt 0x0
	global_load_b64 v[0:1], v[2:3], off
	s_mov_b32 s26, 0
	s_wait_loadcnt 0x0
	v_cvt_i32_f64_e32 v0, v[0:1]
	s_branch .LBB14_868
.LBB14_866:
	s_mov_b32 s26, -1
                                        ; implicit-def: $vgpr0
	s_branch .LBB14_871
.LBB14_867:
	s_mov_b32 s26, -1
                                        ; implicit-def: $vgpr0
.LBB14_868:
	s_delay_alu instid0(SALU_CYCLE_1)
	s_and_not1_b32 vcc_lo, exec_lo, s26
	s_cbranch_vccnz .LBB14_870
; %bb.869:
	s_wait_loadcnt 0x0
	global_load_b32 v0, v[2:3], off
	s_wait_loadcnt 0x0
	v_cvt_i32_f32_e32 v0, v0
.LBB14_870:
	s_mov_b32 s26, 0
.LBB14_871:
	s_delay_alu instid0(SALU_CYCLE_1)
	s_and_not1_b32 vcc_lo, exec_lo, s26
	s_cbranch_vccnz .LBB14_873
; %bb.872:
	s_wait_loadcnt 0x0
	global_load_u16 v0, v[2:3], off
	s_wait_loadcnt 0x0
	v_cvt_i16_f16_e32 v0, v0
.LBB14_873:
	s_mov_b32 s26, 0
.LBB14_874:
	s_delay_alu instid0(SALU_CYCLE_1)
	s_and_not1_b32 vcc_lo, exec_lo, s26
	s_cbranch_vccnz .LBB14_894
; %bb.875:
	s_cmp_lt_i32 s0, 2
	s_cbranch_scc1 .LBB14_879
; %bb.876:
	s_cmp_lt_i32 s0, 3
	s_cbranch_scc1 .LBB14_880
; %bb.877:
	s_cmp_gt_i32 s0, 3
	s_cbranch_scc0 .LBB14_881
; %bb.878:
	s_wait_loadcnt 0x0
	global_load_b64 v[0:1], v[2:3], off
	s_mov_b32 s26, 0
	s_branch .LBB14_882
.LBB14_879:
	s_mov_b32 s26, -1
                                        ; implicit-def: $vgpr0
	s_branch .LBB14_888
.LBB14_880:
	s_mov_b32 s26, -1
                                        ; implicit-def: $vgpr0
	s_branch .LBB14_885
.LBB14_881:
	s_mov_b32 s26, -1
                                        ; implicit-def: $vgpr0
.LBB14_882:
	s_delay_alu instid0(SALU_CYCLE_1)
	s_and_not1_b32 vcc_lo, exec_lo, s26
	s_cbranch_vccnz .LBB14_884
; %bb.883:
	s_wait_loadcnt 0x0
	global_load_b32 v0, v[2:3], off
.LBB14_884:
	s_mov_b32 s26, 0
.LBB14_885:
	s_delay_alu instid0(SALU_CYCLE_1)
	s_and_not1_b32 vcc_lo, exec_lo, s26
	s_cbranch_vccnz .LBB14_887
; %bb.886:
	s_wait_loadcnt 0x0
	global_load_u16 v0, v[2:3], off
.LBB14_887:
	s_mov_b32 s26, 0
.LBB14_888:
	s_delay_alu instid0(SALU_CYCLE_1)
	s_and_not1_b32 vcc_lo, exec_lo, s26
	s_cbranch_vccnz .LBB14_894
; %bb.889:
	s_cmp_gt_i32 s0, 0
	s_mov_b32 s0, 0
	s_cbranch_scc0 .LBB14_891
; %bb.890:
	s_wait_loadcnt 0x0
	global_load_u8 v0, v[2:3], off
	s_branch .LBB14_892
.LBB14_891:
	s_mov_b32 s0, -1
                                        ; implicit-def: $vgpr0
.LBB14_892:
	s_delay_alu instid0(SALU_CYCLE_1)
	s_and_not1_b32 vcc_lo, exec_lo, s0
	s_cbranch_vccnz .LBB14_894
; %bb.893:
	s_wait_loadcnt 0x0
	global_load_u8 v0, v[2:3], off
.LBB14_894:
	s_mov_b32 s27, -1
.LBB14_895:
	s_delay_alu instid0(SALU_CYCLE_1)
	s_and_not1_b32 vcc_lo, exec_lo, s27
	s_cbranch_vccnz .LBB14_903
; %bb.896:
	s_wait_xcnt 0x0
	v_mul_lo_u32 v2, v10, s10
	s_and_b32 s0, s1, 0xff
	s_delay_alu instid0(SALU_CYCLE_1) | instskip(NEXT) | instid1(VALU_DEP_1)
	s_cmp_lt_i32 s0, 11
	v_ashrrev_i32_e32 v3, 31, v2
	s_delay_alu instid0(VALU_DEP_1)
	v_add_nc_u64_e32 v[2:3], s[2:3], v[2:3]
	s_cbranch_scc1 .LBB14_904
; %bb.897:
	s_and_b32 s27, 0xffff, s0
	s_delay_alu instid0(SALU_CYCLE_1)
	s_cmp_gt_i32 s27, 25
	s_cbranch_scc0 .LBB14_905
; %bb.898:
	s_cmp_gt_i32 s27, 28
	s_cbranch_scc0 .LBB14_906
; %bb.899:
	;; [unrolled: 3-line block ×4, first 2 shown]
	s_cmp_eq_u32 s27, 46
	s_mov_b32 s29, 0
	s_cbranch_scc0 .LBB14_911
; %bb.902:
	s_wait_loadcnt 0x0
	global_load_b32 v1, v[2:3], off
	s_mov_b32 s28, -1
	s_mov_b32 s26, 0
	s_wait_loadcnt 0x0
	v_lshlrev_b32_e32 v1, 16, v1
	s_delay_alu instid0(VALU_DEP_1)
	v_cvt_i32_f32_e32 v4, v1
	s_branch .LBB14_913
.LBB14_903:
	s_mov_b32 s28, 0
	s_mov_b32 s0, s21
	s_mov_b32 s26, s22
	s_branch .LBB14_1152
.LBB14_904:
	s_mov_b32 s27, -1
	s_mov_b32 s28, 0
	s_mov_b32 s26, s22
                                        ; implicit-def: $vgpr4
	s_branch .LBB14_974
.LBB14_905:
	s_mov_b32 s29, -1
	s_mov_b32 s28, 0
	s_mov_b32 s26, s22
                                        ; implicit-def: $vgpr4
	s_branch .LBB14_940
.LBB14_906:
	s_mov_b32 s29, -1
	s_mov_b32 s28, 0
	s_mov_b32 s26, s22
                                        ; implicit-def: $vgpr4
	s_branch .LBB14_923
.LBB14_907:
	s_mov_b32 s29, -1
	s_mov_b32 s28, 0
	s_mov_b32 s26, s22
                                        ; implicit-def: $vgpr4
	s_branch .LBB14_918
.LBB14_908:
	s_mov_b32 s29, -1
	s_mov_b32 s28, 0
	s_mov_b32 s26, s22
	s_branch .LBB14_912
.LBB14_909:
	s_and_not1_saveexec_b32 s27, s27
	s_cbranch_execz .LBB14_688
.LBB14_910:
	v_add_f32_e64 v4, 0x42800000, |v3|
	s_and_not1_b32 s26, s26, exec_lo
	s_delay_alu instid0(VALU_DEP_1) | instskip(NEXT) | instid1(VALU_DEP_1)
	v_and_b32_e32 v4, 0xff, v4
	v_cmp_ne_u32_e32 vcc_lo, 0, v4
	s_and_b32 s28, vcc_lo, exec_lo
	s_delay_alu instid0(SALU_CYCLE_1)
	s_or_b32 s26, s26, s28
	s_or_b32 exec_lo, exec_lo, s27
	v_mov_b32_e32 v5, 0
	s_and_saveexec_b32 s27, s26
	s_cbranch_execnz .LBB14_689
	s_branch .LBB14_690
.LBB14_911:
	s_mov_b32 s26, -1
	s_mov_b32 s28, 0
.LBB14_912:
                                        ; implicit-def: $vgpr4
.LBB14_913:
	s_and_b32 vcc_lo, exec_lo, s29
	s_cbranch_vccz .LBB14_917
; %bb.914:
	s_cmp_eq_u32 s27, 44
	s_cbranch_scc0 .LBB14_916
; %bb.915:
	s_wait_loadcnt 0x0
	global_load_u8 v1, v[2:3], off
	s_mov_b32 s26, 0
	s_mov_b32 s28, -1
	s_wait_loadcnt 0x0
	v_lshlrev_b32_e32 v4, 23, v1
	v_cmp_ne_u32_e32 vcc_lo, 0, v1
	s_delay_alu instid0(VALU_DEP_2) | instskip(NEXT) | instid1(VALU_DEP_1)
	v_cvt_i32_f32_e32 v4, v4
	v_cndmask_b32_e32 v4, 0, v4, vcc_lo
	s_branch .LBB14_917
.LBB14_916:
	s_mov_b32 s26, -1
                                        ; implicit-def: $vgpr4
.LBB14_917:
	s_mov_b32 s29, 0
.LBB14_918:
	s_delay_alu instid0(SALU_CYCLE_1)
	s_and_b32 vcc_lo, exec_lo, s29
	s_cbranch_vccz .LBB14_922
; %bb.919:
	s_cmp_eq_u32 s27, 29
	s_cbranch_scc0 .LBB14_921
; %bb.920:
	global_load_b64 v[4:5], v[2:3], off
	s_mov_b32 s28, -1
	s_mov_b32 s26, 0
	s_branch .LBB14_922
.LBB14_921:
	s_mov_b32 s26, -1
                                        ; implicit-def: $vgpr4
.LBB14_922:
	s_mov_b32 s29, 0
.LBB14_923:
	s_delay_alu instid0(SALU_CYCLE_1)
	s_and_b32 vcc_lo, exec_lo, s29
	s_cbranch_vccz .LBB14_939
; %bb.924:
	s_cmp_lt_i32 s27, 27
	s_cbranch_scc1 .LBB14_927
; %bb.925:
	s_cmp_gt_i32 s27, 27
	s_cbranch_scc0 .LBB14_928
; %bb.926:
	s_wait_loadcnt 0x0
	global_load_b32 v4, v[2:3], off
	s_mov_b32 s28, 0
	s_branch .LBB14_929
.LBB14_927:
	s_mov_b32 s28, -1
                                        ; implicit-def: $vgpr4
	s_branch .LBB14_932
.LBB14_928:
	s_mov_b32 s28, -1
                                        ; implicit-def: $vgpr4
.LBB14_929:
	s_delay_alu instid0(SALU_CYCLE_1)
	s_and_not1_b32 vcc_lo, exec_lo, s28
	s_cbranch_vccnz .LBB14_931
; %bb.930:
	s_wait_loadcnt 0x0
	global_load_u16 v4, v[2:3], off
.LBB14_931:
	s_mov_b32 s28, 0
.LBB14_932:
	s_delay_alu instid0(SALU_CYCLE_1)
	s_and_not1_b32 vcc_lo, exec_lo, s28
	s_cbranch_vccnz .LBB14_938
; %bb.933:
	s_wait_loadcnt 0x0
	global_load_u8 v1, v[2:3], off
	s_mov_b32 s29, 0
	s_mov_b32 s28, exec_lo
	s_wait_loadcnt 0x0
	v_cmpx_lt_i16_e32 0x7f, v1
	s_xor_b32 s28, exec_lo, s28
	s_cbranch_execz .LBB14_950
; %bb.934:
	v_cmp_ne_u16_e32 vcc_lo, 0x80, v1
	s_and_b32 s29, vcc_lo, exec_lo
	s_and_not1_saveexec_b32 s28, s28
	s_cbranch_execnz .LBB14_951
.LBB14_935:
	s_or_b32 exec_lo, exec_lo, s28
	v_mov_b32_e32 v4, 0
	s_and_saveexec_b32 s28, s29
	s_cbranch_execz .LBB14_937
.LBB14_936:
	v_and_b32_e32 v4, 0xffff, v1
	s_delay_alu instid0(VALU_DEP_1) | instskip(SKIP_1) | instid1(VALU_DEP_2)
	v_and_b32_e32 v5, 7, v4
	v_bfe_u32 v8, v4, 3, 4
	v_clz_i32_u32_e32 v6, v5
	s_delay_alu instid0(VALU_DEP_2) | instskip(NEXT) | instid1(VALU_DEP_2)
	v_cmp_eq_u32_e32 vcc_lo, 0, v8
	v_min_u32_e32 v6, 32, v6
	s_delay_alu instid0(VALU_DEP_1) | instskip(NEXT) | instid1(VALU_DEP_1)
	v_subrev_nc_u32_e32 v7, 28, v6
	v_dual_lshlrev_b32 v4, v7, v4 :: v_dual_sub_nc_u32 v6, 29, v6
	s_delay_alu instid0(VALU_DEP_1) | instskip(NEXT) | instid1(VALU_DEP_1)
	v_dual_lshlrev_b32 v1, 24, v1 :: v_dual_bitop2_b32 v4, 7, v4 bitop3:0x40
	v_dual_cndmask_b32 v6, v8, v6, vcc_lo :: v_dual_cndmask_b32 v4, v5, v4, vcc_lo
	s_delay_alu instid0(VALU_DEP_2) | instskip(NEXT) | instid1(VALU_DEP_2)
	v_and_b32_e32 v1, 0x80000000, v1
	v_lshl_add_u32 v5, v6, 23, 0x3b800000
	s_delay_alu instid0(VALU_DEP_3) | instskip(NEXT) | instid1(VALU_DEP_1)
	v_lshlrev_b32_e32 v4, 20, v4
	v_or3_b32 v1, v1, v5, v4
	s_delay_alu instid0(VALU_DEP_1)
	v_cvt_i32_f32_e32 v4, v1
.LBB14_937:
	s_or_b32 exec_lo, exec_lo, s28
.LBB14_938:
	s_mov_b32 s28, -1
.LBB14_939:
	s_mov_b32 s29, 0
.LBB14_940:
	s_delay_alu instid0(SALU_CYCLE_1)
	s_and_b32 vcc_lo, exec_lo, s29
	s_cbranch_vccz .LBB14_973
; %bb.941:
	s_cmp_gt_i32 s27, 22
	s_cbranch_scc0 .LBB14_949
; %bb.942:
	s_cmp_lt_i32 s27, 24
	s_cbranch_scc1 .LBB14_952
; %bb.943:
	s_cmp_gt_i32 s27, 24
	s_cbranch_scc0 .LBB14_953
; %bb.944:
	s_wait_loadcnt 0x0
	global_load_u8 v1, v[2:3], off
	s_mov_b32 s29, 0
	s_mov_b32 s28, exec_lo
	s_wait_loadcnt 0x0
	v_cmpx_lt_i16_e32 0x7f, v1
	s_xor_b32 s28, exec_lo, s28
	s_cbranch_execz .LBB14_965
; %bb.945:
	v_cmp_ne_u16_e32 vcc_lo, 0x80, v1
	s_and_b32 s29, vcc_lo, exec_lo
	s_and_not1_saveexec_b32 s28, s28
	s_cbranch_execnz .LBB14_966
.LBB14_946:
	s_or_b32 exec_lo, exec_lo, s28
	v_mov_b32_e32 v4, 0
	s_and_saveexec_b32 s28, s29
	s_cbranch_execz .LBB14_948
.LBB14_947:
	v_and_b32_e32 v4, 0xffff, v1
	s_delay_alu instid0(VALU_DEP_1) | instskip(SKIP_1) | instid1(VALU_DEP_2)
	v_and_b32_e32 v5, 3, v4
	v_bfe_u32 v8, v4, 2, 5
	v_clz_i32_u32_e32 v6, v5
	s_delay_alu instid0(VALU_DEP_2) | instskip(NEXT) | instid1(VALU_DEP_2)
	v_cmp_eq_u32_e32 vcc_lo, 0, v8
	v_min_u32_e32 v6, 32, v6
	s_delay_alu instid0(VALU_DEP_1) | instskip(NEXT) | instid1(VALU_DEP_1)
	v_subrev_nc_u32_e32 v7, 29, v6
	v_dual_lshlrev_b32 v4, v7, v4 :: v_dual_sub_nc_u32 v6, 30, v6
	s_delay_alu instid0(VALU_DEP_1) | instskip(NEXT) | instid1(VALU_DEP_1)
	v_dual_lshlrev_b32 v1, 24, v1 :: v_dual_bitop2_b32 v4, 3, v4 bitop3:0x40
	v_dual_cndmask_b32 v6, v8, v6, vcc_lo :: v_dual_cndmask_b32 v4, v5, v4, vcc_lo
	s_delay_alu instid0(VALU_DEP_2) | instskip(NEXT) | instid1(VALU_DEP_2)
	v_and_b32_e32 v1, 0x80000000, v1
	v_lshl_add_u32 v5, v6, 23, 0x37800000
	s_delay_alu instid0(VALU_DEP_3) | instskip(NEXT) | instid1(VALU_DEP_1)
	v_lshlrev_b32_e32 v4, 21, v4
	v_or3_b32 v1, v1, v5, v4
	s_delay_alu instid0(VALU_DEP_1)
	v_cvt_i32_f32_e32 v4, v1
.LBB14_948:
	s_or_b32 exec_lo, exec_lo, s28
	s_mov_b32 s28, 0
	s_branch .LBB14_954
.LBB14_949:
	s_mov_b32 s29, -1
                                        ; implicit-def: $vgpr4
	s_branch .LBB14_960
.LBB14_950:
	s_and_not1_saveexec_b32 s28, s28
	s_cbranch_execz .LBB14_935
.LBB14_951:
	v_cmp_ne_u16_e32 vcc_lo, 0, v1
	s_and_not1_b32 s29, s29, exec_lo
	s_and_b32 s30, vcc_lo, exec_lo
	s_delay_alu instid0(SALU_CYCLE_1)
	s_or_b32 s29, s29, s30
	s_or_b32 exec_lo, exec_lo, s28
	v_mov_b32_e32 v4, 0
	s_and_saveexec_b32 s28, s29
	s_cbranch_execnz .LBB14_936
	s_branch .LBB14_937
.LBB14_952:
	s_mov_b32 s28, -1
                                        ; implicit-def: $vgpr4
	s_branch .LBB14_957
.LBB14_953:
	s_mov_b32 s28, -1
                                        ; implicit-def: $vgpr4
.LBB14_954:
	s_delay_alu instid0(SALU_CYCLE_1)
	s_and_b32 vcc_lo, exec_lo, s28
	s_cbranch_vccz .LBB14_956
; %bb.955:
	s_wait_loadcnt 0x0
	global_load_u8 v1, v[2:3], off
	s_wait_loadcnt 0x0
	v_lshlrev_b32_e32 v1, 24, v1
	s_delay_alu instid0(VALU_DEP_1) | instskip(NEXT) | instid1(VALU_DEP_1)
	v_and_b32_e32 v4, 0x7f000000, v1
	v_clz_i32_u32_e32 v5, v4
	v_cmp_ne_u32_e32 vcc_lo, 0, v4
	v_add_nc_u32_e32 v7, 0x1000000, v4
	s_delay_alu instid0(VALU_DEP_3) | instskip(NEXT) | instid1(VALU_DEP_1)
	v_min_u32_e32 v5, 32, v5
	v_sub_nc_u32_e64 v5, v5, 4 clamp
	s_delay_alu instid0(VALU_DEP_1) | instskip(NEXT) | instid1(VALU_DEP_1)
	v_dual_lshlrev_b32 v6, v5, v4 :: v_dual_lshlrev_b32 v5, 23, v5
	v_lshrrev_b32_e32 v6, 4, v6
	s_delay_alu instid0(VALU_DEP_1) | instskip(NEXT) | instid1(VALU_DEP_1)
	v_dual_sub_nc_u32 v5, v6, v5 :: v_dual_ashrrev_i32 v6, 8, v7
	v_add_nc_u32_e32 v5, 0x3c000000, v5
	s_delay_alu instid0(VALU_DEP_1) | instskip(NEXT) | instid1(VALU_DEP_1)
	v_and_or_b32 v5, 0x7f800000, v6, v5
	v_cndmask_b32_e32 v4, 0, v5, vcc_lo
	s_delay_alu instid0(VALU_DEP_1) | instskip(NEXT) | instid1(VALU_DEP_1)
	v_and_or_b32 v1, 0x80000000, v1, v4
	v_cvt_i32_f32_e32 v4, v1
.LBB14_956:
	s_mov_b32 s28, 0
.LBB14_957:
	s_delay_alu instid0(SALU_CYCLE_1)
	s_and_not1_b32 vcc_lo, exec_lo, s28
	s_cbranch_vccnz .LBB14_959
; %bb.958:
	s_wait_loadcnt 0x0
	global_load_u8 v1, v[2:3], off
	s_wait_loadcnt 0x0
	v_lshlrev_b32_e32 v4, 25, v1
	v_lshlrev_b16 v1, 8, v1
	s_delay_alu instid0(VALU_DEP_1) | instskip(SKIP_1) | instid1(VALU_DEP_2)
	v_and_or_b32 v6, 0x7f00, v1, 0.5
	v_bfe_i32 v1, v1, 0, 16
	v_dual_add_f32 v6, -0.5, v6 :: v_dual_lshrrev_b32 v5, 4, v4
	v_cmp_gt_u32_e32 vcc_lo, 0x8000000, v4
	s_delay_alu instid0(VALU_DEP_2) | instskip(NEXT) | instid1(VALU_DEP_1)
	v_or_b32_e32 v5, 0x70000000, v5
	v_mul_f32_e32 v5, 0x7800000, v5
	s_delay_alu instid0(VALU_DEP_1) | instskip(NEXT) | instid1(VALU_DEP_1)
	v_cndmask_b32_e32 v4, v5, v6, vcc_lo
	v_and_or_b32 v1, 0x80000000, v1, v4
	s_delay_alu instid0(VALU_DEP_1)
	v_cvt_i32_f32_e32 v4, v1
.LBB14_959:
	s_mov_b32 s29, 0
	s_mov_b32 s28, -1
.LBB14_960:
	s_and_not1_b32 vcc_lo, exec_lo, s29
	s_cbranch_vccnz .LBB14_973
; %bb.961:
	s_cmp_gt_i32 s27, 14
	s_cbranch_scc0 .LBB14_964
; %bb.962:
	s_cmp_eq_u32 s27, 15
	s_cbranch_scc0 .LBB14_967
; %bb.963:
	s_wait_loadcnt 0x0
	global_load_u16 v1, v[2:3], off
	s_mov_b32 s28, -1
	s_mov_b32 s26, 0
	s_wait_loadcnt 0x0
	v_lshlrev_b32_e32 v1, 16, v1
	s_delay_alu instid0(VALU_DEP_1)
	v_cvt_i32_f32_e32 v4, v1
	s_branch .LBB14_968
.LBB14_964:
	s_mov_b32 s29, -1
                                        ; implicit-def: $vgpr4
	s_branch .LBB14_969
.LBB14_965:
	s_and_not1_saveexec_b32 s28, s28
	s_cbranch_execz .LBB14_946
.LBB14_966:
	v_cmp_ne_u16_e32 vcc_lo, 0, v1
	s_and_not1_b32 s29, s29, exec_lo
	s_and_b32 s30, vcc_lo, exec_lo
	s_delay_alu instid0(SALU_CYCLE_1)
	s_or_b32 s29, s29, s30
	s_or_b32 exec_lo, exec_lo, s28
	v_mov_b32_e32 v4, 0
	s_and_saveexec_b32 s28, s29
	s_cbranch_execnz .LBB14_947
	s_branch .LBB14_948
.LBB14_967:
	s_mov_b32 s26, -1
                                        ; implicit-def: $vgpr4
.LBB14_968:
	s_mov_b32 s29, 0
.LBB14_969:
	s_delay_alu instid0(SALU_CYCLE_1)
	s_and_b32 vcc_lo, exec_lo, s29
	s_cbranch_vccz .LBB14_973
; %bb.970:
	s_cmp_eq_u32 s27, 11
	s_cbranch_scc0 .LBB14_972
; %bb.971:
	s_wait_loadcnt 0x0
	global_load_u8 v1, v[2:3], off
	s_mov_b32 s26, 0
	s_mov_b32 s28, -1
	s_wait_loadcnt 0x0
	v_cmp_ne_u16_e32 vcc_lo, 0, v1
	v_cndmask_b32_e64 v4, 0, 1, vcc_lo
	s_branch .LBB14_973
.LBB14_972:
	s_mov_b32 s26, -1
                                        ; implicit-def: $vgpr4
.LBB14_973:
	s_mov_b32 s27, 0
.LBB14_974:
	s_delay_alu instid0(SALU_CYCLE_1)
	s_and_b32 vcc_lo, exec_lo, s27
	s_cbranch_vccz .LBB14_1023
; %bb.975:
	s_and_b32 s0, 0xffff, s0
	s_delay_alu instid0(SALU_CYCLE_1)
	s_cmp_lt_i32 s0, 5
	s_cbranch_scc1 .LBB14_980
; %bb.976:
	s_cmp_lt_i32 s0, 8
	s_cbranch_scc1 .LBB14_981
; %bb.977:
	;; [unrolled: 3-line block ×3, first 2 shown]
	s_cmp_gt_i32 s0, 9
	s_cbranch_scc0 .LBB14_983
; %bb.979:
	s_wait_loadcnt 0x0
	global_load_b64 v[4:5], v[2:3], off
	s_mov_b32 s27, 0
	s_wait_loadcnt 0x0
	v_cvt_i32_f64_e32 v4, v[4:5]
	s_branch .LBB14_984
.LBB14_980:
	s_mov_b32 s27, -1
                                        ; implicit-def: $vgpr4
	s_branch .LBB14_1002
.LBB14_981:
	s_mov_b32 s27, -1
                                        ; implicit-def: $vgpr4
	s_branch .LBB14_990
.LBB14_982:
	s_mov_b32 s27, -1
                                        ; implicit-def: $vgpr4
	s_branch .LBB14_987
.LBB14_983:
	s_mov_b32 s27, -1
                                        ; implicit-def: $vgpr4
.LBB14_984:
	s_delay_alu instid0(SALU_CYCLE_1)
	s_and_not1_b32 vcc_lo, exec_lo, s27
	s_cbranch_vccnz .LBB14_986
; %bb.985:
	s_wait_loadcnt 0x0
	global_load_b32 v1, v[2:3], off
	s_wait_loadcnt 0x0
	v_cvt_i32_f32_e32 v4, v1
.LBB14_986:
	s_mov_b32 s27, 0
.LBB14_987:
	s_delay_alu instid0(SALU_CYCLE_1)
	s_and_not1_b32 vcc_lo, exec_lo, s27
	s_cbranch_vccnz .LBB14_989
; %bb.988:
	s_wait_loadcnt 0x0
	global_load_b32 v1, v[2:3], off
	s_wait_loadcnt 0x0
	v_cvt_i16_f16_e32 v4, v1
.LBB14_989:
	s_mov_b32 s27, 0
.LBB14_990:
	s_delay_alu instid0(SALU_CYCLE_1)
	s_and_not1_b32 vcc_lo, exec_lo, s27
	s_cbranch_vccnz .LBB14_1001
; %bb.991:
	s_cmp_lt_i32 s0, 6
	s_cbranch_scc1 .LBB14_994
; %bb.992:
	s_cmp_gt_i32 s0, 6
	s_cbranch_scc0 .LBB14_995
; %bb.993:
	s_wait_loadcnt 0x0
	global_load_b64 v[4:5], v[2:3], off
	s_mov_b32 s27, 0
	s_wait_loadcnt 0x0
	v_cvt_i32_f64_e32 v4, v[4:5]
	s_branch .LBB14_996
.LBB14_994:
	s_mov_b32 s27, -1
                                        ; implicit-def: $vgpr4
	s_branch .LBB14_999
.LBB14_995:
	s_mov_b32 s27, -1
                                        ; implicit-def: $vgpr4
.LBB14_996:
	s_delay_alu instid0(SALU_CYCLE_1)
	s_and_not1_b32 vcc_lo, exec_lo, s27
	s_cbranch_vccnz .LBB14_998
; %bb.997:
	s_wait_loadcnt 0x0
	global_load_b32 v1, v[2:3], off
	s_wait_loadcnt 0x0
	v_cvt_i32_f32_e32 v4, v1
.LBB14_998:
	s_mov_b32 s27, 0
.LBB14_999:
	s_delay_alu instid0(SALU_CYCLE_1)
	s_and_not1_b32 vcc_lo, exec_lo, s27
	s_cbranch_vccnz .LBB14_1001
; %bb.1000:
	s_wait_loadcnt 0x0
	global_load_u16 v1, v[2:3], off
	s_wait_loadcnt 0x0
	v_cvt_i16_f16_e32 v4, v1
.LBB14_1001:
	s_mov_b32 s27, 0
.LBB14_1002:
	s_delay_alu instid0(SALU_CYCLE_1)
	s_and_not1_b32 vcc_lo, exec_lo, s27
	s_cbranch_vccnz .LBB14_1022
; %bb.1003:
	s_cmp_lt_i32 s0, 2
	s_cbranch_scc1 .LBB14_1007
; %bb.1004:
	s_cmp_lt_i32 s0, 3
	s_cbranch_scc1 .LBB14_1008
; %bb.1005:
	s_cmp_gt_i32 s0, 3
	s_cbranch_scc0 .LBB14_1009
; %bb.1006:
	s_wait_loadcnt 0x0
	global_load_b64 v[4:5], v[2:3], off
	s_mov_b32 s27, 0
	s_branch .LBB14_1010
.LBB14_1007:
	s_mov_b32 s27, -1
                                        ; implicit-def: $vgpr4
	s_branch .LBB14_1016
.LBB14_1008:
	s_mov_b32 s27, -1
                                        ; implicit-def: $vgpr4
	s_branch .LBB14_1013
.LBB14_1009:
	s_mov_b32 s27, -1
                                        ; implicit-def: $vgpr4
.LBB14_1010:
	s_delay_alu instid0(SALU_CYCLE_1)
	s_and_not1_b32 vcc_lo, exec_lo, s27
	s_cbranch_vccnz .LBB14_1012
; %bb.1011:
	s_wait_loadcnt 0x0
	global_load_b32 v4, v[2:3], off
.LBB14_1012:
	s_mov_b32 s27, 0
.LBB14_1013:
	s_delay_alu instid0(SALU_CYCLE_1)
	s_and_not1_b32 vcc_lo, exec_lo, s27
	s_cbranch_vccnz .LBB14_1015
; %bb.1014:
	s_wait_loadcnt 0x0
	global_load_u16 v4, v[2:3], off
.LBB14_1015:
	s_mov_b32 s27, 0
.LBB14_1016:
	s_delay_alu instid0(SALU_CYCLE_1)
	s_and_not1_b32 vcc_lo, exec_lo, s27
	s_cbranch_vccnz .LBB14_1022
; %bb.1017:
	s_cmp_gt_i32 s0, 0
	s_mov_b32 s0, 0
	s_cbranch_scc0 .LBB14_1019
; %bb.1018:
	s_wait_loadcnt 0x0
	global_load_u8 v4, v[2:3], off
	s_branch .LBB14_1020
.LBB14_1019:
	s_mov_b32 s0, -1
                                        ; implicit-def: $vgpr4
.LBB14_1020:
	s_delay_alu instid0(SALU_CYCLE_1)
	s_and_not1_b32 vcc_lo, exec_lo, s0
	s_cbranch_vccnz .LBB14_1022
; %bb.1021:
	s_wait_loadcnt 0x0
	global_load_u8 v4, v[2:3], off
.LBB14_1022:
	s_mov_b32 s28, -1
.LBB14_1023:
	s_delay_alu instid0(SALU_CYCLE_1)
	s_and_not1_b32 vcc_lo, exec_lo, s28
	s_cbranch_vccnz .LBB14_1035
; %bb.1024:
	s_wait_loadcnt 0x0
	s_delay_alu instid0(VALU_DEP_1)
	v_bfe_i32 v1, v4, 0, 8
	s_wait_xcnt 0x0
	v_and_b32_e32 v3, 0xff, v0
	s_mov_b32 s27, 0
	s_mov_b32 s0, exec_lo
	v_sub_nc_u16 v2, 0, v1
	s_delay_alu instid0(VALU_DEP_1)
	v_max_i16 v2, v1, v2
	v_cmpx_ne_u16_e32 0, v3
	s_cbranch_execz .LBB14_1028
; %bb.1025:
	v_bfe_i32 v0, v0, 0, 8
	s_delay_alu instid0(VALU_DEP_1) | instskip(NEXT) | instid1(VALU_DEP_1)
	v_sub_nc_u16 v1, 0, v0
	v_max_i16 v1, v0, v1
	v_and_b32_e32 v0, 0xff, v2
	s_delay_alu instid0(VALU_DEP_2)
	v_and_b32_e32 v1, 0xffff, v1
.LBB14_1026:                            ; =>This Inner Loop Header: Depth=1
	s_delay_alu instid0(VALU_DEP_2) | instskip(NEXT) | instid1(VALU_DEP_2)
	v_bfe_i32 v4, v0, 0, 8
	v_mov_b32_e32 v2, v1
	s_delay_alu instid0(VALU_DEP_2) | instskip(NEXT) | instid1(VALU_DEP_2)
	v_cvt_f32_i32_e32 v6, v4
	v_bfe_i32 v1, v2, 0, 8
	s_delay_alu instid0(VALU_DEP_1) | instskip(SKIP_1) | instid1(VALU_DEP_2)
	v_cvt_f32_i32_e32 v3, v1
	v_xor_b32_e32 v1, v4, v1
	v_rcp_iflag_f32_e32 v5, v3
	v_nop
	s_delay_alu instid0(TRANS32_DEP_1) | instskip(NEXT) | instid1(VALU_DEP_1)
	v_mul_f32_e32 v4, v6, v5
	v_trunc_f32_e32 v4, v4
	s_delay_alu instid0(VALU_DEP_1) | instskip(NEXT) | instid1(VALU_DEP_1)
	v_dual_ashrrev_i32 v1, 30, v1 :: v_dual_fma_f32 v5, -v4, v3, v6
	v_or_b32_e32 v1, 1, v1
	v_cvt_i32_f32_e32 v4, v4
	s_delay_alu instid0(VALU_DEP_3) | instskip(NEXT) | instid1(VALU_DEP_3)
	v_cmp_ge_f32_e64 vcc_lo, |v5|, |v3|
	v_cndmask_b32_e32 v1, 0, v1, vcc_lo
	s_delay_alu instid0(VALU_DEP_1) | instskip(NEXT) | instid1(VALU_DEP_1)
	v_add_nc_u32_e32 v1, v4, v1
	v_mul_lo_u32 v1, v1, v2
	s_delay_alu instid0(VALU_DEP_1) | instskip(NEXT) | instid1(VALU_DEP_1)
	v_sub_nc_u32_e32 v0, v0, v1
	v_bfe_i32 v1, v0, 0, 8
	v_mov_b32_e32 v0, v2
	s_delay_alu instid0(VALU_DEP_2) | instskip(SKIP_2) | instid1(SALU_CYCLE_1)
	v_cmp_eq_u16_e32 vcc_lo, 0, v1
	v_and_b32_e32 v1, 0xffff, v1
	s_or_b32 s27, vcc_lo, s27
	s_and_not1_b32 exec_lo, exec_lo, s27
	s_cbranch_execnz .LBB14_1026
; %bb.1027:
	s_or_b32 exec_lo, exec_lo, s27
.LBB14_1028:
	s_delay_alu instid0(SALU_CYCLE_1) | instskip(SKIP_2) | instid1(SALU_CYCLE_1)
	s_or_b32 exec_lo, exec_lo, s0
	v_mul_lo_u32 v0, v10, s8
	s_and_b32 s27, s11, 0xff
	s_cmp_lt_i32 s27, 11
	s_delay_alu instid0(VALU_DEP_1) | instskip(NEXT) | instid1(VALU_DEP_1)
	v_ashrrev_i32_e32 v1, 31, v0
	v_add_nc_u64_e32 v[0:1], s[4:5], v[0:1]
	s_cbranch_scc1 .LBB14_1036
; %bb.1029:
	s_and_b32 s28, 0xffff, s27
	s_delay_alu instid0(SALU_CYCLE_1)
	s_cmp_gt_i32 s28, 25
	s_cbranch_scc0 .LBB14_1037
; %bb.1030:
	s_cmp_gt_i32 s28, 28
	s_cbranch_scc0 .LBB14_1038
; %bb.1031:
	;; [unrolled: 3-line block ×4, first 2 shown]
	s_mov_b32 s30, 0
	s_mov_b32 s0, -1
	s_cmp_eq_u32 s28, 46
	s_mov_b32 s29, 0
	s_cbranch_scc0 .LBB14_1041
; %bb.1034:
	v_bfe_i32 v3, v2, 0, 8
	s_mov_b32 s29, -1
	s_mov_b32 s0, 0
	s_delay_alu instid0(VALU_DEP_1) | instskip(NEXT) | instid1(VALU_DEP_1)
	v_bfe_i32 v3, v3, 0, 16
	v_cvt_f32_i32_e32 v3, v3
	s_delay_alu instid0(VALU_DEP_1) | instskip(NEXT) | instid1(VALU_DEP_1)
	v_bfe_u32 v4, v3, 16, 1
	v_add3_u32 v3, v3, v4, 0x7fff
	s_delay_alu instid0(VALU_DEP_1)
	v_lshrrev_b32_e32 v3, 16, v3
	global_store_b32 v[0:1], v3, off
	s_branch .LBB14_1041
.LBB14_1035:
	s_mov_b32 s28, 0
	s_mov_b32 s0, s21
	s_branch .LBB14_1152
.LBB14_1036:
	s_mov_b32 s28, -1
	s_mov_b32 s29, 0
	s_mov_b32 s0, s21
	s_branch .LBB14_1110
.LBB14_1037:
	s_mov_b32 s30, -1
	s_mov_b32 s29, 0
	s_mov_b32 s0, s21
	s_branch .LBB14_1068
.LBB14_1038:
	s_mov_b32 s30, -1
	s_mov_b32 s29, 0
	s_mov_b32 s0, s21
	s_branch .LBB14_1051
.LBB14_1039:
	s_mov_b32 s30, -1
	s_mov_b32 s29, 0
	s_mov_b32 s0, s21
	s_branch .LBB14_1047
.LBB14_1040:
	s_mov_b32 s30, -1
	s_mov_b32 s29, 0
	s_mov_b32 s0, s21
.LBB14_1041:
	s_and_b32 vcc_lo, exec_lo, s30
	s_cbranch_vccz .LBB14_1046
; %bb.1042:
	s_cmp_eq_u32 s28, 44
	s_mov_b32 s0, -1
	s_cbranch_scc0 .LBB14_1046
; %bb.1043:
	s_wait_xcnt 0x0
	v_bfe_i32 v3, v2, 0, 8
	v_mov_b32_e32 v4, 0xff
	s_mov_b32 s29, exec_lo
	s_delay_alu instid0(VALU_DEP_2) | instskip(NEXT) | instid1(VALU_DEP_1)
	v_bfe_i32 v3, v3, 0, 16
	v_cvt_f32_i32_e32 v3, v3
	s_delay_alu instid0(VALU_DEP_1) | instskip(NEXT) | instid1(VALU_DEP_1)
	v_bfe_u32 v5, v3, 23, 8
	v_cmpx_ne_u32_e32 0xff, v5
	s_cbranch_execz .LBB14_1045
; %bb.1044:
	v_and_b32_e32 v4, 0x400000, v3
	v_and_or_b32 v5, 0x3fffff, v3, v5
	v_lshrrev_b32_e32 v3, 23, v3
	s_delay_alu instid0(VALU_DEP_3) | instskip(NEXT) | instid1(VALU_DEP_3)
	v_cmp_ne_u32_e32 vcc_lo, 0, v4
	v_cmp_ne_u32_e64 s0, 0, v5
	s_and_b32 s0, vcc_lo, s0
	s_delay_alu instid0(SALU_CYCLE_1) | instskip(NEXT) | instid1(VALU_DEP_1)
	v_cndmask_b32_e64 v4, 0, 1, s0
	v_add_nc_u32_e32 v4, v3, v4
.LBB14_1045:
	s_or_b32 exec_lo, exec_lo, s29
	s_mov_b32 s29, -1
	s_mov_b32 s0, 0
	global_store_b8 v[0:1], v4, off
.LBB14_1046:
	s_mov_b32 s30, 0
.LBB14_1047:
	s_delay_alu instid0(SALU_CYCLE_1)
	s_and_b32 vcc_lo, exec_lo, s30
	s_cbranch_vccz .LBB14_1050
; %bb.1048:
	s_cmp_eq_u32 s28, 29
	s_mov_b32 s0, -1
	s_cbranch_scc0 .LBB14_1050
; %bb.1049:
	s_wait_xcnt 0x0
	v_bfe_i32 v4, v2, 0, 8
	s_mov_b32 s29, -1
	s_mov_b32 s0, 0
	s_mov_b32 s30, 0
	s_delay_alu instid0(VALU_DEP_1)
	v_ashrrev_i32_e32 v5, 31, v4
	global_store_b64 v[0:1], v[4:5], off
	s_branch .LBB14_1051
.LBB14_1050:
	s_mov_b32 s30, 0
.LBB14_1051:
	s_delay_alu instid0(SALU_CYCLE_1)
	s_and_b32 vcc_lo, exec_lo, s30
	s_cbranch_vccz .LBB14_1067
; %bb.1052:
	s_cmp_lt_i32 s28, 27
	s_mov_b32 s29, -1
	s_cbranch_scc1 .LBB14_1058
; %bb.1053:
	s_cmp_gt_i32 s28, 27
	s_cbranch_scc0 .LBB14_1055
; %bb.1054:
	s_wait_xcnt 0x0
	v_bfe_i32 v3, v2, 0, 8
	s_mov_b32 s29, 0
	global_store_b32 v[0:1], v3, off
.LBB14_1055:
	s_and_not1_b32 vcc_lo, exec_lo, s29
	s_cbranch_vccnz .LBB14_1057
; %bb.1056:
	s_wait_xcnt 0x0
	v_bfe_i32 v3, v2, 0, 8
	global_store_b16 v[0:1], v3, off
.LBB14_1057:
	s_mov_b32 s29, 0
.LBB14_1058:
	s_delay_alu instid0(SALU_CYCLE_1)
	s_and_not1_b32 vcc_lo, exec_lo, s29
	s_cbranch_vccnz .LBB14_1066
; %bb.1059:
	s_wait_xcnt 0x0
	v_bfe_i32 v3, v2, 0, 8
	v_mov_b32_e32 v5, 0x80
	s_mov_b32 s29, exec_lo
	s_delay_alu instid0(VALU_DEP_2) | instskip(NEXT) | instid1(VALU_DEP_1)
	v_bfe_i32 v3, v3, 0, 16
	v_cvt_f32_i32_e32 v3, v3
	s_delay_alu instid0(VALU_DEP_1) | instskip(NEXT) | instid1(VALU_DEP_1)
	v_and_b32_e32 v4, 0x7fffffff, v3
	v_cmpx_gt_u32_e32 0x43800000, v4
	s_cbranch_execz .LBB14_1065
; %bb.1060:
	v_cmp_lt_u32_e32 vcc_lo, 0x3bffffff, v4
	s_mov_b32 s30, 0
                                        ; implicit-def: $vgpr4
	s_and_saveexec_b32 s31, vcc_lo
	s_delay_alu instid0(SALU_CYCLE_1)
	s_xor_b32 s31, exec_lo, s31
	s_cbranch_execz .LBB14_1168
; %bb.1061:
	v_bfe_u32 v4, v3, 20, 1
	s_mov_b32 s30, exec_lo
	s_delay_alu instid0(VALU_DEP_1) | instskip(NEXT) | instid1(VALU_DEP_1)
	v_add3_u32 v4, v3, v4, 0x487ffff
	v_lshrrev_b32_e32 v4, 20, v4
	s_and_not1_saveexec_b32 s31, s31
	s_cbranch_execnz .LBB14_1169
.LBB14_1062:
	s_or_b32 exec_lo, exec_lo, s31
	v_mov_b32_e32 v5, 0
	s_and_saveexec_b32 s31, s30
.LBB14_1063:
	v_lshrrev_b32_e32 v3, 24, v3
	s_delay_alu instid0(VALU_DEP_1)
	v_and_or_b32 v5, 0x80, v3, v4
.LBB14_1064:
	s_or_b32 exec_lo, exec_lo, s31
.LBB14_1065:
	s_delay_alu instid0(SALU_CYCLE_1)
	s_or_b32 exec_lo, exec_lo, s29
	global_store_b8 v[0:1], v5, off
.LBB14_1066:
	s_mov_b32 s29, -1
.LBB14_1067:
	s_mov_b32 s30, 0
.LBB14_1068:
	s_delay_alu instid0(SALU_CYCLE_1)
	s_and_b32 vcc_lo, exec_lo, s30
	s_cbranch_vccz .LBB14_1109
; %bb.1069:
	s_cmp_gt_i32 s28, 22
	s_mov_b32 s30, -1
	s_cbranch_scc0 .LBB14_1101
; %bb.1070:
	s_cmp_lt_i32 s28, 24
	s_mov_b32 s29, -1
	s_cbranch_scc1 .LBB14_1090
; %bb.1071:
	s_cmp_gt_i32 s28, 24
	s_cbranch_scc0 .LBB14_1079
; %bb.1072:
	s_wait_xcnt 0x0
	v_bfe_i32 v3, v2, 0, 8
	v_mov_b32_e32 v5, 0x80
	s_mov_b32 s29, exec_lo
	s_delay_alu instid0(VALU_DEP_2) | instskip(NEXT) | instid1(VALU_DEP_1)
	v_bfe_i32 v3, v3, 0, 16
	v_cvt_f32_i32_e32 v3, v3
	s_delay_alu instid0(VALU_DEP_1) | instskip(NEXT) | instid1(VALU_DEP_1)
	v_and_b32_e32 v4, 0x7fffffff, v3
	v_cmpx_gt_u32_e32 0x47800000, v4
	s_cbranch_execz .LBB14_1078
; %bb.1073:
	v_cmp_lt_u32_e32 vcc_lo, 0x37ffffff, v4
	s_mov_b32 s30, 0
                                        ; implicit-def: $vgpr4
	s_and_saveexec_b32 s31, vcc_lo
	s_delay_alu instid0(SALU_CYCLE_1)
	s_xor_b32 s31, exec_lo, s31
	s_cbranch_execz .LBB14_2179
; %bb.1074:
	v_bfe_u32 v4, v3, 21, 1
	s_mov_b32 s30, exec_lo
	s_delay_alu instid0(VALU_DEP_1) | instskip(NEXT) | instid1(VALU_DEP_1)
	v_add3_u32 v4, v3, v4, 0x88fffff
	v_lshrrev_b32_e32 v4, 21, v4
	s_and_not1_saveexec_b32 s31, s31
	s_cbranch_execnz .LBB14_2180
.LBB14_1075:
	s_or_b32 exec_lo, exec_lo, s31
	v_mov_b32_e32 v5, 0
	s_and_saveexec_b32 s31, s30
.LBB14_1076:
	v_lshrrev_b32_e32 v3, 24, v3
	s_delay_alu instid0(VALU_DEP_1)
	v_and_or_b32 v5, 0x80, v3, v4
.LBB14_1077:
	s_or_b32 exec_lo, exec_lo, s31
.LBB14_1078:
	s_delay_alu instid0(SALU_CYCLE_1)
	s_or_b32 exec_lo, exec_lo, s29
	s_mov_b32 s29, 0
	global_store_b8 v[0:1], v5, off
.LBB14_1079:
	s_and_b32 vcc_lo, exec_lo, s29
	s_cbranch_vccz .LBB14_1089
; %bb.1080:
	s_wait_xcnt 0x0
	v_bfe_i32 v3, v2, 0, 8
	s_mov_b32 s29, exec_lo
                                        ; implicit-def: $vgpr4
	s_delay_alu instid0(VALU_DEP_1) | instskip(NEXT) | instid1(VALU_DEP_1)
	v_bfe_i32 v3, v3, 0, 16
	v_cvt_f32_i32_e32 v3, v3
	s_delay_alu instid0(VALU_DEP_1) | instskip(NEXT) | instid1(VALU_DEP_1)
	v_and_b32_e32 v5, 0x7fffffff, v3
	v_cmpx_gt_u32_e32 0x43f00000, v5
	s_xor_b32 s29, exec_lo, s29
	s_cbranch_execz .LBB14_1086
; %bb.1081:
	s_mov_b32 s30, exec_lo
                                        ; implicit-def: $vgpr4
	v_cmpx_lt_u32_e32 0x3c7fffff, v5
	s_xor_b32 s30, exec_lo, s30
; %bb.1082:
	v_bfe_u32 v4, v3, 20, 1
	s_delay_alu instid0(VALU_DEP_1) | instskip(NEXT) | instid1(VALU_DEP_1)
	v_add3_u32 v4, v3, v4, 0x407ffff
	v_and_b32_e32 v5, 0xff00000, v4
	v_lshrrev_b32_e32 v4, 20, v4
	s_delay_alu instid0(VALU_DEP_2) | instskip(NEXT) | instid1(VALU_DEP_2)
	v_cmp_ne_u32_e32 vcc_lo, 0x7f00000, v5
	v_cndmask_b32_e32 v4, 0x7e, v4, vcc_lo
; %bb.1083:
	s_and_not1_saveexec_b32 s30, s30
; %bb.1084:
	v_add_f32_e64 v4, 0x46800000, |v3|
; %bb.1085:
	s_or_b32 exec_lo, exec_lo, s30
                                        ; implicit-def: $vgpr5
.LBB14_1086:
	s_and_not1_saveexec_b32 s29, s29
; %bb.1087:
	v_mov_b32_e32 v4, 0x7f
	v_cmp_lt_u32_e32 vcc_lo, 0x7f800000, v5
	s_delay_alu instid0(VALU_DEP_2)
	v_cndmask_b32_e32 v4, 0x7e, v4, vcc_lo
; %bb.1088:
	s_or_b32 exec_lo, exec_lo, s29
	v_lshrrev_b32_e32 v3, 24, v3
	s_delay_alu instid0(VALU_DEP_1)
	v_and_or_b32 v3, 0x80, v3, v4
	global_store_b8 v[0:1], v3, off
.LBB14_1089:
	s_mov_b32 s29, 0
.LBB14_1090:
	s_delay_alu instid0(SALU_CYCLE_1)
	s_and_not1_b32 vcc_lo, exec_lo, s29
	s_cbranch_vccnz .LBB14_1100
; %bb.1091:
	s_wait_xcnt 0x0
	v_bfe_i32 v3, v2, 0, 8
	s_mov_b32 s29, exec_lo
                                        ; implicit-def: $vgpr4
	s_delay_alu instid0(VALU_DEP_1) | instskip(NEXT) | instid1(VALU_DEP_1)
	v_bfe_i32 v3, v3, 0, 16
	v_cvt_f32_i32_e32 v3, v3
	s_delay_alu instid0(VALU_DEP_1) | instskip(NEXT) | instid1(VALU_DEP_1)
	v_and_b32_e32 v5, 0x7fffffff, v3
	v_cmpx_gt_u32_e32 0x47800000, v5
	s_xor_b32 s29, exec_lo, s29
	s_cbranch_execz .LBB14_1097
; %bb.1092:
	s_mov_b32 s30, exec_lo
                                        ; implicit-def: $vgpr4
	v_cmpx_lt_u32_e32 0x387fffff, v5
	s_xor_b32 s30, exec_lo, s30
; %bb.1093:
	v_bfe_u32 v4, v3, 21, 1
	s_delay_alu instid0(VALU_DEP_1) | instskip(NEXT) | instid1(VALU_DEP_1)
	v_add3_u32 v4, v3, v4, 0x80fffff
	v_lshrrev_b32_e32 v4, 21, v4
; %bb.1094:
	s_and_not1_saveexec_b32 s30, s30
; %bb.1095:
	v_add_f32_e64 v4, 0x43000000, |v3|
; %bb.1096:
	s_or_b32 exec_lo, exec_lo, s30
                                        ; implicit-def: $vgpr5
.LBB14_1097:
	s_and_not1_saveexec_b32 s29, s29
; %bb.1098:
	v_mov_b32_e32 v4, 0x7f
	v_cmp_lt_u32_e32 vcc_lo, 0x7f800000, v5
	s_delay_alu instid0(VALU_DEP_2)
	v_cndmask_b32_e32 v4, 0x7c, v4, vcc_lo
; %bb.1099:
	s_or_b32 exec_lo, exec_lo, s29
	v_lshrrev_b32_e32 v3, 24, v3
	s_delay_alu instid0(VALU_DEP_1)
	v_and_or_b32 v3, 0x80, v3, v4
	global_store_b8 v[0:1], v3, off
.LBB14_1100:
	s_mov_b32 s30, 0
	s_mov_b32 s29, -1
.LBB14_1101:
	s_and_not1_b32 vcc_lo, exec_lo, s30
	s_cbranch_vccnz .LBB14_1109
; %bb.1102:
	s_cmp_gt_i32 s28, 14
	s_mov_b32 s30, -1
	s_cbranch_scc0 .LBB14_1106
; %bb.1103:
	s_cmp_eq_u32 s28, 15
	s_mov_b32 s0, -1
	s_cbranch_scc0 .LBB14_1105
; %bb.1104:
	s_wait_xcnt 0x0
	v_bfe_i32 v3, v2, 0, 8
	s_mov_b32 s29, -1
	s_mov_b32 s0, 0
	s_delay_alu instid0(VALU_DEP_1) | instskip(NEXT) | instid1(VALU_DEP_1)
	v_bfe_i32 v3, v3, 0, 16
	v_cvt_f32_i32_e32 v3, v3
	s_delay_alu instid0(VALU_DEP_1) | instskip(NEXT) | instid1(VALU_DEP_1)
	v_bfe_u32 v4, v3, 16, 1
	v_add3_u32 v3, v3, v4, 0x7fff
	global_store_d16_hi_b16 v[0:1], v3, off
.LBB14_1105:
	s_mov_b32 s30, 0
.LBB14_1106:
	s_delay_alu instid0(SALU_CYCLE_1)
	s_and_b32 vcc_lo, exec_lo, s30
	s_cbranch_vccz .LBB14_1109
; %bb.1107:
	s_cmp_eq_u32 s28, 11
	s_mov_b32 s0, -1
	s_cbranch_scc0 .LBB14_1109
; %bb.1108:
	s_wait_xcnt 0x0
	v_and_b32_e32 v3, 0xff, v2
	s_mov_b32 s0, 0
	s_mov_b32 s29, -1
	s_delay_alu instid0(VALU_DEP_1)
	v_cmp_ne_u16_e32 vcc_lo, 0, v3
	v_cndmask_b32_e64 v3, 0, 1, vcc_lo
	global_store_b8 v[0:1], v3, off
.LBB14_1109:
	s_mov_b32 s28, 0
.LBB14_1110:
	s_delay_alu instid0(SALU_CYCLE_1)
	s_and_b32 vcc_lo, exec_lo, s28
	s_cbranch_vccz .LBB14_1149
; %bb.1111:
	s_and_b32 s27, 0xffff, s27
	s_mov_b32 s28, -1
	s_cmp_lt_i32 s27, 5
	s_cbranch_scc1 .LBB14_1132
; %bb.1112:
	s_cmp_lt_i32 s27, 8
	s_cbranch_scc1 .LBB14_1122
; %bb.1113:
	;; [unrolled: 3-line block ×3, first 2 shown]
	s_cmp_gt_i32 s27, 9
	s_cbranch_scc0 .LBB14_1116
; %bb.1115:
	s_wait_xcnt 0x0
	v_bfe_i32 v3, v2, 0, 8
	v_mov_b32_e32 v6, 0
	s_mov_b32 s28, 0
	s_delay_alu instid0(VALU_DEP_2) | instskip(NEXT) | instid1(VALU_DEP_2)
	v_bfe_i32 v3, v3, 0, 16
	v_mov_b32_e32 v7, v6
	s_delay_alu instid0(VALU_DEP_2)
	v_cvt_f64_i32_e32 v[4:5], v3
	global_store_b128 v[0:1], v[4:7], off
.LBB14_1116:
	s_and_not1_b32 vcc_lo, exec_lo, s28
	s_cbranch_vccnz .LBB14_1118
; %bb.1117:
	s_wait_xcnt 0x0
	v_bfe_i32 v3, v2, 0, 8
	v_mov_b32_e32 v5, 0
	s_delay_alu instid0(VALU_DEP_2) | instskip(NEXT) | instid1(VALU_DEP_1)
	v_bfe_i32 v3, v3, 0, 16
	v_cvt_f32_i32_e32 v4, v3
	global_store_b64 v[0:1], v[4:5], off
.LBB14_1118:
	s_mov_b32 s28, 0
.LBB14_1119:
	s_delay_alu instid0(SALU_CYCLE_1)
	s_and_not1_b32 vcc_lo, exec_lo, s28
	s_cbranch_vccnz .LBB14_1121
; %bb.1120:
	s_wait_xcnt 0x0
	v_bfe_i32 v3, v2, 0, 8
	s_delay_alu instid0(VALU_DEP_1) | instskip(NEXT) | instid1(VALU_DEP_1)
	v_cvt_f16_i16_e32 v3, v3
	v_and_b32_e32 v3, 0xffff, v3
	global_store_b32 v[0:1], v3, off
.LBB14_1121:
	s_mov_b32 s28, 0
.LBB14_1122:
	s_delay_alu instid0(SALU_CYCLE_1)
	s_and_not1_b32 vcc_lo, exec_lo, s28
	s_cbranch_vccnz .LBB14_1131
; %bb.1123:
	s_cmp_lt_i32 s27, 6
	s_mov_b32 s28, -1
	s_cbranch_scc1 .LBB14_1129
; %bb.1124:
	s_cmp_gt_i32 s27, 6
	s_cbranch_scc0 .LBB14_1126
; %bb.1125:
	s_wait_xcnt 0x0
	v_bfe_i32 v3, v2, 0, 8
	s_mov_b32 s28, 0
	s_delay_alu instid0(VALU_DEP_1) | instskip(NEXT) | instid1(VALU_DEP_1)
	v_bfe_i32 v3, v3, 0, 16
	v_cvt_f64_i32_e32 v[4:5], v3
	global_store_b64 v[0:1], v[4:5], off
.LBB14_1126:
	s_and_not1_b32 vcc_lo, exec_lo, s28
	s_cbranch_vccnz .LBB14_1128
; %bb.1127:
	s_wait_xcnt 0x0
	v_bfe_i32 v3, v2, 0, 8
	s_delay_alu instid0(VALU_DEP_1) | instskip(NEXT) | instid1(VALU_DEP_1)
	v_bfe_i32 v3, v3, 0, 16
	v_cvt_f32_i32_e32 v3, v3
	global_store_b32 v[0:1], v3, off
.LBB14_1128:
	s_mov_b32 s28, 0
.LBB14_1129:
	s_delay_alu instid0(SALU_CYCLE_1)
	s_and_not1_b32 vcc_lo, exec_lo, s28
	s_cbranch_vccnz .LBB14_1131
; %bb.1130:
	s_wait_xcnt 0x0
	v_bfe_i32 v3, v2, 0, 8
	s_delay_alu instid0(VALU_DEP_1)
	v_cvt_f16_i16_e32 v3, v3
	global_store_b16 v[0:1], v3, off
.LBB14_1131:
	s_mov_b32 s28, 0
.LBB14_1132:
	s_delay_alu instid0(SALU_CYCLE_1)
	s_and_not1_b32 vcc_lo, exec_lo, s28
	s_cbranch_vccnz .LBB14_1148
; %bb.1133:
	s_cmp_lt_i32 s27, 2
	s_mov_b32 s28, -1
	s_cbranch_scc1 .LBB14_1143
; %bb.1134:
	s_cmp_lt_i32 s27, 3
	s_cbranch_scc1 .LBB14_1140
; %bb.1135:
	s_cmp_gt_i32 s27, 3
	s_cbranch_scc0 .LBB14_1137
; %bb.1136:
	s_wait_xcnt 0x0
	v_bfe_i32 v4, v2, 0, 8
	s_mov_b32 s28, 0
	s_delay_alu instid0(VALU_DEP_1)
	v_ashrrev_i32_e32 v5, 31, v4
	global_store_b64 v[0:1], v[4:5], off
.LBB14_1137:
	s_and_not1_b32 vcc_lo, exec_lo, s28
	s_cbranch_vccnz .LBB14_1139
; %bb.1138:
	s_wait_xcnt 0x0
	v_bfe_i32 v3, v2, 0, 8
	global_store_b32 v[0:1], v3, off
.LBB14_1139:
	s_mov_b32 s28, 0
.LBB14_1140:
	s_delay_alu instid0(SALU_CYCLE_1)
	s_and_not1_b32 vcc_lo, exec_lo, s28
	s_cbranch_vccnz .LBB14_1142
; %bb.1141:
	s_wait_xcnt 0x0
	v_bfe_i32 v3, v2, 0, 8
	global_store_b16 v[0:1], v3, off
.LBB14_1142:
	s_mov_b32 s28, 0
.LBB14_1143:
	s_delay_alu instid0(SALU_CYCLE_1)
	s_and_not1_b32 vcc_lo, exec_lo, s28
	s_cbranch_vccnz .LBB14_1148
; %bb.1144:
	s_cmp_gt_i32 s27, 0
	s_mov_b32 s27, -1
	s_cbranch_scc0 .LBB14_1146
; %bb.1145:
	s_mov_b32 s27, 0
	global_store_b8 v[0:1], v2, off
.LBB14_1146:
	s_and_not1_b32 vcc_lo, exec_lo, s27
	s_cbranch_vccnz .LBB14_1148
; %bb.1147:
	global_store_b8 v[0:1], v2, off
.LBB14_1148:
	s_mov_b32 s29, -1
.LBB14_1149:
	s_delay_alu instid0(SALU_CYCLE_1)
	s_and_not1_b32 vcc_lo, exec_lo, s29
	s_cbranch_vccnz .LBB14_1151
; %bb.1150:
	v_add_nc_u32_e32 v10, 0x80, v10
	s_mov_b32 s28, -1
	s_branch .LBB14_1153
.LBB14_1151:
	s_mov_b32 s28, 0
.LBB14_1152:
                                        ; implicit-def: $vgpr10
.LBB14_1153:
	s_and_not1_b32 s27, s21, exec_lo
	s_and_b32 s0, s0, exec_lo
	s_and_b32 s26, s26, exec_lo
	s_or_b32 s27, s27, s0
	s_and_not1_b32 s0, s22, exec_lo
	s_and_not1_b32 s29, s20, exec_lo
	s_and_b32 s25, s25, exec_lo
	s_or_b32 s26, s0, s26
	s_or_b32 s25, s29, s25
	s_or_not1_b32 s31, s28, exec_lo
.LBB14_1154:
	s_wait_xcnt 0x0
	s_or_b32 exec_lo, exec_lo, s24
	s_mov_b32 s28, 0
	s_mov_b32 s29, 0
	s_mov_b32 s30, 0
                                        ; implicit-def: $sgpr0
                                        ; implicit-def: $vgpr2_vgpr3
                                        ; implicit-def: $vgpr0
	s_and_saveexec_b32 s24, s31
	s_cbranch_execz .LBB14_1233
; %bb.1155:
	v_cmp_gt_i32_e32 vcc_lo, s16, v10
	s_mov_b32 s33, s25
	s_mov_b32 s31, 0
	;; [unrolled: 1-line block ×3, first 2 shown]
                                        ; implicit-def: $sgpr0
                                        ; implicit-def: $vgpr2_vgpr3
                                        ; implicit-def: $vgpr0
	s_and_saveexec_b32 s16, vcc_lo
	s_cbranch_execz .LBB14_1232
; %bb.1156:
	s_wait_loadcnt 0x0
	v_mul_lo_u32 v0, v10, s9
	s_and_b32 s0, s13, 0xff
	s_delay_alu instid0(SALU_CYCLE_1) | instskip(NEXT) | instid1(VALU_DEP_1)
	s_cmp_lt_i32 s0, 11
	v_ashrrev_i32_e32 v1, 31, v0
	s_delay_alu instid0(VALU_DEP_1)
	v_add_nc_u64_e32 v[2:3], s[6:7], v[0:1]
	s_cbranch_scc1 .LBB14_1163
; %bb.1157:
	s_and_b32 s28, 0xffff, s0
	s_delay_alu instid0(SALU_CYCLE_1)
	s_cmp_gt_i32 s28, 25
	s_cbranch_scc0 .LBB14_1164
; %bb.1158:
	s_cmp_gt_i32 s28, 28
	s_cbranch_scc0 .LBB14_1165
; %bb.1159:
	;; [unrolled: 3-line block ×4, first 2 shown]
	s_cmp_eq_u32 s28, 46
	s_mov_b32 s33, 0
	s_cbranch_scc0 .LBB14_1170
; %bb.1162:
	global_load_b32 v0, v[2:3], off
	s_mov_b32 s31, -1
	s_wait_loadcnt 0x0
	v_lshlrev_b32_e32 v0, 16, v0
	s_delay_alu instid0(VALU_DEP_1)
	v_cvt_i32_f32_e32 v0, v0
	s_branch .LBB14_1172
.LBB14_1163:
	s_mov_b32 s28, -1
	s_mov_b32 s29, s25
                                        ; implicit-def: $vgpr0
	s_branch .LBB14_1231
.LBB14_1164:
	s_mov_b32 s33, -1
	s_mov_b32 s29, s25
                                        ; implicit-def: $vgpr0
	s_branch .LBB14_1199
.LBB14_1165:
	s_mov_b32 s33, -1
	s_mov_b32 s29, s25
                                        ; implicit-def: $vgpr0
	s_branch .LBB14_1182
.LBB14_1166:
	s_mov_b32 s33, -1
	s_mov_b32 s29, s25
                                        ; implicit-def: $vgpr0
	s_branch .LBB14_1177
.LBB14_1167:
	s_mov_b32 s33, -1
	s_mov_b32 s29, s25
	s_branch .LBB14_1171
.LBB14_1168:
	s_and_not1_saveexec_b32 s31, s31
	s_cbranch_execz .LBB14_1062
.LBB14_1169:
	v_add_f32_e64 v4, 0x46000000, |v3|
	s_and_not1_b32 s30, s30, exec_lo
	s_delay_alu instid0(VALU_DEP_1) | instskip(NEXT) | instid1(VALU_DEP_1)
	v_and_b32_e32 v4, 0xff, v4
	v_cmp_ne_u32_e32 vcc_lo, 0, v4
	s_and_b32 s33, vcc_lo, exec_lo
	s_delay_alu instid0(SALU_CYCLE_1)
	s_or_b32 s30, s30, s33
	s_or_b32 exec_lo, exec_lo, s31
	v_mov_b32_e32 v5, 0
	s_and_saveexec_b32 s31, s30
	s_cbranch_execnz .LBB14_1063
	s_branch .LBB14_1064
.LBB14_1170:
	s_mov_b32 s29, -1
.LBB14_1171:
                                        ; implicit-def: $vgpr0
.LBB14_1172:
	s_and_b32 vcc_lo, exec_lo, s33
	s_cbranch_vccz .LBB14_1176
; %bb.1173:
	s_cmp_eq_u32 s28, 44
	s_cbranch_scc0 .LBB14_1175
; %bb.1174:
	global_load_u8 v0, v[2:3], off
	s_mov_b32 s29, 0
	s_mov_b32 s31, -1
	s_wait_loadcnt 0x0
	v_lshlrev_b32_e32 v1, 23, v0
	v_cmp_ne_u32_e32 vcc_lo, 0, v0
	s_delay_alu instid0(VALU_DEP_2) | instskip(NEXT) | instid1(VALU_DEP_1)
	v_cvt_i32_f32_e32 v1, v1
	v_cndmask_b32_e32 v0, 0, v1, vcc_lo
	s_branch .LBB14_1176
.LBB14_1175:
	s_mov_b32 s29, -1
                                        ; implicit-def: $vgpr0
.LBB14_1176:
	s_mov_b32 s33, 0
.LBB14_1177:
	s_delay_alu instid0(SALU_CYCLE_1)
	s_and_b32 vcc_lo, exec_lo, s33
	s_cbranch_vccz .LBB14_1181
; %bb.1178:
	s_cmp_eq_u32 s28, 29
	s_cbranch_scc0 .LBB14_1180
; %bb.1179:
	global_load_b64 v[0:1], v[2:3], off
	s_mov_b32 s29, 0
	s_mov_b32 s31, -1
	s_branch .LBB14_1181
.LBB14_1180:
	s_mov_b32 s29, -1
                                        ; implicit-def: $vgpr0
.LBB14_1181:
	s_mov_b32 s33, 0
.LBB14_1182:
	s_delay_alu instid0(SALU_CYCLE_1)
	s_and_b32 vcc_lo, exec_lo, s33
	s_cbranch_vccz .LBB14_1198
; %bb.1183:
	s_cmp_lt_i32 s28, 27
	s_cbranch_scc1 .LBB14_1186
; %bb.1184:
	s_cmp_gt_i32 s28, 27
	s_cbranch_scc0 .LBB14_1187
; %bb.1185:
	s_wait_loadcnt 0x0
	global_load_b32 v0, v[2:3], off
	s_mov_b32 s31, 0
	s_branch .LBB14_1188
.LBB14_1186:
	s_mov_b32 s31, -1
                                        ; implicit-def: $vgpr0
	s_branch .LBB14_1191
.LBB14_1187:
	s_mov_b32 s31, -1
                                        ; implicit-def: $vgpr0
.LBB14_1188:
	s_delay_alu instid0(SALU_CYCLE_1)
	s_and_not1_b32 vcc_lo, exec_lo, s31
	s_cbranch_vccnz .LBB14_1190
; %bb.1189:
	s_wait_loadcnt 0x0
	global_load_u16 v0, v[2:3], off
.LBB14_1190:
	s_mov_b32 s31, 0
.LBB14_1191:
	s_delay_alu instid0(SALU_CYCLE_1)
	s_and_not1_b32 vcc_lo, exec_lo, s31
	s_cbranch_vccnz .LBB14_1197
; %bb.1192:
	s_wait_loadcnt 0x0
	global_load_u8 v1, v[2:3], off
	s_mov_b32 s33, 0
	s_mov_b32 s31, exec_lo
	s_wait_loadcnt 0x0
	v_cmpx_lt_i16_e32 0x7f, v1
	s_xor_b32 s31, exec_lo, s31
	s_cbranch_execz .LBB14_1209
; %bb.1193:
	v_cmp_ne_u16_e32 vcc_lo, 0x80, v1
	s_and_b32 s33, vcc_lo, exec_lo
	s_and_not1_saveexec_b32 s31, s31
	s_cbranch_execnz .LBB14_1210
.LBB14_1194:
	s_or_b32 exec_lo, exec_lo, s31
	v_mov_b32_e32 v0, 0
	s_and_saveexec_b32 s31, s33
	s_cbranch_execz .LBB14_1196
.LBB14_1195:
	v_and_b32_e32 v0, 0xffff, v1
	s_delay_alu instid0(VALU_DEP_1) | instskip(SKIP_1) | instid1(VALU_DEP_2)
	v_and_b32_e32 v4, 7, v0
	v_bfe_u32 v7, v0, 3, 4
	v_clz_i32_u32_e32 v5, v4
	s_delay_alu instid0(VALU_DEP_2) | instskip(NEXT) | instid1(VALU_DEP_2)
	v_cmp_eq_u32_e32 vcc_lo, 0, v7
	v_min_u32_e32 v5, 32, v5
	s_delay_alu instid0(VALU_DEP_1) | instskip(NEXT) | instid1(VALU_DEP_1)
	v_subrev_nc_u32_e32 v6, 28, v5
	v_dual_lshlrev_b32 v0, v6, v0 :: v_dual_sub_nc_u32 v5, 29, v5
	s_delay_alu instid0(VALU_DEP_1) | instskip(NEXT) | instid1(VALU_DEP_1)
	v_dual_lshlrev_b32 v1, 24, v1 :: v_dual_bitop2_b32 v0, 7, v0 bitop3:0x40
	v_dual_cndmask_b32 v0, v4, v0 :: v_dual_cndmask_b32 v5, v7, v5
	s_delay_alu instid0(VALU_DEP_2) | instskip(NEXT) | instid1(VALU_DEP_2)
	v_and_b32_e32 v1, 0x80000000, v1
	v_lshlrev_b32_e32 v0, 20, v0
	s_delay_alu instid0(VALU_DEP_3) | instskip(NEXT) | instid1(VALU_DEP_1)
	v_lshl_add_u32 v4, v5, 23, 0x3b800000
	v_or3_b32 v0, v1, v4, v0
	s_delay_alu instid0(VALU_DEP_1)
	v_cvt_i32_f32_e32 v0, v0
.LBB14_1196:
	s_or_b32 exec_lo, exec_lo, s31
.LBB14_1197:
	s_mov_b32 s31, -1
.LBB14_1198:
	s_mov_b32 s33, 0
.LBB14_1199:
	s_delay_alu instid0(SALU_CYCLE_1)
	s_and_b32 vcc_lo, exec_lo, s33
	s_cbranch_vccz .LBB14_1230
; %bb.1200:
	s_cmp_gt_i32 s28, 22
	s_cbranch_scc0 .LBB14_1208
; %bb.1201:
	s_cmp_lt_i32 s28, 24
	s_cbranch_scc1 .LBB14_1211
; %bb.1202:
	s_cmp_gt_i32 s28, 24
	s_cbranch_scc0 .LBB14_1212
; %bb.1203:
	s_wait_loadcnt 0x0
	global_load_u8 v1, v[2:3], off
	s_mov_b32 s31, 0
	s_mov_b32 s30, exec_lo
	s_wait_loadcnt 0x0
	v_cmpx_lt_i16_e32 0x7f, v1
	s_xor_b32 s30, exec_lo, s30
	s_cbranch_execz .LBB14_1224
; %bb.1204:
	v_cmp_ne_u16_e32 vcc_lo, 0x80, v1
	s_and_b32 s31, vcc_lo, exec_lo
	s_and_not1_saveexec_b32 s30, s30
	s_cbranch_execnz .LBB14_1225
.LBB14_1205:
	s_or_b32 exec_lo, exec_lo, s30
	v_mov_b32_e32 v0, 0
	s_and_saveexec_b32 s30, s31
	s_cbranch_execz .LBB14_1207
.LBB14_1206:
	v_and_b32_e32 v0, 0xffff, v1
	s_delay_alu instid0(VALU_DEP_1) | instskip(SKIP_1) | instid1(VALU_DEP_2)
	v_and_b32_e32 v4, 3, v0
	v_bfe_u32 v7, v0, 2, 5
	v_clz_i32_u32_e32 v5, v4
	s_delay_alu instid0(VALU_DEP_2) | instskip(NEXT) | instid1(VALU_DEP_2)
	v_cmp_eq_u32_e32 vcc_lo, 0, v7
	v_min_u32_e32 v5, 32, v5
	s_delay_alu instid0(VALU_DEP_1) | instskip(NEXT) | instid1(VALU_DEP_1)
	v_subrev_nc_u32_e32 v6, 29, v5
	v_dual_lshlrev_b32 v0, v6, v0 :: v_dual_sub_nc_u32 v5, 30, v5
	s_delay_alu instid0(VALU_DEP_1) | instskip(NEXT) | instid1(VALU_DEP_1)
	v_dual_lshlrev_b32 v1, 24, v1 :: v_dual_bitop2_b32 v0, 3, v0 bitop3:0x40
	v_dual_cndmask_b32 v0, v4, v0 :: v_dual_cndmask_b32 v5, v7, v5
	s_delay_alu instid0(VALU_DEP_2) | instskip(NEXT) | instid1(VALU_DEP_2)
	v_and_b32_e32 v1, 0x80000000, v1
	v_lshlrev_b32_e32 v0, 21, v0
	s_delay_alu instid0(VALU_DEP_3) | instskip(NEXT) | instid1(VALU_DEP_1)
	v_lshl_add_u32 v4, v5, 23, 0x37800000
	v_or3_b32 v0, v1, v4, v0
	s_delay_alu instid0(VALU_DEP_1)
	v_cvt_i32_f32_e32 v0, v0
.LBB14_1207:
	s_or_b32 exec_lo, exec_lo, s30
	s_mov_b32 s30, 0
	s_branch .LBB14_1213
.LBB14_1208:
	s_mov_b32 s30, -1
                                        ; implicit-def: $vgpr0
	s_branch .LBB14_1219
.LBB14_1209:
	s_and_not1_saveexec_b32 s31, s31
	s_cbranch_execz .LBB14_1194
.LBB14_1210:
	v_cmp_ne_u16_e32 vcc_lo, 0, v1
	s_and_not1_b32 s33, s33, exec_lo
	s_and_b32 s34, vcc_lo, exec_lo
	s_delay_alu instid0(SALU_CYCLE_1)
	s_or_b32 s33, s33, s34
	s_or_b32 exec_lo, exec_lo, s31
	v_mov_b32_e32 v0, 0
	s_and_saveexec_b32 s31, s33
	s_cbranch_execnz .LBB14_1195
	s_branch .LBB14_1196
.LBB14_1211:
	s_mov_b32 s30, -1
                                        ; implicit-def: $vgpr0
	s_branch .LBB14_1216
.LBB14_1212:
	s_mov_b32 s30, -1
                                        ; implicit-def: $vgpr0
.LBB14_1213:
	s_delay_alu instid0(SALU_CYCLE_1)
	s_and_b32 vcc_lo, exec_lo, s30
	s_cbranch_vccz .LBB14_1215
; %bb.1214:
	s_wait_loadcnt 0x0
	global_load_u8 v0, v[2:3], off
	s_wait_loadcnt 0x0
	v_lshlrev_b32_e32 v0, 24, v0
	s_delay_alu instid0(VALU_DEP_1) | instskip(NEXT) | instid1(VALU_DEP_1)
	v_and_b32_e32 v1, 0x7f000000, v0
	v_clz_i32_u32_e32 v4, v1
	v_cmp_ne_u32_e32 vcc_lo, 0, v1
	v_add_nc_u32_e32 v6, 0x1000000, v1
	s_delay_alu instid0(VALU_DEP_3) | instskip(NEXT) | instid1(VALU_DEP_1)
	v_min_u32_e32 v4, 32, v4
	v_sub_nc_u32_e64 v4, v4, 4 clamp
	s_delay_alu instid0(VALU_DEP_1) | instskip(NEXT) | instid1(VALU_DEP_1)
	v_dual_lshlrev_b32 v5, v4, v1 :: v_dual_lshlrev_b32 v4, 23, v4
	v_lshrrev_b32_e32 v5, 4, v5
	s_delay_alu instid0(VALU_DEP_1) | instskip(NEXT) | instid1(VALU_DEP_1)
	v_dual_sub_nc_u32 v4, v5, v4 :: v_dual_ashrrev_i32 v5, 8, v6
	v_add_nc_u32_e32 v4, 0x3c000000, v4
	s_delay_alu instid0(VALU_DEP_1) | instskip(NEXT) | instid1(VALU_DEP_1)
	v_and_or_b32 v4, 0x7f800000, v5, v4
	v_cndmask_b32_e32 v1, 0, v4, vcc_lo
	s_delay_alu instid0(VALU_DEP_1) | instskip(NEXT) | instid1(VALU_DEP_1)
	v_and_or_b32 v0, 0x80000000, v0, v1
	v_cvt_i32_f32_e32 v0, v0
.LBB14_1215:
	s_mov_b32 s30, 0
.LBB14_1216:
	s_delay_alu instid0(SALU_CYCLE_1)
	s_and_not1_b32 vcc_lo, exec_lo, s30
	s_cbranch_vccnz .LBB14_1218
; %bb.1217:
	s_wait_loadcnt 0x0
	global_load_u8 v0, v[2:3], off
	s_wait_loadcnt 0x0
	v_lshlrev_b32_e32 v1, 25, v0
	v_lshlrev_b16 v0, 8, v0
	s_delay_alu instid0(VALU_DEP_1) | instskip(SKIP_1) | instid1(VALU_DEP_2)
	v_and_or_b32 v5, 0x7f00, v0, 0.5
	v_bfe_i32 v0, v0, 0, 16
	v_add_f32_e32 v5, -0.5, v5
	v_lshrrev_b32_e32 v4, 4, v1
	v_cmp_gt_u32_e32 vcc_lo, 0x8000000, v1
	s_delay_alu instid0(VALU_DEP_2) | instskip(NEXT) | instid1(VALU_DEP_1)
	v_or_b32_e32 v4, 0x70000000, v4
	v_mul_f32_e32 v4, 0x7800000, v4
	s_delay_alu instid0(VALU_DEP_1) | instskip(NEXT) | instid1(VALU_DEP_1)
	v_cndmask_b32_e32 v1, v4, v5, vcc_lo
	v_and_or_b32 v0, 0x80000000, v0, v1
	s_delay_alu instid0(VALU_DEP_1)
	v_cvt_i32_f32_e32 v0, v0
.LBB14_1218:
	s_mov_b32 s30, 0
	s_mov_b32 s31, -1
.LBB14_1219:
	s_and_not1_b32 vcc_lo, exec_lo, s30
	s_mov_b32 s30, 0
	s_cbranch_vccnz .LBB14_1230
; %bb.1220:
	s_cmp_gt_i32 s28, 14
	s_cbranch_scc0 .LBB14_1223
; %bb.1221:
	s_cmp_eq_u32 s28, 15
	s_cbranch_scc0 .LBB14_1226
; %bb.1222:
	s_wait_loadcnt 0x0
	global_load_u16 v0, v[2:3], off
	s_mov_b32 s29, 0
	s_mov_b32 s31, -1
	s_wait_loadcnt 0x0
	v_lshlrev_b32_e32 v0, 16, v0
	s_delay_alu instid0(VALU_DEP_1)
	v_cvt_i32_f32_e32 v0, v0
	s_branch .LBB14_1228
.LBB14_1223:
	s_mov_b32 s30, -1
	s_branch .LBB14_1227
.LBB14_1224:
	s_and_not1_saveexec_b32 s30, s30
	s_cbranch_execz .LBB14_1205
.LBB14_1225:
	v_cmp_ne_u16_e32 vcc_lo, 0, v1
	s_and_not1_b32 s31, s31, exec_lo
	s_and_b32 s33, vcc_lo, exec_lo
	s_delay_alu instid0(SALU_CYCLE_1)
	s_or_b32 s31, s31, s33
	s_or_b32 exec_lo, exec_lo, s30
	v_mov_b32_e32 v0, 0
	s_and_saveexec_b32 s30, s31
	s_cbranch_execnz .LBB14_1206
	s_branch .LBB14_1207
.LBB14_1226:
	s_mov_b32 s29, -1
.LBB14_1227:
                                        ; implicit-def: $vgpr0
.LBB14_1228:
	s_and_b32 vcc_lo, exec_lo, s30
	s_mov_b32 s30, 0
	s_cbranch_vccz .LBB14_1230
; %bb.1229:
	s_cmp_lg_u32 s28, 11
	s_mov_b32 s30, -1
	s_cselect_b32 s28, -1, 0
	s_and_not1_b32 s29, s29, exec_lo
	s_and_b32 s28, s28, exec_lo
	s_delay_alu instid0(SALU_CYCLE_1)
	s_or_b32 s29, s29, s28
.LBB14_1230:
	s_mov_b32 s28, 0
.LBB14_1231:
	s_and_not1_b32 s33, s25, exec_lo
	s_and_b32 s29, s29, exec_lo
	s_and_b32 s34, s31, exec_lo
	;; [unrolled: 1-line block ×4, first 2 shown]
	s_or_b32 s33, s33, s29
.LBB14_1232:
	s_wait_xcnt 0x0
	s_or_b32 exec_lo, exec_lo, s16
	s_delay_alu instid0(SALU_CYCLE_1)
	s_and_not1_b32 s16, s25, exec_lo
	s_and_b32 s25, s33, exec_lo
	s_and_b32 s30, s34, exec_lo
	;; [unrolled: 1-line block ×4, first 2 shown]
	s_or_b32 s25, s16, s25
.LBB14_1233:
	s_or_b32 exec_lo, exec_lo, s24
	s_delay_alu instid0(SALU_CYCLE_1)
	s_and_not1_b32 s16, s21, exec_lo
	s_and_b32 s21, s27, exec_lo
	s_and_not1_b32 s22, s22, exec_lo
	s_and_b32 s24, s26, exec_lo
	s_or_b32 s21, s16, s21
	s_and_not1_b32 s16, s20, exec_lo
	s_and_b32 s20, s25, exec_lo
	s_or_b32 s22, s22, s24
	s_and_b32 s27, s30, exec_lo
	s_and_b32 s26, s29, exec_lo
	;; [unrolled: 1-line block ×3, first 2 shown]
	s_or_b32 s20, s16, s20
.LBB14_1234:
	s_or_b32 exec_lo, exec_lo, s23
	s_delay_alu instid0(SALU_CYCLE_1)
	s_and_not1_b32 s15, s15, exec_lo
	s_and_b32 s16, s21, exec_lo
	s_and_not1_b32 s17, s17, exec_lo
	s_and_b32 s21, s22, exec_lo
	s_or_b32 s15, s15, s16
	s_and_not1_b32 s16, s18, exec_lo
	s_and_b32 s18, s20, exec_lo
	s_or_b32 s17, s17, s21
	s_and_b32 s21, s27, exec_lo
	s_and_b32 s22, s26, exec_lo
	;; [unrolled: 1-line block ×3, first 2 shown]
	s_or_b32 s18, s16, s18
	s_or_b32 exec_lo, exec_lo, s19
	s_mov_b32 s16, 0
	s_and_saveexec_b32 s19, s18
	s_cbranch_execz .LBB14_388
.LBB14_1235:
	s_mov_b32 s16, exec_lo
	s_and_not1_b32 s20, s20, exec_lo
	s_trap 2
	s_or_b32 exec_lo, exec_lo, s19
	s_and_saveexec_b32 s18, s20
	s_delay_alu instid0(SALU_CYCLE_1)
	s_xor_b32 s18, exec_lo, s18
	s_cbranch_execnz .LBB14_389
.LBB14_1236:
	s_or_b32 exec_lo, exec_lo, s18
	s_and_saveexec_b32 s18, s22
	s_cbranch_execz .LBB14_1282
.LBB14_1237:
	s_sext_i32_i16 s19, s0
	s_delay_alu instid0(SALU_CYCLE_1)
	s_cmp_lt_i32 s19, 5
	s_cbranch_scc1 .LBB14_1242
; %bb.1238:
	s_cmp_lt_i32 s19, 8
	s_cbranch_scc1 .LBB14_1243
; %bb.1239:
	;; [unrolled: 3-line block ×3, first 2 shown]
	s_cmp_gt_i32 s19, 9
	s_cbranch_scc0 .LBB14_1245
; %bb.1241:
	s_wait_loadcnt 0x0
	global_load_b64 v[0:1], v[2:3], off
	s_mov_b32 s19, 0
	s_wait_loadcnt 0x0
	v_cvt_i32_f64_e32 v0, v[0:1]
	s_branch .LBB14_1246
.LBB14_1242:
                                        ; implicit-def: $vgpr0
	s_branch .LBB14_1263
.LBB14_1243:
                                        ; implicit-def: $vgpr0
	s_branch .LBB14_1252
.LBB14_1244:
	s_mov_b32 s19, -1
                                        ; implicit-def: $vgpr0
	s_branch .LBB14_1249
.LBB14_1245:
	s_mov_b32 s19, -1
                                        ; implicit-def: $vgpr0
.LBB14_1246:
	s_delay_alu instid0(SALU_CYCLE_1)
	s_and_not1_b32 vcc_lo, exec_lo, s19
	s_cbranch_vccnz .LBB14_1248
; %bb.1247:
	s_wait_loadcnt 0x0
	global_load_b32 v0, v[2:3], off
	s_wait_loadcnt 0x0
	v_cvt_i32_f32_e32 v0, v0
.LBB14_1248:
	s_mov_b32 s19, 0
.LBB14_1249:
	s_delay_alu instid0(SALU_CYCLE_1)
	s_and_not1_b32 vcc_lo, exec_lo, s19
	s_cbranch_vccnz .LBB14_1251
; %bb.1250:
	s_wait_loadcnt 0x0
	global_load_b32 v0, v[2:3], off
	s_wait_loadcnt 0x0
	v_cvt_i16_f16_e32 v0, v0
.LBB14_1251:
	s_cbranch_execnz .LBB14_1262
.LBB14_1252:
	s_sext_i32_i16 s19, s0
	s_delay_alu instid0(SALU_CYCLE_1)
	s_cmp_lt_i32 s19, 6
	s_cbranch_scc1 .LBB14_1255
; %bb.1253:
	s_cmp_gt_i32 s19, 6
	s_cbranch_scc0 .LBB14_1256
; %bb.1254:
	s_wait_loadcnt 0x0
	global_load_b64 v[0:1], v[2:3], off
	s_mov_b32 s19, 0
	s_wait_loadcnt 0x0
	v_cvt_i32_f64_e32 v0, v[0:1]
	s_branch .LBB14_1257
.LBB14_1255:
	s_mov_b32 s19, -1
                                        ; implicit-def: $vgpr0
	s_branch .LBB14_1260
.LBB14_1256:
	s_mov_b32 s19, -1
                                        ; implicit-def: $vgpr0
.LBB14_1257:
	s_delay_alu instid0(SALU_CYCLE_1)
	s_and_not1_b32 vcc_lo, exec_lo, s19
	s_cbranch_vccnz .LBB14_1259
; %bb.1258:
	s_wait_loadcnt 0x0
	global_load_b32 v0, v[2:3], off
	s_wait_loadcnt 0x0
	v_cvt_i32_f32_e32 v0, v0
.LBB14_1259:
	s_mov_b32 s19, 0
.LBB14_1260:
	s_delay_alu instid0(SALU_CYCLE_1)
	s_and_not1_b32 vcc_lo, exec_lo, s19
	s_cbranch_vccnz .LBB14_1262
; %bb.1261:
	s_wait_loadcnt 0x0
	global_load_u16 v0, v[2:3], off
	s_wait_loadcnt 0x0
	v_cvt_i16_f16_e32 v0, v0
.LBB14_1262:
	s_cbranch_execnz .LBB14_1281
.LBB14_1263:
	s_sext_i32_i16 s19, s0
	s_delay_alu instid0(SALU_CYCLE_1)
	s_cmp_lt_i32 s19, 2
	s_cbranch_scc1 .LBB14_1267
; %bb.1264:
	s_cmp_lt_i32 s19, 3
	s_cbranch_scc1 .LBB14_1268
; %bb.1265:
	s_cmp_gt_i32 s19, 3
	s_cbranch_scc0 .LBB14_1269
; %bb.1266:
	s_wait_loadcnt 0x0
	global_load_b64 v[0:1], v[2:3], off
	s_mov_b32 s19, 0
	s_branch .LBB14_1270
.LBB14_1267:
                                        ; implicit-def: $vgpr0
	s_branch .LBB14_1276
.LBB14_1268:
	s_mov_b32 s19, -1
                                        ; implicit-def: $vgpr0
	s_branch .LBB14_1273
.LBB14_1269:
	s_mov_b32 s19, -1
                                        ; implicit-def: $vgpr0
.LBB14_1270:
	s_delay_alu instid0(SALU_CYCLE_1)
	s_and_not1_b32 vcc_lo, exec_lo, s19
	s_cbranch_vccnz .LBB14_1272
; %bb.1271:
	s_wait_loadcnt 0x0
	global_load_b32 v0, v[2:3], off
.LBB14_1272:
	s_mov_b32 s19, 0
.LBB14_1273:
	s_delay_alu instid0(SALU_CYCLE_1)
	s_and_not1_b32 vcc_lo, exec_lo, s19
	s_cbranch_vccnz .LBB14_1275
; %bb.1274:
	s_wait_loadcnt 0x0
	global_load_u16 v0, v[2:3], off
.LBB14_1275:
	s_cbranch_execnz .LBB14_1281
.LBB14_1276:
	s_sext_i32_i16 s0, s0
	s_delay_alu instid0(SALU_CYCLE_1)
	s_cmp_gt_i32 s0, 0
	s_mov_b32 s0, 0
	s_cbranch_scc0 .LBB14_1278
; %bb.1277:
	s_wait_loadcnt 0x0
	global_load_u8 v0, v[2:3], off
	s_branch .LBB14_1279
.LBB14_1278:
	s_mov_b32 s0, -1
                                        ; implicit-def: $vgpr0
.LBB14_1279:
	s_delay_alu instid0(SALU_CYCLE_1)
	s_and_not1_b32 vcc_lo, exec_lo, s0
	s_cbranch_vccnz .LBB14_1281
; %bb.1280:
	s_wait_loadcnt 0x0
	global_load_u8 v0, v[2:3], off
.LBB14_1281:
	s_or_b32 s21, s21, exec_lo
.LBB14_1282:
	s_wait_xcnt 0x0
	s_or_b32 exec_lo, exec_lo, s18
	s_mov_b32 s20, 0
	s_mov_b32 s22, 0
	;; [unrolled: 1-line block ×3, first 2 shown]
                                        ; implicit-def: $sgpr0
                                        ; implicit-def: $vgpr2_vgpr3
                                        ; implicit-def: $vgpr4
	s_and_saveexec_b32 s18, s21
	s_cbranch_execz .LBB14_1290
; %bb.1283:
	v_mul_lo_u32 v2, v10, s10
	s_and_b32 s0, s1, 0xff
	s_delay_alu instid0(SALU_CYCLE_1) | instskip(NEXT) | instid1(VALU_DEP_1)
	s_cmp_lt_i32 s0, 11
	v_ashrrev_i32_e32 v3, 31, v2
	s_delay_alu instid0(VALU_DEP_1)
	v_add_nc_u64_e32 v[2:3], s[2:3], v[2:3]
	s_cbranch_scc1 .LBB14_1293
; %bb.1284:
	s_and_b32 s19, 0xffff, s0
	s_mov_b32 s21, 0
	s_cmp_gt_i32 s19, 25
	s_cbranch_scc0 .LBB14_1294
; %bb.1285:
	s_cmp_gt_i32 s19, 28
	s_cbranch_scc0 .LBB14_1295
; %bb.1286:
	;; [unrolled: 3-line block ×4, first 2 shown]
	s_cmp_eq_u32 s19, 46
	s_mov_b32 s23, 0
	s_cbranch_scc0 .LBB14_1298
; %bb.1289:
	s_wait_loadcnt 0x0
	global_load_b32 v1, v[2:3], off
	s_mov_b32 s22, -1
	s_wait_loadcnt 0x0
	v_lshlrev_b32_e32 v1, 16, v1
	s_delay_alu instid0(VALU_DEP_1)
	v_cvt_i32_f32_e32 v4, v1
	s_branch .LBB14_1300
.LBB14_1290:
	s_or_b32 exec_lo, exec_lo, s18
	s_and_saveexec_b32 s18, s17
	s_cbranch_execnz .LBB14_1359
.LBB14_1291:
	s_or_b32 exec_lo, exec_lo, s18
	s_and_saveexec_b32 s17, s20
	s_delay_alu instid0(SALU_CYCLE_1)
	s_xor_b32 s17, exec_lo, s17
	s_cbranch_execz .LBB14_1360
.LBB14_1292:
	s_wait_loadcnt 0x0
	global_load_u8 v1, v[2:3], off
	s_or_b32 s19, s19, exec_lo
	s_wait_loadcnt 0x0
	v_cmp_ne_u16_e32 vcc_lo, 0, v1
	v_cndmask_b32_e64 v4, 0, 1, vcc_lo
	s_wait_xcnt 0x0
	s_or_b32 exec_lo, exec_lo, s17
	s_and_saveexec_b32 s17, s22
	s_cbranch_execz .LBB14_1406
	s_branch .LBB14_1361
.LBB14_1293:
	s_mov_b32 s23, -1
	s_mov_b32 s21, 0
	s_mov_b32 s20, s17
                                        ; implicit-def: $vgpr4
	s_branch .LBB14_1358
.LBB14_1294:
	s_mov_b32 s20, s17
                                        ; implicit-def: $vgpr4
	s_cbranch_execnz .LBB14_1327
	s_branch .LBB14_1357
.LBB14_1295:
	s_mov_b32 s23, -1
	s_mov_b32 s20, s17
                                        ; implicit-def: $vgpr4
	s_branch .LBB14_1310
.LBB14_1296:
	s_mov_b32 s23, -1
	s_mov_b32 s20, s17
                                        ; implicit-def: $vgpr4
	s_branch .LBB14_1305
.LBB14_1297:
	s_mov_b32 s23, -1
	s_mov_b32 s20, s17
	s_branch .LBB14_1299
.LBB14_1298:
	s_mov_b32 s20, -1
.LBB14_1299:
                                        ; implicit-def: $vgpr4
.LBB14_1300:
	s_and_b32 vcc_lo, exec_lo, s23
	s_cbranch_vccz .LBB14_1304
; %bb.1301:
	s_cmp_eq_u32 s19, 44
	s_cbranch_scc0 .LBB14_1303
; %bb.1302:
	s_wait_loadcnt 0x0
	global_load_u8 v1, v[2:3], off
	s_mov_b32 s20, 0
	s_mov_b32 s22, -1
	s_wait_loadcnt 0x0
	v_lshlrev_b32_e32 v4, 23, v1
	v_cmp_ne_u32_e32 vcc_lo, 0, v1
	s_delay_alu instid0(VALU_DEP_2) | instskip(NEXT) | instid1(VALU_DEP_1)
	v_cvt_i32_f32_e32 v4, v4
	v_cndmask_b32_e32 v4, 0, v4, vcc_lo
	s_branch .LBB14_1304
.LBB14_1303:
	s_mov_b32 s20, -1
                                        ; implicit-def: $vgpr4
.LBB14_1304:
	s_mov_b32 s23, 0
.LBB14_1305:
	s_delay_alu instid0(SALU_CYCLE_1)
	s_and_b32 vcc_lo, exec_lo, s23
	s_cbranch_vccz .LBB14_1309
; %bb.1306:
	s_cmp_eq_u32 s19, 29
	s_cbranch_scc0 .LBB14_1308
; %bb.1307:
	s_wait_loadcnt 0x0
	global_load_b64 v[4:5], v[2:3], off
	s_mov_b32 s20, 0
	s_mov_b32 s22, -1
	s_branch .LBB14_1309
.LBB14_1308:
	s_mov_b32 s20, -1
                                        ; implicit-def: $vgpr4
.LBB14_1309:
	s_mov_b32 s23, 0
.LBB14_1310:
	s_delay_alu instid0(SALU_CYCLE_1)
	s_and_b32 vcc_lo, exec_lo, s23
	s_cbranch_vccz .LBB14_1326
; %bb.1311:
	s_cmp_lt_i32 s19, 27
	s_cbranch_scc1 .LBB14_1314
; %bb.1312:
	s_cmp_gt_i32 s19, 27
	s_cbranch_scc0 .LBB14_1315
; %bb.1313:
	s_wait_loadcnt 0x0
	global_load_b32 v4, v[2:3], off
	s_mov_b32 s22, 0
	s_branch .LBB14_1316
.LBB14_1314:
	s_mov_b32 s22, -1
                                        ; implicit-def: $vgpr4
	s_branch .LBB14_1319
.LBB14_1315:
	s_mov_b32 s22, -1
                                        ; implicit-def: $vgpr4
.LBB14_1316:
	s_delay_alu instid0(SALU_CYCLE_1)
	s_and_not1_b32 vcc_lo, exec_lo, s22
	s_cbranch_vccnz .LBB14_1318
; %bb.1317:
	s_wait_loadcnt 0x0
	global_load_u16 v4, v[2:3], off
.LBB14_1318:
	s_mov_b32 s22, 0
.LBB14_1319:
	s_delay_alu instid0(SALU_CYCLE_1)
	s_and_not1_b32 vcc_lo, exec_lo, s22
	s_cbranch_vccnz .LBB14_1325
; %bb.1320:
	s_wait_loadcnt 0x0
	global_load_u8 v1, v[2:3], off
	s_mov_b32 s23, 0
	s_mov_b32 s22, exec_lo
	s_wait_loadcnt 0x0
	v_cmpx_lt_i16_e32 0x7f, v1
	s_xor_b32 s22, exec_lo, s22
	s_cbranch_execz .LBB14_1336
; %bb.1321:
	v_cmp_ne_u16_e32 vcc_lo, 0x80, v1
	s_and_b32 s23, vcc_lo, exec_lo
	s_and_not1_saveexec_b32 s22, s22
	s_cbranch_execnz .LBB14_1337
.LBB14_1322:
	s_or_b32 exec_lo, exec_lo, s22
	v_mov_b32_e32 v4, 0
	s_and_saveexec_b32 s22, s23
	s_cbranch_execz .LBB14_1324
.LBB14_1323:
	v_and_b32_e32 v4, 0xffff, v1
	s_delay_alu instid0(VALU_DEP_1) | instskip(SKIP_1) | instid1(VALU_DEP_2)
	v_and_b32_e32 v5, 7, v4
	v_bfe_u32 v8, v4, 3, 4
	v_clz_i32_u32_e32 v6, v5
	s_delay_alu instid0(VALU_DEP_2) | instskip(NEXT) | instid1(VALU_DEP_2)
	v_cmp_eq_u32_e32 vcc_lo, 0, v8
	v_min_u32_e32 v6, 32, v6
	s_delay_alu instid0(VALU_DEP_1) | instskip(NEXT) | instid1(VALU_DEP_1)
	v_subrev_nc_u32_e32 v7, 28, v6
	v_dual_lshlrev_b32 v4, v7, v4 :: v_dual_sub_nc_u32 v6, 29, v6
	s_delay_alu instid0(VALU_DEP_1) | instskip(NEXT) | instid1(VALU_DEP_1)
	v_dual_lshlrev_b32 v1, 24, v1 :: v_dual_bitop2_b32 v4, 7, v4 bitop3:0x40
	v_dual_cndmask_b32 v6, v8, v6, vcc_lo :: v_dual_cndmask_b32 v4, v5, v4, vcc_lo
	s_delay_alu instid0(VALU_DEP_2) | instskip(NEXT) | instid1(VALU_DEP_2)
	v_and_b32_e32 v1, 0x80000000, v1
	v_lshl_add_u32 v5, v6, 23, 0x3b800000
	s_delay_alu instid0(VALU_DEP_3) | instskip(NEXT) | instid1(VALU_DEP_1)
	v_lshlrev_b32_e32 v4, 20, v4
	v_or3_b32 v1, v1, v5, v4
	s_delay_alu instid0(VALU_DEP_1)
	v_cvt_i32_f32_e32 v4, v1
.LBB14_1324:
	s_or_b32 exec_lo, exec_lo, s22
.LBB14_1325:
	s_mov_b32 s22, -1
.LBB14_1326:
	s_branch .LBB14_1357
.LBB14_1327:
	s_cmp_gt_i32 s19, 22
	s_cbranch_scc0 .LBB14_1335
; %bb.1328:
	s_cmp_lt_i32 s19, 24
	s_cbranch_scc1 .LBB14_1338
; %bb.1329:
	s_cmp_gt_i32 s19, 24
	s_cbranch_scc0 .LBB14_1339
; %bb.1330:
	s_wait_loadcnt 0x0
	global_load_u8 v1, v[2:3], off
	s_mov_b32 s22, 0
	s_mov_b32 s21, exec_lo
	s_wait_loadcnt 0x0
	v_cmpx_lt_i16_e32 0x7f, v1
	s_xor_b32 s21, exec_lo, s21
	s_cbranch_execz .LBB14_1351
; %bb.1331:
	v_cmp_ne_u16_e32 vcc_lo, 0x80, v1
	s_and_b32 s22, vcc_lo, exec_lo
	s_and_not1_saveexec_b32 s21, s21
	s_cbranch_execnz .LBB14_1352
.LBB14_1332:
	s_or_b32 exec_lo, exec_lo, s21
	v_mov_b32_e32 v4, 0
	s_and_saveexec_b32 s21, s22
	s_cbranch_execz .LBB14_1334
.LBB14_1333:
	v_and_b32_e32 v4, 0xffff, v1
	s_delay_alu instid0(VALU_DEP_1) | instskip(SKIP_1) | instid1(VALU_DEP_2)
	v_and_b32_e32 v5, 3, v4
	v_bfe_u32 v8, v4, 2, 5
	v_clz_i32_u32_e32 v6, v5
	s_delay_alu instid0(VALU_DEP_2) | instskip(NEXT) | instid1(VALU_DEP_2)
	v_cmp_eq_u32_e32 vcc_lo, 0, v8
	v_min_u32_e32 v6, 32, v6
	s_delay_alu instid0(VALU_DEP_1) | instskip(NEXT) | instid1(VALU_DEP_1)
	v_subrev_nc_u32_e32 v7, 29, v6
	v_dual_lshlrev_b32 v4, v7, v4 :: v_dual_sub_nc_u32 v6, 30, v6
	s_delay_alu instid0(VALU_DEP_1) | instskip(NEXT) | instid1(VALU_DEP_1)
	v_dual_lshlrev_b32 v1, 24, v1 :: v_dual_bitop2_b32 v4, 3, v4 bitop3:0x40
	v_dual_cndmask_b32 v6, v8, v6, vcc_lo :: v_dual_cndmask_b32 v4, v5, v4, vcc_lo
	s_delay_alu instid0(VALU_DEP_2) | instskip(NEXT) | instid1(VALU_DEP_2)
	v_and_b32_e32 v1, 0x80000000, v1
	v_lshl_add_u32 v5, v6, 23, 0x37800000
	s_delay_alu instid0(VALU_DEP_3) | instskip(NEXT) | instid1(VALU_DEP_1)
	v_lshlrev_b32_e32 v4, 21, v4
	v_or3_b32 v1, v1, v5, v4
	s_delay_alu instid0(VALU_DEP_1)
	v_cvt_i32_f32_e32 v4, v1
.LBB14_1334:
	s_or_b32 exec_lo, exec_lo, s21
	s_mov_b32 s21, 0
	s_branch .LBB14_1340
.LBB14_1335:
	s_mov_b32 s21, -1
                                        ; implicit-def: $vgpr4
	s_branch .LBB14_1346
.LBB14_1336:
	s_and_not1_saveexec_b32 s22, s22
	s_cbranch_execz .LBB14_1322
.LBB14_1337:
	v_cmp_ne_u16_e32 vcc_lo, 0, v1
	s_and_not1_b32 s23, s23, exec_lo
	s_and_b32 s24, vcc_lo, exec_lo
	s_delay_alu instid0(SALU_CYCLE_1)
	s_or_b32 s23, s23, s24
	s_or_b32 exec_lo, exec_lo, s22
	v_mov_b32_e32 v4, 0
	s_and_saveexec_b32 s22, s23
	s_cbranch_execnz .LBB14_1323
	s_branch .LBB14_1324
.LBB14_1338:
	s_mov_b32 s21, -1
                                        ; implicit-def: $vgpr4
	s_branch .LBB14_1343
.LBB14_1339:
	s_mov_b32 s21, -1
                                        ; implicit-def: $vgpr4
.LBB14_1340:
	s_delay_alu instid0(SALU_CYCLE_1)
	s_and_b32 vcc_lo, exec_lo, s21
	s_cbranch_vccz .LBB14_1342
; %bb.1341:
	s_wait_loadcnt 0x0
	global_load_u8 v1, v[2:3], off
	s_wait_loadcnt 0x0
	v_lshlrev_b32_e32 v1, 24, v1
	s_delay_alu instid0(VALU_DEP_1) | instskip(NEXT) | instid1(VALU_DEP_1)
	v_and_b32_e32 v4, 0x7f000000, v1
	v_clz_i32_u32_e32 v5, v4
	v_cmp_ne_u32_e32 vcc_lo, 0, v4
	v_add_nc_u32_e32 v7, 0x1000000, v4
	s_delay_alu instid0(VALU_DEP_3) | instskip(NEXT) | instid1(VALU_DEP_1)
	v_min_u32_e32 v5, 32, v5
	v_sub_nc_u32_e64 v5, v5, 4 clamp
	s_delay_alu instid0(VALU_DEP_1) | instskip(NEXT) | instid1(VALU_DEP_1)
	v_dual_lshlrev_b32 v6, v5, v4 :: v_dual_lshlrev_b32 v5, 23, v5
	v_lshrrev_b32_e32 v6, 4, v6
	s_delay_alu instid0(VALU_DEP_1) | instskip(NEXT) | instid1(VALU_DEP_1)
	v_dual_sub_nc_u32 v5, v6, v5 :: v_dual_ashrrev_i32 v6, 8, v7
	v_add_nc_u32_e32 v5, 0x3c000000, v5
	s_delay_alu instid0(VALU_DEP_1) | instskip(NEXT) | instid1(VALU_DEP_1)
	v_and_or_b32 v5, 0x7f800000, v6, v5
	v_cndmask_b32_e32 v4, 0, v5, vcc_lo
	s_delay_alu instid0(VALU_DEP_1) | instskip(NEXT) | instid1(VALU_DEP_1)
	v_and_or_b32 v1, 0x80000000, v1, v4
	v_cvt_i32_f32_e32 v4, v1
.LBB14_1342:
	s_mov_b32 s21, 0
.LBB14_1343:
	s_delay_alu instid0(SALU_CYCLE_1)
	s_and_not1_b32 vcc_lo, exec_lo, s21
	s_cbranch_vccnz .LBB14_1345
; %bb.1344:
	s_wait_loadcnt 0x0
	global_load_u8 v1, v[2:3], off
	s_wait_loadcnt 0x0
	v_lshlrev_b32_e32 v4, 25, v1
	v_lshlrev_b16 v1, 8, v1
	s_delay_alu instid0(VALU_DEP_1) | instskip(SKIP_1) | instid1(VALU_DEP_2)
	v_and_or_b32 v6, 0x7f00, v1, 0.5
	v_bfe_i32 v1, v1, 0, 16
	v_dual_add_f32 v6, -0.5, v6 :: v_dual_lshrrev_b32 v5, 4, v4
	v_cmp_gt_u32_e32 vcc_lo, 0x8000000, v4
	s_delay_alu instid0(VALU_DEP_2) | instskip(NEXT) | instid1(VALU_DEP_1)
	v_or_b32_e32 v5, 0x70000000, v5
	v_mul_f32_e32 v5, 0x7800000, v5
	s_delay_alu instid0(VALU_DEP_1) | instskip(NEXT) | instid1(VALU_DEP_1)
	v_cndmask_b32_e32 v4, v5, v6, vcc_lo
	v_and_or_b32 v1, 0x80000000, v1, v4
	s_delay_alu instid0(VALU_DEP_1)
	v_cvt_i32_f32_e32 v4, v1
.LBB14_1345:
	s_mov_b32 s21, 0
	s_mov_b32 s22, -1
.LBB14_1346:
	s_and_not1_b32 vcc_lo, exec_lo, s21
	s_mov_b32 s21, 0
	s_cbranch_vccnz .LBB14_1357
; %bb.1347:
	s_cmp_gt_i32 s19, 14
	s_cbranch_scc0 .LBB14_1350
; %bb.1348:
	s_cmp_eq_u32 s19, 15
	s_cbranch_scc0 .LBB14_1353
; %bb.1349:
	s_wait_loadcnt 0x0
	global_load_u16 v1, v[2:3], off
	s_mov_b32 s20, 0
	s_mov_b32 s22, -1
	s_wait_loadcnt 0x0
	v_lshlrev_b32_e32 v1, 16, v1
	s_delay_alu instid0(VALU_DEP_1)
	v_cvt_i32_f32_e32 v4, v1
	s_branch .LBB14_1355
.LBB14_1350:
	s_mov_b32 s21, -1
	s_branch .LBB14_1354
.LBB14_1351:
	s_and_not1_saveexec_b32 s21, s21
	s_cbranch_execz .LBB14_1332
.LBB14_1352:
	v_cmp_ne_u16_e32 vcc_lo, 0, v1
	s_and_not1_b32 s22, s22, exec_lo
	s_and_b32 s23, vcc_lo, exec_lo
	s_delay_alu instid0(SALU_CYCLE_1)
	s_or_b32 s22, s22, s23
	s_or_b32 exec_lo, exec_lo, s21
	v_mov_b32_e32 v4, 0
	s_and_saveexec_b32 s21, s22
	s_cbranch_execnz .LBB14_1333
	s_branch .LBB14_1334
.LBB14_1353:
	s_mov_b32 s20, -1
.LBB14_1354:
                                        ; implicit-def: $vgpr4
.LBB14_1355:
	s_and_b32 vcc_lo, exec_lo, s21
	s_mov_b32 s21, 0
	s_cbranch_vccz .LBB14_1357
; %bb.1356:
	s_cmp_lg_u32 s19, 11
	s_mov_b32 s21, -1
	s_cselect_b32 s19, -1, 0
	s_and_not1_b32 s20, s20, exec_lo
	s_and_b32 s19, s19, exec_lo
	s_delay_alu instid0(SALU_CYCLE_1)
	s_or_b32 s20, s20, s19
.LBB14_1357:
	s_mov_b32 s23, 0
.LBB14_1358:
	s_and_b32 s19, s22, exec_lo
	s_and_b32 s22, s23, exec_lo
	s_and_not1_b32 s17, s17, exec_lo
	s_and_b32 s23, s20, exec_lo
	s_and_b32 s20, s21, exec_lo
	s_or_b32 s17, s17, s23
	s_wait_xcnt 0x0
	s_or_b32 exec_lo, exec_lo, s18
	s_and_saveexec_b32 s18, s17
	s_cbranch_execz .LBB14_1291
.LBB14_1359:
	s_or_b32 s16, s16, exec_lo
	s_and_not1_b32 s20, s20, exec_lo
	s_trap 2
	s_or_b32 exec_lo, exec_lo, s18
	s_and_saveexec_b32 s17, s20
	s_delay_alu instid0(SALU_CYCLE_1)
	s_xor_b32 s17, exec_lo, s17
	s_cbranch_execnz .LBB14_1292
.LBB14_1360:
	s_or_b32 exec_lo, exec_lo, s17
	s_and_saveexec_b32 s17, s22
	s_cbranch_execz .LBB14_1406
.LBB14_1361:
	s_sext_i32_i16 s18, s0
	s_delay_alu instid0(SALU_CYCLE_1)
	s_cmp_lt_i32 s18, 5
	s_cbranch_scc1 .LBB14_1366
; %bb.1362:
	s_cmp_lt_i32 s18, 8
	s_cbranch_scc1 .LBB14_1367
; %bb.1363:
	;; [unrolled: 3-line block ×3, first 2 shown]
	s_cmp_gt_i32 s18, 9
	s_cbranch_scc0 .LBB14_1369
; %bb.1365:
	s_wait_loadcnt 0x0
	global_load_b64 v[4:5], v[2:3], off
	s_mov_b32 s18, 0
	s_wait_loadcnt 0x0
	v_cvt_i32_f64_e32 v4, v[4:5]
	s_branch .LBB14_1370
.LBB14_1366:
                                        ; implicit-def: $vgpr4
	s_branch .LBB14_1387
.LBB14_1367:
                                        ; implicit-def: $vgpr4
	s_branch .LBB14_1376
.LBB14_1368:
	s_mov_b32 s18, -1
                                        ; implicit-def: $vgpr4
	s_branch .LBB14_1373
.LBB14_1369:
	s_mov_b32 s18, -1
                                        ; implicit-def: $vgpr4
.LBB14_1370:
	s_delay_alu instid0(SALU_CYCLE_1)
	s_and_not1_b32 vcc_lo, exec_lo, s18
	s_cbranch_vccnz .LBB14_1372
; %bb.1371:
	s_wait_loadcnt 0x0
	global_load_b32 v1, v[2:3], off
	s_wait_loadcnt 0x0
	v_cvt_i32_f32_e32 v4, v1
.LBB14_1372:
	s_mov_b32 s18, 0
.LBB14_1373:
	s_delay_alu instid0(SALU_CYCLE_1)
	s_and_not1_b32 vcc_lo, exec_lo, s18
	s_cbranch_vccnz .LBB14_1375
; %bb.1374:
	s_wait_loadcnt 0x0
	global_load_b32 v1, v[2:3], off
	s_wait_loadcnt 0x0
	v_cvt_i16_f16_e32 v4, v1
.LBB14_1375:
	s_cbranch_execnz .LBB14_1386
.LBB14_1376:
	s_sext_i32_i16 s18, s0
	s_delay_alu instid0(SALU_CYCLE_1)
	s_cmp_lt_i32 s18, 6
	s_cbranch_scc1 .LBB14_1379
; %bb.1377:
	s_cmp_gt_i32 s18, 6
	s_cbranch_scc0 .LBB14_1380
; %bb.1378:
	s_wait_loadcnt 0x0
	global_load_b64 v[4:5], v[2:3], off
	s_mov_b32 s18, 0
	s_wait_loadcnt 0x0
	v_cvt_i32_f64_e32 v4, v[4:5]
	s_branch .LBB14_1381
.LBB14_1379:
	s_mov_b32 s18, -1
                                        ; implicit-def: $vgpr4
	s_branch .LBB14_1384
.LBB14_1380:
	s_mov_b32 s18, -1
                                        ; implicit-def: $vgpr4
.LBB14_1381:
	s_delay_alu instid0(SALU_CYCLE_1)
	s_and_not1_b32 vcc_lo, exec_lo, s18
	s_cbranch_vccnz .LBB14_1383
; %bb.1382:
	s_wait_loadcnt 0x0
	global_load_b32 v1, v[2:3], off
	s_wait_loadcnt 0x0
	v_cvt_i32_f32_e32 v4, v1
.LBB14_1383:
	s_mov_b32 s18, 0
.LBB14_1384:
	s_delay_alu instid0(SALU_CYCLE_1)
	s_and_not1_b32 vcc_lo, exec_lo, s18
	s_cbranch_vccnz .LBB14_1386
; %bb.1385:
	s_wait_loadcnt 0x0
	global_load_u16 v1, v[2:3], off
	s_wait_loadcnt 0x0
	v_cvt_i16_f16_e32 v4, v1
.LBB14_1386:
	s_cbranch_execnz .LBB14_1405
.LBB14_1387:
	s_sext_i32_i16 s18, s0
	s_delay_alu instid0(SALU_CYCLE_1)
	s_cmp_lt_i32 s18, 2
	s_cbranch_scc1 .LBB14_1391
; %bb.1388:
	s_cmp_lt_i32 s18, 3
	s_cbranch_scc1 .LBB14_1392
; %bb.1389:
	s_cmp_gt_i32 s18, 3
	s_cbranch_scc0 .LBB14_1393
; %bb.1390:
	s_wait_loadcnt 0x0
	global_load_b64 v[4:5], v[2:3], off
	s_mov_b32 s18, 0
	s_branch .LBB14_1394
.LBB14_1391:
                                        ; implicit-def: $vgpr4
	s_branch .LBB14_1400
.LBB14_1392:
	s_mov_b32 s18, -1
                                        ; implicit-def: $vgpr4
	s_branch .LBB14_1397
.LBB14_1393:
	s_mov_b32 s18, -1
                                        ; implicit-def: $vgpr4
.LBB14_1394:
	s_delay_alu instid0(SALU_CYCLE_1)
	s_and_not1_b32 vcc_lo, exec_lo, s18
	s_cbranch_vccnz .LBB14_1396
; %bb.1395:
	s_wait_loadcnt 0x0
	global_load_b32 v4, v[2:3], off
.LBB14_1396:
	s_mov_b32 s18, 0
.LBB14_1397:
	s_delay_alu instid0(SALU_CYCLE_1)
	s_and_not1_b32 vcc_lo, exec_lo, s18
	s_cbranch_vccnz .LBB14_1399
; %bb.1398:
	s_wait_loadcnt 0x0
	global_load_u16 v4, v[2:3], off
.LBB14_1399:
	s_cbranch_execnz .LBB14_1405
.LBB14_1400:
	s_sext_i32_i16 s0, s0
	s_delay_alu instid0(SALU_CYCLE_1)
	s_cmp_gt_i32 s0, 0
	s_mov_b32 s0, 0
	s_cbranch_scc0 .LBB14_1402
; %bb.1401:
	s_wait_loadcnt 0x0
	global_load_u8 v4, v[2:3], off
	s_branch .LBB14_1403
.LBB14_1402:
	s_mov_b32 s0, -1
                                        ; implicit-def: $vgpr4
.LBB14_1403:
	s_delay_alu instid0(SALU_CYCLE_1)
	s_and_not1_b32 vcc_lo, exec_lo, s0
	s_cbranch_vccnz .LBB14_1405
; %bb.1404:
	s_wait_loadcnt 0x0
	global_load_u8 v4, v[2:3], off
.LBB14_1405:
	s_or_b32 s19, s19, exec_lo
.LBB14_1406:
	s_wait_xcnt 0x0
	s_or_b32 exec_lo, exec_lo, s17
	s_mov_b32 s0, 0
	s_mov_b32 s20, 0
                                        ; implicit-def: $sgpr17
                                        ; implicit-def: $vgpr2_vgpr3
                                        ; implicit-def: $vgpr5
	s_and_saveexec_b32 s18, s19
	s_cbranch_execz .LBB14_1418
; %bb.1407:
	s_wait_loadcnt 0x0
	s_delay_alu instid0(VALU_DEP_1) | instskip(SKIP_3) | instid1(VALU_DEP_2)
	v_bfe_i32 v1, v4, 0, 8
	v_and_b32_e32 v3, 0xff, v0
	s_mov_b32 s17, 0
	s_mov_b32 s0, exec_lo
	v_sub_nc_u16 v2, 0, v1
	s_delay_alu instid0(VALU_DEP_1)
	v_max_i16 v5, v1, v2
	v_cmpx_ne_u16_e32 0, v3
	s_cbranch_execz .LBB14_1411
; %bb.1408:
	v_bfe_i32 v0, v0, 0, 8
	s_delay_alu instid0(VALU_DEP_1) | instskip(NEXT) | instid1(VALU_DEP_1)
	v_sub_nc_u16 v1, 0, v0
	v_max_i16 v1, v0, v1
	v_and_b32_e32 v0, 0xff, v5
	s_delay_alu instid0(VALU_DEP_2)
	v_and_b32_e32 v1, 0xffff, v1
.LBB14_1409:                            ; =>This Inner Loop Header: Depth=1
	s_delay_alu instid0(VALU_DEP_2) | instskip(NEXT) | instid1(VALU_DEP_2)
	v_bfe_i32 v3, v0, 0, 8
	v_mov_b32_e32 v5, v1
	s_delay_alu instid0(VALU_DEP_2) | instskip(NEXT) | instid1(VALU_DEP_2)
	v_cvt_f32_i32_e32 v6, v3
	v_bfe_i32 v1, v5, 0, 8
	s_delay_alu instid0(VALU_DEP_1) | instskip(SKIP_1) | instid1(VALU_DEP_2)
	v_cvt_f32_i32_e32 v2, v1
	v_xor_b32_e32 v1, v3, v1
	v_rcp_iflag_f32_e32 v4, v2
	v_nop
	s_delay_alu instid0(TRANS32_DEP_1) | instskip(NEXT) | instid1(VALU_DEP_1)
	v_dual_ashrrev_i32 v1, 30, v1 :: v_dual_mul_f32 v3, v6, v4
	v_trunc_f32_e32 v3, v3
	s_delay_alu instid0(VALU_DEP_1) | instskip(SKIP_1) | instid1(VALU_DEP_2)
	v_dual_fma_f32 v4, -v3, v2, v6 :: v_dual_bitop2_b32 v1, 1, v1 bitop3:0x54
	v_cvt_i32_f32_e32 v3, v3
	v_cmp_ge_f32_e64 vcc_lo, |v4|, |v2|
	s_delay_alu instid0(VALU_DEP_3) | instskip(NEXT) | instid1(VALU_DEP_1)
	v_cndmask_b32_e32 v1, 0, v1, vcc_lo
	v_add_nc_u32_e32 v1, v3, v1
	s_delay_alu instid0(VALU_DEP_1) | instskip(NEXT) | instid1(VALU_DEP_1)
	v_mul_lo_u32 v1, v1, v5
	v_sub_nc_u32_e32 v0, v0, v1
	s_delay_alu instid0(VALU_DEP_1) | instskip(SKIP_1) | instid1(VALU_DEP_2)
	v_bfe_i32 v1, v0, 0, 8
	v_mov_b32_e32 v0, v5
	v_cmp_eq_u16_e32 vcc_lo, 0, v1
	v_and_b32_e32 v1, 0xffff, v1
	s_or_b32 s17, vcc_lo, s17
	s_delay_alu instid0(SALU_CYCLE_1)
	s_and_not1_b32 exec_lo, exec_lo, s17
	s_cbranch_execnz .LBB14_1409
; %bb.1410:
	s_or_b32 exec_lo, exec_lo, s17
.LBB14_1411:
	s_delay_alu instid0(SALU_CYCLE_1) | instskip(SKIP_2) | instid1(SALU_CYCLE_1)
	s_or_b32 exec_lo, exec_lo, s0
	v_mul_lo_u32 v0, v10, s8
	s_and_b32 s17, s11, 0xff
	s_cmp_lt_i32 s17, 11
	s_delay_alu instid0(VALU_DEP_1) | instskip(NEXT) | instid1(VALU_DEP_1)
	v_ashrrev_i32_e32 v1, 31, v0
	v_add_nc_u64_e32 v[2:3], s[4:5], v[0:1]
	s_cbranch_scc1 .LBB14_1421
; %bb.1412:
	s_and_b32 s19, 0xffff, s17
	s_mov_b32 s20, -1
	s_cmp_gt_i32 s19, 25
	s_mov_b32 s0, s15
	s_cbranch_scc0 .LBB14_1449
; %bb.1413:
	s_cmp_gt_i32 s19, 28
	s_mov_b32 s0, s15
	s_cbranch_scc0 .LBB14_1433
; %bb.1414:
	;; [unrolled: 4-line block ×4, first 2 shown]
	s_cmp_eq_u32 s19, 46
	s_mov_b32 s0, -1
	s_cbranch_scc0 .LBB14_1422
; %bb.1417:
	v_bfe_i32 v0, v5, 0, 8
	s_mov_b32 s0, 0
	s_mov_b32 s20, 0
	s_delay_alu instid0(VALU_DEP_1) | instskip(NEXT) | instid1(VALU_DEP_1)
	v_bfe_i32 v0, v0, 0, 16
	v_cvt_f32_i32_e32 v0, v0
	s_delay_alu instid0(VALU_DEP_1) | instskip(NEXT) | instid1(VALU_DEP_1)
	v_bfe_u32 v1, v0, 16, 1
	v_add3_u32 v0, v0, v1, 0x7fff
	s_delay_alu instid0(VALU_DEP_1)
	v_lshrrev_b32_e32 v0, 16, v0
	global_store_b32 v[2:3], v0, off
	s_branch .LBB14_1423
.LBB14_1418:
	s_or_b32 exec_lo, exec_lo, s18
	s_and_saveexec_b32 s18, s15
	s_cbranch_execnz .LBB14_1491
.LBB14_1419:
	s_or_b32 exec_lo, exec_lo, s18
	s_and_saveexec_b32 s15, s0
	s_delay_alu instid0(SALU_CYCLE_1)
	s_xor_b32 s0, exec_lo, s15
	s_cbranch_execz .LBB14_1492
.LBB14_1420:
	s_wait_loadcnt 0x0
	v_and_b32_e32 v0, 0xff, v5
	s_delay_alu instid0(VALU_DEP_1)
	v_cmp_ne_u16_e32 vcc_lo, 0, v0
	v_cndmask_b32_e64 v0, 0, 1, vcc_lo
	global_store_b8 v[2:3], v0, off
	s_wait_xcnt 0x0
	s_or_b32 exec_lo, exec_lo, s0
	s_and_saveexec_b32 s0, s20
	s_delay_alu instid0(SALU_CYCLE_1)
	s_xor_b32 s0, exec_lo, s0
	s_cbranch_execz .LBB14_1530
	s_branch .LBB14_1493
.LBB14_1421:
	s_mov_b32 s21, 0
	s_mov_b32 s20, -1
	s_mov_b32 s0, s15
	s_branch .LBB14_1490
.LBB14_1422:
	s_mov_b32 s20, 0
.LBB14_1423:
	s_delay_alu instid0(SALU_CYCLE_1)
	s_and_b32 vcc_lo, exec_lo, s20
	s_cbranch_vccz .LBB14_1428
; %bb.1424:
	s_cmp_eq_u32 s19, 44
	s_mov_b32 s0, -1
	s_cbranch_scc0 .LBB14_1428
; %bb.1425:
	s_wait_xcnt 0x0
	v_bfe_i32 v0, v5, 0, 8
	v_mov_b32_e32 v1, 0xff
	s_mov_b32 s20, exec_lo
	s_delay_alu instid0(VALU_DEP_2) | instskip(NEXT) | instid1(VALU_DEP_1)
	v_bfe_i32 v0, v0, 0, 16
	v_cvt_f32_i32_e32 v0, v0
	s_delay_alu instid0(VALU_DEP_1) | instskip(NEXT) | instid1(VALU_DEP_1)
	v_bfe_u32 v4, v0, 23, 8
	v_cmpx_ne_u32_e32 0xff, v4
	s_cbranch_execz .LBB14_1427
; %bb.1426:
	v_and_b32_e32 v1, 0x400000, v0
	v_and_or_b32 v4, 0x3fffff, v0, v4
	v_lshrrev_b32_e32 v0, 23, v0
	s_delay_alu instid0(VALU_DEP_3) | instskip(NEXT) | instid1(VALU_DEP_3)
	v_cmp_ne_u32_e32 vcc_lo, 0, v1
	v_cmp_ne_u32_e64 s0, 0, v4
	s_and_b32 s0, vcc_lo, s0
	s_delay_alu instid0(SALU_CYCLE_1) | instskip(NEXT) | instid1(VALU_DEP_1)
	v_cndmask_b32_e64 v1, 0, 1, s0
	v_add_nc_u32_e32 v1, v0, v1
.LBB14_1427:
	s_or_b32 exec_lo, exec_lo, s20
	s_mov_b32 s0, 0
	global_store_b8 v[2:3], v1, off
.LBB14_1428:
	s_mov_b32 s20, 0
.LBB14_1429:
	s_delay_alu instid0(SALU_CYCLE_1)
	s_and_b32 vcc_lo, exec_lo, s20
	s_cbranch_vccz .LBB14_1432
; %bb.1430:
	s_cmp_eq_u32 s19, 29
	s_mov_b32 s0, -1
	s_cbranch_scc0 .LBB14_1432
; %bb.1431:
	s_wait_xcnt 0x0
	v_bfe_i32 v0, v5, 0, 8
	s_mov_b32 s0, 0
	s_mov_b32 s20, 0
	s_delay_alu instid0(VALU_DEP_1)
	v_ashrrev_i32_e32 v1, 31, v0
	global_store_b64 v[2:3], v[0:1], off
	s_branch .LBB14_1433
.LBB14_1432:
	s_mov_b32 s20, 0
.LBB14_1433:
	s_delay_alu instid0(SALU_CYCLE_1)
	s_and_b32 vcc_lo, exec_lo, s20
	s_cbranch_vccz .LBB14_1448
; %bb.1434:
	s_cmp_lt_i32 s19, 27
	s_mov_b32 s20, -1
	s_cbranch_scc1 .LBB14_1440
; %bb.1435:
	s_cmp_gt_i32 s19, 27
	s_cbranch_scc0 .LBB14_1437
; %bb.1436:
	s_wait_xcnt 0x0
	v_bfe_i32 v0, v5, 0, 8
	s_mov_b32 s20, 0
	global_store_b32 v[2:3], v0, off
.LBB14_1437:
	s_and_not1_b32 vcc_lo, exec_lo, s20
	s_cbranch_vccnz .LBB14_1439
; %bb.1438:
	s_wait_xcnt 0x0
	v_bfe_i32 v0, v5, 0, 8
	global_store_b16 v[2:3], v0, off
.LBB14_1439:
	s_mov_b32 s20, 0
.LBB14_1440:
	s_delay_alu instid0(SALU_CYCLE_1)
	s_and_not1_b32 vcc_lo, exec_lo, s20
	s_cbranch_vccnz .LBB14_1448
; %bb.1441:
	s_wait_xcnt 0x0
	v_bfe_i32 v0, v5, 0, 8
	v_mov_b32_e32 v4, 0x80
	s_mov_b32 s20, exec_lo
	s_delay_alu instid0(VALU_DEP_2) | instskip(NEXT) | instid1(VALU_DEP_1)
	v_bfe_i32 v0, v0, 0, 16
	v_cvt_f32_i32_e32 v0, v0
	s_delay_alu instid0(VALU_DEP_1) | instskip(NEXT) | instid1(VALU_DEP_1)
	v_and_b32_e32 v1, 0x7fffffff, v0
	v_cmpx_gt_u32_e32 0x43800000, v1
	s_cbranch_execz .LBB14_1447
; %bb.1442:
	v_cmp_lt_u32_e32 vcc_lo, 0x3bffffff, v1
	s_mov_b32 s21, 0
                                        ; implicit-def: $vgpr1
	s_and_saveexec_b32 s22, vcc_lo
	s_delay_alu instid0(SALU_CYCLE_1)
	s_xor_b32 s22, exec_lo, s22
	s_cbranch_execz .LBB14_1545
; %bb.1443:
	v_bfe_u32 v1, v0, 20, 1
	s_mov_b32 s21, exec_lo
	s_delay_alu instid0(VALU_DEP_1) | instskip(NEXT) | instid1(VALU_DEP_1)
	v_add3_u32 v1, v0, v1, 0x487ffff
	v_lshrrev_b32_e32 v1, 20, v1
	s_and_not1_saveexec_b32 s22, s22
	s_cbranch_execnz .LBB14_1546
.LBB14_1444:
	s_or_b32 exec_lo, exec_lo, s22
	v_mov_b32_e32 v4, 0
	s_and_saveexec_b32 s22, s21
.LBB14_1445:
	v_lshrrev_b32_e32 v0, 24, v0
	s_delay_alu instid0(VALU_DEP_1)
	v_and_or_b32 v4, 0x80, v0, v1
.LBB14_1446:
	s_or_b32 exec_lo, exec_lo, s22
.LBB14_1447:
	s_delay_alu instid0(SALU_CYCLE_1)
	s_or_b32 exec_lo, exec_lo, s20
	global_store_b8 v[2:3], v4, off
.LBB14_1448:
	s_mov_b32 s20, 0
.LBB14_1449:
	s_delay_alu instid0(SALU_CYCLE_1)
	s_and_b32 vcc_lo, exec_lo, s20
	s_mov_b32 s20, 0
	s_cbranch_vccz .LBB14_1489
; %bb.1450:
	s_cmp_gt_i32 s19, 22
	s_mov_b32 s21, -1
	s_cbranch_scc0 .LBB14_1482
; %bb.1451:
	s_cmp_lt_i32 s19, 24
	s_cbranch_scc1 .LBB14_1471
; %bb.1452:
	s_cmp_gt_i32 s19, 24
	s_cbranch_scc0 .LBB14_1460
; %bb.1453:
	s_wait_xcnt 0x0
	v_bfe_i32 v0, v5, 0, 8
	v_mov_b32_e32 v4, 0x80
	s_mov_b32 s21, exec_lo
	s_delay_alu instid0(VALU_DEP_2) | instskip(NEXT) | instid1(VALU_DEP_1)
	v_bfe_i32 v0, v0, 0, 16
	v_cvt_f32_i32_e32 v0, v0
	s_delay_alu instid0(VALU_DEP_1) | instskip(NEXT) | instid1(VALU_DEP_1)
	v_and_b32_e32 v1, 0x7fffffff, v0
	v_cmpx_gt_u32_e32 0x47800000, v1
	s_cbranch_execz .LBB14_1459
; %bb.1454:
	v_cmp_lt_u32_e32 vcc_lo, 0x37ffffff, v1
	s_mov_b32 s22, 0
                                        ; implicit-def: $vgpr1
	s_and_saveexec_b32 s23, vcc_lo
	s_delay_alu instid0(SALU_CYCLE_1)
	s_xor_b32 s23, exec_lo, s23
	s_cbranch_execz .LBB14_1666
; %bb.1455:
	v_bfe_u32 v1, v0, 21, 1
	s_mov_b32 s22, exec_lo
	s_delay_alu instid0(VALU_DEP_1) | instskip(NEXT) | instid1(VALU_DEP_1)
	v_add3_u32 v1, v0, v1, 0x88fffff
	v_lshrrev_b32_e32 v1, 21, v1
	s_and_not1_saveexec_b32 s23, s23
	s_cbranch_execnz .LBB14_1667
.LBB14_1456:
	s_or_b32 exec_lo, exec_lo, s23
	v_mov_b32_e32 v4, 0
	s_and_saveexec_b32 s23, s22
.LBB14_1457:
	v_lshrrev_b32_e32 v0, 24, v0
	s_delay_alu instid0(VALU_DEP_1)
	v_and_or_b32 v4, 0x80, v0, v1
.LBB14_1458:
	s_or_b32 exec_lo, exec_lo, s23
.LBB14_1459:
	s_delay_alu instid0(SALU_CYCLE_1)
	s_or_b32 exec_lo, exec_lo, s21
	s_mov_b32 s21, 0
	global_store_b8 v[2:3], v4, off
.LBB14_1460:
	s_and_b32 vcc_lo, exec_lo, s21
	s_cbranch_vccz .LBB14_1470
; %bb.1461:
	s_wait_xcnt 0x0
	v_bfe_i32 v0, v5, 0, 8
	s_mov_b32 s21, exec_lo
                                        ; implicit-def: $vgpr1
	s_delay_alu instid0(VALU_DEP_1) | instskip(NEXT) | instid1(VALU_DEP_1)
	v_bfe_i32 v0, v0, 0, 16
	v_cvt_f32_i32_e32 v0, v0
	s_delay_alu instid0(VALU_DEP_1) | instskip(NEXT) | instid1(VALU_DEP_1)
	v_and_b32_e32 v4, 0x7fffffff, v0
	v_cmpx_gt_u32_e32 0x43f00000, v4
	s_xor_b32 s21, exec_lo, s21
	s_cbranch_execz .LBB14_1467
; %bb.1462:
	s_mov_b32 s22, exec_lo
                                        ; implicit-def: $vgpr1
	v_cmpx_lt_u32_e32 0x3c7fffff, v4
	s_xor_b32 s22, exec_lo, s22
; %bb.1463:
	v_bfe_u32 v1, v0, 20, 1
	s_delay_alu instid0(VALU_DEP_1) | instskip(NEXT) | instid1(VALU_DEP_1)
	v_add3_u32 v1, v0, v1, 0x407ffff
	v_and_b32_e32 v4, 0xff00000, v1
	v_lshrrev_b32_e32 v1, 20, v1
	s_delay_alu instid0(VALU_DEP_2) | instskip(NEXT) | instid1(VALU_DEP_2)
	v_cmp_ne_u32_e32 vcc_lo, 0x7f00000, v4
	v_cndmask_b32_e32 v1, 0x7e, v1, vcc_lo
; %bb.1464:
	s_and_not1_saveexec_b32 s22, s22
; %bb.1465:
	v_add_f32_e64 v1, 0x46800000, |v0|
; %bb.1466:
	s_or_b32 exec_lo, exec_lo, s22
                                        ; implicit-def: $vgpr4
.LBB14_1467:
	s_and_not1_saveexec_b32 s21, s21
; %bb.1468:
	v_mov_b32_e32 v1, 0x7f
	v_cmp_lt_u32_e32 vcc_lo, 0x7f800000, v4
	s_delay_alu instid0(VALU_DEP_2)
	v_cndmask_b32_e32 v1, 0x7e, v1, vcc_lo
; %bb.1469:
	s_or_b32 exec_lo, exec_lo, s21
	v_lshrrev_b32_e32 v0, 24, v0
	s_delay_alu instid0(VALU_DEP_1)
	v_and_or_b32 v0, 0x80, v0, v1
	global_store_b8 v[2:3], v0, off
.LBB14_1470:
	s_mov_b32 s21, 0
.LBB14_1471:
	s_delay_alu instid0(SALU_CYCLE_1)
	s_and_not1_b32 vcc_lo, exec_lo, s21
	s_cbranch_vccnz .LBB14_1481
; %bb.1472:
	s_wait_xcnt 0x0
	v_bfe_i32 v0, v5, 0, 8
	s_mov_b32 s21, exec_lo
                                        ; implicit-def: $vgpr1
	s_delay_alu instid0(VALU_DEP_1) | instskip(NEXT) | instid1(VALU_DEP_1)
	v_bfe_i32 v0, v0, 0, 16
	v_cvt_f32_i32_e32 v0, v0
	s_delay_alu instid0(VALU_DEP_1) | instskip(NEXT) | instid1(VALU_DEP_1)
	v_and_b32_e32 v4, 0x7fffffff, v0
	v_cmpx_gt_u32_e32 0x47800000, v4
	s_xor_b32 s21, exec_lo, s21
	s_cbranch_execz .LBB14_1478
; %bb.1473:
	s_mov_b32 s22, exec_lo
                                        ; implicit-def: $vgpr1
	v_cmpx_lt_u32_e32 0x387fffff, v4
	s_xor_b32 s22, exec_lo, s22
; %bb.1474:
	v_bfe_u32 v1, v0, 21, 1
	s_delay_alu instid0(VALU_DEP_1) | instskip(NEXT) | instid1(VALU_DEP_1)
	v_add3_u32 v1, v0, v1, 0x80fffff
	v_lshrrev_b32_e32 v1, 21, v1
; %bb.1475:
	s_and_not1_saveexec_b32 s22, s22
; %bb.1476:
	v_add_f32_e64 v1, 0x43000000, |v0|
; %bb.1477:
	s_or_b32 exec_lo, exec_lo, s22
                                        ; implicit-def: $vgpr4
.LBB14_1478:
	s_and_not1_saveexec_b32 s21, s21
; %bb.1479:
	v_mov_b32_e32 v1, 0x7f
	v_cmp_lt_u32_e32 vcc_lo, 0x7f800000, v4
	s_delay_alu instid0(VALU_DEP_2)
	v_cndmask_b32_e32 v1, 0x7c, v1, vcc_lo
; %bb.1480:
	s_or_b32 exec_lo, exec_lo, s21
	v_lshrrev_b32_e32 v0, 24, v0
	s_delay_alu instid0(VALU_DEP_1)
	v_and_or_b32 v0, 0x80, v0, v1
	global_store_b8 v[2:3], v0, off
.LBB14_1481:
	s_mov_b32 s21, 0
.LBB14_1482:
	s_delay_alu instid0(SALU_CYCLE_1)
	s_and_not1_b32 vcc_lo, exec_lo, s21
	s_mov_b32 s21, 0
	s_cbranch_vccnz .LBB14_1490
; %bb.1483:
	s_cmp_gt_i32 s19, 14
	s_mov_b32 s21, -1
	s_cbranch_scc0 .LBB14_1487
; %bb.1484:
	s_cmp_eq_u32 s19, 15
	s_mov_b32 s0, -1
	s_cbranch_scc0 .LBB14_1486
; %bb.1485:
	s_wait_xcnt 0x0
	v_bfe_i32 v0, v5, 0, 8
	s_mov_b32 s0, 0
	s_delay_alu instid0(VALU_DEP_1) | instskip(NEXT) | instid1(VALU_DEP_1)
	v_bfe_i32 v0, v0, 0, 16
	v_cvt_f32_i32_e32 v0, v0
	s_delay_alu instid0(VALU_DEP_1) | instskip(NEXT) | instid1(VALU_DEP_1)
	v_bfe_u32 v1, v0, 16, 1
	v_add3_u32 v0, v0, v1, 0x7fff
	global_store_d16_hi_b16 v[2:3], v0, off
.LBB14_1486:
	s_mov_b32 s21, 0
.LBB14_1487:
	s_delay_alu instid0(SALU_CYCLE_1)
	s_and_b32 vcc_lo, exec_lo, s21
	s_mov_b32 s21, 0
	s_cbranch_vccz .LBB14_1490
; %bb.1488:
	s_cmp_lg_u32 s19, 11
	s_mov_b32 s21, -1
	s_cselect_b32 s19, -1, 0
	s_and_not1_b32 s0, s0, exec_lo
	s_and_b32 s19, s19, exec_lo
	s_delay_alu instid0(SALU_CYCLE_1)
	s_or_b32 s0, s0, s19
	s_branch .LBB14_1490
.LBB14_1489:
	s_mov_b32 s21, 0
.LBB14_1490:
	s_and_not1_b32 s15, s15, exec_lo
	s_and_b32 s19, s0, exec_lo
	s_and_b32 s20, s20, exec_lo
	;; [unrolled: 1-line block ×3, first 2 shown]
	s_or_b32 s15, s15, s19
	s_wait_xcnt 0x0
	s_or_b32 exec_lo, exec_lo, s18
	s_and_saveexec_b32 s18, s15
	s_cbranch_execz .LBB14_1419
.LBB14_1491:
	s_or_b32 s16, s16, exec_lo
	s_and_not1_b32 s0, s0, exec_lo
	s_trap 2
	s_or_b32 exec_lo, exec_lo, s18
	s_and_saveexec_b32 s15, s0
	s_delay_alu instid0(SALU_CYCLE_1)
	s_xor_b32 s0, exec_lo, s15
	s_cbranch_execnz .LBB14_1420
.LBB14_1492:
	s_or_b32 exec_lo, exec_lo, s0
	s_and_saveexec_b32 s0, s20
	s_delay_alu instid0(SALU_CYCLE_1)
	s_xor_b32 s0, exec_lo, s0
	s_cbranch_execz .LBB14_1530
.LBB14_1493:
	s_sext_i32_i16 s18, s17
	s_mov_b32 s15, -1
	s_cmp_lt_i32 s18, 5
	s_cbranch_scc1 .LBB14_1514
; %bb.1494:
	s_cmp_lt_i32 s18, 8
	s_cbranch_scc1 .LBB14_1504
; %bb.1495:
	;; [unrolled: 3-line block ×3, first 2 shown]
	s_wait_loadcnt 0x0
	v_bfe_i32 v0, v5, 0, 8
	s_cmp_gt_i32 s18, 9
	s_delay_alu instid0(VALU_DEP_1)
	v_bfe_i32 v0, v0, 0, 16
	s_cbranch_scc0 .LBB14_1498
; %bb.1497:
	s_delay_alu instid0(VALU_DEP_1) | instskip(SKIP_2) | instid1(VALU_DEP_1)
	v_cvt_f64_i32_e32 v[6:7], v0
	v_mov_b32_e32 v8, 0
	s_mov_b32 s15, 0
	v_mov_b32_e32 v9, v8
	global_store_b128 v[2:3], v[6:9], off
.LBB14_1498:
	s_and_not1_b32 vcc_lo, exec_lo, s15
	s_cbranch_vccnz .LBB14_1500
; %bb.1499:
	s_delay_alu instid0(VALU_DEP_1)
	v_cvt_f32_i32_e32 v0, v0
	v_mov_b32_e32 v1, 0
	global_store_b64 v[2:3], v[0:1], off
.LBB14_1500:
	s_mov_b32 s15, 0
.LBB14_1501:
	s_delay_alu instid0(SALU_CYCLE_1)
	s_and_not1_b32 vcc_lo, exec_lo, s15
	s_cbranch_vccnz .LBB14_1503
; %bb.1502:
	s_wait_loadcnt 0x0
	v_bfe_i32 v0, v5, 0, 8
	s_delay_alu instid0(VALU_DEP_1) | instskip(NEXT) | instid1(VALU_DEP_1)
	v_cvt_f16_i16_e32 v0, v0
	v_and_b32_e32 v0, 0xffff, v0
	global_store_b32 v[2:3], v0, off
.LBB14_1503:
	s_mov_b32 s15, 0
.LBB14_1504:
	s_delay_alu instid0(SALU_CYCLE_1)
	s_and_not1_b32 vcc_lo, exec_lo, s15
	s_cbranch_vccnz .LBB14_1513
; %bb.1505:
	s_sext_i32_i16 s18, s17
	s_mov_b32 s15, -1
	s_cmp_lt_i32 s18, 6
	s_cbranch_scc1 .LBB14_1511
; %bb.1506:
	s_wait_loadcnt 0x0
	v_bfe_i32 v0, v5, 0, 8
	s_cmp_gt_i32 s18, 6
	s_delay_alu instid0(VALU_DEP_1)
	v_bfe_i32 v0, v0, 0, 16
	s_cbranch_scc0 .LBB14_1508
; %bb.1507:
	s_delay_alu instid0(VALU_DEP_1)
	v_cvt_f64_i32_e32 v[6:7], v0
	s_mov_b32 s15, 0
	global_store_b64 v[2:3], v[6:7], off
.LBB14_1508:
	s_and_not1_b32 vcc_lo, exec_lo, s15
	s_cbranch_vccnz .LBB14_1510
; %bb.1509:
	s_delay_alu instid0(VALU_DEP_1)
	v_cvt_f32_i32_e32 v0, v0
	global_store_b32 v[2:3], v0, off
.LBB14_1510:
	s_mov_b32 s15, 0
.LBB14_1511:
	s_delay_alu instid0(SALU_CYCLE_1)
	s_and_not1_b32 vcc_lo, exec_lo, s15
	s_cbranch_vccnz .LBB14_1513
; %bb.1512:
	s_wait_loadcnt 0x0
	v_bfe_i32 v0, v5, 0, 8
	s_delay_alu instid0(VALU_DEP_1)
	v_cvt_f16_i16_e32 v0, v0
	global_store_b16 v[2:3], v0, off
.LBB14_1513:
	s_mov_b32 s15, 0
.LBB14_1514:
	s_delay_alu instid0(SALU_CYCLE_1)
	s_and_not1_b32 vcc_lo, exec_lo, s15
	s_cbranch_vccnz .LBB14_1530
; %bb.1515:
	s_sext_i32_i16 s18, s17
	s_mov_b32 s15, -1
	s_cmp_lt_i32 s18, 2
	s_cbranch_scc1 .LBB14_1525
; %bb.1516:
	s_cmp_lt_i32 s18, 3
	s_cbranch_scc1 .LBB14_1522
; %bb.1517:
	s_wait_loadcnt 0x0
	v_bfe_i32 v0, v5, 0, 8
	s_cmp_gt_i32 s18, 3
	s_cbranch_scc0 .LBB14_1519
; %bb.1518:
	s_delay_alu instid0(VALU_DEP_1)
	v_ashrrev_i32_e32 v1, 31, v0
	s_mov_b32 s15, 0
	global_store_b64 v[2:3], v[0:1], off
.LBB14_1519:
	s_and_not1_b32 vcc_lo, exec_lo, s15
	s_cbranch_vccnz .LBB14_1521
; %bb.1520:
	global_store_b32 v[2:3], v0, off
.LBB14_1521:
	s_mov_b32 s15, 0
.LBB14_1522:
	s_delay_alu instid0(SALU_CYCLE_1)
	s_and_not1_b32 vcc_lo, exec_lo, s15
	s_cbranch_vccnz .LBB14_1524
; %bb.1523:
	s_wait_loadcnt 0x0
	v_bfe_i32 v0, v5, 0, 8
	global_store_b16 v[2:3], v0, off
.LBB14_1524:
	s_mov_b32 s15, 0
.LBB14_1525:
	s_delay_alu instid0(SALU_CYCLE_1)
	s_and_not1_b32 vcc_lo, exec_lo, s15
	s_cbranch_vccnz .LBB14_1530
; %bb.1526:
	s_sext_i32_i16 s15, s17
	s_delay_alu instid0(SALU_CYCLE_1)
	s_cmp_gt_i32 s15, 0
	s_mov_b32 s15, -1
	s_cbranch_scc0 .LBB14_1528
; %bb.1527:
	s_mov_b32 s15, 0
	s_wait_loadcnt 0x0
	global_store_b8 v[2:3], v5, off
.LBB14_1528:
	s_and_not1_b32 vcc_lo, exec_lo, s15
	s_cbranch_vccnz .LBB14_1530
; %bb.1529:
	s_wait_loadcnt 0x0
	global_store_b8 v[2:3], v5, off
.LBB14_1530:
	s_wait_xcnt 0x0
	s_or_b32 exec_lo, exec_lo, s0
	s_delay_alu instid0(SALU_CYCLE_1)
	s_and_b32 s15, s16, exec_lo
                                        ; implicit-def: $vgpr10
.LBB14_1531:
	s_or_saveexec_b32 s14, s14
	s_mov_b32 s0, 0
                                        ; implicit-def: $sgpr16
                                        ; implicit-def: $vgpr0_vgpr1
                                        ; implicit-def: $vgpr4
	s_xor_b32 exec_lo, exec_lo, s14
	s_cbranch_execz .LBB14_2637
; %bb.1532:
	s_wait_loadcnt 0x0
	v_mul_lo_u32 v0, s9, v10
	s_and_b32 s0, s13, 0xff
	s_delay_alu instid0(SALU_CYCLE_1) | instskip(NEXT) | instid1(VALU_DEP_1)
	s_cmp_lt_i32 s0, 11
	v_ashrrev_i32_e32 v1, 31, v0
	s_delay_alu instid0(VALU_DEP_1)
	v_add_nc_u64_e32 v[2:3], s[6:7], v[0:1]
	s_cbranch_scc1 .LBB14_1539
; %bb.1533:
	s_and_b32 s12, 0xffff, s0
	s_mov_b32 s16, 0
	s_cmp_gt_i32 s12, 25
	s_cbranch_scc0 .LBB14_1541
; %bb.1534:
	s_cmp_gt_i32 s12, 28
	s_cbranch_scc0 .LBB14_1542
; %bb.1535:
	;; [unrolled: 3-line block ×4, first 2 shown]
	s_cmp_eq_u32 s12, 46
	s_mov_b32 s18, 0
	s_cbranch_scc0 .LBB14_1547
; %bb.1538:
	global_load_b32 v1, v[2:3], off
	s_mov_b32 s13, 0
	s_mov_b32 s17, -1
	s_wait_loadcnt 0x0
	v_lshlrev_b32_e32 v1, 16, v1
	s_delay_alu instid0(VALU_DEP_1)
	v_cvt_i32_f32_e32 v4, v1
	s_branch .LBB14_1549
.LBB14_1539:
	s_mov_b32 s17, 0
	s_mov_b32 s12, s15
                                        ; implicit-def: $vgpr4
	s_cbranch_execnz .LBB14_1607
.LBB14_1540:
	s_and_not1_b32 vcc_lo, exec_lo, s17
	s_cbranch_vccz .LBB14_1652
	s_branch .LBB14_2635
.LBB14_1541:
	s_mov_b32 s17, 0
	s_mov_b32 s13, 0
                                        ; implicit-def: $vgpr4
	s_cbranch_execnz .LBB14_1574
	s_branch .LBB14_1603
.LBB14_1542:
	s_mov_b32 s17, 0
	s_mov_b32 s13, 0
                                        ; implicit-def: $vgpr4
	s_cbranch_execz .LBB14_1573
	s_branch .LBB14_1558
.LBB14_1543:
	s_mov_b32 s17, 0
	s_mov_b32 s13, 0
                                        ; implicit-def: $vgpr4
	s_cbranch_execnz .LBB14_1554
	s_branch .LBB14_1557
.LBB14_1544:
	s_mov_b32 s18, -1
	s_mov_b32 s17, 0
	s_mov_b32 s13, 0
	s_branch .LBB14_1548
.LBB14_1545:
	s_and_not1_saveexec_b32 s22, s22
	s_cbranch_execz .LBB14_1444
.LBB14_1546:
	v_add_f32_e64 v1, 0x46000000, |v0|
	s_and_not1_b32 s21, s21, exec_lo
	s_delay_alu instid0(VALU_DEP_1) | instskip(NEXT) | instid1(VALU_DEP_1)
	v_and_b32_e32 v1, 0xff, v1
	v_cmp_ne_u32_e32 vcc_lo, 0, v1
	s_and_b32 s23, vcc_lo, exec_lo
	s_delay_alu instid0(SALU_CYCLE_1)
	s_or_b32 s21, s21, s23
	s_or_b32 exec_lo, exec_lo, s22
	v_mov_b32_e32 v4, 0
	s_and_saveexec_b32 s22, s21
	s_cbranch_execnz .LBB14_1445
	s_branch .LBB14_1446
.LBB14_1547:
	s_mov_b32 s13, -1
	s_mov_b32 s17, 0
.LBB14_1548:
                                        ; implicit-def: $vgpr4
.LBB14_1549:
	s_and_b32 vcc_lo, exec_lo, s18
	s_cbranch_vccz .LBB14_1552
; %bb.1550:
	s_cmp_eq_u32 s12, 44
	s_cbranch_scc0 .LBB14_1553
; %bb.1551:
	global_load_u8 v1, v[2:3], off
	s_mov_b32 s13, 0
	s_mov_b32 s17, -1
	s_wait_loadcnt 0x0
	v_lshlrev_b32_e32 v4, 23, v1
	v_cmp_ne_u32_e32 vcc_lo, 0, v1
	s_delay_alu instid0(VALU_DEP_2) | instskip(NEXT) | instid1(VALU_DEP_1)
	v_cvt_i32_f32_e32 v4, v4
	v_cndmask_b32_e32 v4, 0, v4, vcc_lo
.LBB14_1552:
	s_branch .LBB14_1557
.LBB14_1553:
	s_mov_b32 s13, -1
                                        ; implicit-def: $vgpr4
	s_branch .LBB14_1557
.LBB14_1554:
	s_cmp_eq_u32 s12, 29
	s_cbranch_scc0 .LBB14_1556
; %bb.1555:
	global_load_b64 v[4:5], v[2:3], off
	s_mov_b32 s13, 0
	s_mov_b32 s17, -1
	s_branch .LBB14_1557
.LBB14_1556:
	s_mov_b32 s13, -1
                                        ; implicit-def: $vgpr4
.LBB14_1557:
	s_branch .LBB14_1573
.LBB14_1558:
	s_cmp_lt_i32 s12, 27
	s_cbranch_scc1 .LBB14_1561
; %bb.1559:
	s_cmp_gt_i32 s12, 27
	s_cbranch_scc0 .LBB14_1562
; %bb.1560:
	s_wait_loadcnt 0x0
	global_load_b32 v4, v[2:3], off
	s_mov_b32 s17, 0
	s_branch .LBB14_1563
.LBB14_1561:
	s_mov_b32 s17, -1
                                        ; implicit-def: $vgpr4
	s_branch .LBB14_1566
.LBB14_1562:
	s_mov_b32 s17, -1
                                        ; implicit-def: $vgpr4
.LBB14_1563:
	s_delay_alu instid0(SALU_CYCLE_1)
	s_and_not1_b32 vcc_lo, exec_lo, s17
	s_cbranch_vccnz .LBB14_1565
; %bb.1564:
	s_wait_loadcnt 0x0
	global_load_u16 v4, v[2:3], off
.LBB14_1565:
	s_mov_b32 s17, 0
.LBB14_1566:
	s_delay_alu instid0(SALU_CYCLE_1)
	s_and_not1_b32 vcc_lo, exec_lo, s17
	s_cbranch_vccnz .LBB14_1572
; %bb.1567:
	global_load_u8 v1, v[2:3], off
	s_mov_b32 s18, 0
	s_mov_b32 s17, exec_lo
	s_wait_loadcnt 0x0
	v_cmpx_lt_i16_e32 0x7f, v1
	s_xor_b32 s17, exec_lo, s17
	s_cbranch_execz .LBB14_1583
; %bb.1568:
	v_cmp_ne_u16_e32 vcc_lo, 0x80, v1
	s_and_b32 s18, vcc_lo, exec_lo
	s_and_not1_saveexec_b32 s17, s17
	s_cbranch_execnz .LBB14_1584
.LBB14_1569:
	s_or_b32 exec_lo, exec_lo, s17
	v_mov_b32_e32 v4, 0
	s_and_saveexec_b32 s17, s18
	s_cbranch_execz .LBB14_1571
.LBB14_1570:
	v_and_b32_e32 v4, 0xffff, v1
	s_delay_alu instid0(VALU_DEP_1) | instskip(SKIP_1) | instid1(VALU_DEP_2)
	v_and_b32_e32 v5, 7, v4
	v_bfe_u32 v8, v4, 3, 4
	v_clz_i32_u32_e32 v6, v5
	s_delay_alu instid0(VALU_DEP_2) | instskip(NEXT) | instid1(VALU_DEP_2)
	v_cmp_eq_u32_e32 vcc_lo, 0, v8
	v_min_u32_e32 v6, 32, v6
	s_delay_alu instid0(VALU_DEP_1) | instskip(NEXT) | instid1(VALU_DEP_1)
	v_subrev_nc_u32_e32 v7, 28, v6
	v_dual_lshlrev_b32 v4, v7, v4 :: v_dual_sub_nc_u32 v6, 29, v6
	s_delay_alu instid0(VALU_DEP_1) | instskip(NEXT) | instid1(VALU_DEP_1)
	v_dual_lshlrev_b32 v1, 24, v1 :: v_dual_bitop2_b32 v4, 7, v4 bitop3:0x40
	v_dual_cndmask_b32 v6, v8, v6, vcc_lo :: v_dual_cndmask_b32 v4, v5, v4, vcc_lo
	s_delay_alu instid0(VALU_DEP_2) | instskip(NEXT) | instid1(VALU_DEP_2)
	v_and_b32_e32 v1, 0x80000000, v1
	v_lshl_add_u32 v5, v6, 23, 0x3b800000
	s_delay_alu instid0(VALU_DEP_3) | instskip(NEXT) | instid1(VALU_DEP_1)
	v_lshlrev_b32_e32 v4, 20, v4
	v_or3_b32 v1, v1, v5, v4
	s_delay_alu instid0(VALU_DEP_1)
	v_cvt_i32_f32_e32 v4, v1
.LBB14_1571:
	s_or_b32 exec_lo, exec_lo, s17
.LBB14_1572:
	s_mov_b32 s17, -1
.LBB14_1573:
	s_branch .LBB14_1603
.LBB14_1574:
	s_cmp_gt_i32 s12, 22
	s_cbranch_scc0 .LBB14_1582
; %bb.1575:
	s_cmp_lt_i32 s12, 24
	s_cbranch_scc1 .LBB14_1585
; %bb.1576:
	s_cmp_gt_i32 s12, 24
	s_cbranch_scc0 .LBB14_1586
; %bb.1577:
	global_load_u8 v1, v[2:3], off
	s_mov_b32 s17, 0
	s_mov_b32 s16, exec_lo
	s_wait_loadcnt 0x0
	v_cmpx_lt_i16_e32 0x7f, v1
	s_xor_b32 s16, exec_lo, s16
	s_cbranch_execz .LBB14_1597
; %bb.1578:
	v_cmp_ne_u16_e32 vcc_lo, 0x80, v1
	s_and_b32 s17, vcc_lo, exec_lo
	s_and_not1_saveexec_b32 s16, s16
	s_cbranch_execnz .LBB14_1598
.LBB14_1579:
	s_or_b32 exec_lo, exec_lo, s16
	v_mov_b32_e32 v4, 0
	s_and_saveexec_b32 s16, s17
	s_cbranch_execz .LBB14_1581
.LBB14_1580:
	v_and_b32_e32 v4, 0xffff, v1
	s_delay_alu instid0(VALU_DEP_1) | instskip(SKIP_1) | instid1(VALU_DEP_2)
	v_and_b32_e32 v5, 3, v4
	v_bfe_u32 v8, v4, 2, 5
	v_clz_i32_u32_e32 v6, v5
	s_delay_alu instid0(VALU_DEP_2) | instskip(NEXT) | instid1(VALU_DEP_2)
	v_cmp_eq_u32_e32 vcc_lo, 0, v8
	v_min_u32_e32 v6, 32, v6
	s_delay_alu instid0(VALU_DEP_1) | instskip(NEXT) | instid1(VALU_DEP_1)
	v_subrev_nc_u32_e32 v7, 29, v6
	v_dual_lshlrev_b32 v4, v7, v4 :: v_dual_sub_nc_u32 v6, 30, v6
	s_delay_alu instid0(VALU_DEP_1) | instskip(NEXT) | instid1(VALU_DEP_1)
	v_dual_lshlrev_b32 v1, 24, v1 :: v_dual_bitop2_b32 v4, 3, v4 bitop3:0x40
	v_dual_cndmask_b32 v6, v8, v6, vcc_lo :: v_dual_cndmask_b32 v4, v5, v4, vcc_lo
	s_delay_alu instid0(VALU_DEP_2) | instskip(NEXT) | instid1(VALU_DEP_2)
	v_and_b32_e32 v1, 0x80000000, v1
	v_lshl_add_u32 v5, v6, 23, 0x37800000
	s_delay_alu instid0(VALU_DEP_3) | instskip(NEXT) | instid1(VALU_DEP_1)
	v_lshlrev_b32_e32 v4, 21, v4
	v_or3_b32 v1, v1, v5, v4
	s_delay_alu instid0(VALU_DEP_1)
	v_cvt_i32_f32_e32 v4, v1
.LBB14_1581:
	s_or_b32 exec_lo, exec_lo, s16
	s_mov_b32 s16, 0
	s_branch .LBB14_1587
.LBB14_1582:
                                        ; implicit-def: $vgpr4
	s_mov_b32 s16, 0
	s_branch .LBB14_1593
.LBB14_1583:
	s_and_not1_saveexec_b32 s17, s17
	s_cbranch_execz .LBB14_1569
.LBB14_1584:
	v_cmp_ne_u16_e32 vcc_lo, 0, v1
	s_and_not1_b32 s18, s18, exec_lo
	s_and_b32 s19, vcc_lo, exec_lo
	s_delay_alu instid0(SALU_CYCLE_1)
	s_or_b32 s18, s18, s19
	s_or_b32 exec_lo, exec_lo, s17
	v_mov_b32_e32 v4, 0
	s_and_saveexec_b32 s17, s18
	s_cbranch_execnz .LBB14_1570
	s_branch .LBB14_1571
.LBB14_1585:
	s_mov_b32 s16, -1
                                        ; implicit-def: $vgpr4
	s_branch .LBB14_1590
.LBB14_1586:
	s_mov_b32 s16, -1
                                        ; implicit-def: $vgpr4
.LBB14_1587:
	s_delay_alu instid0(SALU_CYCLE_1)
	s_and_b32 vcc_lo, exec_lo, s16
	s_cbranch_vccz .LBB14_1589
; %bb.1588:
	global_load_u8 v1, v[2:3], off
	s_wait_loadcnt 0x0
	v_lshlrev_b32_e32 v1, 24, v1
	s_delay_alu instid0(VALU_DEP_1) | instskip(NEXT) | instid1(VALU_DEP_1)
	v_and_b32_e32 v4, 0x7f000000, v1
	v_clz_i32_u32_e32 v5, v4
	v_cmp_ne_u32_e32 vcc_lo, 0, v4
	v_add_nc_u32_e32 v7, 0x1000000, v4
	s_delay_alu instid0(VALU_DEP_3) | instskip(NEXT) | instid1(VALU_DEP_1)
	v_min_u32_e32 v5, 32, v5
	v_sub_nc_u32_e64 v5, v5, 4 clamp
	s_delay_alu instid0(VALU_DEP_1) | instskip(NEXT) | instid1(VALU_DEP_1)
	v_dual_lshlrev_b32 v6, v5, v4 :: v_dual_lshlrev_b32 v5, 23, v5
	v_lshrrev_b32_e32 v6, 4, v6
	s_delay_alu instid0(VALU_DEP_1) | instskip(NEXT) | instid1(VALU_DEP_1)
	v_dual_sub_nc_u32 v5, v6, v5 :: v_dual_ashrrev_i32 v6, 8, v7
	v_add_nc_u32_e32 v5, 0x3c000000, v5
	s_delay_alu instid0(VALU_DEP_1) | instskip(NEXT) | instid1(VALU_DEP_1)
	v_and_or_b32 v5, 0x7f800000, v6, v5
	v_cndmask_b32_e32 v4, 0, v5, vcc_lo
	s_delay_alu instid0(VALU_DEP_1) | instskip(NEXT) | instid1(VALU_DEP_1)
	v_and_or_b32 v1, 0x80000000, v1, v4
	v_cvt_i32_f32_e32 v4, v1
.LBB14_1589:
	s_mov_b32 s16, 0
.LBB14_1590:
	s_delay_alu instid0(SALU_CYCLE_1)
	s_and_not1_b32 vcc_lo, exec_lo, s16
	s_cbranch_vccnz .LBB14_1592
; %bb.1591:
	global_load_u8 v1, v[2:3], off
	s_wait_loadcnt 0x0
	v_lshlrev_b32_e32 v4, 25, v1
	v_lshlrev_b16 v1, 8, v1
	s_delay_alu instid0(VALU_DEP_1) | instskip(SKIP_1) | instid1(VALU_DEP_2)
	v_and_or_b32 v6, 0x7f00, v1, 0.5
	v_bfe_i32 v1, v1, 0, 16
	v_dual_add_f32 v6, -0.5, v6 :: v_dual_lshrrev_b32 v5, 4, v4
	v_cmp_gt_u32_e32 vcc_lo, 0x8000000, v4
	s_delay_alu instid0(VALU_DEP_2) | instskip(NEXT) | instid1(VALU_DEP_1)
	v_or_b32_e32 v5, 0x70000000, v5
	v_mul_f32_e32 v5, 0x7800000, v5
	s_delay_alu instid0(VALU_DEP_1) | instskip(NEXT) | instid1(VALU_DEP_1)
	v_cndmask_b32_e32 v4, v5, v6, vcc_lo
	v_and_or_b32 v1, 0x80000000, v1, v4
	s_delay_alu instid0(VALU_DEP_1)
	v_cvt_i32_f32_e32 v4, v1
.LBB14_1592:
	s_mov_b32 s17, -1
	s_mov_b32 s16, 0
	s_cbranch_execnz .LBB14_1603
.LBB14_1593:
	s_cmp_gt_i32 s12, 14
	s_cbranch_scc0 .LBB14_1596
; %bb.1594:
	s_cmp_eq_u32 s12, 15
	s_cbranch_scc0 .LBB14_1599
; %bb.1595:
	global_load_u16 v1, v[2:3], off
	s_mov_b32 s13, 0
	s_mov_b32 s17, -1
	s_wait_loadcnt 0x0
	v_lshlrev_b32_e32 v1, 16, v1
	s_delay_alu instid0(VALU_DEP_1)
	v_cvt_i32_f32_e32 v4, v1
	s_branch .LBB14_1601
.LBB14_1596:
	s_mov_b32 s16, -1
	s_branch .LBB14_1600
.LBB14_1597:
	s_and_not1_saveexec_b32 s16, s16
	s_cbranch_execz .LBB14_1579
.LBB14_1598:
	v_cmp_ne_u16_e32 vcc_lo, 0, v1
	s_and_not1_b32 s17, s17, exec_lo
	s_and_b32 s18, vcc_lo, exec_lo
	s_delay_alu instid0(SALU_CYCLE_1)
	s_or_b32 s17, s17, s18
	s_or_b32 exec_lo, exec_lo, s16
	v_mov_b32_e32 v4, 0
	s_and_saveexec_b32 s16, s17
	s_cbranch_execnz .LBB14_1580
	s_branch .LBB14_1581
.LBB14_1599:
	s_mov_b32 s13, -1
.LBB14_1600:
                                        ; implicit-def: $vgpr4
.LBB14_1601:
	s_and_b32 vcc_lo, exec_lo, s16
	s_mov_b32 s16, 0
	s_cbranch_vccz .LBB14_1603
; %bb.1602:
	s_cmp_lg_u32 s12, 11
	s_mov_b32 s16, -1
	s_cselect_b32 s13, -1, 0
.LBB14_1603:
	s_delay_alu instid0(SALU_CYCLE_1)
	s_and_b32 vcc_lo, exec_lo, s13
	s_mov_b32 s12, s15
	s_cbranch_vccnz .LBB14_1664
; %bb.1604:
	s_and_not1_b32 vcc_lo, exec_lo, s16
	s_cbranch_vccnz .LBB14_1606
.LBB14_1605:
	global_load_u8 v1, v[2:3], off
	s_mov_b32 s17, -1
	s_wait_loadcnt 0x0
	v_cmp_ne_u16_e32 vcc_lo, 0, v1
	v_cndmask_b32_e64 v4, 0, 1, vcc_lo
.LBB14_1606:
	s_branch .LBB14_1540
.LBB14_1607:
	s_and_b32 s13, 0xffff, s0
	s_delay_alu instid0(SALU_CYCLE_1)
	s_cmp_lt_i32 s13, 5
	s_cbranch_scc1 .LBB14_1612
; %bb.1608:
	s_cmp_lt_i32 s13, 8
	s_cbranch_scc1 .LBB14_1613
; %bb.1609:
	;; [unrolled: 3-line block ×3, first 2 shown]
	s_cmp_gt_i32 s13, 9
	s_cbranch_scc0 .LBB14_1615
; %bb.1611:
	s_wait_loadcnt 0x0
	global_load_b64 v[4:5], v[2:3], off
	s_mov_b32 s16, 0
	s_wait_loadcnt 0x0
	v_cvt_i32_f64_e32 v4, v[4:5]
	s_branch .LBB14_1616
.LBB14_1612:
                                        ; implicit-def: $vgpr4
	s_branch .LBB14_1633
.LBB14_1613:
                                        ; implicit-def: $vgpr4
	s_branch .LBB14_1622
.LBB14_1614:
	s_mov_b32 s16, -1
                                        ; implicit-def: $vgpr4
	s_branch .LBB14_1619
.LBB14_1615:
	s_mov_b32 s16, -1
                                        ; implicit-def: $vgpr4
.LBB14_1616:
	s_delay_alu instid0(SALU_CYCLE_1)
	s_and_not1_b32 vcc_lo, exec_lo, s16
	s_cbranch_vccnz .LBB14_1618
; %bb.1617:
	global_load_b32 v1, v[2:3], off
	s_wait_loadcnt 0x0
	v_cvt_i32_f32_e32 v4, v1
.LBB14_1618:
	s_mov_b32 s16, 0
.LBB14_1619:
	s_delay_alu instid0(SALU_CYCLE_1)
	s_and_not1_b32 vcc_lo, exec_lo, s16
	s_cbranch_vccnz .LBB14_1621
; %bb.1620:
	global_load_b32 v1, v[2:3], off
	s_wait_loadcnt 0x0
	v_cvt_i16_f16_e32 v4, v1
.LBB14_1621:
	s_cbranch_execnz .LBB14_1632
.LBB14_1622:
	s_cmp_lt_i32 s13, 6
	s_cbranch_scc1 .LBB14_1625
; %bb.1623:
	s_cmp_gt_i32 s13, 6
	s_cbranch_scc0 .LBB14_1626
; %bb.1624:
	s_wait_loadcnt 0x0
	global_load_b64 v[4:5], v[2:3], off
	s_mov_b32 s16, 0
	s_wait_loadcnt 0x0
	v_cvt_i32_f64_e32 v4, v[4:5]
	s_branch .LBB14_1627
.LBB14_1625:
	s_mov_b32 s16, -1
                                        ; implicit-def: $vgpr4
	s_branch .LBB14_1630
.LBB14_1626:
	s_mov_b32 s16, -1
                                        ; implicit-def: $vgpr4
.LBB14_1627:
	s_delay_alu instid0(SALU_CYCLE_1)
	s_and_not1_b32 vcc_lo, exec_lo, s16
	s_cbranch_vccnz .LBB14_1629
; %bb.1628:
	global_load_b32 v1, v[2:3], off
	s_wait_loadcnt 0x0
	v_cvt_i32_f32_e32 v4, v1
.LBB14_1629:
	s_mov_b32 s16, 0
.LBB14_1630:
	s_delay_alu instid0(SALU_CYCLE_1)
	s_and_not1_b32 vcc_lo, exec_lo, s16
	s_cbranch_vccnz .LBB14_1632
; %bb.1631:
	global_load_u16 v1, v[2:3], off
	s_wait_loadcnt 0x0
	v_cvt_i16_f16_e32 v4, v1
.LBB14_1632:
	s_cbranch_execnz .LBB14_1651
.LBB14_1633:
	s_cmp_lt_i32 s13, 2
	s_cbranch_scc1 .LBB14_1637
; %bb.1634:
	s_cmp_lt_i32 s13, 3
	s_cbranch_scc1 .LBB14_1638
; %bb.1635:
	s_cmp_gt_i32 s13, 3
	s_cbranch_scc0 .LBB14_1639
; %bb.1636:
	s_wait_loadcnt 0x0
	global_load_b64 v[4:5], v[2:3], off
	s_mov_b32 s16, 0
	s_branch .LBB14_1640
.LBB14_1637:
                                        ; implicit-def: $vgpr4
	s_branch .LBB14_1646
.LBB14_1638:
	s_mov_b32 s16, -1
                                        ; implicit-def: $vgpr4
	s_branch .LBB14_1643
.LBB14_1639:
	s_mov_b32 s16, -1
                                        ; implicit-def: $vgpr4
.LBB14_1640:
	s_delay_alu instid0(SALU_CYCLE_1)
	s_and_not1_b32 vcc_lo, exec_lo, s16
	s_cbranch_vccnz .LBB14_1642
; %bb.1641:
	s_wait_loadcnt 0x0
	global_load_b32 v4, v[2:3], off
.LBB14_1642:
	s_mov_b32 s16, 0
.LBB14_1643:
	s_delay_alu instid0(SALU_CYCLE_1)
	s_and_not1_b32 vcc_lo, exec_lo, s16
	s_cbranch_vccnz .LBB14_1645
; %bb.1644:
	s_wait_loadcnt 0x0
	global_load_u16 v4, v[2:3], off
.LBB14_1645:
	s_cbranch_execnz .LBB14_1651
.LBB14_1646:
	s_cmp_gt_i32 s13, 0
	s_mov_b32 s13, 0
	s_cbranch_scc0 .LBB14_1648
; %bb.1647:
	s_wait_loadcnt 0x0
	global_load_u8 v4, v[2:3], off
	s_branch .LBB14_1649
.LBB14_1648:
	s_mov_b32 s13, -1
                                        ; implicit-def: $vgpr4
.LBB14_1649:
	s_delay_alu instid0(SALU_CYCLE_1)
	s_and_not1_b32 vcc_lo, exec_lo, s13
	s_cbranch_vccnz .LBB14_1651
; %bb.1650:
	s_wait_loadcnt 0x0
	global_load_u8 v4, v[2:3], off
.LBB14_1651:
.LBB14_1652:
	s_wait_xcnt 0x0
	v_mul_lo_u32 v2, s10, v10
	s_and_b32 s1, s1, 0xff
	s_delay_alu instid0(SALU_CYCLE_1) | instskip(NEXT) | instid1(VALU_DEP_1)
	s_cmp_lt_i32 s1, 11
	v_ashrrev_i32_e32 v3, 31, v2
	s_delay_alu instid0(VALU_DEP_1)
	v_add_nc_u64_e32 v[6:7], s[2:3], v[2:3]
	s_cbranch_scc1 .LBB14_1659
; %bb.1653:
	s_and_b32 s13, 0xffff, s1
	s_mov_b32 s17, 0
	s_cmp_gt_i32 s13, 25
	s_cbranch_scc0 .LBB14_1661
; %bb.1654:
	s_cmp_gt_i32 s13, 28
	s_cbranch_scc0 .LBB14_1662
; %bb.1655:
	;; [unrolled: 3-line block ×4, first 2 shown]
	s_cmp_eq_u32 s13, 46
	s_mov_b32 s19, 0
	s_cbranch_scc0 .LBB14_1668
; %bb.1658:
	global_load_b32 v1, v[6:7], off
	s_mov_b32 s16, 0
	s_mov_b32 s18, -1
	s_wait_loadcnt 0x0
	v_lshlrev_b32_e32 v1, 16, v1
	s_delay_alu instid0(VALU_DEP_1)
	v_cvt_i32_f32_e32 v8, v1
	s_branch .LBB14_1670
.LBB14_1659:
	s_mov_b32 s18, 0
                                        ; implicit-def: $vgpr8
	s_cbranch_execnz .LBB14_1731
.LBB14_1660:
	s_and_not1_b32 vcc_lo, exec_lo, s18
	s_cbranch_vccnz .LBB14_2635
	s_branch .LBB14_1778
.LBB14_1661:
	s_mov_b32 s18, 0
	s_mov_b32 s16, 0
                                        ; implicit-def: $vgpr8
	s_cbranch_execnz .LBB14_1697
	s_branch .LBB14_1727
.LBB14_1662:
	s_mov_b32 s19, -1
	s_mov_b32 s18, 0
	s_mov_b32 s16, 0
                                        ; implicit-def: $vgpr8
	s_branch .LBB14_1680
.LBB14_1663:
	s_mov_b32 s19, -1
	s_mov_b32 s18, 0
	s_mov_b32 s16, 0
                                        ; implicit-def: $vgpr8
	s_branch .LBB14_1675
.LBB14_1664:
	s_or_b32 s12, s15, exec_lo
	s_trap 2
	s_cbranch_execz .LBB14_1605
	s_branch .LBB14_1606
.LBB14_1665:
	s_mov_b32 s19, -1
	s_mov_b32 s18, 0
	s_mov_b32 s16, 0
	s_branch .LBB14_1669
.LBB14_1666:
	s_and_not1_saveexec_b32 s23, s23
	s_cbranch_execz .LBB14_1456
.LBB14_1667:
	v_add_f32_e64 v1, 0x42800000, |v0|
	s_and_not1_b32 s22, s22, exec_lo
	s_delay_alu instid0(VALU_DEP_1) | instskip(NEXT) | instid1(VALU_DEP_1)
	v_and_b32_e32 v1, 0xff, v1
	v_cmp_ne_u32_e32 vcc_lo, 0, v1
	s_and_b32 s24, vcc_lo, exec_lo
	s_delay_alu instid0(SALU_CYCLE_1)
	s_or_b32 s22, s22, s24
	s_or_b32 exec_lo, exec_lo, s23
	v_mov_b32_e32 v4, 0
	s_and_saveexec_b32 s23, s22
	s_cbranch_execnz .LBB14_1457
	s_branch .LBB14_1458
.LBB14_1668:
	s_mov_b32 s16, -1
	s_mov_b32 s18, 0
.LBB14_1669:
                                        ; implicit-def: $vgpr8
.LBB14_1670:
	s_and_b32 vcc_lo, exec_lo, s19
	s_cbranch_vccz .LBB14_1674
; %bb.1671:
	s_cmp_eq_u32 s13, 44
	s_cbranch_scc0 .LBB14_1673
; %bb.1672:
	global_load_u8 v1, v[6:7], off
	s_mov_b32 s16, 0
	s_mov_b32 s18, -1
	s_wait_loadcnt 0x0
	v_lshlrev_b32_e32 v3, 23, v1
	v_cmp_ne_u32_e32 vcc_lo, 0, v1
	s_delay_alu instid0(VALU_DEP_2) | instskip(NEXT) | instid1(VALU_DEP_1)
	v_cvt_i32_f32_e32 v3, v3
	v_cndmask_b32_e32 v8, 0, v3, vcc_lo
	s_branch .LBB14_1674
.LBB14_1673:
	s_mov_b32 s16, -1
                                        ; implicit-def: $vgpr8
.LBB14_1674:
	s_mov_b32 s19, 0
.LBB14_1675:
	s_delay_alu instid0(SALU_CYCLE_1)
	s_and_b32 vcc_lo, exec_lo, s19
	s_cbranch_vccz .LBB14_1679
; %bb.1676:
	s_cmp_eq_u32 s13, 29
	s_cbranch_scc0 .LBB14_1678
; %bb.1677:
	global_load_b64 v[8:9], v[6:7], off
	s_mov_b32 s16, 0
	s_mov_b32 s18, -1
	s_branch .LBB14_1679
.LBB14_1678:
	s_mov_b32 s16, -1
                                        ; implicit-def: $vgpr8
.LBB14_1679:
	s_mov_b32 s19, 0
.LBB14_1680:
	s_delay_alu instid0(SALU_CYCLE_1)
	s_and_b32 vcc_lo, exec_lo, s19
	s_cbranch_vccz .LBB14_1696
; %bb.1681:
	s_cmp_lt_i32 s13, 27
	s_cbranch_scc1 .LBB14_1684
; %bb.1682:
	s_cmp_gt_i32 s13, 27
	s_cbranch_scc0 .LBB14_1685
; %bb.1683:
	s_wait_loadcnt 0x0
	global_load_b32 v8, v[6:7], off
	s_mov_b32 s18, 0
	s_branch .LBB14_1686
.LBB14_1684:
	s_mov_b32 s18, -1
                                        ; implicit-def: $vgpr8
	s_branch .LBB14_1689
.LBB14_1685:
	s_mov_b32 s18, -1
                                        ; implicit-def: $vgpr8
.LBB14_1686:
	s_delay_alu instid0(SALU_CYCLE_1)
	s_and_not1_b32 vcc_lo, exec_lo, s18
	s_cbranch_vccnz .LBB14_1688
; %bb.1687:
	s_wait_loadcnt 0x0
	global_load_u16 v8, v[6:7], off
.LBB14_1688:
	s_mov_b32 s18, 0
.LBB14_1689:
	s_delay_alu instid0(SALU_CYCLE_1)
	s_and_not1_b32 vcc_lo, exec_lo, s18
	s_cbranch_vccnz .LBB14_1695
; %bb.1690:
	global_load_u8 v1, v[6:7], off
	s_mov_b32 s19, 0
	s_mov_b32 s18, exec_lo
	s_wait_loadcnt 0x0
	v_cmpx_lt_i16_e32 0x7f, v1
	s_xor_b32 s18, exec_lo, s18
	s_cbranch_execz .LBB14_1706
; %bb.1691:
	v_cmp_ne_u16_e32 vcc_lo, 0x80, v1
	s_and_b32 s19, vcc_lo, exec_lo
	s_and_not1_saveexec_b32 s18, s18
	s_cbranch_execnz .LBB14_1707
.LBB14_1692:
	s_or_b32 exec_lo, exec_lo, s18
	v_mov_b32_e32 v8, 0
	s_and_saveexec_b32 s18, s19
	s_cbranch_execz .LBB14_1694
.LBB14_1693:
	v_and_b32_e32 v3, 0xffff, v1
	s_delay_alu instid0(VALU_DEP_1) | instskip(SKIP_1) | instid1(VALU_DEP_2)
	v_and_b32_e32 v5, 7, v3
	v_bfe_u32 v11, v3, 3, 4
	v_clz_i32_u32_e32 v8, v5
	s_delay_alu instid0(VALU_DEP_2) | instskip(NEXT) | instid1(VALU_DEP_2)
	v_cmp_eq_u32_e32 vcc_lo, 0, v11
	v_min_u32_e32 v8, 32, v8
	s_delay_alu instid0(VALU_DEP_1) | instskip(NEXT) | instid1(VALU_DEP_1)
	v_subrev_nc_u32_e32 v9, 28, v8
	v_dual_lshlrev_b32 v3, v9, v3 :: v_dual_sub_nc_u32 v8, 29, v8
	s_delay_alu instid0(VALU_DEP_1) | instskip(NEXT) | instid1(VALU_DEP_1)
	v_dual_lshlrev_b32 v1, 24, v1 :: v_dual_bitop2_b32 v3, 7, v3 bitop3:0x40
	v_dual_cndmask_b32 v8, v11, v8 :: v_dual_cndmask_b32 v3, v5, v3
	s_delay_alu instid0(VALU_DEP_2) | instskip(NEXT) | instid1(VALU_DEP_2)
	v_and_b32_e32 v1, 0x80000000, v1
	v_lshl_add_u32 v5, v8, 23, 0x3b800000
	s_delay_alu instid0(VALU_DEP_3) | instskip(NEXT) | instid1(VALU_DEP_1)
	v_lshlrev_b32_e32 v3, 20, v3
	v_or3_b32 v1, v1, v5, v3
	s_delay_alu instid0(VALU_DEP_1)
	v_cvt_i32_f32_e32 v8, v1
.LBB14_1694:
	s_or_b32 exec_lo, exec_lo, s18
.LBB14_1695:
	s_mov_b32 s18, -1
.LBB14_1696:
	s_branch .LBB14_1727
.LBB14_1697:
	s_cmp_gt_i32 s13, 22
	s_cbranch_scc0 .LBB14_1705
; %bb.1698:
	s_cmp_lt_i32 s13, 24
	s_cbranch_scc1 .LBB14_1708
; %bb.1699:
	s_cmp_gt_i32 s13, 24
	s_cbranch_scc0 .LBB14_1709
; %bb.1700:
	global_load_u8 v1, v[6:7], off
	s_mov_b32 s18, 0
	s_mov_b32 s17, exec_lo
	s_wait_loadcnt 0x0
	v_cmpx_lt_i16_e32 0x7f, v1
	s_xor_b32 s17, exec_lo, s17
	s_cbranch_execz .LBB14_1721
; %bb.1701:
	v_cmp_ne_u16_e32 vcc_lo, 0x80, v1
	s_and_b32 s18, vcc_lo, exec_lo
	s_and_not1_saveexec_b32 s17, s17
	s_cbranch_execnz .LBB14_1722
.LBB14_1702:
	s_or_b32 exec_lo, exec_lo, s17
	v_mov_b32_e32 v8, 0
	s_and_saveexec_b32 s17, s18
	s_cbranch_execz .LBB14_1704
.LBB14_1703:
	v_and_b32_e32 v3, 0xffff, v1
	s_delay_alu instid0(VALU_DEP_1) | instskip(SKIP_1) | instid1(VALU_DEP_2)
	v_and_b32_e32 v5, 3, v3
	v_bfe_u32 v11, v3, 2, 5
	v_clz_i32_u32_e32 v8, v5
	s_delay_alu instid0(VALU_DEP_2) | instskip(NEXT) | instid1(VALU_DEP_2)
	v_cmp_eq_u32_e32 vcc_lo, 0, v11
	v_min_u32_e32 v8, 32, v8
	s_delay_alu instid0(VALU_DEP_1) | instskip(NEXT) | instid1(VALU_DEP_1)
	v_subrev_nc_u32_e32 v9, 29, v8
	v_dual_lshlrev_b32 v3, v9, v3 :: v_dual_sub_nc_u32 v8, 30, v8
	s_delay_alu instid0(VALU_DEP_1) | instskip(NEXT) | instid1(VALU_DEP_1)
	v_dual_lshlrev_b32 v1, 24, v1 :: v_dual_bitop2_b32 v3, 3, v3 bitop3:0x40
	v_dual_cndmask_b32 v8, v11, v8 :: v_dual_cndmask_b32 v3, v5, v3
	s_delay_alu instid0(VALU_DEP_2) | instskip(NEXT) | instid1(VALU_DEP_2)
	v_and_b32_e32 v1, 0x80000000, v1
	v_lshl_add_u32 v5, v8, 23, 0x37800000
	s_delay_alu instid0(VALU_DEP_3) | instskip(NEXT) | instid1(VALU_DEP_1)
	v_lshlrev_b32_e32 v3, 21, v3
	v_or3_b32 v1, v1, v5, v3
	s_delay_alu instid0(VALU_DEP_1)
	v_cvt_i32_f32_e32 v8, v1
.LBB14_1704:
	s_or_b32 exec_lo, exec_lo, s17
	s_mov_b32 s17, 0
	s_branch .LBB14_1710
.LBB14_1705:
	s_mov_b32 s17, -1
                                        ; implicit-def: $vgpr8
	s_branch .LBB14_1716
.LBB14_1706:
	s_and_not1_saveexec_b32 s18, s18
	s_cbranch_execz .LBB14_1692
.LBB14_1707:
	v_cmp_ne_u16_e32 vcc_lo, 0, v1
	s_and_not1_b32 s19, s19, exec_lo
	s_and_b32 s20, vcc_lo, exec_lo
	s_delay_alu instid0(SALU_CYCLE_1)
	s_or_b32 s19, s19, s20
	s_or_b32 exec_lo, exec_lo, s18
	v_mov_b32_e32 v8, 0
	s_and_saveexec_b32 s18, s19
	s_cbranch_execnz .LBB14_1693
	s_branch .LBB14_1694
.LBB14_1708:
	s_mov_b32 s17, -1
                                        ; implicit-def: $vgpr8
	s_branch .LBB14_1713
.LBB14_1709:
	s_mov_b32 s17, -1
                                        ; implicit-def: $vgpr8
.LBB14_1710:
	s_delay_alu instid0(SALU_CYCLE_1)
	s_and_b32 vcc_lo, exec_lo, s17
	s_cbranch_vccz .LBB14_1712
; %bb.1711:
	global_load_u8 v1, v[6:7], off
	s_wait_loadcnt 0x0
	v_lshlrev_b32_e32 v1, 24, v1
	s_delay_alu instid0(VALU_DEP_1) | instskip(NEXT) | instid1(VALU_DEP_1)
	v_and_b32_e32 v3, 0x7f000000, v1
	v_clz_i32_u32_e32 v5, v3
	v_add_nc_u32_e32 v9, 0x1000000, v3
	v_cmp_ne_u32_e32 vcc_lo, 0, v3
	s_delay_alu instid0(VALU_DEP_3) | instskip(NEXT) | instid1(VALU_DEP_1)
	v_min_u32_e32 v5, 32, v5
	v_sub_nc_u32_e64 v5, v5, 4 clamp
	s_delay_alu instid0(VALU_DEP_1) | instskip(NEXT) | instid1(VALU_DEP_1)
	v_dual_lshlrev_b32 v8, v5, v3 :: v_dual_lshlrev_b32 v5, 23, v5
	v_lshrrev_b32_e32 v8, 4, v8
	s_delay_alu instid0(VALU_DEP_1) | instskip(SKIP_1) | instid1(VALU_DEP_2)
	v_sub_nc_u32_e32 v5, v8, v5
	v_ashrrev_i32_e32 v8, 8, v9
	v_add_nc_u32_e32 v5, 0x3c000000, v5
	s_delay_alu instid0(VALU_DEP_1) | instskip(NEXT) | instid1(VALU_DEP_1)
	v_and_or_b32 v5, 0x7f800000, v8, v5
	v_cndmask_b32_e32 v3, 0, v5, vcc_lo
	s_delay_alu instid0(VALU_DEP_1) | instskip(NEXT) | instid1(VALU_DEP_1)
	v_and_or_b32 v1, 0x80000000, v1, v3
	v_cvt_i32_f32_e32 v8, v1
.LBB14_1712:
	s_mov_b32 s17, 0
.LBB14_1713:
	s_delay_alu instid0(SALU_CYCLE_1)
	s_and_not1_b32 vcc_lo, exec_lo, s17
	s_cbranch_vccnz .LBB14_1715
; %bb.1714:
	global_load_u8 v1, v[6:7], off
	s_wait_loadcnt 0x0
	v_lshlrev_b32_e32 v3, 25, v1
	v_lshlrev_b16 v1, 8, v1
	s_delay_alu instid0(VALU_DEP_1) | instskip(SKIP_1) | instid1(VALU_DEP_2)
	v_and_or_b32 v8, 0x7f00, v1, 0.5
	v_bfe_i32 v1, v1, 0, 16
	v_dual_add_f32 v8, -0.5, v8 :: v_dual_lshrrev_b32 v5, 4, v3
	v_cmp_gt_u32_e32 vcc_lo, 0x8000000, v3
	s_delay_alu instid0(VALU_DEP_2) | instskip(NEXT) | instid1(VALU_DEP_1)
	v_or_b32_e32 v5, 0x70000000, v5
	v_mul_f32_e32 v5, 0x7800000, v5
	s_delay_alu instid0(VALU_DEP_1) | instskip(NEXT) | instid1(VALU_DEP_1)
	v_cndmask_b32_e32 v3, v5, v8, vcc_lo
	v_and_or_b32 v1, 0x80000000, v1, v3
	s_delay_alu instid0(VALU_DEP_1)
	v_cvt_i32_f32_e32 v8, v1
.LBB14_1715:
	s_mov_b32 s17, 0
	s_mov_b32 s18, -1
.LBB14_1716:
	s_and_not1_b32 vcc_lo, exec_lo, s17
	s_mov_b32 s17, 0
	s_cbranch_vccnz .LBB14_1727
; %bb.1717:
	s_cmp_gt_i32 s13, 14
	s_cbranch_scc0 .LBB14_1720
; %bb.1718:
	s_cmp_eq_u32 s13, 15
	s_cbranch_scc0 .LBB14_1723
; %bb.1719:
	global_load_u16 v1, v[6:7], off
	s_mov_b32 s16, 0
	s_mov_b32 s18, -1
	s_wait_loadcnt 0x0
	v_lshlrev_b32_e32 v1, 16, v1
	s_delay_alu instid0(VALU_DEP_1)
	v_cvt_i32_f32_e32 v8, v1
	s_branch .LBB14_1725
.LBB14_1720:
	s_mov_b32 s17, -1
	s_branch .LBB14_1724
.LBB14_1721:
	s_and_not1_saveexec_b32 s17, s17
	s_cbranch_execz .LBB14_1702
.LBB14_1722:
	v_cmp_ne_u16_e32 vcc_lo, 0, v1
	s_and_not1_b32 s18, s18, exec_lo
	s_and_b32 s19, vcc_lo, exec_lo
	s_delay_alu instid0(SALU_CYCLE_1)
	s_or_b32 s18, s18, s19
	s_or_b32 exec_lo, exec_lo, s17
	v_mov_b32_e32 v8, 0
	s_and_saveexec_b32 s17, s18
	s_cbranch_execnz .LBB14_1703
	s_branch .LBB14_1704
.LBB14_1723:
	s_mov_b32 s16, -1
.LBB14_1724:
                                        ; implicit-def: $vgpr8
.LBB14_1725:
	s_and_b32 vcc_lo, exec_lo, s17
	s_mov_b32 s17, 0
	s_cbranch_vccz .LBB14_1727
; %bb.1726:
	s_cmp_lg_u32 s13, 11
	s_mov_b32 s17, -1
	s_cselect_b32 s16, -1, 0
.LBB14_1727:
	s_delay_alu instid0(SALU_CYCLE_1)
	s_and_b32 vcc_lo, exec_lo, s16
	s_cbranch_vccnz .LBB14_1794
; %bb.1728:
	s_and_not1_b32 vcc_lo, exec_lo, s17
	s_cbranch_vccnz .LBB14_1730
.LBB14_1729:
	global_load_u8 v1, v[6:7], off
	s_mov_b32 s18, -1
	s_wait_loadcnt 0x0
	v_cmp_ne_u16_e32 vcc_lo, 0, v1
	v_cndmask_b32_e64 v8, 0, 1, vcc_lo
.LBB14_1730:
	s_branch .LBB14_1660
.LBB14_1731:
	s_and_b32 s13, 0xffff, s1
	s_delay_alu instid0(SALU_CYCLE_1)
	s_cmp_lt_i32 s13, 5
	s_cbranch_scc1 .LBB14_1736
; %bb.1732:
	s_cmp_lt_i32 s13, 8
	s_cbranch_scc1 .LBB14_1737
; %bb.1733:
	;; [unrolled: 3-line block ×3, first 2 shown]
	s_cmp_gt_i32 s13, 9
	s_cbranch_scc0 .LBB14_1739
; %bb.1735:
	s_wait_loadcnt 0x0
	global_load_b64 v[8:9], v[6:7], off
	s_mov_b32 s16, 0
	s_wait_loadcnt 0x0
	v_cvt_i32_f64_e32 v8, v[8:9]
	s_branch .LBB14_1740
.LBB14_1736:
                                        ; implicit-def: $vgpr8
	s_branch .LBB14_1758
.LBB14_1737:
	s_mov_b32 s16, -1
                                        ; implicit-def: $vgpr8
	s_branch .LBB14_1746
.LBB14_1738:
	s_mov_b32 s16, -1
                                        ; implicit-def: $vgpr8
	s_branch .LBB14_1743
.LBB14_1739:
	s_mov_b32 s16, -1
                                        ; implicit-def: $vgpr8
.LBB14_1740:
	s_delay_alu instid0(SALU_CYCLE_1)
	s_and_not1_b32 vcc_lo, exec_lo, s16
	s_cbranch_vccnz .LBB14_1742
; %bb.1741:
	global_load_b32 v1, v[6:7], off
	s_wait_loadcnt 0x0
	v_cvt_i32_f32_e32 v8, v1
.LBB14_1742:
	s_mov_b32 s16, 0
.LBB14_1743:
	s_delay_alu instid0(SALU_CYCLE_1)
	s_and_not1_b32 vcc_lo, exec_lo, s16
	s_cbranch_vccnz .LBB14_1745
; %bb.1744:
	global_load_b32 v1, v[6:7], off
	s_wait_loadcnt 0x0
	v_cvt_i16_f16_e32 v8, v1
.LBB14_1745:
	s_mov_b32 s16, 0
.LBB14_1746:
	s_delay_alu instid0(SALU_CYCLE_1)
	s_and_not1_b32 vcc_lo, exec_lo, s16
	s_cbranch_vccnz .LBB14_1757
; %bb.1747:
	s_cmp_lt_i32 s13, 6
	s_cbranch_scc1 .LBB14_1750
; %bb.1748:
	s_cmp_gt_i32 s13, 6
	s_cbranch_scc0 .LBB14_1751
; %bb.1749:
	s_wait_loadcnt 0x0
	global_load_b64 v[8:9], v[6:7], off
	s_mov_b32 s16, 0
	s_wait_loadcnt 0x0
	v_cvt_i32_f64_e32 v8, v[8:9]
	s_branch .LBB14_1752
.LBB14_1750:
	s_mov_b32 s16, -1
                                        ; implicit-def: $vgpr8
	s_branch .LBB14_1755
.LBB14_1751:
	s_mov_b32 s16, -1
                                        ; implicit-def: $vgpr8
.LBB14_1752:
	s_delay_alu instid0(SALU_CYCLE_1)
	s_and_not1_b32 vcc_lo, exec_lo, s16
	s_cbranch_vccnz .LBB14_1754
; %bb.1753:
	global_load_b32 v1, v[6:7], off
	s_wait_loadcnt 0x0
	v_cvt_i32_f32_e32 v8, v1
.LBB14_1754:
	s_mov_b32 s16, 0
.LBB14_1755:
	s_delay_alu instid0(SALU_CYCLE_1)
	s_and_not1_b32 vcc_lo, exec_lo, s16
	s_cbranch_vccnz .LBB14_1757
; %bb.1756:
	global_load_u16 v1, v[6:7], off
	s_wait_loadcnt 0x0
	v_cvt_i16_f16_e32 v8, v1
.LBB14_1757:
	s_cbranch_execnz .LBB14_1777
.LBB14_1758:
	s_cmp_lt_i32 s13, 2
	s_cbranch_scc1 .LBB14_1762
; %bb.1759:
	s_cmp_lt_i32 s13, 3
	s_cbranch_scc1 .LBB14_1763
; %bb.1760:
	s_cmp_gt_i32 s13, 3
	s_cbranch_scc0 .LBB14_1764
; %bb.1761:
	s_wait_loadcnt 0x0
	global_load_b64 v[8:9], v[6:7], off
	s_mov_b32 s16, 0
	s_branch .LBB14_1765
.LBB14_1762:
	s_mov_b32 s16, -1
                                        ; implicit-def: $vgpr8
	s_branch .LBB14_1771
.LBB14_1763:
	s_mov_b32 s16, -1
                                        ; implicit-def: $vgpr8
	s_branch .LBB14_1768
.LBB14_1764:
	s_mov_b32 s16, -1
                                        ; implicit-def: $vgpr8
.LBB14_1765:
	s_delay_alu instid0(SALU_CYCLE_1)
	s_and_not1_b32 vcc_lo, exec_lo, s16
	s_cbranch_vccnz .LBB14_1767
; %bb.1766:
	s_wait_loadcnt 0x0
	global_load_b32 v8, v[6:7], off
.LBB14_1767:
	s_mov_b32 s16, 0
.LBB14_1768:
	s_delay_alu instid0(SALU_CYCLE_1)
	s_and_not1_b32 vcc_lo, exec_lo, s16
	s_cbranch_vccnz .LBB14_1770
; %bb.1769:
	s_wait_loadcnt 0x0
	global_load_u16 v8, v[6:7], off
.LBB14_1770:
	s_mov_b32 s16, 0
.LBB14_1771:
	s_delay_alu instid0(SALU_CYCLE_1)
	s_and_not1_b32 vcc_lo, exec_lo, s16
	s_cbranch_vccnz .LBB14_1777
; %bb.1772:
	s_cmp_gt_i32 s13, 0
	s_mov_b32 s13, 0
	s_cbranch_scc0 .LBB14_1774
; %bb.1773:
	s_wait_loadcnt 0x0
	global_load_u8 v8, v[6:7], off
	s_branch .LBB14_1775
.LBB14_1774:
	s_mov_b32 s13, -1
                                        ; implicit-def: $vgpr8
.LBB14_1775:
	s_delay_alu instid0(SALU_CYCLE_1)
	s_and_not1_b32 vcc_lo, exec_lo, s13
	s_cbranch_vccnz .LBB14_1777
; %bb.1776:
	s_wait_loadcnt 0x0
	global_load_u8 v8, v[6:7], off
.LBB14_1777:
.LBB14_1778:
	s_wait_loadcnt 0x0
	s_delay_alu instid0(VALU_DEP_1) | instskip(SKIP_3) | instid1(VALU_DEP_2)
	v_bfe_i32 v1, v8, 0, 8
	v_and_b32_e32 v5, 0xff, v4
	s_mov_b32 s16, 0
	s_mov_b32 s13, exec_lo
	v_sub_nc_u16 v3, 0, v1
	s_delay_alu instid0(VALU_DEP_1)
	v_max_i16 v11, v1, v3
	s_wait_xcnt 0x0
	v_cmpx_ne_u16_e32 0, v5
	s_cbranch_execz .LBB14_1782
; %bb.1779:
	v_bfe_i32 v1, v4, 0, 8
	s_delay_alu instid0(VALU_DEP_1) | instskip(NEXT) | instid1(VALU_DEP_1)
	v_sub_nc_u16 v3, 0, v1
	v_max_i16 v3, v1, v3
	v_and_b32_e32 v1, 0xff, v11
	s_delay_alu instid0(VALU_DEP_2)
	v_and_b32_e32 v3, 0xffff, v3
.LBB14_1780:                            ; =>This Inner Loop Header: Depth=1
	s_delay_alu instid0(VALU_DEP_2) | instskip(NEXT) | instid1(VALU_DEP_2)
	v_bfe_i32 v5, v1, 0, 8
	v_mov_b32_e32 v11, v3
	s_delay_alu instid0(VALU_DEP_2) | instskip(NEXT) | instid1(VALU_DEP_2)
	v_cvt_f32_i32_e32 v7, v5
	v_bfe_i32 v3, v11, 0, 8
	s_delay_alu instid0(VALU_DEP_1) | instskip(SKIP_1) | instid1(VALU_DEP_2)
	v_cvt_f32_i32_e32 v4, v3
	v_xor_b32_e32 v3, v5, v3
	v_rcp_iflag_f32_e32 v6, v4
	v_nop
	s_delay_alu instid0(TRANS32_DEP_1) | instskip(NEXT) | instid1(VALU_DEP_1)
	v_dual_ashrrev_i32 v3, 30, v3 :: v_dual_mul_f32 v5, v7, v6
	v_trunc_f32_e32 v5, v5
	s_delay_alu instid0(VALU_DEP_1) | instskip(SKIP_1) | instid1(VALU_DEP_2)
	v_dual_fma_f32 v6, -v5, v4, v7 :: v_dual_bitop2_b32 v3, 1, v3 bitop3:0x54
	v_cvt_i32_f32_e32 v5, v5
	v_cmp_ge_f32_e64 vcc_lo, |v6|, |v4|
	s_delay_alu instid0(VALU_DEP_3) | instskip(NEXT) | instid1(VALU_DEP_1)
	v_cndmask_b32_e32 v3, 0, v3, vcc_lo
	v_add_nc_u32_e32 v3, v5, v3
	s_delay_alu instid0(VALU_DEP_1) | instskip(NEXT) | instid1(VALU_DEP_1)
	v_mul_lo_u32 v3, v3, v11
	v_sub_nc_u32_e32 v1, v1, v3
	s_delay_alu instid0(VALU_DEP_1) | instskip(SKIP_1) | instid1(VALU_DEP_2)
	v_bfe_i32 v3, v1, 0, 8
	v_mov_b32_e32 v1, v11
	v_cmp_eq_u16_e32 vcc_lo, 0, v3
	v_and_b32_e32 v3, 0xffff, v3
	s_or_b32 s16, vcc_lo, s16
	s_delay_alu instid0(SALU_CYCLE_1)
	s_and_not1_b32 exec_lo, exec_lo, s16
	s_cbranch_execnz .LBB14_1780
; %bb.1781:
	s_or_b32 exec_lo, exec_lo, s16
.LBB14_1782:
	s_delay_alu instid0(SALU_CYCLE_1) | instskip(SKIP_3) | instid1(VALU_DEP_1)
	s_or_b32 exec_lo, exec_lo, s13
	s_lshl_b32 s9, s9, 7
	s_cmp_lt_i32 s0, 11
	v_add_nc_u32_e32 v0, s9, v0
	v_ashrrev_i32_e32 v1, 31, v0
	s_delay_alu instid0(VALU_DEP_1)
	v_add_nc_u64_e32 v[6:7], s[6:7], v[0:1]
	s_cbranch_scc1 .LBB14_1789
; %bb.1783:
	s_and_b32 s13, 0xffff, s0
	s_mov_b32 s17, 0
	s_cmp_gt_i32 s13, 25
	s_cbranch_scc0 .LBB14_1791
; %bb.1784:
	s_cmp_gt_i32 s13, 28
	s_cbranch_scc0 .LBB14_1792
; %bb.1785:
	;; [unrolled: 3-line block ×4, first 2 shown]
	s_cmp_eq_u32 s13, 46
	s_mov_b32 s19, 0
	s_cbranch_scc0 .LBB14_1796
; %bb.1788:
	global_load_b32 v1, v[6:7], off
	s_mov_b32 s16, 0
	s_mov_b32 s18, -1
	s_wait_loadcnt 0x0
	v_lshlrev_b32_e32 v1, 16, v1
	s_delay_alu instid0(VALU_DEP_1)
	v_cvt_i32_f32_e32 v4, v1
	s_branch .LBB14_1798
.LBB14_1789:
	s_mov_b32 s18, 0
                                        ; implicit-def: $vgpr4
	s_cbranch_execnz .LBB14_1860
.LBB14_1790:
	s_and_not1_b32 vcc_lo, exec_lo, s18
	s_cbranch_vccnz .LBB14_2635
	s_branch .LBB14_1908
.LBB14_1791:
	s_mov_b32 s19, -1
	s_mov_b32 s18, 0
	s_mov_b32 s16, 0
                                        ; implicit-def: $vgpr4
	s_branch .LBB14_1825
.LBB14_1792:
	s_mov_b32 s19, -1
	s_mov_b32 s18, 0
	s_mov_b32 s16, 0
                                        ; implicit-def: $vgpr4
	s_branch .LBB14_1808
.LBB14_1793:
	s_mov_b32 s19, -1
	s_mov_b32 s18, 0
	s_mov_b32 s16, 0
                                        ; implicit-def: $vgpr4
	s_branch .LBB14_1803
.LBB14_1794:
	s_or_b32 s12, s12, exec_lo
	s_trap 2
	s_cbranch_execz .LBB14_1729
	s_branch .LBB14_1730
.LBB14_1795:
	s_mov_b32 s19, -1
	s_mov_b32 s18, 0
	s_mov_b32 s16, 0
	s_branch .LBB14_1797
.LBB14_1796:
	s_mov_b32 s16, -1
	s_mov_b32 s18, 0
.LBB14_1797:
                                        ; implicit-def: $vgpr4
.LBB14_1798:
	s_and_b32 vcc_lo, exec_lo, s19
	s_cbranch_vccz .LBB14_1802
; %bb.1799:
	s_cmp_eq_u32 s13, 44
	s_cbranch_scc0 .LBB14_1801
; %bb.1800:
	global_load_u8 v1, v[6:7], off
	s_mov_b32 s16, 0
	s_mov_b32 s18, -1
	s_wait_loadcnt 0x0
	v_lshlrev_b32_e32 v3, 23, v1
	v_cmp_ne_u32_e32 vcc_lo, 0, v1
	s_delay_alu instid0(VALU_DEP_2) | instskip(NEXT) | instid1(VALU_DEP_1)
	v_cvt_i32_f32_e32 v3, v3
	v_cndmask_b32_e32 v4, 0, v3, vcc_lo
	s_branch .LBB14_1802
.LBB14_1801:
	s_mov_b32 s16, -1
                                        ; implicit-def: $vgpr4
.LBB14_1802:
	s_mov_b32 s19, 0
.LBB14_1803:
	s_delay_alu instid0(SALU_CYCLE_1)
	s_and_b32 vcc_lo, exec_lo, s19
	s_cbranch_vccz .LBB14_1807
; %bb.1804:
	s_cmp_eq_u32 s13, 29
	s_cbranch_scc0 .LBB14_1806
; %bb.1805:
	global_load_b64 v[4:5], v[6:7], off
	s_mov_b32 s16, 0
	s_mov_b32 s18, -1
	s_branch .LBB14_1807
.LBB14_1806:
	s_mov_b32 s16, -1
                                        ; implicit-def: $vgpr4
.LBB14_1807:
	s_mov_b32 s19, 0
.LBB14_1808:
	s_delay_alu instid0(SALU_CYCLE_1)
	s_and_b32 vcc_lo, exec_lo, s19
	s_cbranch_vccz .LBB14_1824
; %bb.1809:
	s_cmp_lt_i32 s13, 27
	s_cbranch_scc1 .LBB14_1812
; %bb.1810:
	s_cmp_gt_i32 s13, 27
	s_cbranch_scc0 .LBB14_1813
; %bb.1811:
	s_wait_loadcnt 0x0
	global_load_b32 v4, v[6:7], off
	s_mov_b32 s18, 0
	s_branch .LBB14_1814
.LBB14_1812:
	s_mov_b32 s18, -1
                                        ; implicit-def: $vgpr4
	s_branch .LBB14_1817
.LBB14_1813:
	s_mov_b32 s18, -1
                                        ; implicit-def: $vgpr4
.LBB14_1814:
	s_delay_alu instid0(SALU_CYCLE_1)
	s_and_not1_b32 vcc_lo, exec_lo, s18
	s_cbranch_vccnz .LBB14_1816
; %bb.1815:
	s_wait_loadcnt 0x0
	global_load_u16 v4, v[6:7], off
.LBB14_1816:
	s_mov_b32 s18, 0
.LBB14_1817:
	s_delay_alu instid0(SALU_CYCLE_1)
	s_and_not1_b32 vcc_lo, exec_lo, s18
	s_cbranch_vccnz .LBB14_1823
; %bb.1818:
	global_load_u8 v1, v[6:7], off
	s_mov_b32 s19, 0
	s_mov_b32 s18, exec_lo
	s_wait_loadcnt 0x0
	v_cmpx_lt_i16_e32 0x7f, v1
	s_xor_b32 s18, exec_lo, s18
	s_cbranch_execz .LBB14_1835
; %bb.1819:
	v_cmp_ne_u16_e32 vcc_lo, 0x80, v1
	s_and_b32 s19, vcc_lo, exec_lo
	s_and_not1_saveexec_b32 s18, s18
	s_cbranch_execnz .LBB14_1836
.LBB14_1820:
	s_or_b32 exec_lo, exec_lo, s18
	v_mov_b32_e32 v4, 0
	s_and_saveexec_b32 s18, s19
	s_cbranch_execz .LBB14_1822
.LBB14_1821:
	v_and_b32_e32 v3, 0xffff, v1
	s_delay_alu instid0(VALU_DEP_1) | instskip(SKIP_1) | instid1(VALU_DEP_2)
	v_and_b32_e32 v4, 7, v3
	v_bfe_u32 v9, v3, 3, 4
	v_clz_i32_u32_e32 v5, v4
	s_delay_alu instid0(VALU_DEP_2) | instskip(NEXT) | instid1(VALU_DEP_2)
	v_cmp_eq_u32_e32 vcc_lo, 0, v9
	v_min_u32_e32 v5, 32, v5
	s_delay_alu instid0(VALU_DEP_1) | instskip(NEXT) | instid1(VALU_DEP_1)
	v_subrev_nc_u32_e32 v8, 28, v5
	v_dual_lshlrev_b32 v3, v8, v3 :: v_dual_sub_nc_u32 v5, 29, v5
	s_delay_alu instid0(VALU_DEP_1) | instskip(NEXT) | instid1(VALU_DEP_1)
	v_dual_lshlrev_b32 v1, 24, v1 :: v_dual_bitop2_b32 v3, 7, v3 bitop3:0x40
	v_dual_cndmask_b32 v3, v4, v3, vcc_lo :: v_dual_cndmask_b32 v5, v9, v5, vcc_lo
	s_delay_alu instid0(VALU_DEP_2) | instskip(NEXT) | instid1(VALU_DEP_2)
	v_and_b32_e32 v1, 0x80000000, v1
	v_lshlrev_b32_e32 v3, 20, v3
	s_delay_alu instid0(VALU_DEP_3) | instskip(NEXT) | instid1(VALU_DEP_1)
	v_lshl_add_u32 v4, v5, 23, 0x3b800000
	v_or3_b32 v1, v1, v4, v3
	s_delay_alu instid0(VALU_DEP_1)
	v_cvt_i32_f32_e32 v4, v1
.LBB14_1822:
	s_or_b32 exec_lo, exec_lo, s18
.LBB14_1823:
	s_mov_b32 s18, -1
.LBB14_1824:
	s_mov_b32 s19, 0
.LBB14_1825:
	s_delay_alu instid0(SALU_CYCLE_1)
	s_and_b32 vcc_lo, exec_lo, s19
	s_cbranch_vccz .LBB14_1856
; %bb.1826:
	s_cmp_gt_i32 s13, 22
	s_cbranch_scc0 .LBB14_1834
; %bb.1827:
	s_cmp_lt_i32 s13, 24
	s_cbranch_scc1 .LBB14_1837
; %bb.1828:
	s_cmp_gt_i32 s13, 24
	s_cbranch_scc0 .LBB14_1838
; %bb.1829:
	global_load_u8 v1, v[6:7], off
	s_mov_b32 s18, 0
	s_mov_b32 s17, exec_lo
	s_wait_loadcnt 0x0
	v_cmpx_lt_i16_e32 0x7f, v1
	s_xor_b32 s17, exec_lo, s17
	s_cbranch_execz .LBB14_1850
; %bb.1830:
	v_cmp_ne_u16_e32 vcc_lo, 0x80, v1
	s_and_b32 s18, vcc_lo, exec_lo
	s_and_not1_saveexec_b32 s17, s17
	s_cbranch_execnz .LBB14_1851
.LBB14_1831:
	s_or_b32 exec_lo, exec_lo, s17
	v_mov_b32_e32 v4, 0
	s_and_saveexec_b32 s17, s18
	s_cbranch_execz .LBB14_1833
.LBB14_1832:
	v_and_b32_e32 v3, 0xffff, v1
	s_delay_alu instid0(VALU_DEP_1) | instskip(SKIP_1) | instid1(VALU_DEP_2)
	v_and_b32_e32 v4, 3, v3
	v_bfe_u32 v9, v3, 2, 5
	v_clz_i32_u32_e32 v5, v4
	s_delay_alu instid0(VALU_DEP_2) | instskip(NEXT) | instid1(VALU_DEP_2)
	v_cmp_eq_u32_e32 vcc_lo, 0, v9
	v_min_u32_e32 v5, 32, v5
	s_delay_alu instid0(VALU_DEP_1) | instskip(NEXT) | instid1(VALU_DEP_1)
	v_subrev_nc_u32_e32 v8, 29, v5
	v_dual_lshlrev_b32 v3, v8, v3 :: v_dual_sub_nc_u32 v5, 30, v5
	s_delay_alu instid0(VALU_DEP_1) | instskip(NEXT) | instid1(VALU_DEP_1)
	v_dual_lshlrev_b32 v1, 24, v1 :: v_dual_bitop2_b32 v3, 3, v3 bitop3:0x40
	v_dual_cndmask_b32 v3, v4, v3, vcc_lo :: v_dual_cndmask_b32 v5, v9, v5, vcc_lo
	s_delay_alu instid0(VALU_DEP_2) | instskip(NEXT) | instid1(VALU_DEP_2)
	v_and_b32_e32 v1, 0x80000000, v1
	v_lshlrev_b32_e32 v3, 21, v3
	s_delay_alu instid0(VALU_DEP_3) | instskip(NEXT) | instid1(VALU_DEP_1)
	v_lshl_add_u32 v4, v5, 23, 0x37800000
	v_or3_b32 v1, v1, v4, v3
	s_delay_alu instid0(VALU_DEP_1)
	v_cvt_i32_f32_e32 v4, v1
.LBB14_1833:
	s_or_b32 exec_lo, exec_lo, s17
	s_mov_b32 s17, 0
	s_branch .LBB14_1839
.LBB14_1834:
	s_mov_b32 s17, -1
                                        ; implicit-def: $vgpr4
	s_branch .LBB14_1845
.LBB14_1835:
	s_and_not1_saveexec_b32 s18, s18
	s_cbranch_execz .LBB14_1820
.LBB14_1836:
	v_cmp_ne_u16_e32 vcc_lo, 0, v1
	s_and_not1_b32 s19, s19, exec_lo
	s_and_b32 s20, vcc_lo, exec_lo
	s_delay_alu instid0(SALU_CYCLE_1)
	s_or_b32 s19, s19, s20
	s_or_b32 exec_lo, exec_lo, s18
	v_mov_b32_e32 v4, 0
	s_and_saveexec_b32 s18, s19
	s_cbranch_execnz .LBB14_1821
	s_branch .LBB14_1822
.LBB14_1837:
	s_mov_b32 s17, -1
                                        ; implicit-def: $vgpr4
	s_branch .LBB14_1842
.LBB14_1838:
	s_mov_b32 s17, -1
                                        ; implicit-def: $vgpr4
.LBB14_1839:
	s_delay_alu instid0(SALU_CYCLE_1)
	s_and_b32 vcc_lo, exec_lo, s17
	s_cbranch_vccz .LBB14_1841
; %bb.1840:
	global_load_u8 v1, v[6:7], off
	s_wait_loadcnt 0x0
	v_lshlrev_b32_e32 v1, 24, v1
	s_delay_alu instid0(VALU_DEP_1) | instskip(NEXT) | instid1(VALU_DEP_1)
	v_and_b32_e32 v3, 0x7f000000, v1
	v_clz_i32_u32_e32 v4, v3
	v_cmp_ne_u32_e32 vcc_lo, 0, v3
	v_add_nc_u32_e32 v8, 0x1000000, v3
	s_delay_alu instid0(VALU_DEP_3) | instskip(NEXT) | instid1(VALU_DEP_1)
	v_min_u32_e32 v4, 32, v4
	v_sub_nc_u32_e64 v4, v4, 4 clamp
	s_delay_alu instid0(VALU_DEP_1) | instskip(NEXT) | instid1(VALU_DEP_1)
	v_dual_lshlrev_b32 v5, v4, v3 :: v_dual_lshlrev_b32 v4, 23, v4
	v_lshrrev_b32_e32 v5, 4, v5
	s_delay_alu instid0(VALU_DEP_1) | instskip(SKIP_1) | instid1(VALU_DEP_2)
	v_sub_nc_u32_e32 v4, v5, v4
	v_ashrrev_i32_e32 v5, 8, v8
	v_add_nc_u32_e32 v4, 0x3c000000, v4
	s_delay_alu instid0(VALU_DEP_1) | instskip(NEXT) | instid1(VALU_DEP_1)
	v_and_or_b32 v4, 0x7f800000, v5, v4
	v_cndmask_b32_e32 v3, 0, v4, vcc_lo
	s_delay_alu instid0(VALU_DEP_1) | instskip(NEXT) | instid1(VALU_DEP_1)
	v_and_or_b32 v1, 0x80000000, v1, v3
	v_cvt_i32_f32_e32 v4, v1
.LBB14_1841:
	s_mov_b32 s17, 0
.LBB14_1842:
	s_delay_alu instid0(SALU_CYCLE_1)
	s_and_not1_b32 vcc_lo, exec_lo, s17
	s_cbranch_vccnz .LBB14_1844
; %bb.1843:
	global_load_u8 v1, v[6:7], off
	s_wait_loadcnt 0x0
	v_lshlrev_b32_e32 v3, 25, v1
	v_lshlrev_b16 v1, 8, v1
	s_delay_alu instid0(VALU_DEP_1) | instskip(NEXT) | instid1(VALU_DEP_3)
	v_and_or_b32 v5, 0x7f00, v1, 0.5
	v_lshrrev_b32_e32 v4, 4, v3
	v_bfe_i32 v1, v1, 0, 16
	s_delay_alu instid0(VALU_DEP_3) | instskip(NEXT) | instid1(VALU_DEP_3)
	v_add_f32_e32 v5, -0.5, v5
	v_or_b32_e32 v4, 0x70000000, v4
	s_delay_alu instid0(VALU_DEP_1) | instskip(SKIP_1) | instid1(VALU_DEP_2)
	v_mul_f32_e32 v4, 0x7800000, v4
	v_cmp_gt_u32_e32 vcc_lo, 0x8000000, v3
	v_cndmask_b32_e32 v3, v4, v5, vcc_lo
	s_delay_alu instid0(VALU_DEP_1) | instskip(NEXT) | instid1(VALU_DEP_1)
	v_and_or_b32 v1, 0x80000000, v1, v3
	v_cvt_i32_f32_e32 v4, v1
.LBB14_1844:
	s_mov_b32 s17, 0
	s_mov_b32 s18, -1
.LBB14_1845:
	s_and_not1_b32 vcc_lo, exec_lo, s17
	s_mov_b32 s17, 0
	s_cbranch_vccnz .LBB14_1856
; %bb.1846:
	s_cmp_gt_i32 s13, 14
	s_cbranch_scc0 .LBB14_1849
; %bb.1847:
	s_cmp_eq_u32 s13, 15
	s_cbranch_scc0 .LBB14_1852
; %bb.1848:
	global_load_u16 v1, v[6:7], off
	s_mov_b32 s16, 0
	s_mov_b32 s18, -1
	s_wait_loadcnt 0x0
	v_lshlrev_b32_e32 v1, 16, v1
	s_delay_alu instid0(VALU_DEP_1)
	v_cvt_i32_f32_e32 v4, v1
	s_branch .LBB14_1854
.LBB14_1849:
	s_mov_b32 s17, -1
	s_branch .LBB14_1853
.LBB14_1850:
	s_and_not1_saveexec_b32 s17, s17
	s_cbranch_execz .LBB14_1831
.LBB14_1851:
	v_cmp_ne_u16_e32 vcc_lo, 0, v1
	s_and_not1_b32 s18, s18, exec_lo
	s_and_b32 s19, vcc_lo, exec_lo
	s_delay_alu instid0(SALU_CYCLE_1)
	s_or_b32 s18, s18, s19
	s_or_b32 exec_lo, exec_lo, s17
	v_mov_b32_e32 v4, 0
	s_and_saveexec_b32 s17, s18
	s_cbranch_execnz .LBB14_1832
	s_branch .LBB14_1833
.LBB14_1852:
	s_mov_b32 s16, -1
.LBB14_1853:
                                        ; implicit-def: $vgpr4
.LBB14_1854:
	s_and_b32 vcc_lo, exec_lo, s17
	s_mov_b32 s17, 0
	s_cbranch_vccz .LBB14_1856
; %bb.1855:
	s_cmp_lg_u32 s13, 11
	s_mov_b32 s17, -1
	s_cselect_b32 s16, -1, 0
.LBB14_1856:
	s_delay_alu instid0(SALU_CYCLE_1)
	s_and_b32 vcc_lo, exec_lo, s16
	s_cbranch_vccnz .LBB14_1919
; %bb.1857:
	s_and_not1_b32 vcc_lo, exec_lo, s17
	s_cbranch_vccnz .LBB14_1859
.LBB14_1858:
	global_load_u8 v1, v[6:7], off
	s_mov_b32 s18, -1
	s_wait_loadcnt 0x0
	v_cmp_ne_u16_e32 vcc_lo, 0, v1
	v_cndmask_b32_e64 v4, 0, 1, vcc_lo
.LBB14_1859:
	s_branch .LBB14_1790
.LBB14_1860:
	s_and_b32 s13, 0xffff, s0
	s_delay_alu instid0(SALU_CYCLE_1)
	s_cmp_lt_i32 s13, 5
	s_cbranch_scc1 .LBB14_1865
; %bb.1861:
	s_cmp_lt_i32 s13, 8
	s_cbranch_scc1 .LBB14_1866
; %bb.1862:
	;; [unrolled: 3-line block ×3, first 2 shown]
	s_cmp_gt_i32 s13, 9
	s_cbranch_scc0 .LBB14_1868
; %bb.1864:
	s_wait_loadcnt 0x0
	global_load_b64 v[4:5], v[6:7], off
	s_mov_b32 s16, 0
	s_wait_loadcnt 0x0
	v_cvt_i32_f64_e32 v4, v[4:5]
	s_branch .LBB14_1869
.LBB14_1865:
	s_mov_b32 s16, -1
                                        ; implicit-def: $vgpr4
	s_branch .LBB14_1887
.LBB14_1866:
	s_mov_b32 s16, -1
                                        ; implicit-def: $vgpr4
	s_branch .LBB14_1875
.LBB14_1867:
	s_mov_b32 s16, -1
                                        ; implicit-def: $vgpr4
	s_branch .LBB14_1872
.LBB14_1868:
	s_mov_b32 s16, -1
                                        ; implicit-def: $vgpr4
.LBB14_1869:
	s_delay_alu instid0(SALU_CYCLE_1)
	s_and_not1_b32 vcc_lo, exec_lo, s16
	s_cbranch_vccnz .LBB14_1871
; %bb.1870:
	global_load_b32 v1, v[6:7], off
	s_wait_loadcnt 0x0
	v_cvt_i32_f32_e32 v4, v1
.LBB14_1871:
	s_mov_b32 s16, 0
.LBB14_1872:
	s_delay_alu instid0(SALU_CYCLE_1)
	s_and_not1_b32 vcc_lo, exec_lo, s16
	s_cbranch_vccnz .LBB14_1874
; %bb.1873:
	global_load_b32 v1, v[6:7], off
	s_wait_loadcnt 0x0
	v_cvt_i16_f16_e32 v4, v1
.LBB14_1874:
	s_mov_b32 s16, 0
.LBB14_1875:
	s_delay_alu instid0(SALU_CYCLE_1)
	s_and_not1_b32 vcc_lo, exec_lo, s16
	s_cbranch_vccnz .LBB14_1886
; %bb.1876:
	s_cmp_lt_i32 s13, 6
	s_cbranch_scc1 .LBB14_1879
; %bb.1877:
	s_cmp_gt_i32 s13, 6
	s_cbranch_scc0 .LBB14_1880
; %bb.1878:
	s_wait_loadcnt 0x0
	global_load_b64 v[4:5], v[6:7], off
	s_mov_b32 s16, 0
	s_wait_loadcnt 0x0
	v_cvt_i32_f64_e32 v4, v[4:5]
	s_branch .LBB14_1881
.LBB14_1879:
	s_mov_b32 s16, -1
                                        ; implicit-def: $vgpr4
	s_branch .LBB14_1884
.LBB14_1880:
	s_mov_b32 s16, -1
                                        ; implicit-def: $vgpr4
.LBB14_1881:
	s_delay_alu instid0(SALU_CYCLE_1)
	s_and_not1_b32 vcc_lo, exec_lo, s16
	s_cbranch_vccnz .LBB14_1883
; %bb.1882:
	global_load_b32 v1, v[6:7], off
	s_wait_loadcnt 0x0
	v_cvt_i32_f32_e32 v4, v1
.LBB14_1883:
	s_mov_b32 s16, 0
.LBB14_1884:
	s_delay_alu instid0(SALU_CYCLE_1)
	s_and_not1_b32 vcc_lo, exec_lo, s16
	s_cbranch_vccnz .LBB14_1886
; %bb.1885:
	global_load_u16 v1, v[6:7], off
	s_wait_loadcnt 0x0
	v_cvt_i16_f16_e32 v4, v1
.LBB14_1886:
	s_mov_b32 s16, 0
.LBB14_1887:
	s_delay_alu instid0(SALU_CYCLE_1)
	s_and_not1_b32 vcc_lo, exec_lo, s16
	s_cbranch_vccnz .LBB14_1907
; %bb.1888:
	s_cmp_lt_i32 s13, 2
	s_cbranch_scc1 .LBB14_1892
; %bb.1889:
	s_cmp_lt_i32 s13, 3
	s_cbranch_scc1 .LBB14_1893
; %bb.1890:
	s_cmp_gt_i32 s13, 3
	s_cbranch_scc0 .LBB14_1894
; %bb.1891:
	s_wait_loadcnt 0x0
	global_load_b64 v[4:5], v[6:7], off
	s_mov_b32 s16, 0
	s_branch .LBB14_1895
.LBB14_1892:
	s_mov_b32 s16, -1
                                        ; implicit-def: $vgpr4
	s_branch .LBB14_1901
.LBB14_1893:
	s_mov_b32 s16, -1
                                        ; implicit-def: $vgpr4
	s_branch .LBB14_1898
.LBB14_1894:
	s_mov_b32 s16, -1
                                        ; implicit-def: $vgpr4
.LBB14_1895:
	s_delay_alu instid0(SALU_CYCLE_1)
	s_and_not1_b32 vcc_lo, exec_lo, s16
	s_cbranch_vccnz .LBB14_1897
; %bb.1896:
	s_wait_loadcnt 0x0
	global_load_b32 v4, v[6:7], off
.LBB14_1897:
	s_mov_b32 s16, 0
.LBB14_1898:
	s_delay_alu instid0(SALU_CYCLE_1)
	s_and_not1_b32 vcc_lo, exec_lo, s16
	s_cbranch_vccnz .LBB14_1900
; %bb.1899:
	s_wait_loadcnt 0x0
	global_load_u16 v4, v[6:7], off
.LBB14_1900:
	s_mov_b32 s16, 0
.LBB14_1901:
	s_delay_alu instid0(SALU_CYCLE_1)
	s_and_not1_b32 vcc_lo, exec_lo, s16
	s_cbranch_vccnz .LBB14_1907
; %bb.1902:
	s_cmp_gt_i32 s13, 0
	s_mov_b32 s13, 0
	s_cbranch_scc0 .LBB14_1904
; %bb.1903:
	s_wait_loadcnt 0x0
	global_load_u8 v4, v[6:7], off
	s_branch .LBB14_1905
.LBB14_1904:
	s_mov_b32 s13, -1
                                        ; implicit-def: $vgpr4
.LBB14_1905:
	s_delay_alu instid0(SALU_CYCLE_1)
	s_and_not1_b32 vcc_lo, exec_lo, s13
	s_cbranch_vccnz .LBB14_1907
; %bb.1906:
	s_wait_loadcnt 0x0
	global_load_u8 v4, v[6:7], off
.LBB14_1907:
.LBB14_1908:
	s_lshl_b32 s10, s10, 7
	s_cmp_lt_i32 s1, 11
	v_add_nc_u32_e32 v2, s10, v2
	s_delay_alu instid0(VALU_DEP_1) | instskip(SKIP_1) | instid1(VALU_DEP_1)
	v_ashrrev_i32_e32 v3, 31, v2
	s_wait_xcnt 0x0
	v_add_nc_u64_e32 v[6:7], s[2:3], v[2:3]
	s_cbranch_scc1 .LBB14_1915
; %bb.1909:
	s_and_b32 s13, 0xffff, s1
	s_mov_b32 s17, 0
	s_cmp_gt_i32 s13, 25
	s_cbranch_scc0 .LBB14_1916
; %bb.1910:
	s_cmp_gt_i32 s13, 28
	s_cbranch_scc0 .LBB14_1917
; %bb.1911:
	;; [unrolled: 3-line block ×4, first 2 shown]
	s_cmp_eq_u32 s13, 46
	s_mov_b32 s19, 0
	s_cbranch_scc0 .LBB14_1921
; %bb.1914:
	global_load_b32 v1, v[6:7], off
	s_mov_b32 s16, 0
	s_mov_b32 s18, -1
	s_wait_loadcnt 0x0
	v_lshlrev_b32_e32 v1, 16, v1
	s_delay_alu instid0(VALU_DEP_1)
	v_cvt_i32_f32_e32 v8, v1
	s_branch .LBB14_1923
.LBB14_1915:
	s_mov_b32 s13, -1
	s_mov_b32 s18, 0
                                        ; implicit-def: $vgpr8
	s_branch .LBB14_1985
.LBB14_1916:
	s_mov_b32 s19, -1
	s_mov_b32 s18, 0
	s_mov_b32 s16, 0
                                        ; implicit-def: $vgpr8
	s_branch .LBB14_1950
.LBB14_1917:
	s_mov_b32 s19, -1
	s_mov_b32 s18, 0
	s_mov_b32 s16, 0
                                        ; implicit-def: $vgpr8
	s_branch .LBB14_1933
.LBB14_1918:
	s_mov_b32 s19, -1
	s_mov_b32 s18, 0
	s_mov_b32 s16, 0
                                        ; implicit-def: $vgpr8
	s_branch .LBB14_1928
.LBB14_1919:
	s_or_b32 s12, s12, exec_lo
	s_trap 2
	s_cbranch_execz .LBB14_1858
	s_branch .LBB14_1859
.LBB14_1920:
	s_mov_b32 s19, -1
	s_mov_b32 s18, 0
	s_mov_b32 s16, 0
	s_branch .LBB14_1922
.LBB14_1921:
	s_mov_b32 s16, -1
	s_mov_b32 s18, 0
.LBB14_1922:
                                        ; implicit-def: $vgpr8
.LBB14_1923:
	s_and_b32 vcc_lo, exec_lo, s19
	s_cbranch_vccz .LBB14_1927
; %bb.1924:
	s_cmp_eq_u32 s13, 44
	s_cbranch_scc0 .LBB14_1926
; %bb.1925:
	global_load_u8 v1, v[6:7], off
	s_mov_b32 s16, 0
	s_mov_b32 s18, -1
	s_wait_loadcnt 0x0
	v_lshlrev_b32_e32 v3, 23, v1
	v_cmp_ne_u32_e32 vcc_lo, 0, v1
	s_delay_alu instid0(VALU_DEP_2) | instskip(NEXT) | instid1(VALU_DEP_1)
	v_cvt_i32_f32_e32 v3, v3
	v_cndmask_b32_e32 v8, 0, v3, vcc_lo
	s_branch .LBB14_1927
.LBB14_1926:
	s_mov_b32 s16, -1
                                        ; implicit-def: $vgpr8
.LBB14_1927:
	s_mov_b32 s19, 0
.LBB14_1928:
	s_delay_alu instid0(SALU_CYCLE_1)
	s_and_b32 vcc_lo, exec_lo, s19
	s_cbranch_vccz .LBB14_1932
; %bb.1929:
	s_cmp_eq_u32 s13, 29
	s_cbranch_scc0 .LBB14_1931
; %bb.1930:
	global_load_b64 v[8:9], v[6:7], off
	s_mov_b32 s16, 0
	s_mov_b32 s18, -1
	s_branch .LBB14_1932
.LBB14_1931:
	s_mov_b32 s16, -1
                                        ; implicit-def: $vgpr8
.LBB14_1932:
	s_mov_b32 s19, 0
.LBB14_1933:
	s_delay_alu instid0(SALU_CYCLE_1)
	s_and_b32 vcc_lo, exec_lo, s19
	s_cbranch_vccz .LBB14_1949
; %bb.1934:
	s_cmp_lt_i32 s13, 27
	s_cbranch_scc1 .LBB14_1937
; %bb.1935:
	s_cmp_gt_i32 s13, 27
	s_cbranch_scc0 .LBB14_1938
; %bb.1936:
	s_wait_loadcnt 0x0
	global_load_b32 v8, v[6:7], off
	s_mov_b32 s18, 0
	s_branch .LBB14_1939
.LBB14_1937:
	s_mov_b32 s18, -1
                                        ; implicit-def: $vgpr8
	s_branch .LBB14_1942
.LBB14_1938:
	s_mov_b32 s18, -1
                                        ; implicit-def: $vgpr8
.LBB14_1939:
	s_delay_alu instid0(SALU_CYCLE_1)
	s_and_not1_b32 vcc_lo, exec_lo, s18
	s_cbranch_vccnz .LBB14_1941
; %bb.1940:
	s_wait_loadcnt 0x0
	global_load_u16 v8, v[6:7], off
.LBB14_1941:
	s_mov_b32 s18, 0
.LBB14_1942:
	s_delay_alu instid0(SALU_CYCLE_1)
	s_and_not1_b32 vcc_lo, exec_lo, s18
	s_cbranch_vccnz .LBB14_1948
; %bb.1943:
	global_load_u8 v1, v[6:7], off
	s_mov_b32 s19, 0
	s_mov_b32 s18, exec_lo
	s_wait_loadcnt 0x0
	v_cmpx_lt_i16_e32 0x7f, v1
	s_xor_b32 s18, exec_lo, s18
	s_cbranch_execz .LBB14_1960
; %bb.1944:
	v_cmp_ne_u16_e32 vcc_lo, 0x80, v1
	s_and_b32 s19, vcc_lo, exec_lo
	s_and_not1_saveexec_b32 s18, s18
	s_cbranch_execnz .LBB14_1961
.LBB14_1945:
	s_or_b32 exec_lo, exec_lo, s18
	v_mov_b32_e32 v8, 0
	s_and_saveexec_b32 s18, s19
	s_cbranch_execz .LBB14_1947
.LBB14_1946:
	v_and_b32_e32 v3, 0xffff, v1
	s_delay_alu instid0(VALU_DEP_1) | instskip(SKIP_1) | instid1(VALU_DEP_2)
	v_and_b32_e32 v5, 7, v3
	v_bfe_u32 v12, v3, 3, 4
	v_clz_i32_u32_e32 v8, v5
	s_delay_alu instid0(VALU_DEP_2) | instskip(NEXT) | instid1(VALU_DEP_2)
	v_cmp_eq_u32_e32 vcc_lo, 0, v12
	v_min_u32_e32 v8, 32, v8
	s_delay_alu instid0(VALU_DEP_1) | instskip(NEXT) | instid1(VALU_DEP_1)
	v_subrev_nc_u32_e32 v9, 28, v8
	v_dual_lshlrev_b32 v3, v9, v3 :: v_dual_sub_nc_u32 v8, 29, v8
	s_delay_alu instid0(VALU_DEP_1) | instskip(NEXT) | instid1(VALU_DEP_1)
	v_dual_lshlrev_b32 v1, 24, v1 :: v_dual_bitop2_b32 v3, 7, v3 bitop3:0x40
	v_dual_cndmask_b32 v8, v12, v8 :: v_dual_cndmask_b32 v3, v5, v3
	s_delay_alu instid0(VALU_DEP_2) | instskip(NEXT) | instid1(VALU_DEP_2)
	v_and_b32_e32 v1, 0x80000000, v1
	v_lshl_add_u32 v5, v8, 23, 0x3b800000
	s_delay_alu instid0(VALU_DEP_3) | instskip(NEXT) | instid1(VALU_DEP_1)
	v_lshlrev_b32_e32 v3, 20, v3
	v_or3_b32 v1, v1, v5, v3
	s_delay_alu instid0(VALU_DEP_1)
	v_cvt_i32_f32_e32 v8, v1
.LBB14_1947:
	s_or_b32 exec_lo, exec_lo, s18
.LBB14_1948:
	s_mov_b32 s18, -1
.LBB14_1949:
	s_mov_b32 s19, 0
.LBB14_1950:
	s_delay_alu instid0(SALU_CYCLE_1)
	s_and_b32 vcc_lo, exec_lo, s19
	s_cbranch_vccz .LBB14_1981
; %bb.1951:
	s_cmp_gt_i32 s13, 22
	s_cbranch_scc0 .LBB14_1959
; %bb.1952:
	s_cmp_lt_i32 s13, 24
	s_cbranch_scc1 .LBB14_1962
; %bb.1953:
	s_cmp_gt_i32 s13, 24
	s_cbranch_scc0 .LBB14_1963
; %bb.1954:
	global_load_u8 v1, v[6:7], off
	s_mov_b32 s18, 0
	s_mov_b32 s17, exec_lo
	s_wait_loadcnt 0x0
	v_cmpx_lt_i16_e32 0x7f, v1
	s_xor_b32 s17, exec_lo, s17
	s_cbranch_execz .LBB14_1975
; %bb.1955:
	v_cmp_ne_u16_e32 vcc_lo, 0x80, v1
	s_and_b32 s18, vcc_lo, exec_lo
	s_and_not1_saveexec_b32 s17, s17
	s_cbranch_execnz .LBB14_1976
.LBB14_1956:
	s_or_b32 exec_lo, exec_lo, s17
	v_mov_b32_e32 v8, 0
	s_and_saveexec_b32 s17, s18
	s_cbranch_execz .LBB14_1958
.LBB14_1957:
	v_and_b32_e32 v3, 0xffff, v1
	s_delay_alu instid0(VALU_DEP_1) | instskip(SKIP_1) | instid1(VALU_DEP_2)
	v_and_b32_e32 v5, 3, v3
	v_bfe_u32 v12, v3, 2, 5
	v_clz_i32_u32_e32 v8, v5
	s_delay_alu instid0(VALU_DEP_2) | instskip(NEXT) | instid1(VALU_DEP_2)
	v_cmp_eq_u32_e32 vcc_lo, 0, v12
	v_min_u32_e32 v8, 32, v8
	s_delay_alu instid0(VALU_DEP_1) | instskip(NEXT) | instid1(VALU_DEP_1)
	v_subrev_nc_u32_e32 v9, 29, v8
	v_dual_lshlrev_b32 v3, v9, v3 :: v_dual_sub_nc_u32 v8, 30, v8
	s_delay_alu instid0(VALU_DEP_1) | instskip(NEXT) | instid1(VALU_DEP_1)
	v_dual_lshlrev_b32 v1, 24, v1 :: v_dual_bitop2_b32 v3, 3, v3 bitop3:0x40
	v_dual_cndmask_b32 v8, v12, v8 :: v_dual_cndmask_b32 v3, v5, v3
	s_delay_alu instid0(VALU_DEP_2) | instskip(NEXT) | instid1(VALU_DEP_2)
	v_and_b32_e32 v1, 0x80000000, v1
	v_lshl_add_u32 v5, v8, 23, 0x37800000
	s_delay_alu instid0(VALU_DEP_3) | instskip(NEXT) | instid1(VALU_DEP_1)
	v_lshlrev_b32_e32 v3, 21, v3
	v_or3_b32 v1, v1, v5, v3
	s_delay_alu instid0(VALU_DEP_1)
	v_cvt_i32_f32_e32 v8, v1
.LBB14_1958:
	s_or_b32 exec_lo, exec_lo, s17
	s_mov_b32 s17, 0
	s_branch .LBB14_1964
.LBB14_1959:
	s_mov_b32 s17, -1
                                        ; implicit-def: $vgpr8
	s_branch .LBB14_1970
.LBB14_1960:
	s_and_not1_saveexec_b32 s18, s18
	s_cbranch_execz .LBB14_1945
.LBB14_1961:
	v_cmp_ne_u16_e32 vcc_lo, 0, v1
	s_and_not1_b32 s19, s19, exec_lo
	s_and_b32 s20, vcc_lo, exec_lo
	s_delay_alu instid0(SALU_CYCLE_1)
	s_or_b32 s19, s19, s20
	s_or_b32 exec_lo, exec_lo, s18
	v_mov_b32_e32 v8, 0
	s_and_saveexec_b32 s18, s19
	s_cbranch_execnz .LBB14_1946
	s_branch .LBB14_1947
.LBB14_1962:
	s_mov_b32 s17, -1
                                        ; implicit-def: $vgpr8
	s_branch .LBB14_1967
.LBB14_1963:
	s_mov_b32 s17, -1
                                        ; implicit-def: $vgpr8
.LBB14_1964:
	s_delay_alu instid0(SALU_CYCLE_1)
	s_and_b32 vcc_lo, exec_lo, s17
	s_cbranch_vccz .LBB14_1966
; %bb.1965:
	global_load_u8 v1, v[6:7], off
	s_wait_loadcnt 0x0
	v_lshlrev_b32_e32 v1, 24, v1
	s_delay_alu instid0(VALU_DEP_1) | instskip(NEXT) | instid1(VALU_DEP_1)
	v_and_b32_e32 v3, 0x7f000000, v1
	v_clz_i32_u32_e32 v5, v3
	v_add_nc_u32_e32 v9, 0x1000000, v3
	v_cmp_ne_u32_e32 vcc_lo, 0, v3
	s_delay_alu instid0(VALU_DEP_3) | instskip(NEXT) | instid1(VALU_DEP_1)
	v_min_u32_e32 v5, 32, v5
	v_sub_nc_u32_e64 v5, v5, 4 clamp
	s_delay_alu instid0(VALU_DEP_1) | instskip(NEXT) | instid1(VALU_DEP_1)
	v_dual_lshlrev_b32 v8, v5, v3 :: v_dual_lshlrev_b32 v5, 23, v5
	v_lshrrev_b32_e32 v8, 4, v8
	s_delay_alu instid0(VALU_DEP_1) | instskip(SKIP_1) | instid1(VALU_DEP_2)
	v_sub_nc_u32_e32 v5, v8, v5
	v_ashrrev_i32_e32 v8, 8, v9
	v_add_nc_u32_e32 v5, 0x3c000000, v5
	s_delay_alu instid0(VALU_DEP_1) | instskip(NEXT) | instid1(VALU_DEP_1)
	v_and_or_b32 v5, 0x7f800000, v8, v5
	v_cndmask_b32_e32 v3, 0, v5, vcc_lo
	s_delay_alu instid0(VALU_DEP_1) | instskip(NEXT) | instid1(VALU_DEP_1)
	v_and_or_b32 v1, 0x80000000, v1, v3
	v_cvt_i32_f32_e32 v8, v1
.LBB14_1966:
	s_mov_b32 s17, 0
.LBB14_1967:
	s_delay_alu instid0(SALU_CYCLE_1)
	s_and_not1_b32 vcc_lo, exec_lo, s17
	s_cbranch_vccnz .LBB14_1969
; %bb.1968:
	global_load_u8 v1, v[6:7], off
	s_wait_loadcnt 0x0
	v_lshlrev_b32_e32 v3, 25, v1
	v_lshlrev_b16 v1, 8, v1
	s_delay_alu instid0(VALU_DEP_1) | instskip(SKIP_1) | instid1(VALU_DEP_2)
	v_and_or_b32 v8, 0x7f00, v1, 0.5
	v_bfe_i32 v1, v1, 0, 16
	v_dual_add_f32 v8, -0.5, v8 :: v_dual_lshrrev_b32 v5, 4, v3
	v_cmp_gt_u32_e32 vcc_lo, 0x8000000, v3
	s_delay_alu instid0(VALU_DEP_2) | instskip(NEXT) | instid1(VALU_DEP_1)
	v_or_b32_e32 v5, 0x70000000, v5
	v_mul_f32_e32 v5, 0x7800000, v5
	s_delay_alu instid0(VALU_DEP_1) | instskip(NEXT) | instid1(VALU_DEP_1)
	v_cndmask_b32_e32 v3, v5, v8, vcc_lo
	v_and_or_b32 v1, 0x80000000, v1, v3
	s_delay_alu instid0(VALU_DEP_1)
	v_cvt_i32_f32_e32 v8, v1
.LBB14_1969:
	s_mov_b32 s17, 0
	s_mov_b32 s18, -1
.LBB14_1970:
	s_and_not1_b32 vcc_lo, exec_lo, s17
	s_mov_b32 s17, 0
	s_cbranch_vccnz .LBB14_1981
; %bb.1971:
	s_cmp_gt_i32 s13, 14
	s_cbranch_scc0 .LBB14_1974
; %bb.1972:
	s_cmp_eq_u32 s13, 15
	s_cbranch_scc0 .LBB14_1977
; %bb.1973:
	global_load_u16 v1, v[6:7], off
	s_mov_b32 s16, 0
	s_mov_b32 s18, -1
	s_wait_loadcnt 0x0
	v_lshlrev_b32_e32 v1, 16, v1
	s_delay_alu instid0(VALU_DEP_1)
	v_cvt_i32_f32_e32 v8, v1
	s_branch .LBB14_1979
.LBB14_1974:
	s_mov_b32 s17, -1
	s_branch .LBB14_1978
.LBB14_1975:
	s_and_not1_saveexec_b32 s17, s17
	s_cbranch_execz .LBB14_1956
.LBB14_1976:
	v_cmp_ne_u16_e32 vcc_lo, 0, v1
	s_and_not1_b32 s18, s18, exec_lo
	s_and_b32 s19, vcc_lo, exec_lo
	s_delay_alu instid0(SALU_CYCLE_1)
	s_or_b32 s18, s18, s19
	s_or_b32 exec_lo, exec_lo, s17
	v_mov_b32_e32 v8, 0
	s_and_saveexec_b32 s17, s18
	s_cbranch_execnz .LBB14_1957
	s_branch .LBB14_1958
.LBB14_1977:
	s_mov_b32 s16, -1
.LBB14_1978:
                                        ; implicit-def: $vgpr8
.LBB14_1979:
	s_and_b32 vcc_lo, exec_lo, s17
	s_mov_b32 s17, 0
	s_cbranch_vccz .LBB14_1981
; %bb.1980:
	s_cmp_lg_u32 s13, 11
	s_mov_b32 s17, -1
	s_cselect_b32 s16, -1, 0
.LBB14_1981:
	s_delay_alu instid0(SALU_CYCLE_1)
	s_and_b32 vcc_lo, exec_lo, s16
	s_cbranch_vccnz .LBB14_2050
; %bb.1982:
	s_and_not1_b32 vcc_lo, exec_lo, s17
	s_cbranch_vccnz .LBB14_1984
.LBB14_1983:
	global_load_u8 v1, v[6:7], off
	s_mov_b32 s18, -1
	s_wait_loadcnt 0x0
	v_cmp_ne_u16_e32 vcc_lo, 0, v1
	v_cndmask_b32_e64 v8, 0, 1, vcc_lo
.LBB14_1984:
	s_mov_b32 s13, 0
.LBB14_1985:
	s_delay_alu instid0(SALU_CYCLE_1)
	s_and_b32 vcc_lo, exec_lo, s13
	s_cbranch_vccz .LBB14_2034
; %bb.1986:
	s_and_b32 s13, 0xffff, s1
	s_delay_alu instid0(SALU_CYCLE_1)
	s_cmp_lt_i32 s13, 5
	s_cbranch_scc1 .LBB14_1991
; %bb.1987:
	s_cmp_lt_i32 s13, 8
	s_cbranch_scc1 .LBB14_1992
; %bb.1988:
	;; [unrolled: 3-line block ×3, first 2 shown]
	s_cmp_gt_i32 s13, 9
	s_cbranch_scc0 .LBB14_1994
; %bb.1990:
	s_wait_loadcnt 0x0
	global_load_b64 v[8:9], v[6:7], off
	s_mov_b32 s16, 0
	s_wait_loadcnt 0x0
	v_cvt_i32_f64_e32 v8, v[8:9]
	s_branch .LBB14_1995
.LBB14_1991:
	s_mov_b32 s16, -1
                                        ; implicit-def: $vgpr8
	s_branch .LBB14_2013
.LBB14_1992:
	s_mov_b32 s16, -1
                                        ; implicit-def: $vgpr8
	s_branch .LBB14_2001
.LBB14_1993:
	s_mov_b32 s16, -1
                                        ; implicit-def: $vgpr8
	s_branch .LBB14_1998
.LBB14_1994:
	s_mov_b32 s16, -1
                                        ; implicit-def: $vgpr8
.LBB14_1995:
	s_delay_alu instid0(SALU_CYCLE_1)
	s_and_not1_b32 vcc_lo, exec_lo, s16
	s_cbranch_vccnz .LBB14_1997
; %bb.1996:
	global_load_b32 v1, v[6:7], off
	s_wait_loadcnt 0x0
	v_cvt_i32_f32_e32 v8, v1
.LBB14_1997:
	s_mov_b32 s16, 0
.LBB14_1998:
	s_delay_alu instid0(SALU_CYCLE_1)
	s_and_not1_b32 vcc_lo, exec_lo, s16
	s_cbranch_vccnz .LBB14_2000
; %bb.1999:
	global_load_b32 v1, v[6:7], off
	s_wait_loadcnt 0x0
	v_cvt_i16_f16_e32 v8, v1
.LBB14_2000:
	s_mov_b32 s16, 0
.LBB14_2001:
	s_delay_alu instid0(SALU_CYCLE_1)
	s_and_not1_b32 vcc_lo, exec_lo, s16
	s_cbranch_vccnz .LBB14_2012
; %bb.2002:
	s_cmp_lt_i32 s13, 6
	s_cbranch_scc1 .LBB14_2005
; %bb.2003:
	s_cmp_gt_i32 s13, 6
	s_cbranch_scc0 .LBB14_2006
; %bb.2004:
	s_wait_loadcnt 0x0
	global_load_b64 v[8:9], v[6:7], off
	s_mov_b32 s16, 0
	s_wait_loadcnt 0x0
	v_cvt_i32_f64_e32 v8, v[8:9]
	s_branch .LBB14_2007
.LBB14_2005:
	s_mov_b32 s16, -1
                                        ; implicit-def: $vgpr8
	s_branch .LBB14_2010
.LBB14_2006:
	s_mov_b32 s16, -1
                                        ; implicit-def: $vgpr8
.LBB14_2007:
	s_delay_alu instid0(SALU_CYCLE_1)
	s_and_not1_b32 vcc_lo, exec_lo, s16
	s_cbranch_vccnz .LBB14_2009
; %bb.2008:
	global_load_b32 v1, v[6:7], off
	s_wait_loadcnt 0x0
	v_cvt_i32_f32_e32 v8, v1
.LBB14_2009:
	s_mov_b32 s16, 0
.LBB14_2010:
	s_delay_alu instid0(SALU_CYCLE_1)
	s_and_not1_b32 vcc_lo, exec_lo, s16
	s_cbranch_vccnz .LBB14_2012
; %bb.2011:
	global_load_u16 v1, v[6:7], off
	s_wait_loadcnt 0x0
	v_cvt_i16_f16_e32 v8, v1
.LBB14_2012:
	s_mov_b32 s16, 0
.LBB14_2013:
	s_delay_alu instid0(SALU_CYCLE_1)
	s_and_not1_b32 vcc_lo, exec_lo, s16
	s_cbranch_vccnz .LBB14_2033
; %bb.2014:
	s_cmp_lt_i32 s13, 2
	s_cbranch_scc1 .LBB14_2018
; %bb.2015:
	s_cmp_lt_i32 s13, 3
	s_cbranch_scc1 .LBB14_2019
; %bb.2016:
	s_cmp_gt_i32 s13, 3
	s_cbranch_scc0 .LBB14_2020
; %bb.2017:
	s_wait_loadcnt 0x0
	global_load_b64 v[8:9], v[6:7], off
	s_mov_b32 s16, 0
	s_branch .LBB14_2021
.LBB14_2018:
	s_mov_b32 s16, -1
                                        ; implicit-def: $vgpr8
	s_branch .LBB14_2027
.LBB14_2019:
	s_mov_b32 s16, -1
                                        ; implicit-def: $vgpr8
	s_branch .LBB14_2024
.LBB14_2020:
	s_mov_b32 s16, -1
                                        ; implicit-def: $vgpr8
.LBB14_2021:
	s_delay_alu instid0(SALU_CYCLE_1)
	s_and_not1_b32 vcc_lo, exec_lo, s16
	s_cbranch_vccnz .LBB14_2023
; %bb.2022:
	s_wait_loadcnt 0x0
	global_load_b32 v8, v[6:7], off
.LBB14_2023:
	s_mov_b32 s16, 0
.LBB14_2024:
	s_delay_alu instid0(SALU_CYCLE_1)
	s_and_not1_b32 vcc_lo, exec_lo, s16
	s_cbranch_vccnz .LBB14_2026
; %bb.2025:
	s_wait_loadcnt 0x0
	global_load_u16 v8, v[6:7], off
.LBB14_2026:
	s_mov_b32 s16, 0
.LBB14_2027:
	s_delay_alu instid0(SALU_CYCLE_1)
	s_and_not1_b32 vcc_lo, exec_lo, s16
	s_cbranch_vccnz .LBB14_2033
; %bb.2028:
	s_cmp_gt_i32 s13, 0
	s_mov_b32 s13, 0
	s_cbranch_scc0 .LBB14_2030
; %bb.2029:
	s_wait_loadcnt 0x0
	global_load_u8 v8, v[6:7], off
	s_branch .LBB14_2031
.LBB14_2030:
	s_mov_b32 s13, -1
                                        ; implicit-def: $vgpr8
.LBB14_2031:
	s_delay_alu instid0(SALU_CYCLE_1)
	s_and_not1_b32 vcc_lo, exec_lo, s13
	s_cbranch_vccnz .LBB14_2033
; %bb.2032:
	s_wait_loadcnt 0x0
	global_load_u8 v8, v[6:7], off
.LBB14_2033:
	s_mov_b32 s18, -1
.LBB14_2034:
	s_delay_alu instid0(SALU_CYCLE_1)
	s_and_not1_b32 vcc_lo, exec_lo, s18
	s_cbranch_vccnz .LBB14_2635
; %bb.2035:
	s_wait_loadcnt 0x0
	s_delay_alu instid0(VALU_DEP_1) | instskip(SKIP_3) | instid1(VALU_DEP_2)
	v_bfe_i32 v1, v8, 0, 8
	v_and_b32_e32 v5, 0xff, v4
	s_mov_b32 s16, 0
	s_mov_b32 s13, exec_lo
	v_sub_nc_u16 v3, 0, v1
	s_delay_alu instid0(VALU_DEP_1)
	v_max_i16 v12, v1, v3
	s_wait_xcnt 0x0
	v_cmpx_ne_u16_e32 0, v5
	s_cbranch_execz .LBB14_2039
; %bb.2036:
	v_bfe_i32 v1, v4, 0, 8
	s_delay_alu instid0(VALU_DEP_1) | instskip(NEXT) | instid1(VALU_DEP_1)
	v_sub_nc_u16 v3, 0, v1
	v_max_i16 v3, v1, v3
	v_and_b32_e32 v1, 0xff, v12
	s_delay_alu instid0(VALU_DEP_2)
	v_and_b32_e32 v3, 0xffff, v3
.LBB14_2037:                            ; =>This Inner Loop Header: Depth=1
	s_delay_alu instid0(VALU_DEP_2) | instskip(NEXT) | instid1(VALU_DEP_2)
	v_bfe_i32 v5, v1, 0, 8
	v_mov_b32_e32 v12, v3
	s_delay_alu instid0(VALU_DEP_2) | instskip(NEXT) | instid1(VALU_DEP_2)
	v_cvt_f32_i32_e32 v7, v5
	v_bfe_i32 v3, v12, 0, 8
	s_delay_alu instid0(VALU_DEP_1) | instskip(SKIP_1) | instid1(VALU_DEP_2)
	v_cvt_f32_i32_e32 v4, v3
	v_xor_b32_e32 v3, v5, v3
	v_rcp_iflag_f32_e32 v6, v4
	v_nop
	s_delay_alu instid0(TRANS32_DEP_1) | instskip(NEXT) | instid1(VALU_DEP_1)
	v_dual_ashrrev_i32 v3, 30, v3 :: v_dual_mul_f32 v5, v7, v6
	v_trunc_f32_e32 v5, v5
	s_delay_alu instid0(VALU_DEP_1) | instskip(SKIP_1) | instid1(VALU_DEP_2)
	v_dual_fma_f32 v6, -v5, v4, v7 :: v_dual_bitop2_b32 v3, 1, v3 bitop3:0x54
	v_cvt_i32_f32_e32 v5, v5
	v_cmp_ge_f32_e64 vcc_lo, |v6|, |v4|
	s_delay_alu instid0(VALU_DEP_3) | instskip(NEXT) | instid1(VALU_DEP_1)
	v_cndmask_b32_e32 v3, 0, v3, vcc_lo
	v_add_nc_u32_e32 v3, v5, v3
	s_delay_alu instid0(VALU_DEP_1) | instskip(NEXT) | instid1(VALU_DEP_1)
	v_mul_lo_u32 v3, v3, v12
	v_sub_nc_u32_e32 v1, v1, v3
	s_delay_alu instid0(VALU_DEP_1) | instskip(SKIP_1) | instid1(VALU_DEP_2)
	v_bfe_i32 v3, v1, 0, 8
	v_mov_b32_e32 v1, v12
	v_cmp_eq_u16_e32 vcc_lo, 0, v3
	v_and_b32_e32 v3, 0xffff, v3
	s_or_b32 s16, vcc_lo, s16
	s_delay_alu instid0(SALU_CYCLE_1)
	s_and_not1_b32 exec_lo, exec_lo, s16
	s_cbranch_execnz .LBB14_2037
; %bb.2038:
	s_or_b32 exec_lo, exec_lo, s16
.LBB14_2039:
	s_delay_alu instid0(SALU_CYCLE_1) | instskip(SKIP_2) | instid1(VALU_DEP_1)
	s_or_b32 exec_lo, exec_lo, s13
	v_add_nc_u32_e32 v0, s9, v0
	s_cmp_lt_i32 s0, 11
	v_ashrrev_i32_e32 v1, 31, v0
	s_delay_alu instid0(VALU_DEP_1)
	v_add_nc_u64_e32 v[6:7], s[6:7], v[0:1]
	s_cbranch_scc1 .LBB14_2046
; %bb.2040:
	s_and_b32 s13, 0xffff, s0
	s_mov_b32 s17, 0
	s_cmp_gt_i32 s13, 25
	s_cbranch_scc0 .LBB14_2047
; %bb.2041:
	s_cmp_gt_i32 s13, 28
	s_cbranch_scc0 .LBB14_2048
; %bb.2042:
	;; [unrolled: 3-line block ×4, first 2 shown]
	s_cmp_eq_u32 s13, 46
	s_mov_b32 s19, 0
	s_cbranch_scc0 .LBB14_2052
; %bb.2045:
	global_load_b32 v1, v[6:7], off
	s_mov_b32 s16, 0
	s_mov_b32 s18, -1
	s_wait_loadcnt 0x0
	v_lshlrev_b32_e32 v1, 16, v1
	s_delay_alu instid0(VALU_DEP_1)
	v_cvt_i32_f32_e32 v4, v1
	s_branch .LBB14_2054
.LBB14_2046:
	s_mov_b32 s13, -1
	s_mov_b32 s18, 0
                                        ; implicit-def: $vgpr4
	s_branch .LBB14_2116
.LBB14_2047:
	s_mov_b32 s19, -1
	s_mov_b32 s18, 0
	s_mov_b32 s16, 0
                                        ; implicit-def: $vgpr4
	s_branch .LBB14_2081
.LBB14_2048:
	s_mov_b32 s19, -1
	s_mov_b32 s18, 0
	s_mov_b32 s16, 0
                                        ; implicit-def: $vgpr4
	s_branch .LBB14_2064
.LBB14_2049:
	s_mov_b32 s19, -1
	s_mov_b32 s18, 0
	s_mov_b32 s16, 0
                                        ; implicit-def: $vgpr4
	s_branch .LBB14_2059
.LBB14_2050:
	s_or_b32 s12, s12, exec_lo
	s_trap 2
	s_cbranch_execz .LBB14_1983
	s_branch .LBB14_1984
.LBB14_2051:
	s_mov_b32 s19, -1
	s_mov_b32 s18, 0
	s_mov_b32 s16, 0
	s_branch .LBB14_2053
.LBB14_2052:
	s_mov_b32 s16, -1
	s_mov_b32 s18, 0
.LBB14_2053:
                                        ; implicit-def: $vgpr4
.LBB14_2054:
	s_and_b32 vcc_lo, exec_lo, s19
	s_cbranch_vccz .LBB14_2058
; %bb.2055:
	s_cmp_eq_u32 s13, 44
	s_cbranch_scc0 .LBB14_2057
; %bb.2056:
	global_load_u8 v1, v[6:7], off
	s_mov_b32 s16, 0
	s_mov_b32 s18, -1
	s_wait_loadcnt 0x0
	v_lshlrev_b32_e32 v3, 23, v1
	v_cmp_ne_u32_e32 vcc_lo, 0, v1
	s_delay_alu instid0(VALU_DEP_2) | instskip(NEXT) | instid1(VALU_DEP_1)
	v_cvt_i32_f32_e32 v3, v3
	v_cndmask_b32_e32 v4, 0, v3, vcc_lo
	s_branch .LBB14_2058
.LBB14_2057:
	s_mov_b32 s16, -1
                                        ; implicit-def: $vgpr4
.LBB14_2058:
	s_mov_b32 s19, 0
.LBB14_2059:
	s_delay_alu instid0(SALU_CYCLE_1)
	s_and_b32 vcc_lo, exec_lo, s19
	s_cbranch_vccz .LBB14_2063
; %bb.2060:
	s_cmp_eq_u32 s13, 29
	s_cbranch_scc0 .LBB14_2062
; %bb.2061:
	global_load_b64 v[4:5], v[6:7], off
	s_mov_b32 s16, 0
	s_mov_b32 s18, -1
	s_branch .LBB14_2063
.LBB14_2062:
	s_mov_b32 s16, -1
                                        ; implicit-def: $vgpr4
.LBB14_2063:
	s_mov_b32 s19, 0
.LBB14_2064:
	s_delay_alu instid0(SALU_CYCLE_1)
	s_and_b32 vcc_lo, exec_lo, s19
	s_cbranch_vccz .LBB14_2080
; %bb.2065:
	s_cmp_lt_i32 s13, 27
	s_cbranch_scc1 .LBB14_2068
; %bb.2066:
	s_cmp_gt_i32 s13, 27
	s_cbranch_scc0 .LBB14_2069
; %bb.2067:
	s_wait_loadcnt 0x0
	global_load_b32 v4, v[6:7], off
	s_mov_b32 s18, 0
	s_branch .LBB14_2070
.LBB14_2068:
	s_mov_b32 s18, -1
                                        ; implicit-def: $vgpr4
	s_branch .LBB14_2073
.LBB14_2069:
	s_mov_b32 s18, -1
                                        ; implicit-def: $vgpr4
.LBB14_2070:
	s_delay_alu instid0(SALU_CYCLE_1)
	s_and_not1_b32 vcc_lo, exec_lo, s18
	s_cbranch_vccnz .LBB14_2072
; %bb.2071:
	s_wait_loadcnt 0x0
	global_load_u16 v4, v[6:7], off
.LBB14_2072:
	s_mov_b32 s18, 0
.LBB14_2073:
	s_delay_alu instid0(SALU_CYCLE_1)
	s_and_not1_b32 vcc_lo, exec_lo, s18
	s_cbranch_vccnz .LBB14_2079
; %bb.2074:
	global_load_u8 v1, v[6:7], off
	s_mov_b32 s19, 0
	s_mov_b32 s18, exec_lo
	s_wait_loadcnt 0x0
	v_cmpx_lt_i16_e32 0x7f, v1
	s_xor_b32 s18, exec_lo, s18
	s_cbranch_execz .LBB14_2091
; %bb.2075:
	v_cmp_ne_u16_e32 vcc_lo, 0x80, v1
	s_and_b32 s19, vcc_lo, exec_lo
	s_and_not1_saveexec_b32 s18, s18
	s_cbranch_execnz .LBB14_2092
.LBB14_2076:
	s_or_b32 exec_lo, exec_lo, s18
	v_mov_b32_e32 v4, 0
	s_and_saveexec_b32 s18, s19
	s_cbranch_execz .LBB14_2078
.LBB14_2077:
	v_and_b32_e32 v3, 0xffff, v1
	s_delay_alu instid0(VALU_DEP_1) | instskip(SKIP_1) | instid1(VALU_DEP_2)
	v_and_b32_e32 v4, 7, v3
	v_bfe_u32 v9, v3, 3, 4
	v_clz_i32_u32_e32 v5, v4
	s_delay_alu instid0(VALU_DEP_2) | instskip(NEXT) | instid1(VALU_DEP_2)
	v_cmp_eq_u32_e32 vcc_lo, 0, v9
	v_min_u32_e32 v5, 32, v5
	s_delay_alu instid0(VALU_DEP_1) | instskip(NEXT) | instid1(VALU_DEP_1)
	v_subrev_nc_u32_e32 v8, 28, v5
	v_dual_lshlrev_b32 v3, v8, v3 :: v_dual_sub_nc_u32 v5, 29, v5
	s_delay_alu instid0(VALU_DEP_1) | instskip(NEXT) | instid1(VALU_DEP_1)
	v_dual_lshlrev_b32 v1, 24, v1 :: v_dual_bitop2_b32 v3, 7, v3 bitop3:0x40
	v_dual_cndmask_b32 v3, v4, v3, vcc_lo :: v_dual_cndmask_b32 v5, v9, v5, vcc_lo
	s_delay_alu instid0(VALU_DEP_2) | instskip(NEXT) | instid1(VALU_DEP_2)
	v_and_b32_e32 v1, 0x80000000, v1
	v_lshlrev_b32_e32 v3, 20, v3
	s_delay_alu instid0(VALU_DEP_3) | instskip(NEXT) | instid1(VALU_DEP_1)
	v_lshl_add_u32 v4, v5, 23, 0x3b800000
	v_or3_b32 v1, v1, v4, v3
	s_delay_alu instid0(VALU_DEP_1)
	v_cvt_i32_f32_e32 v4, v1
.LBB14_2078:
	s_or_b32 exec_lo, exec_lo, s18
.LBB14_2079:
	s_mov_b32 s18, -1
.LBB14_2080:
	s_mov_b32 s19, 0
.LBB14_2081:
	s_delay_alu instid0(SALU_CYCLE_1)
	s_and_b32 vcc_lo, exec_lo, s19
	s_cbranch_vccz .LBB14_2112
; %bb.2082:
	s_cmp_gt_i32 s13, 22
	s_cbranch_scc0 .LBB14_2090
; %bb.2083:
	s_cmp_lt_i32 s13, 24
	s_cbranch_scc1 .LBB14_2093
; %bb.2084:
	s_cmp_gt_i32 s13, 24
	s_cbranch_scc0 .LBB14_2094
; %bb.2085:
	global_load_u8 v1, v[6:7], off
	s_mov_b32 s18, 0
	s_mov_b32 s17, exec_lo
	s_wait_loadcnt 0x0
	v_cmpx_lt_i16_e32 0x7f, v1
	s_xor_b32 s17, exec_lo, s17
	s_cbranch_execz .LBB14_2106
; %bb.2086:
	v_cmp_ne_u16_e32 vcc_lo, 0x80, v1
	s_and_b32 s18, vcc_lo, exec_lo
	s_and_not1_saveexec_b32 s17, s17
	s_cbranch_execnz .LBB14_2107
.LBB14_2087:
	s_or_b32 exec_lo, exec_lo, s17
	v_mov_b32_e32 v4, 0
	s_and_saveexec_b32 s17, s18
	s_cbranch_execz .LBB14_2089
.LBB14_2088:
	v_and_b32_e32 v3, 0xffff, v1
	s_delay_alu instid0(VALU_DEP_1) | instskip(SKIP_1) | instid1(VALU_DEP_2)
	v_and_b32_e32 v4, 3, v3
	v_bfe_u32 v9, v3, 2, 5
	v_clz_i32_u32_e32 v5, v4
	s_delay_alu instid0(VALU_DEP_2) | instskip(NEXT) | instid1(VALU_DEP_2)
	v_cmp_eq_u32_e32 vcc_lo, 0, v9
	v_min_u32_e32 v5, 32, v5
	s_delay_alu instid0(VALU_DEP_1) | instskip(NEXT) | instid1(VALU_DEP_1)
	v_subrev_nc_u32_e32 v8, 29, v5
	v_dual_lshlrev_b32 v3, v8, v3 :: v_dual_sub_nc_u32 v5, 30, v5
	s_delay_alu instid0(VALU_DEP_1) | instskip(NEXT) | instid1(VALU_DEP_1)
	v_dual_lshlrev_b32 v1, 24, v1 :: v_dual_bitop2_b32 v3, 3, v3 bitop3:0x40
	v_dual_cndmask_b32 v3, v4, v3, vcc_lo :: v_dual_cndmask_b32 v5, v9, v5, vcc_lo
	s_delay_alu instid0(VALU_DEP_2) | instskip(NEXT) | instid1(VALU_DEP_2)
	v_and_b32_e32 v1, 0x80000000, v1
	v_lshlrev_b32_e32 v3, 21, v3
	s_delay_alu instid0(VALU_DEP_3) | instskip(NEXT) | instid1(VALU_DEP_1)
	v_lshl_add_u32 v4, v5, 23, 0x37800000
	v_or3_b32 v1, v1, v4, v3
	s_delay_alu instid0(VALU_DEP_1)
	v_cvt_i32_f32_e32 v4, v1
.LBB14_2089:
	s_or_b32 exec_lo, exec_lo, s17
	s_mov_b32 s17, 0
	s_branch .LBB14_2095
.LBB14_2090:
	s_mov_b32 s17, -1
                                        ; implicit-def: $vgpr4
	s_branch .LBB14_2101
.LBB14_2091:
	s_and_not1_saveexec_b32 s18, s18
	s_cbranch_execz .LBB14_2076
.LBB14_2092:
	v_cmp_ne_u16_e32 vcc_lo, 0, v1
	s_and_not1_b32 s19, s19, exec_lo
	s_and_b32 s20, vcc_lo, exec_lo
	s_delay_alu instid0(SALU_CYCLE_1)
	s_or_b32 s19, s19, s20
	s_or_b32 exec_lo, exec_lo, s18
	v_mov_b32_e32 v4, 0
	s_and_saveexec_b32 s18, s19
	s_cbranch_execnz .LBB14_2077
	s_branch .LBB14_2078
.LBB14_2093:
	s_mov_b32 s17, -1
                                        ; implicit-def: $vgpr4
	s_branch .LBB14_2098
.LBB14_2094:
	s_mov_b32 s17, -1
                                        ; implicit-def: $vgpr4
.LBB14_2095:
	s_delay_alu instid0(SALU_CYCLE_1)
	s_and_b32 vcc_lo, exec_lo, s17
	s_cbranch_vccz .LBB14_2097
; %bb.2096:
	global_load_u8 v1, v[6:7], off
	s_wait_loadcnt 0x0
	v_lshlrev_b32_e32 v1, 24, v1
	s_delay_alu instid0(VALU_DEP_1) | instskip(NEXT) | instid1(VALU_DEP_1)
	v_and_b32_e32 v3, 0x7f000000, v1
	v_clz_i32_u32_e32 v4, v3
	v_cmp_ne_u32_e32 vcc_lo, 0, v3
	v_add_nc_u32_e32 v8, 0x1000000, v3
	s_delay_alu instid0(VALU_DEP_3) | instskip(NEXT) | instid1(VALU_DEP_1)
	v_min_u32_e32 v4, 32, v4
	v_sub_nc_u32_e64 v4, v4, 4 clamp
	s_delay_alu instid0(VALU_DEP_1) | instskip(NEXT) | instid1(VALU_DEP_1)
	v_dual_lshlrev_b32 v5, v4, v3 :: v_dual_lshlrev_b32 v4, 23, v4
	v_lshrrev_b32_e32 v5, 4, v5
	s_delay_alu instid0(VALU_DEP_1) | instskip(SKIP_1) | instid1(VALU_DEP_2)
	v_sub_nc_u32_e32 v4, v5, v4
	v_ashrrev_i32_e32 v5, 8, v8
	v_add_nc_u32_e32 v4, 0x3c000000, v4
	s_delay_alu instid0(VALU_DEP_1) | instskip(NEXT) | instid1(VALU_DEP_1)
	v_and_or_b32 v4, 0x7f800000, v5, v4
	v_cndmask_b32_e32 v3, 0, v4, vcc_lo
	s_delay_alu instid0(VALU_DEP_1) | instskip(NEXT) | instid1(VALU_DEP_1)
	v_and_or_b32 v1, 0x80000000, v1, v3
	v_cvt_i32_f32_e32 v4, v1
.LBB14_2097:
	s_mov_b32 s17, 0
.LBB14_2098:
	s_delay_alu instid0(SALU_CYCLE_1)
	s_and_not1_b32 vcc_lo, exec_lo, s17
	s_cbranch_vccnz .LBB14_2100
; %bb.2099:
	global_load_u8 v1, v[6:7], off
	s_wait_loadcnt 0x0
	v_lshlrev_b32_e32 v3, 25, v1
	v_lshlrev_b16 v1, 8, v1
	s_delay_alu instid0(VALU_DEP_1) | instskip(NEXT) | instid1(VALU_DEP_3)
	v_and_or_b32 v5, 0x7f00, v1, 0.5
	v_lshrrev_b32_e32 v4, 4, v3
	v_bfe_i32 v1, v1, 0, 16
	s_delay_alu instid0(VALU_DEP_3) | instskip(NEXT) | instid1(VALU_DEP_3)
	v_add_f32_e32 v5, -0.5, v5
	v_or_b32_e32 v4, 0x70000000, v4
	s_delay_alu instid0(VALU_DEP_1) | instskip(SKIP_1) | instid1(VALU_DEP_2)
	v_mul_f32_e32 v4, 0x7800000, v4
	v_cmp_gt_u32_e32 vcc_lo, 0x8000000, v3
	v_cndmask_b32_e32 v3, v4, v5, vcc_lo
	s_delay_alu instid0(VALU_DEP_1) | instskip(NEXT) | instid1(VALU_DEP_1)
	v_and_or_b32 v1, 0x80000000, v1, v3
	v_cvt_i32_f32_e32 v4, v1
.LBB14_2100:
	s_mov_b32 s17, 0
	s_mov_b32 s18, -1
.LBB14_2101:
	s_and_not1_b32 vcc_lo, exec_lo, s17
	s_mov_b32 s17, 0
	s_cbranch_vccnz .LBB14_2112
; %bb.2102:
	s_cmp_gt_i32 s13, 14
	s_cbranch_scc0 .LBB14_2105
; %bb.2103:
	s_cmp_eq_u32 s13, 15
	s_cbranch_scc0 .LBB14_2108
; %bb.2104:
	global_load_u16 v1, v[6:7], off
	s_mov_b32 s16, 0
	s_mov_b32 s18, -1
	s_wait_loadcnt 0x0
	v_lshlrev_b32_e32 v1, 16, v1
	s_delay_alu instid0(VALU_DEP_1)
	v_cvt_i32_f32_e32 v4, v1
	s_branch .LBB14_2110
.LBB14_2105:
	s_mov_b32 s17, -1
	s_branch .LBB14_2109
.LBB14_2106:
	s_and_not1_saveexec_b32 s17, s17
	s_cbranch_execz .LBB14_2087
.LBB14_2107:
	v_cmp_ne_u16_e32 vcc_lo, 0, v1
	s_and_not1_b32 s18, s18, exec_lo
	s_and_b32 s19, vcc_lo, exec_lo
	s_delay_alu instid0(SALU_CYCLE_1)
	s_or_b32 s18, s18, s19
	s_or_b32 exec_lo, exec_lo, s17
	v_mov_b32_e32 v4, 0
	s_and_saveexec_b32 s17, s18
	s_cbranch_execnz .LBB14_2088
	s_branch .LBB14_2089
.LBB14_2108:
	s_mov_b32 s16, -1
.LBB14_2109:
                                        ; implicit-def: $vgpr4
.LBB14_2110:
	s_and_b32 vcc_lo, exec_lo, s17
	s_mov_b32 s17, 0
	s_cbranch_vccz .LBB14_2112
; %bb.2111:
	s_cmp_lg_u32 s13, 11
	s_mov_b32 s17, -1
	s_cselect_b32 s16, -1, 0
.LBB14_2112:
	s_delay_alu instid0(SALU_CYCLE_1)
	s_and_b32 vcc_lo, exec_lo, s16
	s_cbranch_vccnz .LBB14_2177
; %bb.2113:
	s_and_not1_b32 vcc_lo, exec_lo, s17
	s_cbranch_vccnz .LBB14_2115
.LBB14_2114:
	global_load_u8 v1, v[6:7], off
	s_mov_b32 s18, -1
	s_wait_loadcnt 0x0
	v_cmp_ne_u16_e32 vcc_lo, 0, v1
	v_cndmask_b32_e64 v4, 0, 1, vcc_lo
.LBB14_2115:
	s_mov_b32 s13, 0
.LBB14_2116:
	s_delay_alu instid0(SALU_CYCLE_1)
	s_and_b32 vcc_lo, exec_lo, s13
	s_cbranch_vccz .LBB14_2165
; %bb.2117:
	s_and_b32 s13, 0xffff, s0
	s_delay_alu instid0(SALU_CYCLE_1)
	s_cmp_lt_i32 s13, 5
	s_cbranch_scc1 .LBB14_2122
; %bb.2118:
	s_cmp_lt_i32 s13, 8
	s_cbranch_scc1 .LBB14_2123
; %bb.2119:
	;; [unrolled: 3-line block ×3, first 2 shown]
	s_cmp_gt_i32 s13, 9
	s_cbranch_scc0 .LBB14_2125
; %bb.2121:
	s_wait_loadcnt 0x0
	global_load_b64 v[4:5], v[6:7], off
	s_mov_b32 s16, 0
	s_wait_loadcnt 0x0
	v_cvt_i32_f64_e32 v4, v[4:5]
	s_branch .LBB14_2126
.LBB14_2122:
	s_mov_b32 s16, -1
                                        ; implicit-def: $vgpr4
	s_branch .LBB14_2144
.LBB14_2123:
	s_mov_b32 s16, -1
                                        ; implicit-def: $vgpr4
	s_branch .LBB14_2132
.LBB14_2124:
	s_mov_b32 s16, -1
                                        ; implicit-def: $vgpr4
	s_branch .LBB14_2129
.LBB14_2125:
	s_mov_b32 s16, -1
                                        ; implicit-def: $vgpr4
.LBB14_2126:
	s_delay_alu instid0(SALU_CYCLE_1)
	s_and_not1_b32 vcc_lo, exec_lo, s16
	s_cbranch_vccnz .LBB14_2128
; %bb.2127:
	global_load_b32 v1, v[6:7], off
	s_wait_loadcnt 0x0
	v_cvt_i32_f32_e32 v4, v1
.LBB14_2128:
	s_mov_b32 s16, 0
.LBB14_2129:
	s_delay_alu instid0(SALU_CYCLE_1)
	s_and_not1_b32 vcc_lo, exec_lo, s16
	s_cbranch_vccnz .LBB14_2131
; %bb.2130:
	global_load_b32 v1, v[6:7], off
	s_wait_loadcnt 0x0
	v_cvt_i16_f16_e32 v4, v1
.LBB14_2131:
	s_mov_b32 s16, 0
.LBB14_2132:
	s_delay_alu instid0(SALU_CYCLE_1)
	s_and_not1_b32 vcc_lo, exec_lo, s16
	s_cbranch_vccnz .LBB14_2143
; %bb.2133:
	s_cmp_lt_i32 s13, 6
	s_cbranch_scc1 .LBB14_2136
; %bb.2134:
	s_cmp_gt_i32 s13, 6
	s_cbranch_scc0 .LBB14_2137
; %bb.2135:
	s_wait_loadcnt 0x0
	global_load_b64 v[4:5], v[6:7], off
	s_mov_b32 s16, 0
	s_wait_loadcnt 0x0
	v_cvt_i32_f64_e32 v4, v[4:5]
	s_branch .LBB14_2138
.LBB14_2136:
	s_mov_b32 s16, -1
                                        ; implicit-def: $vgpr4
	s_branch .LBB14_2141
.LBB14_2137:
	s_mov_b32 s16, -1
                                        ; implicit-def: $vgpr4
.LBB14_2138:
	s_delay_alu instid0(SALU_CYCLE_1)
	s_and_not1_b32 vcc_lo, exec_lo, s16
	s_cbranch_vccnz .LBB14_2140
; %bb.2139:
	global_load_b32 v1, v[6:7], off
	s_wait_loadcnt 0x0
	v_cvt_i32_f32_e32 v4, v1
.LBB14_2140:
	s_mov_b32 s16, 0
.LBB14_2141:
	s_delay_alu instid0(SALU_CYCLE_1)
	s_and_not1_b32 vcc_lo, exec_lo, s16
	s_cbranch_vccnz .LBB14_2143
; %bb.2142:
	global_load_u16 v1, v[6:7], off
	s_wait_loadcnt 0x0
	v_cvt_i16_f16_e32 v4, v1
.LBB14_2143:
	s_mov_b32 s16, 0
.LBB14_2144:
	s_delay_alu instid0(SALU_CYCLE_1)
	s_and_not1_b32 vcc_lo, exec_lo, s16
	s_cbranch_vccnz .LBB14_2164
; %bb.2145:
	s_cmp_lt_i32 s13, 2
	s_cbranch_scc1 .LBB14_2149
; %bb.2146:
	s_cmp_lt_i32 s13, 3
	s_cbranch_scc1 .LBB14_2150
; %bb.2147:
	s_cmp_gt_i32 s13, 3
	s_cbranch_scc0 .LBB14_2151
; %bb.2148:
	s_wait_loadcnt 0x0
	global_load_b64 v[4:5], v[6:7], off
	s_mov_b32 s16, 0
	s_branch .LBB14_2152
.LBB14_2149:
	s_mov_b32 s16, -1
                                        ; implicit-def: $vgpr4
	s_branch .LBB14_2158
.LBB14_2150:
	s_mov_b32 s16, -1
                                        ; implicit-def: $vgpr4
	s_branch .LBB14_2155
.LBB14_2151:
	s_mov_b32 s16, -1
                                        ; implicit-def: $vgpr4
.LBB14_2152:
	s_delay_alu instid0(SALU_CYCLE_1)
	s_and_not1_b32 vcc_lo, exec_lo, s16
	s_cbranch_vccnz .LBB14_2154
; %bb.2153:
	s_wait_loadcnt 0x0
	global_load_b32 v4, v[6:7], off
.LBB14_2154:
	s_mov_b32 s16, 0
.LBB14_2155:
	s_delay_alu instid0(SALU_CYCLE_1)
	s_and_not1_b32 vcc_lo, exec_lo, s16
	s_cbranch_vccnz .LBB14_2157
; %bb.2156:
	s_wait_loadcnt 0x0
	global_load_u16 v4, v[6:7], off
.LBB14_2157:
	s_mov_b32 s16, 0
.LBB14_2158:
	s_delay_alu instid0(SALU_CYCLE_1)
	s_and_not1_b32 vcc_lo, exec_lo, s16
	s_cbranch_vccnz .LBB14_2164
; %bb.2159:
	s_cmp_gt_i32 s13, 0
	s_mov_b32 s13, 0
	s_cbranch_scc0 .LBB14_2161
; %bb.2160:
	s_wait_loadcnt 0x0
	global_load_u8 v4, v[6:7], off
	s_branch .LBB14_2162
.LBB14_2161:
	s_mov_b32 s13, -1
                                        ; implicit-def: $vgpr4
.LBB14_2162:
	s_delay_alu instid0(SALU_CYCLE_1)
	s_and_not1_b32 vcc_lo, exec_lo, s13
	s_cbranch_vccnz .LBB14_2164
; %bb.2163:
	s_wait_loadcnt 0x0
	global_load_u8 v4, v[6:7], off
.LBB14_2164:
	s_mov_b32 s18, -1
.LBB14_2165:
	s_delay_alu instid0(SALU_CYCLE_1)
	s_and_not1_b32 vcc_lo, exec_lo, s18
	s_cbranch_vccnz .LBB14_2635
; %bb.2166:
	v_add_nc_u32_e32 v2, s10, v2
	s_cmp_lt_i32 s1, 11
	s_delay_alu instid0(VALU_DEP_1) | instskip(SKIP_1) | instid1(VALU_DEP_1)
	v_ashrrev_i32_e32 v3, 31, v2
	s_wait_xcnt 0x0
	v_add_nc_u64_e32 v[6:7], s[2:3], v[2:3]
	s_cbranch_scc1 .LBB14_2173
; %bb.2167:
	s_and_b32 s13, 0xffff, s1
	s_mov_b32 s17, 0
	s_cmp_gt_i32 s13, 25
	s_cbranch_scc0 .LBB14_2174
; %bb.2168:
	s_cmp_gt_i32 s13, 28
	s_cbranch_scc0 .LBB14_2175
; %bb.2169:
	;; [unrolled: 3-line block ×4, first 2 shown]
	s_cmp_eq_u32 s13, 46
	s_mov_b32 s19, 0
	s_cbranch_scc0 .LBB14_2181
; %bb.2172:
	global_load_b32 v1, v[6:7], off
	s_mov_b32 s16, 0
	s_mov_b32 s18, -1
	s_wait_loadcnt 0x0
	v_lshlrev_b32_e32 v1, 16, v1
	s_delay_alu instid0(VALU_DEP_1)
	v_cvt_i32_f32_e32 v8, v1
	s_branch .LBB14_2183
.LBB14_2173:
	s_mov_b32 s13, -1
	s_mov_b32 s18, 0
                                        ; implicit-def: $vgpr8
	s_branch .LBB14_2245
.LBB14_2174:
	s_mov_b32 s19, -1
	s_mov_b32 s18, 0
	s_mov_b32 s16, 0
                                        ; implicit-def: $vgpr8
	s_branch .LBB14_2210
.LBB14_2175:
	s_mov_b32 s19, -1
	s_mov_b32 s18, 0
	s_mov_b32 s16, 0
                                        ; implicit-def: $vgpr8
	s_branch .LBB14_2193
.LBB14_2176:
	s_mov_b32 s19, -1
	s_mov_b32 s18, 0
	s_mov_b32 s16, 0
                                        ; implicit-def: $vgpr8
	s_branch .LBB14_2188
.LBB14_2177:
	s_or_b32 s12, s12, exec_lo
	s_trap 2
	s_cbranch_execz .LBB14_2114
	s_branch .LBB14_2115
.LBB14_2178:
	s_mov_b32 s19, -1
	s_mov_b32 s18, 0
	s_mov_b32 s16, 0
	s_branch .LBB14_2182
.LBB14_2179:
	s_and_not1_saveexec_b32 s31, s31
	s_cbranch_execz .LBB14_1075
.LBB14_2180:
	v_add_f32_e64 v4, 0x42800000, |v3|
	s_and_not1_b32 s30, s30, exec_lo
	s_delay_alu instid0(VALU_DEP_1) | instskip(NEXT) | instid1(VALU_DEP_1)
	v_and_b32_e32 v4, 0xff, v4
	v_cmp_ne_u32_e32 vcc_lo, 0, v4
	s_and_b32 s33, vcc_lo, exec_lo
	s_delay_alu instid0(SALU_CYCLE_1)
	s_or_b32 s30, s30, s33
	s_or_b32 exec_lo, exec_lo, s31
	v_mov_b32_e32 v5, 0
	s_and_saveexec_b32 s31, s30
	s_cbranch_execnz .LBB14_1076
	s_branch .LBB14_1077
.LBB14_2181:
	s_mov_b32 s16, -1
	s_mov_b32 s18, 0
.LBB14_2182:
                                        ; implicit-def: $vgpr8
.LBB14_2183:
	s_and_b32 vcc_lo, exec_lo, s19
	s_cbranch_vccz .LBB14_2187
; %bb.2184:
	s_cmp_eq_u32 s13, 44
	s_cbranch_scc0 .LBB14_2186
; %bb.2185:
	global_load_u8 v1, v[6:7], off
	s_mov_b32 s16, 0
	s_mov_b32 s18, -1
	s_wait_loadcnt 0x0
	v_lshlrev_b32_e32 v3, 23, v1
	v_cmp_ne_u32_e32 vcc_lo, 0, v1
	s_delay_alu instid0(VALU_DEP_2) | instskip(NEXT) | instid1(VALU_DEP_1)
	v_cvt_i32_f32_e32 v3, v3
	v_cndmask_b32_e32 v8, 0, v3, vcc_lo
	s_branch .LBB14_2187
.LBB14_2186:
	s_mov_b32 s16, -1
                                        ; implicit-def: $vgpr8
.LBB14_2187:
	s_mov_b32 s19, 0
.LBB14_2188:
	s_delay_alu instid0(SALU_CYCLE_1)
	s_and_b32 vcc_lo, exec_lo, s19
	s_cbranch_vccz .LBB14_2192
; %bb.2189:
	s_cmp_eq_u32 s13, 29
	s_cbranch_scc0 .LBB14_2191
; %bb.2190:
	global_load_b64 v[8:9], v[6:7], off
	s_mov_b32 s16, 0
	s_mov_b32 s18, -1
	s_branch .LBB14_2192
.LBB14_2191:
	s_mov_b32 s16, -1
                                        ; implicit-def: $vgpr8
.LBB14_2192:
	s_mov_b32 s19, 0
.LBB14_2193:
	s_delay_alu instid0(SALU_CYCLE_1)
	s_and_b32 vcc_lo, exec_lo, s19
	s_cbranch_vccz .LBB14_2209
; %bb.2194:
	s_cmp_lt_i32 s13, 27
	s_cbranch_scc1 .LBB14_2197
; %bb.2195:
	s_cmp_gt_i32 s13, 27
	s_cbranch_scc0 .LBB14_2198
; %bb.2196:
	s_wait_loadcnt 0x0
	global_load_b32 v8, v[6:7], off
	s_mov_b32 s18, 0
	s_branch .LBB14_2199
.LBB14_2197:
	s_mov_b32 s18, -1
                                        ; implicit-def: $vgpr8
	s_branch .LBB14_2202
.LBB14_2198:
	s_mov_b32 s18, -1
                                        ; implicit-def: $vgpr8
.LBB14_2199:
	s_delay_alu instid0(SALU_CYCLE_1)
	s_and_not1_b32 vcc_lo, exec_lo, s18
	s_cbranch_vccnz .LBB14_2201
; %bb.2200:
	s_wait_loadcnt 0x0
	global_load_u16 v8, v[6:7], off
.LBB14_2201:
	s_mov_b32 s18, 0
.LBB14_2202:
	s_delay_alu instid0(SALU_CYCLE_1)
	s_and_not1_b32 vcc_lo, exec_lo, s18
	s_cbranch_vccnz .LBB14_2208
; %bb.2203:
	global_load_u8 v1, v[6:7], off
	s_mov_b32 s19, 0
	s_mov_b32 s18, exec_lo
	s_wait_loadcnt 0x0
	v_cmpx_lt_i16_e32 0x7f, v1
	s_xor_b32 s18, exec_lo, s18
	s_cbranch_execz .LBB14_2220
; %bb.2204:
	v_cmp_ne_u16_e32 vcc_lo, 0x80, v1
	s_and_b32 s19, vcc_lo, exec_lo
	s_and_not1_saveexec_b32 s18, s18
	s_cbranch_execnz .LBB14_2221
.LBB14_2205:
	s_or_b32 exec_lo, exec_lo, s18
	v_mov_b32_e32 v8, 0
	s_and_saveexec_b32 s18, s19
	s_cbranch_execz .LBB14_2207
.LBB14_2206:
	v_and_b32_e32 v3, 0xffff, v1
	s_delay_alu instid0(VALU_DEP_1) | instskip(SKIP_1) | instid1(VALU_DEP_2)
	v_and_b32_e32 v5, 7, v3
	v_bfe_u32 v13, v3, 3, 4
	v_clz_i32_u32_e32 v8, v5
	s_delay_alu instid0(VALU_DEP_2) | instskip(NEXT) | instid1(VALU_DEP_2)
	v_cmp_eq_u32_e32 vcc_lo, 0, v13
	v_min_u32_e32 v8, 32, v8
	s_delay_alu instid0(VALU_DEP_1) | instskip(NEXT) | instid1(VALU_DEP_1)
	v_subrev_nc_u32_e32 v9, 28, v8
	v_dual_lshlrev_b32 v3, v9, v3 :: v_dual_sub_nc_u32 v8, 29, v8
	s_delay_alu instid0(VALU_DEP_1) | instskip(NEXT) | instid1(VALU_DEP_2)
	v_dual_lshlrev_b32 v1, 24, v1 :: v_dual_bitop2_b32 v3, 7, v3 bitop3:0x40
	v_cndmask_b32_e32 v8, v13, v8, vcc_lo
	s_delay_alu instid0(VALU_DEP_2) | instskip(NEXT) | instid1(VALU_DEP_3)
	v_cndmask_b32_e32 v3, v5, v3, vcc_lo
	v_and_b32_e32 v1, 0x80000000, v1
	s_delay_alu instid0(VALU_DEP_3) | instskip(NEXT) | instid1(VALU_DEP_3)
	v_lshl_add_u32 v5, v8, 23, 0x3b800000
	v_lshlrev_b32_e32 v3, 20, v3
	s_delay_alu instid0(VALU_DEP_1) | instskip(NEXT) | instid1(VALU_DEP_1)
	v_or3_b32 v1, v1, v5, v3
	v_cvt_i32_f32_e32 v8, v1
.LBB14_2207:
	s_or_b32 exec_lo, exec_lo, s18
.LBB14_2208:
	s_mov_b32 s18, -1
.LBB14_2209:
	s_mov_b32 s19, 0
.LBB14_2210:
	s_delay_alu instid0(SALU_CYCLE_1)
	s_and_b32 vcc_lo, exec_lo, s19
	s_cbranch_vccz .LBB14_2241
; %bb.2211:
	s_cmp_gt_i32 s13, 22
	s_cbranch_scc0 .LBB14_2219
; %bb.2212:
	s_cmp_lt_i32 s13, 24
	s_cbranch_scc1 .LBB14_2222
; %bb.2213:
	s_cmp_gt_i32 s13, 24
	s_cbranch_scc0 .LBB14_2223
; %bb.2214:
	global_load_u8 v1, v[6:7], off
	s_mov_b32 s18, 0
	s_mov_b32 s17, exec_lo
	s_wait_loadcnt 0x0
	v_cmpx_lt_i16_e32 0x7f, v1
	s_xor_b32 s17, exec_lo, s17
	s_cbranch_execz .LBB14_2235
; %bb.2215:
	v_cmp_ne_u16_e32 vcc_lo, 0x80, v1
	s_and_b32 s18, vcc_lo, exec_lo
	s_and_not1_saveexec_b32 s17, s17
	s_cbranch_execnz .LBB14_2236
.LBB14_2216:
	s_or_b32 exec_lo, exec_lo, s17
	v_mov_b32_e32 v8, 0
	s_and_saveexec_b32 s17, s18
	s_cbranch_execz .LBB14_2218
.LBB14_2217:
	v_and_b32_e32 v3, 0xffff, v1
	s_delay_alu instid0(VALU_DEP_1) | instskip(SKIP_1) | instid1(VALU_DEP_2)
	v_and_b32_e32 v5, 3, v3
	v_bfe_u32 v13, v3, 2, 5
	v_clz_i32_u32_e32 v8, v5
	s_delay_alu instid0(VALU_DEP_2) | instskip(NEXT) | instid1(VALU_DEP_2)
	v_cmp_eq_u32_e32 vcc_lo, 0, v13
	v_min_u32_e32 v8, 32, v8
	s_delay_alu instid0(VALU_DEP_1) | instskip(NEXT) | instid1(VALU_DEP_1)
	v_subrev_nc_u32_e32 v9, 29, v8
	v_dual_lshlrev_b32 v3, v9, v3 :: v_dual_sub_nc_u32 v8, 30, v8
	s_delay_alu instid0(VALU_DEP_1) | instskip(NEXT) | instid1(VALU_DEP_2)
	v_dual_lshlrev_b32 v1, 24, v1 :: v_dual_bitop2_b32 v3, 3, v3 bitop3:0x40
	v_cndmask_b32_e32 v8, v13, v8, vcc_lo
	s_delay_alu instid0(VALU_DEP_2) | instskip(NEXT) | instid1(VALU_DEP_3)
	v_cndmask_b32_e32 v3, v5, v3, vcc_lo
	v_and_b32_e32 v1, 0x80000000, v1
	s_delay_alu instid0(VALU_DEP_3) | instskip(NEXT) | instid1(VALU_DEP_3)
	v_lshl_add_u32 v5, v8, 23, 0x37800000
	v_lshlrev_b32_e32 v3, 21, v3
	s_delay_alu instid0(VALU_DEP_1) | instskip(NEXT) | instid1(VALU_DEP_1)
	v_or3_b32 v1, v1, v5, v3
	v_cvt_i32_f32_e32 v8, v1
.LBB14_2218:
	s_or_b32 exec_lo, exec_lo, s17
	s_mov_b32 s17, 0
	s_branch .LBB14_2224
.LBB14_2219:
	s_mov_b32 s17, -1
                                        ; implicit-def: $vgpr8
	s_branch .LBB14_2230
.LBB14_2220:
	s_and_not1_saveexec_b32 s18, s18
	s_cbranch_execz .LBB14_2205
.LBB14_2221:
	v_cmp_ne_u16_e32 vcc_lo, 0, v1
	s_and_not1_b32 s19, s19, exec_lo
	s_and_b32 s20, vcc_lo, exec_lo
	s_delay_alu instid0(SALU_CYCLE_1)
	s_or_b32 s19, s19, s20
	s_or_b32 exec_lo, exec_lo, s18
	v_mov_b32_e32 v8, 0
	s_and_saveexec_b32 s18, s19
	s_cbranch_execnz .LBB14_2206
	s_branch .LBB14_2207
.LBB14_2222:
	s_mov_b32 s17, -1
                                        ; implicit-def: $vgpr8
	s_branch .LBB14_2227
.LBB14_2223:
	s_mov_b32 s17, -1
                                        ; implicit-def: $vgpr8
.LBB14_2224:
	s_delay_alu instid0(SALU_CYCLE_1)
	s_and_b32 vcc_lo, exec_lo, s17
	s_cbranch_vccz .LBB14_2226
; %bb.2225:
	global_load_u8 v1, v[6:7], off
	s_wait_loadcnt 0x0
	v_lshlrev_b32_e32 v1, 24, v1
	s_delay_alu instid0(VALU_DEP_1) | instskip(NEXT) | instid1(VALU_DEP_1)
	v_and_b32_e32 v3, 0x7f000000, v1
	v_clz_i32_u32_e32 v5, v3
	v_add_nc_u32_e32 v9, 0x1000000, v3
	v_cmp_ne_u32_e32 vcc_lo, 0, v3
	s_delay_alu instid0(VALU_DEP_3) | instskip(NEXT) | instid1(VALU_DEP_1)
	v_min_u32_e32 v5, 32, v5
	v_sub_nc_u32_e64 v5, v5, 4 clamp
	s_delay_alu instid0(VALU_DEP_1) | instskip(NEXT) | instid1(VALU_DEP_1)
	v_dual_lshlrev_b32 v8, v5, v3 :: v_dual_lshlrev_b32 v5, 23, v5
	v_lshrrev_b32_e32 v8, 4, v8
	s_delay_alu instid0(VALU_DEP_1) | instskip(SKIP_1) | instid1(VALU_DEP_2)
	v_sub_nc_u32_e32 v5, v8, v5
	v_ashrrev_i32_e32 v8, 8, v9
	v_add_nc_u32_e32 v5, 0x3c000000, v5
	s_delay_alu instid0(VALU_DEP_1) | instskip(NEXT) | instid1(VALU_DEP_1)
	v_and_or_b32 v5, 0x7f800000, v8, v5
	v_cndmask_b32_e32 v3, 0, v5, vcc_lo
	s_delay_alu instid0(VALU_DEP_1) | instskip(NEXT) | instid1(VALU_DEP_1)
	v_and_or_b32 v1, 0x80000000, v1, v3
	v_cvt_i32_f32_e32 v8, v1
.LBB14_2226:
	s_mov_b32 s17, 0
.LBB14_2227:
	s_delay_alu instid0(SALU_CYCLE_1)
	s_and_not1_b32 vcc_lo, exec_lo, s17
	s_cbranch_vccnz .LBB14_2229
; %bb.2228:
	global_load_u8 v1, v[6:7], off
	s_wait_loadcnt 0x0
	v_lshlrev_b32_e32 v3, 25, v1
	v_lshlrev_b16 v1, 8, v1
	s_delay_alu instid0(VALU_DEP_1) | instskip(SKIP_1) | instid1(VALU_DEP_2)
	v_and_or_b32 v8, 0x7f00, v1, 0.5
	v_bfe_i32 v1, v1, 0, 16
	v_dual_add_f32 v8, -0.5, v8 :: v_dual_lshrrev_b32 v5, 4, v3
	v_cmp_gt_u32_e32 vcc_lo, 0x8000000, v3
	s_delay_alu instid0(VALU_DEP_2) | instskip(NEXT) | instid1(VALU_DEP_1)
	v_or_b32_e32 v5, 0x70000000, v5
	v_mul_f32_e32 v5, 0x7800000, v5
	s_delay_alu instid0(VALU_DEP_1) | instskip(NEXT) | instid1(VALU_DEP_1)
	v_cndmask_b32_e32 v3, v5, v8, vcc_lo
	v_and_or_b32 v1, 0x80000000, v1, v3
	s_delay_alu instid0(VALU_DEP_1)
	v_cvt_i32_f32_e32 v8, v1
.LBB14_2229:
	s_mov_b32 s17, 0
	s_mov_b32 s18, -1
.LBB14_2230:
	s_and_not1_b32 vcc_lo, exec_lo, s17
	s_mov_b32 s17, 0
	s_cbranch_vccnz .LBB14_2241
; %bb.2231:
	s_cmp_gt_i32 s13, 14
	s_cbranch_scc0 .LBB14_2234
; %bb.2232:
	s_cmp_eq_u32 s13, 15
	s_cbranch_scc0 .LBB14_2237
; %bb.2233:
	global_load_u16 v1, v[6:7], off
	s_mov_b32 s16, 0
	s_mov_b32 s18, -1
	s_wait_loadcnt 0x0
	v_lshlrev_b32_e32 v1, 16, v1
	s_delay_alu instid0(VALU_DEP_1)
	v_cvt_i32_f32_e32 v8, v1
	s_branch .LBB14_2239
.LBB14_2234:
	s_mov_b32 s17, -1
	s_branch .LBB14_2238
.LBB14_2235:
	s_and_not1_saveexec_b32 s17, s17
	s_cbranch_execz .LBB14_2216
.LBB14_2236:
	v_cmp_ne_u16_e32 vcc_lo, 0, v1
	s_and_not1_b32 s18, s18, exec_lo
	s_and_b32 s19, vcc_lo, exec_lo
	s_delay_alu instid0(SALU_CYCLE_1)
	s_or_b32 s18, s18, s19
	s_or_b32 exec_lo, exec_lo, s17
	v_mov_b32_e32 v8, 0
	s_and_saveexec_b32 s17, s18
	s_cbranch_execnz .LBB14_2217
	s_branch .LBB14_2218
.LBB14_2237:
	s_mov_b32 s16, -1
.LBB14_2238:
                                        ; implicit-def: $vgpr8
.LBB14_2239:
	s_and_b32 vcc_lo, exec_lo, s17
	s_mov_b32 s17, 0
	s_cbranch_vccz .LBB14_2241
; %bb.2240:
	s_cmp_lg_u32 s13, 11
	s_mov_b32 s17, -1
	s_cselect_b32 s16, -1, 0
.LBB14_2241:
	s_delay_alu instid0(SALU_CYCLE_1)
	s_and_b32 vcc_lo, exec_lo, s16
	s_cbranch_vccnz .LBB14_2310
; %bb.2242:
	s_and_not1_b32 vcc_lo, exec_lo, s17
	s_cbranch_vccnz .LBB14_2244
.LBB14_2243:
	global_load_u8 v1, v[6:7], off
	s_mov_b32 s18, -1
	s_wait_loadcnt 0x0
	v_cmp_ne_u16_e32 vcc_lo, 0, v1
	v_cndmask_b32_e64 v8, 0, 1, vcc_lo
.LBB14_2244:
	s_mov_b32 s13, 0
.LBB14_2245:
	s_delay_alu instid0(SALU_CYCLE_1)
	s_and_b32 vcc_lo, exec_lo, s13
	s_cbranch_vccz .LBB14_2294
; %bb.2246:
	s_and_b32 s13, 0xffff, s1
	s_delay_alu instid0(SALU_CYCLE_1)
	s_cmp_lt_i32 s13, 5
	s_cbranch_scc1 .LBB14_2251
; %bb.2247:
	s_cmp_lt_i32 s13, 8
	s_cbranch_scc1 .LBB14_2252
; %bb.2248:
	;; [unrolled: 3-line block ×3, first 2 shown]
	s_cmp_gt_i32 s13, 9
	s_cbranch_scc0 .LBB14_2254
; %bb.2250:
	s_wait_loadcnt 0x0
	global_load_b64 v[8:9], v[6:7], off
	s_mov_b32 s16, 0
	s_wait_loadcnt 0x0
	v_cvt_i32_f64_e32 v8, v[8:9]
	s_branch .LBB14_2255
.LBB14_2251:
	s_mov_b32 s16, -1
                                        ; implicit-def: $vgpr8
	s_branch .LBB14_2273
.LBB14_2252:
	s_mov_b32 s16, -1
                                        ; implicit-def: $vgpr8
	s_branch .LBB14_2261
.LBB14_2253:
	s_mov_b32 s16, -1
                                        ; implicit-def: $vgpr8
	s_branch .LBB14_2258
.LBB14_2254:
	s_mov_b32 s16, -1
                                        ; implicit-def: $vgpr8
.LBB14_2255:
	s_delay_alu instid0(SALU_CYCLE_1)
	s_and_not1_b32 vcc_lo, exec_lo, s16
	s_cbranch_vccnz .LBB14_2257
; %bb.2256:
	global_load_b32 v1, v[6:7], off
	s_wait_loadcnt 0x0
	v_cvt_i32_f32_e32 v8, v1
.LBB14_2257:
	s_mov_b32 s16, 0
.LBB14_2258:
	s_delay_alu instid0(SALU_CYCLE_1)
	s_and_not1_b32 vcc_lo, exec_lo, s16
	s_cbranch_vccnz .LBB14_2260
; %bb.2259:
	global_load_b32 v1, v[6:7], off
	s_wait_loadcnt 0x0
	v_cvt_i16_f16_e32 v8, v1
.LBB14_2260:
	s_mov_b32 s16, 0
.LBB14_2261:
	s_delay_alu instid0(SALU_CYCLE_1)
	s_and_not1_b32 vcc_lo, exec_lo, s16
	s_cbranch_vccnz .LBB14_2272
; %bb.2262:
	s_cmp_lt_i32 s13, 6
	s_cbranch_scc1 .LBB14_2265
; %bb.2263:
	s_cmp_gt_i32 s13, 6
	s_cbranch_scc0 .LBB14_2266
; %bb.2264:
	s_wait_loadcnt 0x0
	global_load_b64 v[8:9], v[6:7], off
	s_mov_b32 s16, 0
	s_wait_loadcnt 0x0
	v_cvt_i32_f64_e32 v8, v[8:9]
	s_branch .LBB14_2267
.LBB14_2265:
	s_mov_b32 s16, -1
                                        ; implicit-def: $vgpr8
	s_branch .LBB14_2270
.LBB14_2266:
	s_mov_b32 s16, -1
                                        ; implicit-def: $vgpr8
.LBB14_2267:
	s_delay_alu instid0(SALU_CYCLE_1)
	s_and_not1_b32 vcc_lo, exec_lo, s16
	s_cbranch_vccnz .LBB14_2269
; %bb.2268:
	global_load_b32 v1, v[6:7], off
	s_wait_loadcnt 0x0
	v_cvt_i32_f32_e32 v8, v1
.LBB14_2269:
	s_mov_b32 s16, 0
.LBB14_2270:
	s_delay_alu instid0(SALU_CYCLE_1)
	s_and_not1_b32 vcc_lo, exec_lo, s16
	s_cbranch_vccnz .LBB14_2272
; %bb.2271:
	global_load_u16 v1, v[6:7], off
	s_wait_loadcnt 0x0
	v_cvt_i16_f16_e32 v8, v1
.LBB14_2272:
	s_mov_b32 s16, 0
.LBB14_2273:
	s_delay_alu instid0(SALU_CYCLE_1)
	s_and_not1_b32 vcc_lo, exec_lo, s16
	s_cbranch_vccnz .LBB14_2293
; %bb.2274:
	s_cmp_lt_i32 s13, 2
	s_cbranch_scc1 .LBB14_2278
; %bb.2275:
	s_cmp_lt_i32 s13, 3
	s_cbranch_scc1 .LBB14_2279
; %bb.2276:
	s_cmp_gt_i32 s13, 3
	s_cbranch_scc0 .LBB14_2280
; %bb.2277:
	s_wait_loadcnt 0x0
	global_load_b64 v[8:9], v[6:7], off
	s_mov_b32 s16, 0
	s_branch .LBB14_2281
.LBB14_2278:
	s_mov_b32 s16, -1
                                        ; implicit-def: $vgpr8
	s_branch .LBB14_2287
.LBB14_2279:
	s_mov_b32 s16, -1
                                        ; implicit-def: $vgpr8
	s_branch .LBB14_2284
.LBB14_2280:
	s_mov_b32 s16, -1
                                        ; implicit-def: $vgpr8
.LBB14_2281:
	s_delay_alu instid0(SALU_CYCLE_1)
	s_and_not1_b32 vcc_lo, exec_lo, s16
	s_cbranch_vccnz .LBB14_2283
; %bb.2282:
	s_wait_loadcnt 0x0
	global_load_b32 v8, v[6:7], off
.LBB14_2283:
	s_mov_b32 s16, 0
.LBB14_2284:
	s_delay_alu instid0(SALU_CYCLE_1)
	s_and_not1_b32 vcc_lo, exec_lo, s16
	s_cbranch_vccnz .LBB14_2286
; %bb.2285:
	s_wait_loadcnt 0x0
	global_load_u16 v8, v[6:7], off
.LBB14_2286:
	s_mov_b32 s16, 0
.LBB14_2287:
	s_delay_alu instid0(SALU_CYCLE_1)
	s_and_not1_b32 vcc_lo, exec_lo, s16
	s_cbranch_vccnz .LBB14_2293
; %bb.2288:
	s_cmp_gt_i32 s13, 0
	s_mov_b32 s13, 0
	s_cbranch_scc0 .LBB14_2290
; %bb.2289:
	s_wait_loadcnt 0x0
	global_load_u8 v8, v[6:7], off
	s_branch .LBB14_2291
.LBB14_2290:
	s_mov_b32 s13, -1
                                        ; implicit-def: $vgpr8
.LBB14_2291:
	s_delay_alu instid0(SALU_CYCLE_1)
	s_and_not1_b32 vcc_lo, exec_lo, s13
	s_cbranch_vccnz .LBB14_2293
; %bb.2292:
	s_wait_loadcnt 0x0
	global_load_u8 v8, v[6:7], off
.LBB14_2293:
	s_mov_b32 s18, -1
.LBB14_2294:
	s_delay_alu instid0(SALU_CYCLE_1)
	s_and_not1_b32 vcc_lo, exec_lo, s18
	s_cbranch_vccnz .LBB14_2635
; %bb.2295:
	s_wait_loadcnt 0x0
	s_delay_alu instid0(VALU_DEP_1) | instskip(SKIP_3) | instid1(VALU_DEP_2)
	v_bfe_i32 v1, v8, 0, 8
	v_and_b32_e32 v5, 0xff, v4
	s_mov_b32 s16, 0
	s_mov_b32 s13, exec_lo
	v_sub_nc_u16 v3, 0, v1
	s_wait_xcnt 0x0
	s_delay_alu instid0(VALU_DEP_1)
	v_max_i16 v6, v1, v3
	v_cmpx_ne_u16_e32 0, v5
	s_cbranch_execz .LBB14_2299
; %bb.2296:
	v_bfe_i32 v1, v4, 0, 8
	s_delay_alu instid0(VALU_DEP_1) | instskip(NEXT) | instid1(VALU_DEP_1)
	v_sub_nc_u16 v3, 0, v1
	v_max_i16 v3, v1, v3
	v_and_b32_e32 v1, 0xff, v6
	s_delay_alu instid0(VALU_DEP_2)
	v_and_b32_e32 v3, 0xffff, v3
.LBB14_2297:                            ; =>This Inner Loop Header: Depth=1
	s_delay_alu instid0(VALU_DEP_2) | instskip(NEXT) | instid1(VALU_DEP_2)
	v_bfe_i32 v5, v1, 0, 8
	v_mov_b32_e32 v6, v3
	s_delay_alu instid0(VALU_DEP_2) | instskip(NEXT) | instid1(VALU_DEP_2)
	v_cvt_f32_i32_e32 v8, v5
	v_bfe_i32 v3, v6, 0, 8
	s_delay_alu instid0(VALU_DEP_1) | instskip(SKIP_1) | instid1(VALU_DEP_2)
	v_cvt_f32_i32_e32 v4, v3
	v_xor_b32_e32 v3, v5, v3
	v_rcp_iflag_f32_e32 v7, v4
	v_nop
	s_delay_alu instid0(TRANS32_DEP_1) | instskip(NEXT) | instid1(VALU_DEP_1)
	v_mul_f32_e32 v5, v8, v7
	v_trunc_f32_e32 v5, v5
	s_delay_alu instid0(VALU_DEP_1) | instskip(NEXT) | instid1(VALU_DEP_1)
	v_dual_ashrrev_i32 v3, 30, v3 :: v_dual_fma_f32 v7, -v5, v4, v8
	v_or_b32_e32 v3, 1, v3
	v_cvt_i32_f32_e32 v5, v5
	s_delay_alu instid0(VALU_DEP_3) | instskip(NEXT) | instid1(VALU_DEP_3)
	v_cmp_ge_f32_e64 vcc_lo, |v7|, |v4|
	v_cndmask_b32_e32 v3, 0, v3, vcc_lo
	s_delay_alu instid0(VALU_DEP_1) | instskip(NEXT) | instid1(VALU_DEP_1)
	v_add_nc_u32_e32 v3, v5, v3
	v_mul_lo_u32 v3, v3, v6
	s_delay_alu instid0(VALU_DEP_1) | instskip(NEXT) | instid1(VALU_DEP_1)
	v_sub_nc_u32_e32 v1, v1, v3
	v_bfe_i32 v3, v1, 0, 8
	v_mov_b32_e32 v1, v6
	s_delay_alu instid0(VALU_DEP_2) | instskip(SKIP_2) | instid1(SALU_CYCLE_1)
	v_cmp_eq_u16_e32 vcc_lo, 0, v3
	v_and_b32_e32 v3, 0xffff, v3
	s_or_b32 s16, vcc_lo, s16
	s_and_not1_b32 exec_lo, exec_lo, s16
	s_cbranch_execnz .LBB14_2297
; %bb.2298:
	s_or_b32 exec_lo, exec_lo, s16
.LBB14_2299:
	s_delay_alu instid0(SALU_CYCLE_1) | instskip(SKIP_2) | instid1(VALU_DEP_1)
	s_or_b32 exec_lo, exec_lo, s13
	v_add_nc_u32_e32 v0, s9, v0
	s_cmp_lt_i32 s0, 11
	v_ashrrev_i32_e32 v1, 31, v0
	s_delay_alu instid0(VALU_DEP_1)
	v_add_nc_u64_e32 v[4:5], s[6:7], v[0:1]
	s_cbranch_scc1 .LBB14_2306
; %bb.2300:
	s_and_b32 s6, 0xffff, s0
	s_mov_b32 s9, 0
	s_cmp_gt_i32 s6, 25
	s_cbranch_scc0 .LBB14_2307
; %bb.2301:
	s_cmp_gt_i32 s6, 28
	s_cbranch_scc0 .LBB14_2308
; %bb.2302:
	;; [unrolled: 3-line block ×4, first 2 shown]
	s_cmp_eq_u32 s6, 46
	s_mov_b32 s16, 0
	s_cbranch_scc0 .LBB14_2312
; %bb.2305:
	global_load_b32 v0, v[4:5], off
	s_mov_b32 s7, 0
	s_mov_b32 s13, -1
	s_wait_loadcnt 0x0
	v_lshlrev_b32_e32 v0, 16, v0
	s_delay_alu instid0(VALU_DEP_1)
	v_cvt_i32_f32_e32 v0, v0
	s_branch .LBB14_2314
.LBB14_2306:
	s_mov_b32 s6, -1
	s_mov_b32 s13, 0
                                        ; implicit-def: $vgpr0
	s_branch .LBB14_2376
.LBB14_2307:
	s_mov_b32 s16, -1
	s_mov_b32 s13, 0
	s_mov_b32 s7, 0
                                        ; implicit-def: $vgpr0
	s_branch .LBB14_2341
.LBB14_2308:
	s_mov_b32 s16, -1
	s_mov_b32 s13, 0
	s_mov_b32 s7, 0
                                        ; implicit-def: $vgpr0
	s_branch .LBB14_2324
.LBB14_2309:
	s_mov_b32 s16, -1
	s_mov_b32 s13, 0
	s_mov_b32 s7, 0
                                        ; implicit-def: $vgpr0
	s_branch .LBB14_2319
.LBB14_2310:
	s_or_b32 s12, s12, exec_lo
	s_trap 2
	s_cbranch_execz .LBB14_2243
	s_branch .LBB14_2244
.LBB14_2311:
	s_mov_b32 s16, -1
	s_mov_b32 s13, 0
	s_mov_b32 s7, 0
	s_branch .LBB14_2313
.LBB14_2312:
	s_mov_b32 s7, -1
	s_mov_b32 s13, 0
.LBB14_2313:
                                        ; implicit-def: $vgpr0
.LBB14_2314:
	s_and_b32 vcc_lo, exec_lo, s16
	s_cbranch_vccz .LBB14_2318
; %bb.2315:
	s_cmp_eq_u32 s6, 44
	s_cbranch_scc0 .LBB14_2317
; %bb.2316:
	global_load_u8 v0, v[4:5], off
	s_mov_b32 s7, 0
	s_mov_b32 s13, -1
	s_wait_loadcnt 0x0
	v_lshlrev_b32_e32 v1, 23, v0
	v_cmp_ne_u32_e32 vcc_lo, 0, v0
	s_delay_alu instid0(VALU_DEP_2) | instskip(NEXT) | instid1(VALU_DEP_1)
	v_cvt_i32_f32_e32 v1, v1
	v_cndmask_b32_e32 v0, 0, v1, vcc_lo
	s_branch .LBB14_2318
.LBB14_2317:
	s_mov_b32 s7, -1
                                        ; implicit-def: $vgpr0
.LBB14_2318:
	s_mov_b32 s16, 0
.LBB14_2319:
	s_delay_alu instid0(SALU_CYCLE_1)
	s_and_b32 vcc_lo, exec_lo, s16
	s_cbranch_vccz .LBB14_2323
; %bb.2320:
	s_cmp_eq_u32 s6, 29
	s_cbranch_scc0 .LBB14_2322
; %bb.2321:
	global_load_b64 v[0:1], v[4:5], off
	s_mov_b32 s7, 0
	s_mov_b32 s13, -1
	s_branch .LBB14_2323
.LBB14_2322:
	s_mov_b32 s7, -1
                                        ; implicit-def: $vgpr0
.LBB14_2323:
	s_mov_b32 s16, 0
.LBB14_2324:
	s_delay_alu instid0(SALU_CYCLE_1)
	s_and_b32 vcc_lo, exec_lo, s16
	s_cbranch_vccz .LBB14_2340
; %bb.2325:
	s_cmp_lt_i32 s6, 27
	s_cbranch_scc1 .LBB14_2328
; %bb.2326:
	s_cmp_gt_i32 s6, 27
	s_cbranch_scc0 .LBB14_2329
; %bb.2327:
	s_wait_loadcnt 0x0
	global_load_b32 v0, v[4:5], off
	s_mov_b32 s13, 0
	s_branch .LBB14_2330
.LBB14_2328:
	s_mov_b32 s13, -1
                                        ; implicit-def: $vgpr0
	s_branch .LBB14_2333
.LBB14_2329:
	s_mov_b32 s13, -1
                                        ; implicit-def: $vgpr0
.LBB14_2330:
	s_delay_alu instid0(SALU_CYCLE_1)
	s_and_not1_b32 vcc_lo, exec_lo, s13
	s_cbranch_vccnz .LBB14_2332
; %bb.2331:
	s_wait_loadcnt 0x0
	global_load_u16 v0, v[4:5], off
.LBB14_2332:
	s_mov_b32 s13, 0
.LBB14_2333:
	s_delay_alu instid0(SALU_CYCLE_1)
	s_and_not1_b32 vcc_lo, exec_lo, s13
	s_cbranch_vccnz .LBB14_2339
; %bb.2334:
	s_wait_loadcnt 0x0
	global_load_u8 v1, v[4:5], off
	s_mov_b32 s16, 0
	s_mov_b32 s13, exec_lo
	s_wait_loadcnt 0x0
	v_cmpx_lt_i16_e32 0x7f, v1
	s_xor_b32 s13, exec_lo, s13
	s_cbranch_execz .LBB14_2351
; %bb.2335:
	v_cmp_ne_u16_e32 vcc_lo, 0x80, v1
	s_and_b32 s16, vcc_lo, exec_lo
	s_and_not1_saveexec_b32 s13, s13
	s_cbranch_execnz .LBB14_2352
.LBB14_2336:
	s_or_b32 exec_lo, exec_lo, s13
	v_mov_b32_e32 v0, 0
	s_and_saveexec_b32 s13, s16
	s_cbranch_execz .LBB14_2338
.LBB14_2337:
	v_and_b32_e32 v0, 0xffff, v1
	s_delay_alu instid0(VALU_DEP_1) | instskip(SKIP_1) | instid1(VALU_DEP_2)
	v_and_b32_e32 v3, 7, v0
	v_bfe_u32 v9, v0, 3, 4
	v_clz_i32_u32_e32 v7, v3
	s_delay_alu instid0(VALU_DEP_2) | instskip(NEXT) | instid1(VALU_DEP_2)
	v_cmp_eq_u32_e32 vcc_lo, 0, v9
	v_min_u32_e32 v7, 32, v7
	s_delay_alu instid0(VALU_DEP_1) | instskip(NEXT) | instid1(VALU_DEP_1)
	v_subrev_nc_u32_e32 v8, 28, v7
	v_dual_lshlrev_b32 v0, v8, v0 :: v_dual_sub_nc_u32 v7, 29, v7
	s_delay_alu instid0(VALU_DEP_1) | instskip(NEXT) | instid1(VALU_DEP_1)
	v_dual_lshlrev_b32 v1, 24, v1 :: v_dual_bitop2_b32 v0, 7, v0 bitop3:0x40
	v_dual_cndmask_b32 v7, v9, v7 :: v_dual_cndmask_b32 v0, v3, v0
	s_delay_alu instid0(VALU_DEP_2) | instskip(NEXT) | instid1(VALU_DEP_2)
	v_and_b32_e32 v1, 0x80000000, v1
	v_lshl_add_u32 v3, v7, 23, 0x3b800000
	s_delay_alu instid0(VALU_DEP_3) | instskip(NEXT) | instid1(VALU_DEP_1)
	v_lshlrev_b32_e32 v0, 20, v0
	v_or3_b32 v0, v1, v3, v0
	s_delay_alu instid0(VALU_DEP_1)
	v_cvt_i32_f32_e32 v0, v0
.LBB14_2338:
	s_or_b32 exec_lo, exec_lo, s13
.LBB14_2339:
	s_mov_b32 s13, -1
.LBB14_2340:
	s_mov_b32 s16, 0
.LBB14_2341:
	s_delay_alu instid0(SALU_CYCLE_1)
	s_and_b32 vcc_lo, exec_lo, s16
	s_cbranch_vccz .LBB14_2372
; %bb.2342:
	s_cmp_gt_i32 s6, 22
	s_cbranch_scc0 .LBB14_2350
; %bb.2343:
	s_cmp_lt_i32 s6, 24
	s_cbranch_scc1 .LBB14_2353
; %bb.2344:
	s_cmp_gt_i32 s6, 24
	s_cbranch_scc0 .LBB14_2354
; %bb.2345:
	s_wait_loadcnt 0x0
	global_load_u8 v1, v[4:5], off
	s_mov_b32 s13, 0
	s_mov_b32 s9, exec_lo
	s_wait_loadcnt 0x0
	v_cmpx_lt_i16_e32 0x7f, v1
	s_xor_b32 s9, exec_lo, s9
	s_cbranch_execz .LBB14_2366
; %bb.2346:
	v_cmp_ne_u16_e32 vcc_lo, 0x80, v1
	s_and_b32 s13, vcc_lo, exec_lo
	s_and_not1_saveexec_b32 s9, s9
	s_cbranch_execnz .LBB14_2367
.LBB14_2347:
	s_or_b32 exec_lo, exec_lo, s9
	v_mov_b32_e32 v0, 0
	s_and_saveexec_b32 s9, s13
	s_cbranch_execz .LBB14_2349
.LBB14_2348:
	v_and_b32_e32 v0, 0xffff, v1
	s_delay_alu instid0(VALU_DEP_1) | instskip(SKIP_1) | instid1(VALU_DEP_2)
	v_and_b32_e32 v3, 3, v0
	v_bfe_u32 v9, v0, 2, 5
	v_clz_i32_u32_e32 v7, v3
	s_delay_alu instid0(VALU_DEP_2) | instskip(NEXT) | instid1(VALU_DEP_2)
	v_cmp_eq_u32_e32 vcc_lo, 0, v9
	v_min_u32_e32 v7, 32, v7
	s_delay_alu instid0(VALU_DEP_1) | instskip(NEXT) | instid1(VALU_DEP_1)
	v_subrev_nc_u32_e32 v8, 29, v7
	v_dual_lshlrev_b32 v0, v8, v0 :: v_dual_sub_nc_u32 v7, 30, v7
	s_delay_alu instid0(VALU_DEP_1) | instskip(NEXT) | instid1(VALU_DEP_1)
	v_dual_lshlrev_b32 v1, 24, v1 :: v_dual_bitop2_b32 v0, 3, v0 bitop3:0x40
	v_dual_cndmask_b32 v7, v9, v7 :: v_dual_cndmask_b32 v0, v3, v0
	s_delay_alu instid0(VALU_DEP_2) | instskip(NEXT) | instid1(VALU_DEP_2)
	v_and_b32_e32 v1, 0x80000000, v1
	v_lshl_add_u32 v3, v7, 23, 0x37800000
	s_delay_alu instid0(VALU_DEP_3) | instskip(NEXT) | instid1(VALU_DEP_1)
	v_lshlrev_b32_e32 v0, 21, v0
	v_or3_b32 v0, v1, v3, v0
	s_delay_alu instid0(VALU_DEP_1)
	v_cvt_i32_f32_e32 v0, v0
.LBB14_2349:
	s_or_b32 exec_lo, exec_lo, s9
	s_mov_b32 s9, 0
	s_branch .LBB14_2355
.LBB14_2350:
	s_mov_b32 s9, -1
                                        ; implicit-def: $vgpr0
	s_branch .LBB14_2361
.LBB14_2351:
	s_and_not1_saveexec_b32 s13, s13
	s_cbranch_execz .LBB14_2336
.LBB14_2352:
	v_cmp_ne_u16_e32 vcc_lo, 0, v1
	s_and_not1_b32 s16, s16, exec_lo
	s_and_b32 s17, vcc_lo, exec_lo
	s_delay_alu instid0(SALU_CYCLE_1)
	s_or_b32 s16, s16, s17
	s_or_b32 exec_lo, exec_lo, s13
	v_mov_b32_e32 v0, 0
	s_and_saveexec_b32 s13, s16
	s_cbranch_execnz .LBB14_2337
	s_branch .LBB14_2338
.LBB14_2353:
	s_mov_b32 s9, -1
                                        ; implicit-def: $vgpr0
	s_branch .LBB14_2358
.LBB14_2354:
	s_mov_b32 s9, -1
                                        ; implicit-def: $vgpr0
.LBB14_2355:
	s_delay_alu instid0(SALU_CYCLE_1)
	s_and_b32 vcc_lo, exec_lo, s9
	s_cbranch_vccz .LBB14_2357
; %bb.2356:
	s_wait_loadcnt 0x0
	global_load_u8 v0, v[4:5], off
	s_wait_loadcnt 0x0
	v_lshlrev_b32_e32 v0, 24, v0
	s_delay_alu instid0(VALU_DEP_1) | instskip(NEXT) | instid1(VALU_DEP_1)
	v_and_b32_e32 v1, 0x7f000000, v0
	v_clz_i32_u32_e32 v3, v1
	v_cmp_ne_u32_e32 vcc_lo, 0, v1
	v_add_nc_u32_e32 v8, 0x1000000, v1
	s_delay_alu instid0(VALU_DEP_3) | instskip(NEXT) | instid1(VALU_DEP_1)
	v_min_u32_e32 v3, 32, v3
	v_sub_nc_u32_e64 v3, v3, 4 clamp
	s_delay_alu instid0(VALU_DEP_1) | instskip(NEXT) | instid1(VALU_DEP_1)
	v_dual_lshlrev_b32 v7, v3, v1 :: v_dual_lshlrev_b32 v3, 23, v3
	v_lshrrev_b32_e32 v7, 4, v7
	s_delay_alu instid0(VALU_DEP_1) | instskip(NEXT) | instid1(VALU_DEP_1)
	v_dual_sub_nc_u32 v3, v7, v3 :: v_dual_ashrrev_i32 v7, 8, v8
	v_add_nc_u32_e32 v3, 0x3c000000, v3
	s_delay_alu instid0(VALU_DEP_1) | instskip(NEXT) | instid1(VALU_DEP_1)
	v_and_or_b32 v3, 0x7f800000, v7, v3
	v_cndmask_b32_e32 v1, 0, v3, vcc_lo
	s_delay_alu instid0(VALU_DEP_1) | instskip(NEXT) | instid1(VALU_DEP_1)
	v_and_or_b32 v0, 0x80000000, v0, v1
	v_cvt_i32_f32_e32 v0, v0
.LBB14_2357:
	s_mov_b32 s9, 0
.LBB14_2358:
	s_delay_alu instid0(SALU_CYCLE_1)
	s_and_not1_b32 vcc_lo, exec_lo, s9
	s_cbranch_vccnz .LBB14_2360
; %bb.2359:
	s_wait_loadcnt 0x0
	global_load_u8 v0, v[4:5], off
	s_wait_loadcnt 0x0
	v_lshlrev_b32_e32 v1, 25, v0
	v_lshlrev_b16 v0, 8, v0
	s_delay_alu instid0(VALU_DEP_1) | instskip(SKIP_1) | instid1(VALU_DEP_2)
	v_and_or_b32 v7, 0x7f00, v0, 0.5
	v_bfe_i32 v0, v0, 0, 16
	v_dual_add_f32 v7, -0.5, v7 :: v_dual_lshrrev_b32 v3, 4, v1
	v_cmp_gt_u32_e32 vcc_lo, 0x8000000, v1
	s_delay_alu instid0(VALU_DEP_2) | instskip(NEXT) | instid1(VALU_DEP_1)
	v_or_b32_e32 v3, 0x70000000, v3
	v_mul_f32_e32 v3, 0x7800000, v3
	s_delay_alu instid0(VALU_DEP_1) | instskip(NEXT) | instid1(VALU_DEP_1)
	v_cndmask_b32_e32 v1, v3, v7, vcc_lo
	v_and_or_b32 v0, 0x80000000, v0, v1
	s_delay_alu instid0(VALU_DEP_1)
	v_cvt_i32_f32_e32 v0, v0
.LBB14_2360:
	s_mov_b32 s9, 0
	s_mov_b32 s13, -1
.LBB14_2361:
	s_and_not1_b32 vcc_lo, exec_lo, s9
	s_mov_b32 s9, 0
	s_cbranch_vccnz .LBB14_2372
; %bb.2362:
	s_cmp_gt_i32 s6, 14
	s_cbranch_scc0 .LBB14_2365
; %bb.2363:
	s_cmp_eq_u32 s6, 15
	s_cbranch_scc0 .LBB14_2368
; %bb.2364:
	s_wait_loadcnt 0x0
	global_load_u16 v0, v[4:5], off
	s_mov_b32 s7, 0
	s_mov_b32 s13, -1
	s_wait_loadcnt 0x0
	v_lshlrev_b32_e32 v0, 16, v0
	s_delay_alu instid0(VALU_DEP_1)
	v_cvt_i32_f32_e32 v0, v0
	s_branch .LBB14_2370
.LBB14_2365:
	s_mov_b32 s9, -1
	s_branch .LBB14_2369
.LBB14_2366:
	s_and_not1_saveexec_b32 s9, s9
	s_cbranch_execz .LBB14_2347
.LBB14_2367:
	v_cmp_ne_u16_e32 vcc_lo, 0, v1
	s_and_not1_b32 s13, s13, exec_lo
	s_and_b32 s16, vcc_lo, exec_lo
	s_delay_alu instid0(SALU_CYCLE_1)
	s_or_b32 s13, s13, s16
	s_or_b32 exec_lo, exec_lo, s9
	v_mov_b32_e32 v0, 0
	s_and_saveexec_b32 s9, s13
	s_cbranch_execnz .LBB14_2348
	s_branch .LBB14_2349
.LBB14_2368:
	s_mov_b32 s7, -1
.LBB14_2369:
                                        ; implicit-def: $vgpr0
.LBB14_2370:
	s_and_b32 vcc_lo, exec_lo, s9
	s_mov_b32 s9, 0
	s_cbranch_vccz .LBB14_2372
; %bb.2371:
	s_cmp_lg_u32 s6, 11
	s_mov_b32 s9, -1
	s_cselect_b32 s7, -1, 0
.LBB14_2372:
	s_delay_alu instid0(SALU_CYCLE_1)
	s_and_b32 vcc_lo, exec_lo, s7
	s_cbranch_vccnz .LBB14_2437
; %bb.2373:
	s_and_not1_b32 vcc_lo, exec_lo, s9
	s_cbranch_vccnz .LBB14_2375
.LBB14_2374:
	s_wait_loadcnt 0x0
	global_load_u8 v0, v[4:5], off
	s_mov_b32 s13, -1
	s_wait_loadcnt 0x0
	v_cmp_ne_u16_e32 vcc_lo, 0, v0
	v_cndmask_b32_e64 v0, 0, 1, vcc_lo
.LBB14_2375:
	s_mov_b32 s6, 0
.LBB14_2376:
	s_delay_alu instid0(SALU_CYCLE_1)
	s_and_b32 vcc_lo, exec_lo, s6
	s_cbranch_vccz .LBB14_2425
; %bb.2377:
	s_and_b32 s0, 0xffff, s0
	s_delay_alu instid0(SALU_CYCLE_1)
	s_cmp_lt_i32 s0, 5
	s_cbranch_scc1 .LBB14_2382
; %bb.2378:
	s_cmp_lt_i32 s0, 8
	s_cbranch_scc1 .LBB14_2383
; %bb.2379:
	;; [unrolled: 3-line block ×3, first 2 shown]
	s_cmp_gt_i32 s0, 9
	s_cbranch_scc0 .LBB14_2385
; %bb.2381:
	s_wait_loadcnt 0x0
	global_load_b64 v[0:1], v[4:5], off
	s_mov_b32 s6, 0
	s_wait_loadcnt 0x0
	v_cvt_i32_f64_e32 v0, v[0:1]
	s_branch .LBB14_2386
.LBB14_2382:
	s_mov_b32 s6, -1
                                        ; implicit-def: $vgpr0
	s_branch .LBB14_2404
.LBB14_2383:
	s_mov_b32 s6, -1
                                        ; implicit-def: $vgpr0
	s_branch .LBB14_2392
.LBB14_2384:
	s_mov_b32 s6, -1
                                        ; implicit-def: $vgpr0
	s_branch .LBB14_2389
.LBB14_2385:
	s_mov_b32 s6, -1
                                        ; implicit-def: $vgpr0
.LBB14_2386:
	s_delay_alu instid0(SALU_CYCLE_1)
	s_and_not1_b32 vcc_lo, exec_lo, s6
	s_cbranch_vccnz .LBB14_2388
; %bb.2387:
	s_wait_loadcnt 0x0
	global_load_b32 v0, v[4:5], off
	s_wait_loadcnt 0x0
	v_cvt_i32_f32_e32 v0, v0
.LBB14_2388:
	s_mov_b32 s6, 0
.LBB14_2389:
	s_delay_alu instid0(SALU_CYCLE_1)
	s_and_not1_b32 vcc_lo, exec_lo, s6
	s_cbranch_vccnz .LBB14_2391
; %bb.2390:
	s_wait_loadcnt 0x0
	global_load_b32 v0, v[4:5], off
	s_wait_loadcnt 0x0
	v_cvt_i16_f16_e32 v0, v0
.LBB14_2391:
	s_mov_b32 s6, 0
.LBB14_2392:
	s_delay_alu instid0(SALU_CYCLE_1)
	s_and_not1_b32 vcc_lo, exec_lo, s6
	s_cbranch_vccnz .LBB14_2403
; %bb.2393:
	s_cmp_lt_i32 s0, 6
	s_cbranch_scc1 .LBB14_2396
; %bb.2394:
	s_cmp_gt_i32 s0, 6
	s_cbranch_scc0 .LBB14_2397
; %bb.2395:
	s_wait_loadcnt 0x0
	global_load_b64 v[0:1], v[4:5], off
	s_mov_b32 s6, 0
	s_wait_loadcnt 0x0
	v_cvt_i32_f64_e32 v0, v[0:1]
	s_branch .LBB14_2398
.LBB14_2396:
	s_mov_b32 s6, -1
                                        ; implicit-def: $vgpr0
	s_branch .LBB14_2401
.LBB14_2397:
	s_mov_b32 s6, -1
                                        ; implicit-def: $vgpr0
.LBB14_2398:
	s_delay_alu instid0(SALU_CYCLE_1)
	s_and_not1_b32 vcc_lo, exec_lo, s6
	s_cbranch_vccnz .LBB14_2400
; %bb.2399:
	s_wait_loadcnt 0x0
	global_load_b32 v0, v[4:5], off
	s_wait_loadcnt 0x0
	v_cvt_i32_f32_e32 v0, v0
.LBB14_2400:
	s_mov_b32 s6, 0
.LBB14_2401:
	s_delay_alu instid0(SALU_CYCLE_1)
	s_and_not1_b32 vcc_lo, exec_lo, s6
	s_cbranch_vccnz .LBB14_2403
; %bb.2402:
	s_wait_loadcnt 0x0
	global_load_u16 v0, v[4:5], off
	s_wait_loadcnt 0x0
	v_cvt_i16_f16_e32 v0, v0
.LBB14_2403:
	s_mov_b32 s6, 0
.LBB14_2404:
	s_delay_alu instid0(SALU_CYCLE_1)
	s_and_not1_b32 vcc_lo, exec_lo, s6
	s_cbranch_vccnz .LBB14_2424
; %bb.2405:
	s_cmp_lt_i32 s0, 2
	s_cbranch_scc1 .LBB14_2409
; %bb.2406:
	s_cmp_lt_i32 s0, 3
	s_cbranch_scc1 .LBB14_2410
; %bb.2407:
	s_cmp_gt_i32 s0, 3
	s_cbranch_scc0 .LBB14_2411
; %bb.2408:
	s_wait_loadcnt 0x0
	global_load_b64 v[0:1], v[4:5], off
	s_mov_b32 s6, 0
	s_branch .LBB14_2412
.LBB14_2409:
	s_mov_b32 s6, -1
                                        ; implicit-def: $vgpr0
	s_branch .LBB14_2418
.LBB14_2410:
	s_mov_b32 s6, -1
                                        ; implicit-def: $vgpr0
	s_branch .LBB14_2415
.LBB14_2411:
	s_mov_b32 s6, -1
                                        ; implicit-def: $vgpr0
.LBB14_2412:
	s_delay_alu instid0(SALU_CYCLE_1)
	s_and_not1_b32 vcc_lo, exec_lo, s6
	s_cbranch_vccnz .LBB14_2414
; %bb.2413:
	s_wait_loadcnt 0x0
	global_load_b32 v0, v[4:5], off
.LBB14_2414:
	s_mov_b32 s6, 0
.LBB14_2415:
	s_delay_alu instid0(SALU_CYCLE_1)
	s_and_not1_b32 vcc_lo, exec_lo, s6
	s_cbranch_vccnz .LBB14_2417
; %bb.2416:
	s_wait_loadcnt 0x0
	global_load_u16 v0, v[4:5], off
.LBB14_2417:
	s_mov_b32 s6, 0
.LBB14_2418:
	s_delay_alu instid0(SALU_CYCLE_1)
	s_and_not1_b32 vcc_lo, exec_lo, s6
	s_cbranch_vccnz .LBB14_2424
; %bb.2419:
	s_cmp_gt_i32 s0, 0
	s_mov_b32 s0, 0
	s_cbranch_scc0 .LBB14_2421
; %bb.2420:
	s_wait_loadcnt 0x0
	global_load_u8 v0, v[4:5], off
	s_branch .LBB14_2422
.LBB14_2421:
	s_mov_b32 s0, -1
                                        ; implicit-def: $vgpr0
.LBB14_2422:
	s_delay_alu instid0(SALU_CYCLE_1)
	s_and_not1_b32 vcc_lo, exec_lo, s0
	s_cbranch_vccnz .LBB14_2424
; %bb.2423:
	s_wait_loadcnt 0x0
	global_load_u8 v0, v[4:5], off
.LBB14_2424:
	s_mov_b32 s13, -1
.LBB14_2425:
	s_delay_alu instid0(SALU_CYCLE_1)
	s_and_not1_b32 vcc_lo, exec_lo, s13
	s_cbranch_vccnz .LBB14_2635
; %bb.2426:
	v_add_nc_u32_e32 v2, s10, v2
	s_cmp_lt_i32 s1, 11
	s_delay_alu instid0(VALU_DEP_1) | instskip(NEXT) | instid1(VALU_DEP_1)
	v_ashrrev_i32_e32 v3, 31, v2
	v_add_nc_u64_e32 v[2:3], s[2:3], v[2:3]
	s_cbranch_scc1 .LBB14_2433
; %bb.2427:
	s_and_b32 s0, 0xffff, s1
	s_mov_b32 s3, 0
	s_cmp_gt_i32 s0, 25
	s_cbranch_scc0 .LBB14_2434
; %bb.2428:
	s_cmp_gt_i32 s0, 28
	s_cbranch_scc0 .LBB14_2435
; %bb.2429:
	;; [unrolled: 3-line block ×4, first 2 shown]
	s_cmp_eq_u32 s0, 46
	s_mov_b32 s7, 0
	s_cbranch_scc0 .LBB14_2439
; %bb.2432:
	s_wait_loadcnt 0x0
	global_load_b32 v1, v[2:3], off
	s_mov_b32 s2, 0
	s_mov_b32 s6, -1
	s_wait_loadcnt 0x0
	v_lshlrev_b32_e32 v1, 16, v1
	s_wait_xcnt 0x1
	s_delay_alu instid0(VALU_DEP_1)
	v_cvt_i32_f32_e32 v4, v1
	s_branch .LBB14_2441
.LBB14_2433:
	s_mov_b32 s0, -1
	s_mov_b32 s6, 0
                                        ; implicit-def: $vgpr4
	s_branch .LBB14_2503
.LBB14_2434:
	s_mov_b32 s7, -1
	s_mov_b32 s6, 0
	s_mov_b32 s2, 0
                                        ; implicit-def: $vgpr4
	s_branch .LBB14_2468
.LBB14_2435:
	s_mov_b32 s7, -1
	s_mov_b32 s6, 0
	s_mov_b32 s2, 0
                                        ; implicit-def: $vgpr4
	s_branch .LBB14_2451
.LBB14_2436:
	s_mov_b32 s7, -1
	s_mov_b32 s6, 0
	s_mov_b32 s2, 0
                                        ; implicit-def: $vgpr4
	s_branch .LBB14_2446
.LBB14_2437:
	s_or_b32 s12, s12, exec_lo
	s_trap 2
	s_cbranch_execz .LBB14_2374
	s_branch .LBB14_2375
.LBB14_2438:
	s_mov_b32 s7, -1
	s_mov_b32 s6, 0
	s_mov_b32 s2, 0
	s_branch .LBB14_2440
.LBB14_2439:
	s_mov_b32 s2, -1
	s_mov_b32 s6, 0
.LBB14_2440:
                                        ; implicit-def: $vgpr4
.LBB14_2441:
	s_and_b32 vcc_lo, exec_lo, s7
	s_cbranch_vccz .LBB14_2445
; %bb.2442:
	s_cmp_eq_u32 s0, 44
	s_cbranch_scc0 .LBB14_2444
; %bb.2443:
	s_wait_loadcnt 0x0
	global_load_u8 v1, v[2:3], off
	s_mov_b32 s2, 0
	s_mov_b32 s6, -1
	s_wait_loadcnt 0x0
	s_wait_xcnt 0x1
	v_lshlrev_b32_e32 v4, 23, v1
	v_cmp_ne_u32_e32 vcc_lo, 0, v1
	s_delay_alu instid0(VALU_DEP_2) | instskip(NEXT) | instid1(VALU_DEP_1)
	v_cvt_i32_f32_e32 v4, v4
	v_cndmask_b32_e32 v4, 0, v4, vcc_lo
	s_branch .LBB14_2445
.LBB14_2444:
	s_mov_b32 s2, -1
                                        ; implicit-def: $vgpr4
.LBB14_2445:
	s_mov_b32 s7, 0
.LBB14_2446:
	s_delay_alu instid0(SALU_CYCLE_1)
	s_and_b32 vcc_lo, exec_lo, s7
	s_cbranch_vccz .LBB14_2450
; %bb.2447:
	s_cmp_eq_u32 s0, 29
	s_cbranch_scc0 .LBB14_2449
; %bb.2448:
	global_load_b64 v[4:5], v[2:3], off
	s_mov_b32 s2, 0
	s_mov_b32 s6, -1
	s_branch .LBB14_2450
.LBB14_2449:
	s_mov_b32 s2, -1
                                        ; implicit-def: $vgpr4
.LBB14_2450:
	s_mov_b32 s7, 0
.LBB14_2451:
	s_delay_alu instid0(SALU_CYCLE_1)
	s_and_b32 vcc_lo, exec_lo, s7
	s_cbranch_vccz .LBB14_2467
; %bb.2452:
	s_cmp_lt_i32 s0, 27
	s_cbranch_scc1 .LBB14_2455
; %bb.2453:
	s_cmp_gt_i32 s0, 27
	s_cbranch_scc0 .LBB14_2456
; %bb.2454:
	s_wait_loadcnt 0x0
	global_load_b32 v4, v[2:3], off
	s_mov_b32 s6, 0
	s_branch .LBB14_2457
.LBB14_2455:
	s_mov_b32 s6, -1
                                        ; implicit-def: $vgpr4
	s_branch .LBB14_2460
.LBB14_2456:
	s_mov_b32 s6, -1
                                        ; implicit-def: $vgpr4
.LBB14_2457:
	s_delay_alu instid0(SALU_CYCLE_1)
	s_and_not1_b32 vcc_lo, exec_lo, s6
	s_cbranch_vccnz .LBB14_2459
; %bb.2458:
	s_wait_loadcnt 0x0
	global_load_u16 v4, v[2:3], off
.LBB14_2459:
	s_mov_b32 s6, 0
.LBB14_2460:
	s_delay_alu instid0(SALU_CYCLE_1)
	s_and_not1_b32 vcc_lo, exec_lo, s6
	s_cbranch_vccnz .LBB14_2466
; %bb.2461:
	s_wait_loadcnt 0x0
	global_load_u8 v1, v[2:3], off
	s_mov_b32 s7, 0
	s_mov_b32 s6, exec_lo
	s_wait_loadcnt 0x0
	v_cmpx_lt_i16_e32 0x7f, v1
	s_xor_b32 s6, exec_lo, s6
	s_cbranch_execz .LBB14_2478
; %bb.2462:
	v_cmp_ne_u16_e32 vcc_lo, 0x80, v1
	s_and_b32 s7, vcc_lo, exec_lo
	s_and_not1_saveexec_b32 s6, s6
	s_cbranch_execnz .LBB14_2479
.LBB14_2463:
	s_or_b32 exec_lo, exec_lo, s6
	v_mov_b32_e32 v4, 0
	s_and_saveexec_b32 s6, s7
	s_cbranch_execz .LBB14_2465
.LBB14_2464:
	v_and_b32_e32 v4, 0xffff, v1
	s_delay_alu instid0(VALU_DEP_1) | instskip(SKIP_1) | instid1(VALU_DEP_2)
	v_and_b32_e32 v5, 7, v4
	v_bfe_u32 v9, v4, 3, 4
	v_clz_i32_u32_e32 v7, v5
	s_delay_alu instid0(VALU_DEP_2) | instskip(NEXT) | instid1(VALU_DEP_2)
	v_cmp_eq_u32_e32 vcc_lo, 0, v9
	v_min_u32_e32 v7, 32, v7
	s_delay_alu instid0(VALU_DEP_1) | instskip(NEXT) | instid1(VALU_DEP_1)
	v_subrev_nc_u32_e32 v8, 28, v7
	v_dual_lshlrev_b32 v4, v8, v4 :: v_dual_sub_nc_u32 v7, 29, v7
	s_delay_alu instid0(VALU_DEP_1) | instskip(NEXT) | instid1(VALU_DEP_2)
	v_dual_lshlrev_b32 v1, 24, v1 :: v_dual_bitop2_b32 v4, 7, v4 bitop3:0x40
	v_cndmask_b32_e32 v7, v9, v7, vcc_lo
	s_delay_alu instid0(VALU_DEP_2) | instskip(NEXT) | instid1(VALU_DEP_3)
	v_cndmask_b32_e32 v4, v5, v4, vcc_lo
	v_and_b32_e32 v1, 0x80000000, v1
	s_delay_alu instid0(VALU_DEP_3) | instskip(NEXT) | instid1(VALU_DEP_3)
	v_lshl_add_u32 v5, v7, 23, 0x3b800000
	v_lshlrev_b32_e32 v4, 20, v4
	s_delay_alu instid0(VALU_DEP_1) | instskip(NEXT) | instid1(VALU_DEP_1)
	v_or3_b32 v1, v1, v5, v4
	v_cvt_i32_f32_e32 v4, v1
.LBB14_2465:
	s_or_b32 exec_lo, exec_lo, s6
.LBB14_2466:
	s_mov_b32 s6, -1
.LBB14_2467:
	s_mov_b32 s7, 0
.LBB14_2468:
	s_delay_alu instid0(SALU_CYCLE_1)
	s_and_b32 vcc_lo, exec_lo, s7
	s_cbranch_vccz .LBB14_2499
; %bb.2469:
	s_cmp_gt_i32 s0, 22
	s_cbranch_scc0 .LBB14_2477
; %bb.2470:
	s_cmp_lt_i32 s0, 24
	s_cbranch_scc1 .LBB14_2480
; %bb.2471:
	s_cmp_gt_i32 s0, 24
	s_cbranch_scc0 .LBB14_2481
; %bb.2472:
	s_wait_loadcnt 0x0
	global_load_u8 v1, v[2:3], off
	s_mov_b32 s6, 0
	s_mov_b32 s3, exec_lo
	s_wait_loadcnt 0x0
	v_cmpx_lt_i16_e32 0x7f, v1
	s_xor_b32 s3, exec_lo, s3
	s_cbranch_execz .LBB14_2493
; %bb.2473:
	v_cmp_ne_u16_e32 vcc_lo, 0x80, v1
	s_and_b32 s6, vcc_lo, exec_lo
	s_and_not1_saveexec_b32 s3, s3
	s_cbranch_execnz .LBB14_2494
.LBB14_2474:
	s_or_b32 exec_lo, exec_lo, s3
	v_mov_b32_e32 v4, 0
	s_and_saveexec_b32 s3, s6
	s_cbranch_execz .LBB14_2476
.LBB14_2475:
	v_and_b32_e32 v4, 0xffff, v1
	s_delay_alu instid0(VALU_DEP_1) | instskip(SKIP_1) | instid1(VALU_DEP_2)
	v_and_b32_e32 v5, 3, v4
	v_bfe_u32 v9, v4, 2, 5
	v_clz_i32_u32_e32 v7, v5
	s_delay_alu instid0(VALU_DEP_2) | instskip(NEXT) | instid1(VALU_DEP_2)
	v_cmp_eq_u32_e32 vcc_lo, 0, v9
	v_min_u32_e32 v7, 32, v7
	s_delay_alu instid0(VALU_DEP_1) | instskip(NEXT) | instid1(VALU_DEP_1)
	v_subrev_nc_u32_e32 v8, 29, v7
	v_dual_lshlrev_b32 v4, v8, v4 :: v_dual_sub_nc_u32 v7, 30, v7
	s_delay_alu instid0(VALU_DEP_1) | instskip(NEXT) | instid1(VALU_DEP_2)
	v_dual_lshlrev_b32 v1, 24, v1 :: v_dual_bitop2_b32 v4, 3, v4 bitop3:0x40
	v_cndmask_b32_e32 v7, v9, v7, vcc_lo
	s_delay_alu instid0(VALU_DEP_2) | instskip(NEXT) | instid1(VALU_DEP_3)
	v_cndmask_b32_e32 v4, v5, v4, vcc_lo
	v_and_b32_e32 v1, 0x80000000, v1
	s_delay_alu instid0(VALU_DEP_3) | instskip(NEXT) | instid1(VALU_DEP_3)
	v_lshl_add_u32 v5, v7, 23, 0x37800000
	v_lshlrev_b32_e32 v4, 21, v4
	s_delay_alu instid0(VALU_DEP_1) | instskip(NEXT) | instid1(VALU_DEP_1)
	v_or3_b32 v1, v1, v5, v4
	v_cvt_i32_f32_e32 v4, v1
.LBB14_2476:
	s_or_b32 exec_lo, exec_lo, s3
	s_mov_b32 s3, 0
	s_branch .LBB14_2482
.LBB14_2477:
	s_mov_b32 s3, -1
                                        ; implicit-def: $vgpr4
	s_branch .LBB14_2488
.LBB14_2478:
	s_and_not1_saveexec_b32 s6, s6
	s_cbranch_execz .LBB14_2463
.LBB14_2479:
	v_cmp_ne_u16_e32 vcc_lo, 0, v1
	s_and_not1_b32 s7, s7, exec_lo
	s_and_b32 s9, vcc_lo, exec_lo
	s_delay_alu instid0(SALU_CYCLE_1)
	s_or_b32 s7, s7, s9
	s_or_b32 exec_lo, exec_lo, s6
	v_mov_b32_e32 v4, 0
	s_and_saveexec_b32 s6, s7
	s_cbranch_execnz .LBB14_2464
	s_branch .LBB14_2465
.LBB14_2480:
	s_mov_b32 s3, -1
                                        ; implicit-def: $vgpr4
	s_branch .LBB14_2485
.LBB14_2481:
	s_mov_b32 s3, -1
                                        ; implicit-def: $vgpr4
.LBB14_2482:
	s_delay_alu instid0(SALU_CYCLE_1)
	s_and_b32 vcc_lo, exec_lo, s3
	s_cbranch_vccz .LBB14_2484
; %bb.2483:
	s_wait_loadcnt 0x0
	global_load_u8 v1, v[2:3], off
	s_wait_loadcnt 0x0
	v_lshlrev_b32_e32 v1, 24, v1
	s_wait_xcnt 0x1
	s_delay_alu instid0(VALU_DEP_1) | instskip(NEXT) | instid1(VALU_DEP_1)
	v_and_b32_e32 v4, 0x7f000000, v1
	v_clz_i32_u32_e32 v5, v4
	v_add_nc_u32_e32 v8, 0x1000000, v4
	v_cmp_ne_u32_e32 vcc_lo, 0, v4
	s_delay_alu instid0(VALU_DEP_3) | instskip(NEXT) | instid1(VALU_DEP_1)
	v_min_u32_e32 v5, 32, v5
	v_sub_nc_u32_e64 v5, v5, 4 clamp
	s_delay_alu instid0(VALU_DEP_1) | instskip(NEXT) | instid1(VALU_DEP_1)
	v_dual_lshlrev_b32 v7, v5, v4 :: v_dual_lshlrev_b32 v5, 23, v5
	v_lshrrev_b32_e32 v7, 4, v7
	s_delay_alu instid0(VALU_DEP_1) | instskip(NEXT) | instid1(VALU_DEP_1)
	v_dual_sub_nc_u32 v5, v7, v5 :: v_dual_ashrrev_i32 v7, 8, v8
	v_add_nc_u32_e32 v5, 0x3c000000, v5
	s_delay_alu instid0(VALU_DEP_1) | instskip(NEXT) | instid1(VALU_DEP_1)
	v_and_or_b32 v5, 0x7f800000, v7, v5
	v_cndmask_b32_e32 v4, 0, v5, vcc_lo
	s_delay_alu instid0(VALU_DEP_1) | instskip(NEXT) | instid1(VALU_DEP_1)
	v_and_or_b32 v1, 0x80000000, v1, v4
	v_cvt_i32_f32_e32 v4, v1
.LBB14_2484:
	s_mov_b32 s3, 0
.LBB14_2485:
	s_delay_alu instid0(SALU_CYCLE_1)
	s_and_not1_b32 vcc_lo, exec_lo, s3
	s_cbranch_vccnz .LBB14_2487
; %bb.2486:
	s_wait_loadcnt 0x0
	global_load_u8 v1, v[2:3], off
	s_wait_loadcnt 0x0
	s_wait_xcnt 0x1
	v_lshlrev_b32_e32 v4, 25, v1
	v_lshlrev_b16 v1, 8, v1
	s_delay_alu instid0(VALU_DEP_1) | instskip(SKIP_1) | instid1(VALU_DEP_2)
	v_and_or_b32 v7, 0x7f00, v1, 0.5
	v_bfe_i32 v1, v1, 0, 16
	v_dual_add_f32 v7, -0.5, v7 :: v_dual_lshrrev_b32 v5, 4, v4
	v_cmp_gt_u32_e32 vcc_lo, 0x8000000, v4
	s_delay_alu instid0(VALU_DEP_2) | instskip(NEXT) | instid1(VALU_DEP_1)
	v_or_b32_e32 v5, 0x70000000, v5
	v_mul_f32_e32 v5, 0x7800000, v5
	s_delay_alu instid0(VALU_DEP_1) | instskip(NEXT) | instid1(VALU_DEP_1)
	v_cndmask_b32_e32 v4, v5, v7, vcc_lo
	v_and_or_b32 v1, 0x80000000, v1, v4
	s_delay_alu instid0(VALU_DEP_1)
	v_cvt_i32_f32_e32 v4, v1
.LBB14_2487:
	s_mov_b32 s3, 0
	s_mov_b32 s6, -1
.LBB14_2488:
	s_and_not1_b32 vcc_lo, exec_lo, s3
	s_mov_b32 s3, 0
	s_cbranch_vccnz .LBB14_2499
; %bb.2489:
	s_cmp_gt_i32 s0, 14
	s_cbranch_scc0 .LBB14_2492
; %bb.2490:
	s_cmp_eq_u32 s0, 15
	s_cbranch_scc0 .LBB14_2495
; %bb.2491:
	s_wait_loadcnt 0x0
	global_load_u16 v1, v[2:3], off
	s_mov_b32 s2, 0
	s_mov_b32 s6, -1
	s_wait_loadcnt 0x0
	v_lshlrev_b32_e32 v1, 16, v1
	s_wait_xcnt 0x1
	s_delay_alu instid0(VALU_DEP_1)
	v_cvt_i32_f32_e32 v4, v1
	s_branch .LBB14_2497
.LBB14_2492:
	s_mov_b32 s3, -1
	s_branch .LBB14_2496
.LBB14_2493:
	s_and_not1_saveexec_b32 s3, s3
	s_cbranch_execz .LBB14_2474
.LBB14_2494:
	v_cmp_ne_u16_e32 vcc_lo, 0, v1
	s_and_not1_b32 s6, s6, exec_lo
	s_and_b32 s7, vcc_lo, exec_lo
	s_delay_alu instid0(SALU_CYCLE_1)
	s_or_b32 s6, s6, s7
	s_or_b32 exec_lo, exec_lo, s3
	v_mov_b32_e32 v4, 0
	s_and_saveexec_b32 s3, s6
	s_cbranch_execnz .LBB14_2475
	s_branch .LBB14_2476
.LBB14_2495:
	s_mov_b32 s2, -1
.LBB14_2496:
                                        ; implicit-def: $vgpr4
.LBB14_2497:
	s_and_b32 vcc_lo, exec_lo, s3
	s_mov_b32 s3, 0
	s_cbranch_vccz .LBB14_2499
; %bb.2498:
	s_cmp_lg_u32 s0, 11
	s_mov_b32 s3, -1
	s_cselect_b32 s2, -1, 0
.LBB14_2499:
	s_delay_alu instid0(SALU_CYCLE_1)
	s_and_b32 vcc_lo, exec_lo, s2
	s_cbranch_vccnz .LBB14_3037
; %bb.2500:
	s_and_not1_b32 vcc_lo, exec_lo, s3
	s_cbranch_vccnz .LBB14_2502
.LBB14_2501:
	s_wait_loadcnt 0x0
	global_load_u8 v1, v[2:3], off
	s_mov_b32 s6, -1
	s_wait_loadcnt 0x0
	v_cmp_ne_u16_e32 vcc_lo, 0, v1
	s_wait_xcnt 0x1
	v_cndmask_b32_e64 v4, 0, 1, vcc_lo
.LBB14_2502:
	s_mov_b32 s0, 0
.LBB14_2503:
	s_delay_alu instid0(SALU_CYCLE_1)
	s_and_b32 vcc_lo, exec_lo, s0
	s_cbranch_vccz .LBB14_2552
; %bb.2504:
	s_and_b32 s0, 0xffff, s1
	s_delay_alu instid0(SALU_CYCLE_1)
	s_cmp_lt_i32 s0, 5
	s_cbranch_scc1 .LBB14_2509
; %bb.2505:
	s_cmp_lt_i32 s0, 8
	s_cbranch_scc1 .LBB14_2510
; %bb.2506:
	;; [unrolled: 3-line block ×3, first 2 shown]
	s_cmp_gt_i32 s0, 9
	s_cbranch_scc0 .LBB14_2512
; %bb.2508:
	s_wait_loadcnt 0x0
	global_load_b64 v[4:5], v[2:3], off
	s_mov_b32 s1, 0
	s_wait_loadcnt 0x0
	v_cvt_i32_f64_e32 v4, v[4:5]
	s_branch .LBB14_2513
.LBB14_2509:
	s_mov_b32 s1, -1
                                        ; implicit-def: $vgpr4
	s_branch .LBB14_2531
.LBB14_2510:
	s_mov_b32 s1, -1
                                        ; implicit-def: $vgpr4
	s_branch .LBB14_2519
.LBB14_2511:
	s_mov_b32 s1, -1
                                        ; implicit-def: $vgpr4
	s_branch .LBB14_2516
.LBB14_2512:
	s_mov_b32 s1, -1
                                        ; implicit-def: $vgpr4
.LBB14_2513:
	s_delay_alu instid0(SALU_CYCLE_1)
	s_and_not1_b32 vcc_lo, exec_lo, s1
	s_cbranch_vccnz .LBB14_2515
; %bb.2514:
	s_wait_loadcnt 0x0
	global_load_b32 v1, v[2:3], off
	s_wait_loadcnt 0x0
	s_wait_xcnt 0x1
	v_cvt_i32_f32_e32 v4, v1
.LBB14_2515:
	s_mov_b32 s1, 0
.LBB14_2516:
	s_delay_alu instid0(SALU_CYCLE_1)
	s_and_not1_b32 vcc_lo, exec_lo, s1
	s_cbranch_vccnz .LBB14_2518
; %bb.2517:
	s_wait_loadcnt 0x0
	global_load_b32 v1, v[2:3], off
	s_wait_loadcnt 0x0
	s_wait_xcnt 0x1
	v_cvt_i16_f16_e32 v4, v1
.LBB14_2518:
	s_mov_b32 s1, 0
.LBB14_2519:
	s_delay_alu instid0(SALU_CYCLE_1)
	s_and_not1_b32 vcc_lo, exec_lo, s1
	s_cbranch_vccnz .LBB14_2530
; %bb.2520:
	s_cmp_lt_i32 s0, 6
	s_cbranch_scc1 .LBB14_2523
; %bb.2521:
	s_cmp_gt_i32 s0, 6
	s_cbranch_scc0 .LBB14_2524
; %bb.2522:
	s_wait_loadcnt 0x0
	global_load_b64 v[4:5], v[2:3], off
	s_mov_b32 s1, 0
	s_wait_loadcnt 0x0
	v_cvt_i32_f64_e32 v4, v[4:5]
	s_branch .LBB14_2525
.LBB14_2523:
	s_mov_b32 s1, -1
                                        ; implicit-def: $vgpr4
	s_branch .LBB14_2528
.LBB14_2524:
	s_mov_b32 s1, -1
                                        ; implicit-def: $vgpr4
.LBB14_2525:
	s_delay_alu instid0(SALU_CYCLE_1)
	s_and_not1_b32 vcc_lo, exec_lo, s1
	s_cbranch_vccnz .LBB14_2527
; %bb.2526:
	s_wait_loadcnt 0x0
	global_load_b32 v1, v[2:3], off
	s_wait_loadcnt 0x0
	s_wait_xcnt 0x1
	v_cvt_i32_f32_e32 v4, v1
.LBB14_2527:
	s_mov_b32 s1, 0
.LBB14_2528:
	s_delay_alu instid0(SALU_CYCLE_1)
	s_and_not1_b32 vcc_lo, exec_lo, s1
	s_cbranch_vccnz .LBB14_2530
; %bb.2529:
	s_wait_loadcnt 0x0
	global_load_u16 v1, v[2:3], off
	s_wait_loadcnt 0x0
	s_wait_xcnt 0x1
	v_cvt_i16_f16_e32 v4, v1
.LBB14_2530:
	s_mov_b32 s1, 0
.LBB14_2531:
	s_delay_alu instid0(SALU_CYCLE_1)
	s_and_not1_b32 vcc_lo, exec_lo, s1
	s_cbranch_vccnz .LBB14_2551
; %bb.2532:
	s_cmp_lt_i32 s0, 2
	s_cbranch_scc1 .LBB14_2536
; %bb.2533:
	s_cmp_lt_i32 s0, 3
	s_cbranch_scc1 .LBB14_2537
; %bb.2534:
	s_cmp_gt_i32 s0, 3
	s_cbranch_scc0 .LBB14_2538
; %bb.2535:
	s_wait_loadcnt 0x0
	global_load_b64 v[4:5], v[2:3], off
	s_mov_b32 s1, 0
	s_branch .LBB14_2539
.LBB14_2536:
	s_mov_b32 s1, -1
                                        ; implicit-def: $vgpr4
	s_branch .LBB14_2545
.LBB14_2537:
	s_mov_b32 s1, -1
                                        ; implicit-def: $vgpr4
	s_branch .LBB14_2542
.LBB14_2538:
	s_mov_b32 s1, -1
                                        ; implicit-def: $vgpr4
.LBB14_2539:
	s_delay_alu instid0(SALU_CYCLE_1)
	s_and_not1_b32 vcc_lo, exec_lo, s1
	s_cbranch_vccnz .LBB14_2541
; %bb.2540:
	s_wait_loadcnt 0x0
	global_load_b32 v4, v[2:3], off
.LBB14_2541:
	s_mov_b32 s1, 0
.LBB14_2542:
	s_delay_alu instid0(SALU_CYCLE_1)
	s_and_not1_b32 vcc_lo, exec_lo, s1
	s_cbranch_vccnz .LBB14_2544
; %bb.2543:
	s_wait_loadcnt 0x0
	global_load_u16 v4, v[2:3], off
.LBB14_2544:
	s_mov_b32 s1, 0
.LBB14_2545:
	s_delay_alu instid0(SALU_CYCLE_1)
	s_and_not1_b32 vcc_lo, exec_lo, s1
	s_cbranch_vccnz .LBB14_2551
; %bb.2546:
	s_cmp_gt_i32 s0, 0
	s_mov_b32 s0, 0
	s_cbranch_scc0 .LBB14_2548
; %bb.2547:
	s_wait_loadcnt 0x0
	global_load_u8 v4, v[2:3], off
	s_branch .LBB14_2549
.LBB14_2548:
	s_mov_b32 s0, -1
                                        ; implicit-def: $vgpr4
.LBB14_2549:
	s_delay_alu instid0(SALU_CYCLE_1)
	s_and_not1_b32 vcc_lo, exec_lo, s0
	s_cbranch_vccnz .LBB14_2551
; %bb.2550:
	s_wait_loadcnt 0x0
	global_load_u8 v4, v[2:3], off
.LBB14_2551:
	s_mov_b32 s6, -1
.LBB14_2552:
	s_delay_alu instid0(SALU_CYCLE_1)
	s_and_not1_b32 vcc_lo, exec_lo, s6
	s_cbranch_vccnz .LBB14_2635
; %bb.2553:
	s_wait_loadcnt 0x0
	s_delay_alu instid0(VALU_DEP_1)
	v_bfe_i32 v1, v4, 0, 8
	s_wait_xcnt 0x0
	v_and_b32_e32 v3, 0xff, v0
	s_mov_b32 s1, 0
	s_mov_b32 s0, exec_lo
	v_sub_nc_u16 v2, 0, v1
	s_delay_alu instid0(VALU_DEP_1)
	v_max_i16 v4, v1, v2
	v_cmpx_ne_u16_e32 0, v3
	s_cbranch_execz .LBB14_2557
; %bb.2554:
	v_bfe_i32 v0, v0, 0, 8
	s_delay_alu instid0(VALU_DEP_1) | instskip(NEXT) | instid1(VALU_DEP_1)
	v_sub_nc_u16 v1, 0, v0
	v_max_i16 v1, v0, v1
	v_and_b32_e32 v0, 0xff, v4
	s_delay_alu instid0(VALU_DEP_2)
	v_and_b32_e32 v1, 0xffff, v1
.LBB14_2555:                            ; =>This Inner Loop Header: Depth=1
	s_delay_alu instid0(VALU_DEP_2) | instskip(NEXT) | instid1(VALU_DEP_2)
	v_bfe_i32 v3, v0, 0, 8
	v_mov_b32_e32 v4, v1
	s_delay_alu instid0(VALU_DEP_2) | instskip(NEXT) | instid1(VALU_DEP_2)
	v_cvt_f32_i32_e32 v7, v3
	v_bfe_i32 v1, v4, 0, 8
	s_delay_alu instid0(VALU_DEP_1) | instskip(SKIP_1) | instid1(VALU_DEP_2)
	v_cvt_f32_i32_e32 v2, v1
	v_xor_b32_e32 v1, v3, v1
	v_rcp_iflag_f32_e32 v5, v2
	v_nop
	s_delay_alu instid0(TRANS32_DEP_1) | instskip(NEXT) | instid1(VALU_DEP_1)
	v_mul_f32_e32 v3, v7, v5
	v_trunc_f32_e32 v3, v3
	s_delay_alu instid0(VALU_DEP_1) | instskip(NEXT) | instid1(VALU_DEP_1)
	v_dual_ashrrev_i32 v1, 30, v1 :: v_dual_fma_f32 v5, -v3, v2, v7
	v_or_b32_e32 v1, 1, v1
	v_cvt_i32_f32_e32 v3, v3
	s_delay_alu instid0(VALU_DEP_3) | instskip(NEXT) | instid1(VALU_DEP_3)
	v_cmp_ge_f32_e64 vcc_lo, |v5|, |v2|
	v_cndmask_b32_e32 v1, 0, v1, vcc_lo
	s_delay_alu instid0(VALU_DEP_1) | instskip(NEXT) | instid1(VALU_DEP_1)
	v_add_nc_u32_e32 v1, v3, v1
	v_mul_lo_u32 v1, v1, v4
	s_delay_alu instid0(VALU_DEP_1) | instskip(NEXT) | instid1(VALU_DEP_1)
	v_sub_nc_u32_e32 v0, v0, v1
	v_bfe_i32 v1, v0, 0, 8
	v_mov_b32_e32 v0, v4
	s_delay_alu instid0(VALU_DEP_2) | instskip(SKIP_2) | instid1(SALU_CYCLE_1)
	v_cmp_eq_u16_e32 vcc_lo, 0, v1
	v_and_b32_e32 v1, 0xffff, v1
	s_or_b32 s1, vcc_lo, s1
	s_and_not1_b32 exec_lo, exec_lo, s1
	s_cbranch_execnz .LBB14_2555
; %bb.2556:
	s_or_b32 exec_lo, exec_lo, s1
.LBB14_2557:
	s_delay_alu instid0(SALU_CYCLE_1) | instskip(SKIP_2) | instid1(SALU_CYCLE_1)
	s_or_b32 exec_lo, exec_lo, s0
	v_mul_lo_u32 v0, s8, v10
	s_and_b32 s16, s11, 0xff
	s_cmp_lt_i32 s16, 11
	s_delay_alu instid0(VALU_DEP_1) | instskip(NEXT) | instid1(VALU_DEP_1)
	v_ashrrev_i32_e32 v1, 31, v0
	v_add_nc_u64_e32 v[2:3], s[4:5], v[0:1]
	s_cbranch_scc1 .LBB14_2680
; %bb.2558:
	s_and_b32 s1, 0xffff, s16
	s_mov_b32 s6, -1
	s_mov_b32 s2, 0
	s_cmp_gt_i32 s1, 25
	s_mov_b32 s3, 0
	s_mov_b32 s0, 0
	s_cbranch_scc0 .LBB14_2591
; %bb.2559:
	s_cmp_gt_i32 s1, 28
	s_cbranch_scc0 .LBB14_2574
; %bb.2560:
	s_cmp_gt_i32 s1, 43
	;; [unrolled: 3-line block ×3, first 2 shown]
	s_cbranch_scc0 .LBB14_2564
; %bb.2562:
	s_mov_b32 s0, -1
	s_mov_b32 s6, 0
	s_cmp_eq_u32 s1, 46
	s_cbranch_scc0 .LBB14_2564
; %bb.2563:
	v_bfe_i32 v1, v11, 0, 8
	s_mov_b32 s0, 0
	s_mov_b32 s3, -1
	s_delay_alu instid0(VALU_DEP_1) | instskip(NEXT) | instid1(VALU_DEP_1)
	v_bfe_i32 v1, v1, 0, 16
	v_cvt_f32_i32_e32 v1, v1
	s_delay_alu instid0(VALU_DEP_1) | instskip(NEXT) | instid1(VALU_DEP_1)
	v_bfe_u32 v5, v1, 16, 1
	v_add3_u32 v1, v1, v5, 0x7fff
	s_delay_alu instid0(VALU_DEP_1)
	v_lshrrev_b32_e32 v1, 16, v1
	global_store_b32 v[2:3], v1, off
.LBB14_2564:
	s_and_b32 vcc_lo, exec_lo, s6
	s_cbranch_vccz .LBB14_2569
; %bb.2565:
	s_cmp_eq_u32 s1, 44
	s_mov_b32 s0, -1
	s_cbranch_scc0 .LBB14_2569
; %bb.2566:
	s_wait_xcnt 0x0
	v_bfe_i32 v1, v11, 0, 8
	v_mov_b32_e32 v5, 0xff
	s_mov_b32 s3, exec_lo
	s_delay_alu instid0(VALU_DEP_2) | instskip(NEXT) | instid1(VALU_DEP_1)
	v_bfe_i32 v1, v1, 0, 16
	v_cvt_f32_i32_e32 v1, v1
	s_delay_alu instid0(VALU_DEP_1) | instskip(NEXT) | instid1(VALU_DEP_1)
	v_bfe_u32 v7, v1, 23, 8
	v_cmpx_ne_u32_e32 0xff, v7
	s_cbranch_execz .LBB14_2568
; %bb.2567:
	v_and_b32_e32 v5, 0x400000, v1
	v_and_or_b32 v7, 0x3fffff, v1, v7
	v_lshrrev_b32_e32 v1, 23, v1
	s_delay_alu instid0(VALU_DEP_3) | instskip(NEXT) | instid1(VALU_DEP_3)
	v_cmp_ne_u32_e32 vcc_lo, 0, v5
	v_cmp_ne_u32_e64 s0, 0, v7
	s_and_b32 s0, vcc_lo, s0
	s_delay_alu instid0(SALU_CYCLE_1) | instskip(NEXT) | instid1(VALU_DEP_1)
	v_cndmask_b32_e64 v5, 0, 1, s0
	v_add_nc_u32_e32 v5, v1, v5
.LBB14_2568:
	s_or_b32 exec_lo, exec_lo, s3
	s_mov_b32 s0, 0
	s_mov_b32 s3, -1
	global_store_b8 v[2:3], v5, off
.LBB14_2569:
	s_mov_b32 s6, 0
.LBB14_2570:
	s_delay_alu instid0(SALU_CYCLE_1)
	s_and_b32 vcc_lo, exec_lo, s6
	s_cbranch_vccz .LBB14_2573
; %bb.2571:
	s_cmp_eq_u32 s1, 29
	s_mov_b32 s0, -1
	s_cbranch_scc0 .LBB14_2573
; %bb.2572:
	v_bfe_i32 v8, v11, 0, 8
	s_mov_b32 s0, 0
	s_mov_b32 s3, -1
	s_delay_alu instid0(VALU_DEP_1)
	v_ashrrev_i32_e32 v9, 31, v8
	global_store_b64 v[2:3], v[8:9], off
.LBB14_2573:
	s_mov_b32 s6, 0
.LBB14_2574:
	s_delay_alu instid0(SALU_CYCLE_1)
	s_and_b32 vcc_lo, exec_lo, s6
	s_cbranch_vccz .LBB14_2590
; %bb.2575:
	s_cmp_lt_i32 s1, 27
	s_mov_b32 s3, -1
	s_cbranch_scc1 .LBB14_2581
; %bb.2576:
	s_cmp_gt_i32 s1, 27
	s_cbranch_scc0 .LBB14_2578
; %bb.2577:
	s_wait_xcnt 0x0
	v_bfe_i32 v1, v11, 0, 8
	s_mov_b32 s3, 0
	global_store_b32 v[2:3], v1, off
.LBB14_2578:
	s_and_not1_b32 vcc_lo, exec_lo, s3
	s_cbranch_vccnz .LBB14_2580
; %bb.2579:
	s_wait_xcnt 0x0
	v_bfe_i32 v1, v11, 0, 8
	global_store_b16 v[2:3], v1, off
.LBB14_2580:
	s_mov_b32 s3, 0
.LBB14_2581:
	s_delay_alu instid0(SALU_CYCLE_1)
	s_and_not1_b32 vcc_lo, exec_lo, s3
	s_cbranch_vccnz .LBB14_2589
; %bb.2582:
	s_wait_xcnt 0x0
	v_bfe_i32 v1, v11, 0, 8
	v_mov_b32_e32 v7, 0x80
	s_mov_b32 s3, exec_lo
	s_delay_alu instid0(VALU_DEP_2) | instskip(NEXT) | instid1(VALU_DEP_1)
	v_bfe_i32 v1, v1, 0, 16
	v_cvt_f32_i32_e32 v1, v1
	s_delay_alu instid0(VALU_DEP_1) | instskip(NEXT) | instid1(VALU_DEP_1)
	v_and_b32_e32 v5, 0x7fffffff, v1
	v_cmpx_gt_u32_e32 0x43800000, v5
	s_cbranch_execz .LBB14_2588
; %bb.2583:
	v_cmp_lt_u32_e32 vcc_lo, 0x3bffffff, v5
	s_mov_b32 s6, 0
                                        ; implicit-def: $vgpr5
	s_and_saveexec_b32 s7, vcc_lo
	s_delay_alu instid0(SALU_CYCLE_1)
	s_xor_b32 s7, exec_lo, s7
	s_cbranch_execz .LBB14_3038
; %bb.2584:
	v_bfe_u32 v5, v1, 20, 1
	s_mov_b32 s6, exec_lo
	s_delay_alu instid0(VALU_DEP_1) | instskip(NEXT) | instid1(VALU_DEP_1)
	v_add3_u32 v5, v1, v5, 0x487ffff
	v_lshrrev_b32_e32 v5, 20, v5
	s_and_not1_saveexec_b32 s7, s7
	s_cbranch_execnz .LBB14_3039
.LBB14_2585:
	s_or_b32 exec_lo, exec_lo, s7
	v_mov_b32_e32 v7, 0
	s_and_saveexec_b32 s7, s6
.LBB14_2586:
	v_lshrrev_b32_e32 v1, 24, v1
	s_delay_alu instid0(VALU_DEP_1)
	v_and_or_b32 v7, 0x80, v1, v5
.LBB14_2587:
	s_or_b32 exec_lo, exec_lo, s7
.LBB14_2588:
	s_delay_alu instid0(SALU_CYCLE_1)
	s_or_b32 exec_lo, exec_lo, s3
	global_store_b8 v[2:3], v7, off
.LBB14_2589:
	s_mov_b32 s3, -1
.LBB14_2590:
	s_mov_b32 s6, 0
.LBB14_2591:
	s_delay_alu instid0(SALU_CYCLE_1)
	s_and_b32 vcc_lo, exec_lo, s6
	s_cbranch_vccz .LBB14_2631
; %bb.2592:
	s_cmp_gt_i32 s1, 22
	s_mov_b32 s2, -1
	s_cbranch_scc0 .LBB14_2624
; %bb.2593:
	s_cmp_lt_i32 s1, 24
	s_cbranch_scc1 .LBB14_2613
; %bb.2594:
	s_cmp_gt_i32 s1, 24
	s_cbranch_scc0 .LBB14_2602
; %bb.2595:
	s_wait_xcnt 0x0
	v_bfe_i32 v1, v11, 0, 8
	v_mov_b32_e32 v7, 0x80
	s_mov_b32 s2, exec_lo
	s_delay_alu instid0(VALU_DEP_2) | instskip(NEXT) | instid1(VALU_DEP_1)
	v_bfe_i32 v1, v1, 0, 16
	v_cvt_f32_i32_e32 v1, v1
	s_delay_alu instid0(VALU_DEP_1) | instskip(NEXT) | instid1(VALU_DEP_1)
	v_and_b32_e32 v5, 0x7fffffff, v1
	v_cmpx_gt_u32_e32 0x47800000, v5
	s_cbranch_execz .LBB14_2601
; %bb.2596:
	v_cmp_lt_u32_e32 vcc_lo, 0x37ffffff, v5
	s_mov_b32 s3, 0
                                        ; implicit-def: $vgpr5
	s_and_saveexec_b32 s6, vcc_lo
	s_delay_alu instid0(SALU_CYCLE_1)
	s_xor_b32 s6, exec_lo, s6
	s_cbranch_execz .LBB14_3041
; %bb.2597:
	v_bfe_u32 v5, v1, 21, 1
	s_mov_b32 s3, exec_lo
	s_delay_alu instid0(VALU_DEP_1) | instskip(NEXT) | instid1(VALU_DEP_1)
	v_add3_u32 v5, v1, v5, 0x88fffff
	v_lshrrev_b32_e32 v5, 21, v5
	s_and_not1_saveexec_b32 s6, s6
	s_cbranch_execnz .LBB14_3042
.LBB14_2598:
	s_or_b32 exec_lo, exec_lo, s6
	v_mov_b32_e32 v7, 0
	s_and_saveexec_b32 s6, s3
.LBB14_2599:
	v_lshrrev_b32_e32 v1, 24, v1
	s_delay_alu instid0(VALU_DEP_1)
	v_and_or_b32 v7, 0x80, v1, v5
.LBB14_2600:
	s_or_b32 exec_lo, exec_lo, s6
.LBB14_2601:
	s_delay_alu instid0(SALU_CYCLE_1)
	s_or_b32 exec_lo, exec_lo, s2
	s_mov_b32 s2, 0
	global_store_b8 v[2:3], v7, off
.LBB14_2602:
	s_and_b32 vcc_lo, exec_lo, s2
	s_cbranch_vccz .LBB14_2612
; %bb.2603:
	s_wait_xcnt 0x0
	v_bfe_i32 v1, v11, 0, 8
	s_mov_b32 s2, exec_lo
                                        ; implicit-def: $vgpr5
	s_delay_alu instid0(VALU_DEP_1) | instskip(NEXT) | instid1(VALU_DEP_1)
	v_bfe_i32 v1, v1, 0, 16
	v_cvt_f32_i32_e32 v1, v1
	s_delay_alu instid0(VALU_DEP_1) | instskip(NEXT) | instid1(VALU_DEP_1)
	v_and_b32_e32 v7, 0x7fffffff, v1
	v_cmpx_gt_u32_e32 0x43f00000, v7
	s_xor_b32 s2, exec_lo, s2
	s_cbranch_execz .LBB14_2609
; %bb.2604:
	s_mov_b32 s3, exec_lo
                                        ; implicit-def: $vgpr5
	v_cmpx_lt_u32_e32 0x3c7fffff, v7
	s_xor_b32 s3, exec_lo, s3
; %bb.2605:
	v_bfe_u32 v5, v1, 20, 1
	s_delay_alu instid0(VALU_DEP_1) | instskip(NEXT) | instid1(VALU_DEP_1)
	v_add3_u32 v5, v1, v5, 0x407ffff
	v_and_b32_e32 v7, 0xff00000, v5
	v_lshrrev_b32_e32 v5, 20, v5
	s_delay_alu instid0(VALU_DEP_2) | instskip(NEXT) | instid1(VALU_DEP_2)
	v_cmp_ne_u32_e32 vcc_lo, 0x7f00000, v7
	v_cndmask_b32_e32 v5, 0x7e, v5, vcc_lo
; %bb.2606:
	s_and_not1_saveexec_b32 s3, s3
; %bb.2607:
	v_add_f32_e64 v5, 0x46800000, |v1|
; %bb.2608:
	s_or_b32 exec_lo, exec_lo, s3
                                        ; implicit-def: $vgpr7
.LBB14_2609:
	s_and_not1_saveexec_b32 s2, s2
; %bb.2610:
	v_mov_b32_e32 v5, 0x7f
	v_cmp_lt_u32_e32 vcc_lo, 0x7f800000, v7
	s_delay_alu instid0(VALU_DEP_2)
	v_cndmask_b32_e32 v5, 0x7e, v5, vcc_lo
; %bb.2611:
	s_or_b32 exec_lo, exec_lo, s2
	v_lshrrev_b32_e32 v1, 24, v1
	s_delay_alu instid0(VALU_DEP_1)
	v_and_or_b32 v1, 0x80, v1, v5
	global_store_b8 v[2:3], v1, off
.LBB14_2612:
	s_mov_b32 s2, 0
.LBB14_2613:
	s_delay_alu instid0(SALU_CYCLE_1)
	s_and_not1_b32 vcc_lo, exec_lo, s2
	s_cbranch_vccnz .LBB14_2623
; %bb.2614:
	s_wait_xcnt 0x0
	v_bfe_i32 v1, v11, 0, 8
	s_mov_b32 s2, exec_lo
                                        ; implicit-def: $vgpr5
	s_delay_alu instid0(VALU_DEP_1) | instskip(NEXT) | instid1(VALU_DEP_1)
	v_bfe_i32 v1, v1, 0, 16
	v_cvt_f32_i32_e32 v1, v1
	s_delay_alu instid0(VALU_DEP_1) | instskip(NEXT) | instid1(VALU_DEP_1)
	v_and_b32_e32 v7, 0x7fffffff, v1
	v_cmpx_gt_u32_e32 0x47800000, v7
	s_xor_b32 s2, exec_lo, s2
	s_cbranch_execz .LBB14_2620
; %bb.2615:
	s_mov_b32 s3, exec_lo
                                        ; implicit-def: $vgpr5
	v_cmpx_lt_u32_e32 0x387fffff, v7
	s_xor_b32 s3, exec_lo, s3
; %bb.2616:
	v_bfe_u32 v5, v1, 21, 1
	s_delay_alu instid0(VALU_DEP_1) | instskip(NEXT) | instid1(VALU_DEP_1)
	v_add3_u32 v5, v1, v5, 0x80fffff
	v_lshrrev_b32_e32 v5, 21, v5
; %bb.2617:
	s_and_not1_saveexec_b32 s3, s3
; %bb.2618:
	v_add_f32_e64 v5, 0x43000000, |v1|
; %bb.2619:
	s_or_b32 exec_lo, exec_lo, s3
                                        ; implicit-def: $vgpr7
.LBB14_2620:
	s_and_not1_saveexec_b32 s2, s2
; %bb.2621:
	v_mov_b32_e32 v5, 0x7f
	v_cmp_lt_u32_e32 vcc_lo, 0x7f800000, v7
	s_delay_alu instid0(VALU_DEP_2)
	v_cndmask_b32_e32 v5, 0x7c, v5, vcc_lo
; %bb.2622:
	s_or_b32 exec_lo, exec_lo, s2
	v_lshrrev_b32_e32 v1, 24, v1
	s_delay_alu instid0(VALU_DEP_1)
	v_and_or_b32 v1, 0x80, v1, v5
	global_store_b8 v[2:3], v1, off
.LBB14_2623:
	s_mov_b32 s2, 0
	s_mov_b32 s3, -1
.LBB14_2624:
	s_and_not1_b32 vcc_lo, exec_lo, s2
	s_mov_b32 s2, 0
	s_cbranch_vccnz .LBB14_2631
; %bb.2625:
	s_cmp_gt_i32 s1, 14
	s_mov_b32 s2, -1
	s_cbranch_scc0 .LBB14_2629
; %bb.2626:
	s_cmp_eq_u32 s1, 15
	s_mov_b32 s0, -1
	s_cbranch_scc0 .LBB14_2628
; %bb.2627:
	s_wait_xcnt 0x0
	v_bfe_i32 v1, v11, 0, 8
	s_mov_b32 s0, 0
	s_mov_b32 s3, -1
	s_delay_alu instid0(VALU_DEP_1) | instskip(NEXT) | instid1(VALU_DEP_1)
	v_bfe_i32 v1, v1, 0, 16
	v_cvt_f32_i32_e32 v1, v1
	s_delay_alu instid0(VALU_DEP_1) | instskip(NEXT) | instid1(VALU_DEP_1)
	v_bfe_u32 v5, v1, 16, 1
	v_add3_u32 v1, v1, v5, 0x7fff
	global_store_d16_hi_b16 v[2:3], v1, off
.LBB14_2628:
	s_mov_b32 s2, 0
.LBB14_2629:
	s_delay_alu instid0(SALU_CYCLE_1)
	s_and_b32 vcc_lo, exec_lo, s2
	s_mov_b32 s2, 0
	s_cbranch_vccz .LBB14_2631
; %bb.2630:
	s_cmp_lg_u32 s1, 11
	s_mov_b32 s2, -1
	s_cselect_b32 s0, -1, 0
.LBB14_2631:
	s_delay_alu instid0(SALU_CYCLE_1)
	s_and_b32 vcc_lo, exec_lo, s0
	s_cbranch_vccnz .LBB14_3040
; %bb.2632:
	s_and_not1_b32 vcc_lo, exec_lo, s2
	s_cbranch_vccnz .LBB14_2634
.LBB14_2633:
	s_wait_xcnt 0x0
	v_and_b32_e32 v1, 0xff, v11
	s_mov_b32 s3, -1
	s_delay_alu instid0(VALU_DEP_1)
	v_cmp_ne_u16_e32 vcc_lo, 0, v1
	v_cndmask_b32_e64 v1, 0, 1, vcc_lo
	global_store_b8 v[2:3], v1, off
.LBB14_2634:
	s_mov_b32 s0, 0
	s_branch .LBB14_2681
.LBB14_2635:
	s_mov_b32 s0, 0
	s_mov_b32 s2, 0
                                        ; implicit-def: $sgpr16
                                        ; implicit-def: $vgpr0_vgpr1
                                        ; implicit-def: $vgpr4
.LBB14_2636:
	s_and_not1_b32 s1, s15, exec_lo
	s_and_b32 s3, s12, exec_lo
	s_and_b32 s0, s0, exec_lo
	;; [unrolled: 1-line block ×3, first 2 shown]
	s_or_b32 s15, s1, s3
.LBB14_2637:
	s_wait_xcnt 0x0
	s_or_b32 exec_lo, exec_lo, s14
	s_and_saveexec_b32 s1, s15
	s_cbranch_execz .LBB14_2640
; %bb.2638:
	; divergent unreachable
	s_or_b32 exec_lo, exec_lo, s1
	s_and_saveexec_b32 s1, s12
	s_delay_alu instid0(SALU_CYCLE_1)
	s_xor_b32 s1, exec_lo, s1
	s_cbranch_execnz .LBB14_2641
.LBB14_2639:
	s_or_b32 exec_lo, exec_lo, s1
	s_and_saveexec_b32 s1, s0
	s_cbranch_execnz .LBB14_2642
	s_branch .LBB14_2679
.LBB14_2640:
	s_or_b32 exec_lo, exec_lo, s1
	s_and_saveexec_b32 s1, s12
	s_delay_alu instid0(SALU_CYCLE_1)
	s_xor_b32 s1, exec_lo, s1
	s_cbranch_execz .LBB14_2639
.LBB14_2641:
	s_wait_loadcnt 0x0
	s_delay_alu instid0(VALU_DEP_1) | instskip(NEXT) | instid1(VALU_DEP_1)
	v_and_b32_e32 v2, 0xff, v4
	v_cmp_ne_u16_e32 vcc_lo, 0, v2
	v_cndmask_b32_e64 v2, 0, 1, vcc_lo
	global_store_b8 v[0:1], v2, off
	s_wait_xcnt 0x0
	s_or_b32 exec_lo, exec_lo, s1
	s_and_saveexec_b32 s1, s0
	s_cbranch_execz .LBB14_2679
.LBB14_2642:
	s_sext_i32_i16 s1, s16
	s_mov_b32 s0, -1
	s_cmp_lt_i32 s1, 5
	s_cbranch_scc1 .LBB14_2663
; %bb.2643:
	s_cmp_lt_i32 s1, 8
	s_cbranch_scc1 .LBB14_2653
; %bb.2644:
	;; [unrolled: 3-line block ×3, first 2 shown]
	s_wait_loadcnt 0x0
	v_bfe_i32 v2, v4, 0, 8
	s_cmp_gt_i32 s1, 9
	s_delay_alu instid0(VALU_DEP_1)
	v_bfe_i32 v2, v2, 0, 16
	s_cbranch_scc0 .LBB14_2647
; %bb.2646:
	s_delay_alu instid0(VALU_DEP_1) | instskip(SKIP_2) | instid1(VALU_DEP_1)
	v_cvt_f64_i32_e32 v[6:7], v2
	v_mov_b32_e32 v8, 0
	s_mov_b32 s0, 0
	v_mov_b32_e32 v9, v8
	global_store_b128 v[0:1], v[6:9], off
.LBB14_2647:
	s_and_not1_b32 vcc_lo, exec_lo, s0
	s_cbranch_vccnz .LBB14_2649
; %bb.2648:
	s_delay_alu instid0(VALU_DEP_1)
	v_cvt_f32_i32_e32 v2, v2
	v_mov_b32_e32 v3, 0
	global_store_b64 v[0:1], v[2:3], off
.LBB14_2649:
	s_mov_b32 s0, 0
.LBB14_2650:
	s_delay_alu instid0(SALU_CYCLE_1)
	s_and_not1_b32 vcc_lo, exec_lo, s0
	s_cbranch_vccnz .LBB14_2652
; %bb.2651:
	s_wait_loadcnt 0x0
	v_bfe_i32 v2, v4, 0, 8
	s_delay_alu instid0(VALU_DEP_1) | instskip(NEXT) | instid1(VALU_DEP_1)
	v_cvt_f16_i16_e32 v2, v2
	v_and_b32_e32 v2, 0xffff, v2
	global_store_b32 v[0:1], v2, off
.LBB14_2652:
	s_mov_b32 s0, 0
.LBB14_2653:
	s_delay_alu instid0(SALU_CYCLE_1)
	s_and_not1_b32 vcc_lo, exec_lo, s0
	s_cbranch_vccnz .LBB14_2662
; %bb.2654:
	s_sext_i32_i16 s1, s16
	s_mov_b32 s0, -1
	s_cmp_lt_i32 s1, 6
	s_cbranch_scc1 .LBB14_2660
; %bb.2655:
	s_wait_loadcnt 0x0
	v_bfe_i32 v2, v4, 0, 8
	s_cmp_gt_i32 s1, 6
	s_delay_alu instid0(VALU_DEP_1)
	v_bfe_i32 v2, v2, 0, 16
	s_cbranch_scc0 .LBB14_2657
; %bb.2656:
	s_delay_alu instid0(VALU_DEP_1)
	v_cvt_f64_i32_e32 v[6:7], v2
	s_mov_b32 s0, 0
	global_store_b64 v[0:1], v[6:7], off
.LBB14_2657:
	s_and_not1_b32 vcc_lo, exec_lo, s0
	s_cbranch_vccnz .LBB14_2659
; %bb.2658:
	s_delay_alu instid0(VALU_DEP_1)
	v_cvt_f32_i32_e32 v2, v2
	global_store_b32 v[0:1], v2, off
.LBB14_2659:
	s_mov_b32 s0, 0
.LBB14_2660:
	s_delay_alu instid0(SALU_CYCLE_1)
	s_and_not1_b32 vcc_lo, exec_lo, s0
	s_cbranch_vccnz .LBB14_2662
; %bb.2661:
	s_wait_loadcnt 0x0
	v_bfe_i32 v2, v4, 0, 8
	s_delay_alu instid0(VALU_DEP_1)
	v_cvt_f16_i16_e32 v2, v2
	global_store_b16 v[0:1], v2, off
.LBB14_2662:
	s_mov_b32 s0, 0
.LBB14_2663:
	s_delay_alu instid0(SALU_CYCLE_1)
	s_and_not1_b32 vcc_lo, exec_lo, s0
	s_cbranch_vccnz .LBB14_2679
; %bb.2664:
	s_sext_i32_i16 s1, s16
	s_mov_b32 s0, -1
	s_cmp_lt_i32 s1, 2
	s_cbranch_scc1 .LBB14_2674
; %bb.2665:
	s_cmp_lt_i32 s1, 3
	s_cbranch_scc1 .LBB14_2671
; %bb.2666:
	s_wait_loadcnt 0x0
	v_bfe_i32 v2, v4, 0, 8
	s_cmp_gt_i32 s1, 3
	s_cbranch_scc0 .LBB14_2668
; %bb.2667:
	s_delay_alu instid0(VALU_DEP_1)
	v_ashrrev_i32_e32 v3, 31, v2
	s_mov_b32 s0, 0
	global_store_b64 v[0:1], v[2:3], off
.LBB14_2668:
	s_and_not1_b32 vcc_lo, exec_lo, s0
	s_cbranch_vccnz .LBB14_2670
; %bb.2669:
	global_store_b32 v[0:1], v2, off
.LBB14_2670:
	s_mov_b32 s0, 0
.LBB14_2671:
	s_delay_alu instid0(SALU_CYCLE_1)
	s_and_not1_b32 vcc_lo, exec_lo, s0
	s_cbranch_vccnz .LBB14_2673
; %bb.2672:
	s_wait_loadcnt 0x0
	v_bfe_i32 v2, v4, 0, 8
	global_store_b16 v[0:1], v2, off
.LBB14_2673:
	s_mov_b32 s0, 0
.LBB14_2674:
	s_delay_alu instid0(SALU_CYCLE_1)
	s_and_not1_b32 vcc_lo, exec_lo, s0
	s_cbranch_vccnz .LBB14_2679
; %bb.2675:
	s_sext_i32_i16 s0, s16
	s_delay_alu instid0(SALU_CYCLE_1)
	s_cmp_gt_i32 s0, 0
	s_mov_b32 s0, -1
	s_cbranch_scc0 .LBB14_2677
; %bb.2676:
	s_mov_b32 s0, 0
	s_wait_loadcnt 0x0
	global_store_b8 v[0:1], v4, off
.LBB14_2677:
	s_and_not1_b32 vcc_lo, exec_lo, s0
	s_cbranch_vccnz .LBB14_2679
; %bb.2678:
	s_wait_loadcnt 0x0
	global_store_b8 v[0:1], v4, off
	s_endpgm
.LBB14_2679:
	s_endpgm
.LBB14_2680:
	s_mov_b32 s0, -1
	s_mov_b32 s3, 0
.LBB14_2681:
	s_and_b32 vcc_lo, exec_lo, s0
	s_cbranch_vccz .LBB14_2720
; %bb.2682:
	s_and_b32 s0, 0xffff, s16
	s_mov_b32 s1, -1
	s_cmp_lt_i32 s0, 5
	s_cbranch_scc1 .LBB14_2703
; %bb.2683:
	s_cmp_lt_i32 s0, 8
	s_cbranch_scc1 .LBB14_2693
; %bb.2684:
	;; [unrolled: 3-line block ×3, first 2 shown]
	s_cmp_gt_i32 s0, 9
	s_cbranch_scc0 .LBB14_2687
; %bb.2686:
	s_wait_xcnt 0x0
	v_bfe_i32 v1, v11, 0, 8
	v_mov_b32_e32 v16, 0
	s_mov_b32 s1, 0
	s_delay_alu instid0(VALU_DEP_2) | instskip(NEXT) | instid1(VALU_DEP_2)
	v_bfe_i32 v1, v1, 0, 16
	v_mov_b32_e32 v17, v16
	s_delay_alu instid0(VALU_DEP_2)
	v_cvt_f64_i32_e32 v[14:15], v1
	global_store_b128 v[2:3], v[14:17], off
.LBB14_2687:
	s_and_not1_b32 vcc_lo, exec_lo, s1
	s_cbranch_vccnz .LBB14_2689
; %bb.2688:
	s_wait_xcnt 0x0
	v_bfe_i32 v1, v11, 0, 8
	v_mov_b32_e32 v9, 0
	s_delay_alu instid0(VALU_DEP_2) | instskip(NEXT) | instid1(VALU_DEP_1)
	v_bfe_i32 v1, v1, 0, 16
	v_cvt_f32_i32_e32 v8, v1
	global_store_b64 v[2:3], v[8:9], off
.LBB14_2689:
	s_mov_b32 s1, 0
.LBB14_2690:
	s_delay_alu instid0(SALU_CYCLE_1)
	s_and_not1_b32 vcc_lo, exec_lo, s1
	s_cbranch_vccnz .LBB14_2692
; %bb.2691:
	s_wait_xcnt 0x0
	v_bfe_i32 v1, v11, 0, 8
	s_delay_alu instid0(VALU_DEP_1) | instskip(NEXT) | instid1(VALU_DEP_1)
	v_cvt_f16_i16_e32 v1, v1
	v_and_b32_e32 v1, 0xffff, v1
	global_store_b32 v[2:3], v1, off
.LBB14_2692:
	s_mov_b32 s1, 0
.LBB14_2693:
	s_delay_alu instid0(SALU_CYCLE_1)
	s_and_not1_b32 vcc_lo, exec_lo, s1
	s_cbranch_vccnz .LBB14_2702
; %bb.2694:
	s_cmp_lt_i32 s0, 6
	s_mov_b32 s1, -1
	s_cbranch_scc1 .LBB14_2700
; %bb.2695:
	s_cmp_gt_i32 s0, 6
	s_cbranch_scc0 .LBB14_2697
; %bb.2696:
	s_wait_xcnt 0x0
	v_bfe_i32 v1, v11, 0, 8
	s_mov_b32 s1, 0
	s_delay_alu instid0(VALU_DEP_1) | instskip(NEXT) | instid1(VALU_DEP_1)
	v_bfe_i32 v1, v1, 0, 16
	v_cvt_f64_i32_e32 v[8:9], v1
	global_store_b64 v[2:3], v[8:9], off
.LBB14_2697:
	s_and_not1_b32 vcc_lo, exec_lo, s1
	s_cbranch_vccnz .LBB14_2699
; %bb.2698:
	s_wait_xcnt 0x0
	v_bfe_i32 v1, v11, 0, 8
	s_delay_alu instid0(VALU_DEP_1) | instskip(NEXT) | instid1(VALU_DEP_1)
	v_bfe_i32 v1, v1, 0, 16
	v_cvt_f32_i32_e32 v1, v1
	global_store_b32 v[2:3], v1, off
.LBB14_2699:
	s_mov_b32 s1, 0
.LBB14_2700:
	s_delay_alu instid0(SALU_CYCLE_1)
	s_and_not1_b32 vcc_lo, exec_lo, s1
	s_cbranch_vccnz .LBB14_2702
; %bb.2701:
	s_wait_xcnt 0x0
	v_bfe_i32 v1, v11, 0, 8
	s_delay_alu instid0(VALU_DEP_1)
	v_cvt_f16_i16_e32 v1, v1
	global_store_b16 v[2:3], v1, off
.LBB14_2702:
	s_mov_b32 s1, 0
.LBB14_2703:
	s_delay_alu instid0(SALU_CYCLE_1)
	s_and_not1_b32 vcc_lo, exec_lo, s1
	s_cbranch_vccnz .LBB14_2719
; %bb.2704:
	s_cmp_lt_i32 s0, 2
	s_mov_b32 s1, -1
	s_cbranch_scc1 .LBB14_2714
; %bb.2705:
	s_cmp_lt_i32 s0, 3
	s_cbranch_scc1 .LBB14_2711
; %bb.2706:
	s_cmp_gt_i32 s0, 3
	s_cbranch_scc0 .LBB14_2708
; %bb.2707:
	s_wait_xcnt 0x0
	v_bfe_i32 v8, v11, 0, 8
	s_mov_b32 s1, 0
	s_delay_alu instid0(VALU_DEP_1)
	v_ashrrev_i32_e32 v9, 31, v8
	global_store_b64 v[2:3], v[8:9], off
.LBB14_2708:
	s_and_not1_b32 vcc_lo, exec_lo, s1
	s_cbranch_vccnz .LBB14_2710
; %bb.2709:
	s_wait_xcnt 0x0
	v_bfe_i32 v1, v11, 0, 8
	global_store_b32 v[2:3], v1, off
.LBB14_2710:
	s_mov_b32 s1, 0
.LBB14_2711:
	s_delay_alu instid0(SALU_CYCLE_1)
	s_and_not1_b32 vcc_lo, exec_lo, s1
	s_cbranch_vccnz .LBB14_2713
; %bb.2712:
	s_wait_xcnt 0x0
	v_bfe_i32 v1, v11, 0, 8
	global_store_b16 v[2:3], v1, off
.LBB14_2713:
	s_mov_b32 s1, 0
.LBB14_2714:
	s_delay_alu instid0(SALU_CYCLE_1)
	s_and_not1_b32 vcc_lo, exec_lo, s1
	s_cbranch_vccnz .LBB14_2719
; %bb.2715:
	s_cmp_gt_i32 s0, 0
	s_mov_b32 s0, -1
	s_cbranch_scc0 .LBB14_2717
; %bb.2716:
	s_mov_b32 s0, 0
	global_store_b8 v[2:3], v11, off
.LBB14_2717:
	s_and_not1_b32 vcc_lo, exec_lo, s0
	s_cbranch_vccnz .LBB14_2719
; %bb.2718:
	global_store_b8 v[2:3], v11, off
.LBB14_2719:
	s_mov_b32 s3, -1
.LBB14_2720:
	s_delay_alu instid0(SALU_CYCLE_1)
	s_and_not1_b32 vcc_lo, exec_lo, s3
	s_cbranch_vccnz .LBB14_3035
; %bb.2721:
	s_lshl_b32 s1, s8, 7
	s_cmp_lt_i32 s16, 11
	v_add_nc_u32_e32 v0, s1, v0
	s_wait_xcnt 0x0
	s_delay_alu instid0(VALU_DEP_1) | instskip(NEXT) | instid1(VALU_DEP_1)
	v_ashrrev_i32_e32 v1, 31, v0
	v_add_nc_u64_e32 v[2:3], s[4:5], v[0:1]
	s_cbranch_scc1 .LBB14_2799
; %bb.2722:
	s_and_b32 s2, 0xffff, s16
	s_mov_b32 s7, -1
	s_mov_b32 s3, 0
	s_cmp_gt_i32 s2, 25
	s_mov_b32 s6, 0
	s_mov_b32 s0, 0
	s_cbranch_scc0 .LBB14_2755
; %bb.2723:
	s_cmp_gt_i32 s2, 28
	s_cbranch_scc0 .LBB14_2738
; %bb.2724:
	s_cmp_gt_i32 s2, 43
	;; [unrolled: 3-line block ×3, first 2 shown]
	s_cbranch_scc0 .LBB14_2728
; %bb.2726:
	s_mov_b32 s0, -1
	s_mov_b32 s7, 0
	s_cmp_eq_u32 s2, 46
	s_cbranch_scc0 .LBB14_2728
; %bb.2727:
	v_bfe_i32 v1, v12, 0, 8
	s_mov_b32 s0, 0
	s_mov_b32 s6, -1
	s_delay_alu instid0(VALU_DEP_1) | instskip(NEXT) | instid1(VALU_DEP_1)
	v_bfe_i32 v1, v1, 0, 16
	v_cvt_f32_i32_e32 v1, v1
	s_delay_alu instid0(VALU_DEP_1) | instskip(NEXT) | instid1(VALU_DEP_1)
	v_bfe_u32 v5, v1, 16, 1
	v_add3_u32 v1, v1, v5, 0x7fff
	s_delay_alu instid0(VALU_DEP_1)
	v_lshrrev_b32_e32 v1, 16, v1
	global_store_b32 v[2:3], v1, off
.LBB14_2728:
	s_and_b32 vcc_lo, exec_lo, s7
	s_cbranch_vccz .LBB14_2733
; %bb.2729:
	s_cmp_eq_u32 s2, 44
	s_mov_b32 s0, -1
	s_cbranch_scc0 .LBB14_2733
; %bb.2730:
	s_wait_xcnt 0x0
	v_bfe_i32 v1, v12, 0, 8
	v_mov_b32_e32 v5, 0xff
	s_mov_b32 s6, exec_lo
	s_delay_alu instid0(VALU_DEP_2) | instskip(NEXT) | instid1(VALU_DEP_1)
	v_bfe_i32 v1, v1, 0, 16
	v_cvt_f32_i32_e32 v1, v1
	s_delay_alu instid0(VALU_DEP_1) | instskip(NEXT) | instid1(VALU_DEP_1)
	v_bfe_u32 v7, v1, 23, 8
	v_cmpx_ne_u32_e32 0xff, v7
	s_cbranch_execz .LBB14_2732
; %bb.2731:
	v_and_b32_e32 v5, 0x400000, v1
	v_and_or_b32 v7, 0x3fffff, v1, v7
	v_lshrrev_b32_e32 v1, 23, v1
	s_delay_alu instid0(VALU_DEP_3) | instskip(NEXT) | instid1(VALU_DEP_3)
	v_cmp_ne_u32_e32 vcc_lo, 0, v5
	v_cmp_ne_u32_e64 s0, 0, v7
	s_and_b32 s0, vcc_lo, s0
	s_delay_alu instid0(SALU_CYCLE_1) | instskip(NEXT) | instid1(VALU_DEP_1)
	v_cndmask_b32_e64 v5, 0, 1, s0
	v_add_nc_u32_e32 v5, v1, v5
.LBB14_2732:
	s_or_b32 exec_lo, exec_lo, s6
	s_mov_b32 s0, 0
	s_mov_b32 s6, -1
	global_store_b8 v[2:3], v5, off
.LBB14_2733:
	s_mov_b32 s7, 0
.LBB14_2734:
	s_delay_alu instid0(SALU_CYCLE_1)
	s_and_b32 vcc_lo, exec_lo, s7
	s_cbranch_vccz .LBB14_2737
; %bb.2735:
	s_cmp_eq_u32 s2, 29
	s_mov_b32 s0, -1
	s_cbranch_scc0 .LBB14_2737
; %bb.2736:
	v_bfe_i32 v8, v12, 0, 8
	s_mov_b32 s0, 0
	s_mov_b32 s6, -1
	s_delay_alu instid0(VALU_DEP_1)
	v_ashrrev_i32_e32 v9, 31, v8
	global_store_b64 v[2:3], v[8:9], off
.LBB14_2737:
	s_mov_b32 s7, 0
.LBB14_2738:
	s_delay_alu instid0(SALU_CYCLE_1)
	s_and_b32 vcc_lo, exec_lo, s7
	s_cbranch_vccz .LBB14_2754
; %bb.2739:
	s_cmp_lt_i32 s2, 27
	s_mov_b32 s6, -1
	s_cbranch_scc1 .LBB14_2745
; %bb.2740:
	s_cmp_gt_i32 s2, 27
	s_cbranch_scc0 .LBB14_2742
; %bb.2741:
	s_wait_xcnt 0x0
	v_bfe_i32 v1, v12, 0, 8
	s_mov_b32 s6, 0
	global_store_b32 v[2:3], v1, off
.LBB14_2742:
	s_and_not1_b32 vcc_lo, exec_lo, s6
	s_cbranch_vccnz .LBB14_2744
; %bb.2743:
	s_wait_xcnt 0x0
	v_bfe_i32 v1, v12, 0, 8
	global_store_b16 v[2:3], v1, off
.LBB14_2744:
	s_mov_b32 s6, 0
.LBB14_2745:
	s_delay_alu instid0(SALU_CYCLE_1)
	s_and_not1_b32 vcc_lo, exec_lo, s6
	s_cbranch_vccnz .LBB14_2753
; %bb.2746:
	s_wait_xcnt 0x0
	v_bfe_i32 v1, v12, 0, 8
	v_mov_b32_e32 v7, 0x80
	s_mov_b32 s6, exec_lo
	s_delay_alu instid0(VALU_DEP_2) | instskip(NEXT) | instid1(VALU_DEP_1)
	v_bfe_i32 v1, v1, 0, 16
	v_cvt_f32_i32_e32 v1, v1
	s_delay_alu instid0(VALU_DEP_1) | instskip(NEXT) | instid1(VALU_DEP_1)
	v_and_b32_e32 v5, 0x7fffffff, v1
	v_cmpx_gt_u32_e32 0x43800000, v5
	s_cbranch_execz .LBB14_2752
; %bb.2747:
	v_cmp_lt_u32_e32 vcc_lo, 0x3bffffff, v5
	s_mov_b32 s7, 0
                                        ; implicit-def: $vgpr5
	s_and_saveexec_b32 s8, vcc_lo
	s_delay_alu instid0(SALU_CYCLE_1)
	s_xor_b32 s8, exec_lo, s8
	s_cbranch_execz .LBB14_3043
; %bb.2748:
	v_bfe_u32 v5, v1, 20, 1
	s_mov_b32 s7, exec_lo
	s_delay_alu instid0(VALU_DEP_1) | instskip(NEXT) | instid1(VALU_DEP_1)
	v_add3_u32 v5, v1, v5, 0x487ffff
	v_lshrrev_b32_e32 v5, 20, v5
	s_and_not1_saveexec_b32 s8, s8
	s_cbranch_execnz .LBB14_3044
.LBB14_2749:
	s_or_b32 exec_lo, exec_lo, s8
	v_mov_b32_e32 v7, 0
	s_and_saveexec_b32 s8, s7
.LBB14_2750:
	v_lshrrev_b32_e32 v1, 24, v1
	s_delay_alu instid0(VALU_DEP_1)
	v_and_or_b32 v7, 0x80, v1, v5
.LBB14_2751:
	s_or_b32 exec_lo, exec_lo, s8
.LBB14_2752:
	s_delay_alu instid0(SALU_CYCLE_1)
	s_or_b32 exec_lo, exec_lo, s6
	global_store_b8 v[2:3], v7, off
.LBB14_2753:
	s_mov_b32 s6, -1
.LBB14_2754:
	s_mov_b32 s7, 0
.LBB14_2755:
	s_delay_alu instid0(SALU_CYCLE_1)
	s_and_b32 vcc_lo, exec_lo, s7
	s_cbranch_vccz .LBB14_2795
; %bb.2756:
	s_cmp_gt_i32 s2, 22
	s_mov_b32 s3, -1
	s_cbranch_scc0 .LBB14_2788
; %bb.2757:
	s_cmp_lt_i32 s2, 24
	s_cbranch_scc1 .LBB14_2777
; %bb.2758:
	s_cmp_gt_i32 s2, 24
	s_cbranch_scc0 .LBB14_2766
; %bb.2759:
	s_wait_xcnt 0x0
	v_bfe_i32 v1, v12, 0, 8
	v_mov_b32_e32 v7, 0x80
	s_mov_b32 s3, exec_lo
	s_delay_alu instid0(VALU_DEP_2) | instskip(NEXT) | instid1(VALU_DEP_1)
	v_bfe_i32 v1, v1, 0, 16
	v_cvt_f32_i32_e32 v1, v1
	s_delay_alu instid0(VALU_DEP_1) | instskip(NEXT) | instid1(VALU_DEP_1)
	v_and_b32_e32 v5, 0x7fffffff, v1
	v_cmpx_gt_u32_e32 0x47800000, v5
	s_cbranch_execz .LBB14_2765
; %bb.2760:
	v_cmp_lt_u32_e32 vcc_lo, 0x37ffffff, v5
	s_mov_b32 s6, 0
                                        ; implicit-def: $vgpr5
	s_and_saveexec_b32 s7, vcc_lo
	s_delay_alu instid0(SALU_CYCLE_1)
	s_xor_b32 s7, exec_lo, s7
	s_cbranch_execz .LBB14_3046
; %bb.2761:
	v_bfe_u32 v5, v1, 21, 1
	s_mov_b32 s6, exec_lo
	s_delay_alu instid0(VALU_DEP_1) | instskip(NEXT) | instid1(VALU_DEP_1)
	v_add3_u32 v5, v1, v5, 0x88fffff
	v_lshrrev_b32_e32 v5, 21, v5
	s_and_not1_saveexec_b32 s7, s7
	s_cbranch_execnz .LBB14_3047
.LBB14_2762:
	s_or_b32 exec_lo, exec_lo, s7
	v_mov_b32_e32 v7, 0
	s_and_saveexec_b32 s7, s6
.LBB14_2763:
	v_lshrrev_b32_e32 v1, 24, v1
	s_delay_alu instid0(VALU_DEP_1)
	v_and_or_b32 v7, 0x80, v1, v5
.LBB14_2764:
	s_or_b32 exec_lo, exec_lo, s7
.LBB14_2765:
	s_delay_alu instid0(SALU_CYCLE_1)
	s_or_b32 exec_lo, exec_lo, s3
	s_mov_b32 s3, 0
	global_store_b8 v[2:3], v7, off
.LBB14_2766:
	s_and_b32 vcc_lo, exec_lo, s3
	s_cbranch_vccz .LBB14_2776
; %bb.2767:
	s_wait_xcnt 0x0
	v_bfe_i32 v1, v12, 0, 8
	s_mov_b32 s3, exec_lo
                                        ; implicit-def: $vgpr5
	s_delay_alu instid0(VALU_DEP_1) | instskip(NEXT) | instid1(VALU_DEP_1)
	v_bfe_i32 v1, v1, 0, 16
	v_cvt_f32_i32_e32 v1, v1
	s_delay_alu instid0(VALU_DEP_1) | instskip(NEXT) | instid1(VALU_DEP_1)
	v_and_b32_e32 v7, 0x7fffffff, v1
	v_cmpx_gt_u32_e32 0x43f00000, v7
	s_xor_b32 s3, exec_lo, s3
	s_cbranch_execz .LBB14_2773
; %bb.2768:
	s_mov_b32 s6, exec_lo
                                        ; implicit-def: $vgpr5
	v_cmpx_lt_u32_e32 0x3c7fffff, v7
	s_xor_b32 s6, exec_lo, s6
; %bb.2769:
	v_bfe_u32 v5, v1, 20, 1
	s_delay_alu instid0(VALU_DEP_1) | instskip(NEXT) | instid1(VALU_DEP_1)
	v_add3_u32 v5, v1, v5, 0x407ffff
	v_and_b32_e32 v7, 0xff00000, v5
	v_lshrrev_b32_e32 v5, 20, v5
	s_delay_alu instid0(VALU_DEP_2) | instskip(NEXT) | instid1(VALU_DEP_2)
	v_cmp_ne_u32_e32 vcc_lo, 0x7f00000, v7
	v_cndmask_b32_e32 v5, 0x7e, v5, vcc_lo
; %bb.2770:
	s_and_not1_saveexec_b32 s6, s6
; %bb.2771:
	v_add_f32_e64 v5, 0x46800000, |v1|
; %bb.2772:
	s_or_b32 exec_lo, exec_lo, s6
                                        ; implicit-def: $vgpr7
.LBB14_2773:
	s_and_not1_saveexec_b32 s3, s3
; %bb.2774:
	v_mov_b32_e32 v5, 0x7f
	v_cmp_lt_u32_e32 vcc_lo, 0x7f800000, v7
	s_delay_alu instid0(VALU_DEP_2)
	v_cndmask_b32_e32 v5, 0x7e, v5, vcc_lo
; %bb.2775:
	s_or_b32 exec_lo, exec_lo, s3
	v_lshrrev_b32_e32 v1, 24, v1
	s_delay_alu instid0(VALU_DEP_1)
	v_and_or_b32 v1, 0x80, v1, v5
	global_store_b8 v[2:3], v1, off
.LBB14_2776:
	s_mov_b32 s3, 0
.LBB14_2777:
	s_delay_alu instid0(SALU_CYCLE_1)
	s_and_not1_b32 vcc_lo, exec_lo, s3
	s_cbranch_vccnz .LBB14_2787
; %bb.2778:
	s_wait_xcnt 0x0
	v_bfe_i32 v1, v12, 0, 8
	s_mov_b32 s3, exec_lo
                                        ; implicit-def: $vgpr5
	s_delay_alu instid0(VALU_DEP_1) | instskip(NEXT) | instid1(VALU_DEP_1)
	v_bfe_i32 v1, v1, 0, 16
	v_cvt_f32_i32_e32 v1, v1
	s_delay_alu instid0(VALU_DEP_1) | instskip(NEXT) | instid1(VALU_DEP_1)
	v_and_b32_e32 v7, 0x7fffffff, v1
	v_cmpx_gt_u32_e32 0x47800000, v7
	s_xor_b32 s3, exec_lo, s3
	s_cbranch_execz .LBB14_2784
; %bb.2779:
	s_mov_b32 s6, exec_lo
                                        ; implicit-def: $vgpr5
	v_cmpx_lt_u32_e32 0x387fffff, v7
	s_xor_b32 s6, exec_lo, s6
; %bb.2780:
	v_bfe_u32 v5, v1, 21, 1
	s_delay_alu instid0(VALU_DEP_1) | instskip(NEXT) | instid1(VALU_DEP_1)
	v_add3_u32 v5, v1, v5, 0x80fffff
	v_lshrrev_b32_e32 v5, 21, v5
; %bb.2781:
	s_and_not1_saveexec_b32 s6, s6
; %bb.2782:
	v_add_f32_e64 v5, 0x43000000, |v1|
; %bb.2783:
	s_or_b32 exec_lo, exec_lo, s6
                                        ; implicit-def: $vgpr7
.LBB14_2784:
	s_and_not1_saveexec_b32 s3, s3
; %bb.2785:
	v_mov_b32_e32 v5, 0x7f
	v_cmp_lt_u32_e32 vcc_lo, 0x7f800000, v7
	s_delay_alu instid0(VALU_DEP_2)
	v_cndmask_b32_e32 v5, 0x7c, v5, vcc_lo
; %bb.2786:
	s_or_b32 exec_lo, exec_lo, s3
	v_lshrrev_b32_e32 v1, 24, v1
	s_delay_alu instid0(VALU_DEP_1)
	v_and_or_b32 v1, 0x80, v1, v5
	global_store_b8 v[2:3], v1, off
.LBB14_2787:
	s_mov_b32 s3, 0
	s_mov_b32 s6, -1
.LBB14_2788:
	s_and_not1_b32 vcc_lo, exec_lo, s3
	s_mov_b32 s3, 0
	s_cbranch_vccnz .LBB14_2795
; %bb.2789:
	s_cmp_gt_i32 s2, 14
	s_mov_b32 s3, -1
	s_cbranch_scc0 .LBB14_2793
; %bb.2790:
	s_cmp_eq_u32 s2, 15
	s_mov_b32 s0, -1
	s_cbranch_scc0 .LBB14_2792
; %bb.2791:
	s_wait_xcnt 0x0
	v_bfe_i32 v1, v12, 0, 8
	s_mov_b32 s0, 0
	s_mov_b32 s6, -1
	s_delay_alu instid0(VALU_DEP_1) | instskip(NEXT) | instid1(VALU_DEP_1)
	v_bfe_i32 v1, v1, 0, 16
	v_cvt_f32_i32_e32 v1, v1
	s_delay_alu instid0(VALU_DEP_1) | instskip(NEXT) | instid1(VALU_DEP_1)
	v_bfe_u32 v5, v1, 16, 1
	v_add3_u32 v1, v1, v5, 0x7fff
	global_store_d16_hi_b16 v[2:3], v1, off
.LBB14_2792:
	s_mov_b32 s3, 0
.LBB14_2793:
	s_delay_alu instid0(SALU_CYCLE_1)
	s_and_b32 vcc_lo, exec_lo, s3
	s_mov_b32 s3, 0
	s_cbranch_vccz .LBB14_2795
; %bb.2794:
	s_cmp_lg_u32 s2, 11
	s_mov_b32 s3, -1
	s_cselect_b32 s0, -1, 0
.LBB14_2795:
	s_delay_alu instid0(SALU_CYCLE_1)
	s_and_b32 vcc_lo, exec_lo, s0
	s_cbranch_vccnz .LBB14_3045
; %bb.2796:
	s_and_not1_b32 vcc_lo, exec_lo, s3
	s_cbranch_vccnz .LBB14_2798
.LBB14_2797:
	s_wait_xcnt 0x0
	v_and_b32_e32 v1, 0xff, v12
	s_mov_b32 s6, -1
	s_delay_alu instid0(VALU_DEP_1)
	v_cmp_ne_u16_e32 vcc_lo, 0, v1
	v_cndmask_b32_e64 v1, 0, 1, vcc_lo
	global_store_b8 v[2:3], v1, off
.LBB14_2798:
	s_mov_b32 s0, 0
	s_branch .LBB14_2800
.LBB14_2799:
	s_mov_b32 s0, -1
	s_mov_b32 s6, 0
.LBB14_2800:
	s_and_b32 vcc_lo, exec_lo, s0
	s_cbranch_vccz .LBB14_2839
; %bb.2801:
	s_and_b32 s0, 0xffff, s16
	s_mov_b32 s2, -1
	s_cmp_lt_i32 s0, 5
	s_cbranch_scc1 .LBB14_2822
; %bb.2802:
	s_cmp_lt_i32 s0, 8
	s_cbranch_scc1 .LBB14_2812
; %bb.2803:
	;; [unrolled: 3-line block ×3, first 2 shown]
	s_cmp_gt_i32 s0, 9
	s_cbranch_scc0 .LBB14_2806
; %bb.2805:
	s_wait_xcnt 0x0
	v_bfe_i32 v1, v12, 0, 8
	v_mov_b32_e32 v10, 0
	s_mov_b32 s2, 0
	s_delay_alu instid0(VALU_DEP_2) | instskip(NEXT) | instid1(VALU_DEP_2)
	v_bfe_i32 v1, v1, 0, 16
	v_mov_b32_e32 v11, v10
	s_delay_alu instid0(VALU_DEP_2)
	v_cvt_f64_i32_e32 v[8:9], v1
	global_store_b128 v[2:3], v[8:11], off
.LBB14_2806:
	s_and_not1_b32 vcc_lo, exec_lo, s2
	s_cbranch_vccnz .LBB14_2808
; %bb.2807:
	s_wait_xcnt 0x0
	v_bfe_i32 v1, v12, 0, 8
	v_mov_b32_e32 v9, 0
	s_delay_alu instid0(VALU_DEP_2) | instskip(NEXT) | instid1(VALU_DEP_1)
	v_bfe_i32 v1, v1, 0, 16
	v_cvt_f32_i32_e32 v8, v1
	global_store_b64 v[2:3], v[8:9], off
.LBB14_2808:
	s_mov_b32 s2, 0
.LBB14_2809:
	s_delay_alu instid0(SALU_CYCLE_1)
	s_and_not1_b32 vcc_lo, exec_lo, s2
	s_cbranch_vccnz .LBB14_2811
; %bb.2810:
	s_wait_xcnt 0x0
	v_bfe_i32 v1, v12, 0, 8
	s_delay_alu instid0(VALU_DEP_1) | instskip(NEXT) | instid1(VALU_DEP_1)
	v_cvt_f16_i16_e32 v1, v1
	v_and_b32_e32 v1, 0xffff, v1
	global_store_b32 v[2:3], v1, off
.LBB14_2811:
	s_mov_b32 s2, 0
.LBB14_2812:
	s_delay_alu instid0(SALU_CYCLE_1)
	s_and_not1_b32 vcc_lo, exec_lo, s2
	s_cbranch_vccnz .LBB14_2821
; %bb.2813:
	s_cmp_lt_i32 s0, 6
	s_mov_b32 s2, -1
	s_cbranch_scc1 .LBB14_2819
; %bb.2814:
	s_cmp_gt_i32 s0, 6
	s_cbranch_scc0 .LBB14_2816
; %bb.2815:
	s_wait_xcnt 0x0
	v_bfe_i32 v1, v12, 0, 8
	s_mov_b32 s2, 0
	s_delay_alu instid0(VALU_DEP_1) | instskip(NEXT) | instid1(VALU_DEP_1)
	v_bfe_i32 v1, v1, 0, 16
	v_cvt_f64_i32_e32 v[8:9], v1
	global_store_b64 v[2:3], v[8:9], off
.LBB14_2816:
	s_and_not1_b32 vcc_lo, exec_lo, s2
	s_cbranch_vccnz .LBB14_2818
; %bb.2817:
	s_wait_xcnt 0x0
	v_bfe_i32 v1, v12, 0, 8
	s_delay_alu instid0(VALU_DEP_1) | instskip(NEXT) | instid1(VALU_DEP_1)
	v_bfe_i32 v1, v1, 0, 16
	v_cvt_f32_i32_e32 v1, v1
	global_store_b32 v[2:3], v1, off
.LBB14_2818:
	s_mov_b32 s2, 0
.LBB14_2819:
	s_delay_alu instid0(SALU_CYCLE_1)
	s_and_not1_b32 vcc_lo, exec_lo, s2
	s_cbranch_vccnz .LBB14_2821
; %bb.2820:
	s_wait_xcnt 0x0
	v_bfe_i32 v1, v12, 0, 8
	s_delay_alu instid0(VALU_DEP_1)
	v_cvt_f16_i16_e32 v1, v1
	global_store_b16 v[2:3], v1, off
.LBB14_2821:
	s_mov_b32 s2, 0
.LBB14_2822:
	s_delay_alu instid0(SALU_CYCLE_1)
	s_and_not1_b32 vcc_lo, exec_lo, s2
	s_cbranch_vccnz .LBB14_2838
; %bb.2823:
	s_cmp_lt_i32 s0, 2
	s_mov_b32 s2, -1
	s_cbranch_scc1 .LBB14_2833
; %bb.2824:
	s_cmp_lt_i32 s0, 3
	s_cbranch_scc1 .LBB14_2830
; %bb.2825:
	s_cmp_gt_i32 s0, 3
	s_cbranch_scc0 .LBB14_2827
; %bb.2826:
	s_wait_xcnt 0x0
	v_bfe_i32 v8, v12, 0, 8
	s_mov_b32 s2, 0
	s_delay_alu instid0(VALU_DEP_1)
	v_ashrrev_i32_e32 v9, 31, v8
	global_store_b64 v[2:3], v[8:9], off
.LBB14_2827:
	s_and_not1_b32 vcc_lo, exec_lo, s2
	s_cbranch_vccnz .LBB14_2829
; %bb.2828:
	s_wait_xcnt 0x0
	v_bfe_i32 v1, v12, 0, 8
	global_store_b32 v[2:3], v1, off
.LBB14_2829:
	s_mov_b32 s2, 0
.LBB14_2830:
	s_delay_alu instid0(SALU_CYCLE_1)
	s_and_not1_b32 vcc_lo, exec_lo, s2
	s_cbranch_vccnz .LBB14_2832
; %bb.2831:
	s_wait_xcnt 0x0
	v_bfe_i32 v1, v12, 0, 8
	global_store_b16 v[2:3], v1, off
.LBB14_2832:
	s_mov_b32 s2, 0
.LBB14_2833:
	s_delay_alu instid0(SALU_CYCLE_1)
	s_and_not1_b32 vcc_lo, exec_lo, s2
	s_cbranch_vccnz .LBB14_2838
; %bb.2834:
	s_cmp_gt_i32 s0, 0
	s_mov_b32 s0, -1
	s_cbranch_scc0 .LBB14_2836
; %bb.2835:
	s_mov_b32 s0, 0
	global_store_b8 v[2:3], v12, off
.LBB14_2836:
	s_and_not1_b32 vcc_lo, exec_lo, s0
	s_cbranch_vccnz .LBB14_2838
; %bb.2837:
	global_store_b8 v[2:3], v12, off
.LBB14_2838:
	s_mov_b32 s6, -1
.LBB14_2839:
	s_delay_alu instid0(SALU_CYCLE_1)
	s_and_not1_b32 vcc_lo, exec_lo, s6
	s_cbranch_vccnz .LBB14_3035
; %bb.2840:
	v_add_nc_u32_e32 v0, s1, v0
	s_cmp_lt_i32 s16, 11
	s_wait_xcnt 0x0
	s_delay_alu instid0(VALU_DEP_1) | instskip(NEXT) | instid1(VALU_DEP_1)
	v_ashrrev_i32_e32 v1, 31, v0
	v_add_nc_u64_e32 v[2:3], s[4:5], v[0:1]
	s_cbranch_scc1 .LBB14_2918
; %bb.2841:
	s_and_b32 s2, 0xffff, s16
	s_mov_b32 s7, -1
	s_mov_b32 s3, 0
	s_cmp_gt_i32 s2, 25
	s_mov_b32 s6, 0
	s_mov_b32 s0, 0
	s_cbranch_scc0 .LBB14_2874
; %bb.2842:
	s_cmp_gt_i32 s2, 28
	s_cbranch_scc0 .LBB14_2857
; %bb.2843:
	s_cmp_gt_i32 s2, 43
	;; [unrolled: 3-line block ×3, first 2 shown]
	s_cbranch_scc0 .LBB14_2847
; %bb.2845:
	s_mov_b32 s0, -1
	s_mov_b32 s7, 0
	s_cmp_eq_u32 s2, 46
	s_cbranch_scc0 .LBB14_2847
; %bb.2846:
	v_bfe_i32 v1, v6, 0, 8
	s_mov_b32 s0, 0
	s_mov_b32 s6, -1
	s_delay_alu instid0(VALU_DEP_1) | instskip(NEXT) | instid1(VALU_DEP_1)
	v_bfe_i32 v1, v1, 0, 16
	v_cvt_f32_i32_e32 v1, v1
	s_delay_alu instid0(VALU_DEP_1) | instskip(NEXT) | instid1(VALU_DEP_1)
	v_bfe_u32 v5, v1, 16, 1
	v_add3_u32 v1, v1, v5, 0x7fff
	s_delay_alu instid0(VALU_DEP_1)
	v_lshrrev_b32_e32 v1, 16, v1
	global_store_b32 v[2:3], v1, off
.LBB14_2847:
	s_and_b32 vcc_lo, exec_lo, s7
	s_cbranch_vccz .LBB14_2852
; %bb.2848:
	s_cmp_eq_u32 s2, 44
	s_mov_b32 s0, -1
	s_cbranch_scc0 .LBB14_2852
; %bb.2849:
	s_wait_xcnt 0x0
	v_bfe_i32 v1, v6, 0, 8
	v_mov_b32_e32 v5, 0xff
	s_mov_b32 s6, exec_lo
	s_delay_alu instid0(VALU_DEP_2) | instskip(NEXT) | instid1(VALU_DEP_1)
	v_bfe_i32 v1, v1, 0, 16
	v_cvt_f32_i32_e32 v1, v1
	s_delay_alu instid0(VALU_DEP_1) | instskip(NEXT) | instid1(VALU_DEP_1)
	v_bfe_u32 v7, v1, 23, 8
	v_cmpx_ne_u32_e32 0xff, v7
	s_cbranch_execz .LBB14_2851
; %bb.2850:
	v_and_b32_e32 v5, 0x400000, v1
	v_and_or_b32 v7, 0x3fffff, v1, v7
	v_lshrrev_b32_e32 v1, 23, v1
	s_delay_alu instid0(VALU_DEP_3) | instskip(NEXT) | instid1(VALU_DEP_3)
	v_cmp_ne_u32_e32 vcc_lo, 0, v5
	v_cmp_ne_u32_e64 s0, 0, v7
	s_and_b32 s0, vcc_lo, s0
	s_delay_alu instid0(SALU_CYCLE_1) | instskip(NEXT) | instid1(VALU_DEP_1)
	v_cndmask_b32_e64 v5, 0, 1, s0
	v_add_nc_u32_e32 v5, v1, v5
.LBB14_2851:
	s_or_b32 exec_lo, exec_lo, s6
	s_mov_b32 s0, 0
	s_mov_b32 s6, -1
	global_store_b8 v[2:3], v5, off
.LBB14_2852:
	s_mov_b32 s7, 0
.LBB14_2853:
	s_delay_alu instid0(SALU_CYCLE_1)
	s_and_b32 vcc_lo, exec_lo, s7
	s_cbranch_vccz .LBB14_2856
; %bb.2854:
	s_cmp_eq_u32 s2, 29
	s_mov_b32 s0, -1
	s_cbranch_scc0 .LBB14_2856
; %bb.2855:
	v_bfe_i32 v8, v6, 0, 8
	s_mov_b32 s0, 0
	s_mov_b32 s6, -1
	s_delay_alu instid0(VALU_DEP_1)
	v_ashrrev_i32_e32 v9, 31, v8
	global_store_b64 v[2:3], v[8:9], off
.LBB14_2856:
	s_mov_b32 s7, 0
.LBB14_2857:
	s_delay_alu instid0(SALU_CYCLE_1)
	s_and_b32 vcc_lo, exec_lo, s7
	s_cbranch_vccz .LBB14_2873
; %bb.2858:
	s_cmp_lt_i32 s2, 27
	s_mov_b32 s6, -1
	s_cbranch_scc1 .LBB14_2864
; %bb.2859:
	s_cmp_gt_i32 s2, 27
	s_cbranch_scc0 .LBB14_2861
; %bb.2860:
	s_wait_xcnt 0x0
	v_bfe_i32 v1, v6, 0, 8
	s_mov_b32 s6, 0
	global_store_b32 v[2:3], v1, off
.LBB14_2861:
	s_and_not1_b32 vcc_lo, exec_lo, s6
	s_cbranch_vccnz .LBB14_2863
; %bb.2862:
	s_wait_xcnt 0x0
	v_bfe_i32 v1, v6, 0, 8
	global_store_b16 v[2:3], v1, off
.LBB14_2863:
	s_mov_b32 s6, 0
.LBB14_2864:
	s_delay_alu instid0(SALU_CYCLE_1)
	s_and_not1_b32 vcc_lo, exec_lo, s6
	s_cbranch_vccnz .LBB14_2872
; %bb.2865:
	s_wait_xcnt 0x0
	v_bfe_i32 v1, v6, 0, 8
	v_mov_b32_e32 v7, 0x80
	s_mov_b32 s6, exec_lo
	s_delay_alu instid0(VALU_DEP_2) | instskip(NEXT) | instid1(VALU_DEP_1)
	v_bfe_i32 v1, v1, 0, 16
	v_cvt_f32_i32_e32 v1, v1
	s_delay_alu instid0(VALU_DEP_1) | instskip(NEXT) | instid1(VALU_DEP_1)
	v_and_b32_e32 v5, 0x7fffffff, v1
	v_cmpx_gt_u32_e32 0x43800000, v5
	s_cbranch_execz .LBB14_2871
; %bb.2866:
	v_cmp_lt_u32_e32 vcc_lo, 0x3bffffff, v5
	s_mov_b32 s7, 0
                                        ; implicit-def: $vgpr5
	s_and_saveexec_b32 s8, vcc_lo
	s_delay_alu instid0(SALU_CYCLE_1)
	s_xor_b32 s8, exec_lo, s8
	s_cbranch_execz .LBB14_3048
; %bb.2867:
	v_bfe_u32 v5, v1, 20, 1
	s_mov_b32 s7, exec_lo
	s_delay_alu instid0(VALU_DEP_1) | instskip(NEXT) | instid1(VALU_DEP_1)
	v_add3_u32 v5, v1, v5, 0x487ffff
	v_lshrrev_b32_e32 v5, 20, v5
	s_and_not1_saveexec_b32 s8, s8
	s_cbranch_execnz .LBB14_3049
.LBB14_2868:
	s_or_b32 exec_lo, exec_lo, s8
	v_mov_b32_e32 v7, 0
	s_and_saveexec_b32 s8, s7
.LBB14_2869:
	v_lshrrev_b32_e32 v1, 24, v1
	s_delay_alu instid0(VALU_DEP_1)
	v_and_or_b32 v7, 0x80, v1, v5
.LBB14_2870:
	s_or_b32 exec_lo, exec_lo, s8
.LBB14_2871:
	s_delay_alu instid0(SALU_CYCLE_1)
	s_or_b32 exec_lo, exec_lo, s6
	global_store_b8 v[2:3], v7, off
.LBB14_2872:
	s_mov_b32 s6, -1
.LBB14_2873:
	s_mov_b32 s7, 0
.LBB14_2874:
	s_delay_alu instid0(SALU_CYCLE_1)
	s_and_b32 vcc_lo, exec_lo, s7
	s_cbranch_vccz .LBB14_2914
; %bb.2875:
	s_cmp_gt_i32 s2, 22
	s_mov_b32 s3, -1
	s_cbranch_scc0 .LBB14_2907
; %bb.2876:
	s_cmp_lt_i32 s2, 24
	s_cbranch_scc1 .LBB14_2896
; %bb.2877:
	s_cmp_gt_i32 s2, 24
	s_cbranch_scc0 .LBB14_2885
; %bb.2878:
	s_wait_xcnt 0x0
	v_bfe_i32 v1, v6, 0, 8
	v_mov_b32_e32 v7, 0x80
	s_mov_b32 s3, exec_lo
	s_delay_alu instid0(VALU_DEP_2) | instskip(NEXT) | instid1(VALU_DEP_1)
	v_bfe_i32 v1, v1, 0, 16
	v_cvt_f32_i32_e32 v1, v1
	s_delay_alu instid0(VALU_DEP_1) | instskip(NEXT) | instid1(VALU_DEP_1)
	v_and_b32_e32 v5, 0x7fffffff, v1
	v_cmpx_gt_u32_e32 0x47800000, v5
	s_cbranch_execz .LBB14_2884
; %bb.2879:
	v_cmp_lt_u32_e32 vcc_lo, 0x37ffffff, v5
	s_mov_b32 s6, 0
                                        ; implicit-def: $vgpr5
	s_and_saveexec_b32 s7, vcc_lo
	s_delay_alu instid0(SALU_CYCLE_1)
	s_xor_b32 s7, exec_lo, s7
	s_cbranch_execz .LBB14_3051
; %bb.2880:
	v_bfe_u32 v5, v1, 21, 1
	s_mov_b32 s6, exec_lo
	s_delay_alu instid0(VALU_DEP_1) | instskip(NEXT) | instid1(VALU_DEP_1)
	v_add3_u32 v5, v1, v5, 0x88fffff
	v_lshrrev_b32_e32 v5, 21, v5
	s_and_not1_saveexec_b32 s7, s7
	s_cbranch_execnz .LBB14_3052
.LBB14_2881:
	s_or_b32 exec_lo, exec_lo, s7
	v_mov_b32_e32 v7, 0
	s_and_saveexec_b32 s7, s6
.LBB14_2882:
	v_lshrrev_b32_e32 v1, 24, v1
	s_delay_alu instid0(VALU_DEP_1)
	v_and_or_b32 v7, 0x80, v1, v5
.LBB14_2883:
	s_or_b32 exec_lo, exec_lo, s7
.LBB14_2884:
	s_delay_alu instid0(SALU_CYCLE_1)
	s_or_b32 exec_lo, exec_lo, s3
	s_mov_b32 s3, 0
	global_store_b8 v[2:3], v7, off
.LBB14_2885:
	s_and_b32 vcc_lo, exec_lo, s3
	s_cbranch_vccz .LBB14_2895
; %bb.2886:
	s_wait_xcnt 0x0
	v_bfe_i32 v1, v6, 0, 8
	s_mov_b32 s3, exec_lo
                                        ; implicit-def: $vgpr5
	s_delay_alu instid0(VALU_DEP_1) | instskip(NEXT) | instid1(VALU_DEP_1)
	v_bfe_i32 v1, v1, 0, 16
	v_cvt_f32_i32_e32 v1, v1
	s_delay_alu instid0(VALU_DEP_1) | instskip(NEXT) | instid1(VALU_DEP_1)
	v_and_b32_e32 v7, 0x7fffffff, v1
	v_cmpx_gt_u32_e32 0x43f00000, v7
	s_xor_b32 s3, exec_lo, s3
	s_cbranch_execz .LBB14_2892
; %bb.2887:
	s_mov_b32 s6, exec_lo
                                        ; implicit-def: $vgpr5
	v_cmpx_lt_u32_e32 0x3c7fffff, v7
	s_xor_b32 s6, exec_lo, s6
; %bb.2888:
	v_bfe_u32 v5, v1, 20, 1
	s_delay_alu instid0(VALU_DEP_1) | instskip(NEXT) | instid1(VALU_DEP_1)
	v_add3_u32 v5, v1, v5, 0x407ffff
	v_and_b32_e32 v7, 0xff00000, v5
	v_lshrrev_b32_e32 v5, 20, v5
	s_delay_alu instid0(VALU_DEP_2) | instskip(NEXT) | instid1(VALU_DEP_2)
	v_cmp_ne_u32_e32 vcc_lo, 0x7f00000, v7
	v_cndmask_b32_e32 v5, 0x7e, v5, vcc_lo
; %bb.2889:
	s_and_not1_saveexec_b32 s6, s6
; %bb.2890:
	v_add_f32_e64 v5, 0x46800000, |v1|
; %bb.2891:
	s_or_b32 exec_lo, exec_lo, s6
                                        ; implicit-def: $vgpr7
.LBB14_2892:
	s_and_not1_saveexec_b32 s3, s3
; %bb.2893:
	v_mov_b32_e32 v5, 0x7f
	v_cmp_lt_u32_e32 vcc_lo, 0x7f800000, v7
	s_delay_alu instid0(VALU_DEP_2)
	v_cndmask_b32_e32 v5, 0x7e, v5, vcc_lo
; %bb.2894:
	s_or_b32 exec_lo, exec_lo, s3
	v_lshrrev_b32_e32 v1, 24, v1
	s_delay_alu instid0(VALU_DEP_1)
	v_and_or_b32 v1, 0x80, v1, v5
	global_store_b8 v[2:3], v1, off
.LBB14_2895:
	s_mov_b32 s3, 0
.LBB14_2896:
	s_delay_alu instid0(SALU_CYCLE_1)
	s_and_not1_b32 vcc_lo, exec_lo, s3
	s_cbranch_vccnz .LBB14_2906
; %bb.2897:
	s_wait_xcnt 0x0
	v_bfe_i32 v1, v6, 0, 8
	s_mov_b32 s3, exec_lo
                                        ; implicit-def: $vgpr5
	s_delay_alu instid0(VALU_DEP_1) | instskip(NEXT) | instid1(VALU_DEP_1)
	v_bfe_i32 v1, v1, 0, 16
	v_cvt_f32_i32_e32 v1, v1
	s_delay_alu instid0(VALU_DEP_1) | instskip(NEXT) | instid1(VALU_DEP_1)
	v_and_b32_e32 v7, 0x7fffffff, v1
	v_cmpx_gt_u32_e32 0x47800000, v7
	s_xor_b32 s3, exec_lo, s3
	s_cbranch_execz .LBB14_2903
; %bb.2898:
	s_mov_b32 s6, exec_lo
                                        ; implicit-def: $vgpr5
	v_cmpx_lt_u32_e32 0x387fffff, v7
	s_xor_b32 s6, exec_lo, s6
; %bb.2899:
	v_bfe_u32 v5, v1, 21, 1
	s_delay_alu instid0(VALU_DEP_1) | instskip(NEXT) | instid1(VALU_DEP_1)
	v_add3_u32 v5, v1, v5, 0x80fffff
	v_lshrrev_b32_e32 v5, 21, v5
; %bb.2900:
	s_and_not1_saveexec_b32 s6, s6
; %bb.2901:
	v_add_f32_e64 v5, 0x43000000, |v1|
; %bb.2902:
	s_or_b32 exec_lo, exec_lo, s6
                                        ; implicit-def: $vgpr7
.LBB14_2903:
	s_and_not1_saveexec_b32 s3, s3
; %bb.2904:
	v_mov_b32_e32 v5, 0x7f
	v_cmp_lt_u32_e32 vcc_lo, 0x7f800000, v7
	s_delay_alu instid0(VALU_DEP_2)
	v_cndmask_b32_e32 v5, 0x7c, v5, vcc_lo
; %bb.2905:
	s_or_b32 exec_lo, exec_lo, s3
	v_lshrrev_b32_e32 v1, 24, v1
	s_delay_alu instid0(VALU_DEP_1)
	v_and_or_b32 v1, 0x80, v1, v5
	global_store_b8 v[2:3], v1, off
.LBB14_2906:
	s_mov_b32 s3, 0
	s_mov_b32 s6, -1
.LBB14_2907:
	s_and_not1_b32 vcc_lo, exec_lo, s3
	s_mov_b32 s3, 0
	s_cbranch_vccnz .LBB14_2914
; %bb.2908:
	s_cmp_gt_i32 s2, 14
	s_mov_b32 s3, -1
	s_cbranch_scc0 .LBB14_2912
; %bb.2909:
	s_cmp_eq_u32 s2, 15
	s_mov_b32 s0, -1
	s_cbranch_scc0 .LBB14_2911
; %bb.2910:
	s_wait_xcnt 0x0
	v_bfe_i32 v1, v6, 0, 8
	s_mov_b32 s0, 0
	s_mov_b32 s6, -1
	s_delay_alu instid0(VALU_DEP_1) | instskip(NEXT) | instid1(VALU_DEP_1)
	v_bfe_i32 v1, v1, 0, 16
	v_cvt_f32_i32_e32 v1, v1
	s_delay_alu instid0(VALU_DEP_1) | instskip(NEXT) | instid1(VALU_DEP_1)
	v_bfe_u32 v5, v1, 16, 1
	v_add3_u32 v1, v1, v5, 0x7fff
	global_store_d16_hi_b16 v[2:3], v1, off
.LBB14_2911:
	s_mov_b32 s3, 0
.LBB14_2912:
	s_delay_alu instid0(SALU_CYCLE_1)
	s_and_b32 vcc_lo, exec_lo, s3
	s_mov_b32 s3, 0
	s_cbranch_vccz .LBB14_2914
; %bb.2913:
	s_cmp_lg_u32 s2, 11
	s_mov_b32 s3, -1
	s_cselect_b32 s0, -1, 0
.LBB14_2914:
	s_delay_alu instid0(SALU_CYCLE_1)
	s_and_b32 vcc_lo, exec_lo, s0
	s_cbranch_vccnz .LBB14_3050
; %bb.2915:
	s_and_not1_b32 vcc_lo, exec_lo, s3
	s_cbranch_vccnz .LBB14_2917
.LBB14_2916:
	s_wait_xcnt 0x0
	v_and_b32_e32 v1, 0xff, v6
	s_mov_b32 s6, -1
	s_delay_alu instid0(VALU_DEP_1)
	v_cmp_ne_u16_e32 vcc_lo, 0, v1
	v_cndmask_b32_e64 v1, 0, 1, vcc_lo
	global_store_b8 v[2:3], v1, off
.LBB14_2917:
	s_mov_b32 s0, 0
	s_branch .LBB14_2919
.LBB14_2918:
	s_mov_b32 s0, -1
	s_mov_b32 s6, 0
.LBB14_2919:
	s_and_b32 vcc_lo, exec_lo, s0
	s_cbranch_vccz .LBB14_2958
; %bb.2920:
	s_and_b32 s0, 0xffff, s16
	s_mov_b32 s2, -1
	s_cmp_lt_i32 s0, 5
	s_cbranch_scc1 .LBB14_2941
; %bb.2921:
	s_cmp_lt_i32 s0, 8
	s_cbranch_scc1 .LBB14_2931
; %bb.2922:
	;; [unrolled: 3-line block ×3, first 2 shown]
	s_cmp_gt_i32 s0, 9
	s_cbranch_scc0 .LBB14_2925
; %bb.2924:
	s_wait_xcnt 0x0
	v_bfe_i32 v1, v6, 0, 8
	v_mov_b32_e32 v10, 0
	s_mov_b32 s2, 0
	s_delay_alu instid0(VALU_DEP_2) | instskip(NEXT) | instid1(VALU_DEP_2)
	v_bfe_i32 v1, v1, 0, 16
	v_mov_b32_e32 v11, v10
	s_delay_alu instid0(VALU_DEP_2)
	v_cvt_f64_i32_e32 v[8:9], v1
	global_store_b128 v[2:3], v[8:11], off
.LBB14_2925:
	s_and_not1_b32 vcc_lo, exec_lo, s2
	s_cbranch_vccnz .LBB14_2927
; %bb.2926:
	s_wait_xcnt 0x0
	v_bfe_i32 v1, v6, 0, 8
	v_mov_b32_e32 v9, 0
	s_delay_alu instid0(VALU_DEP_2) | instskip(NEXT) | instid1(VALU_DEP_1)
	v_bfe_i32 v1, v1, 0, 16
	v_cvt_f32_i32_e32 v8, v1
	global_store_b64 v[2:3], v[8:9], off
.LBB14_2927:
	s_mov_b32 s2, 0
.LBB14_2928:
	s_delay_alu instid0(SALU_CYCLE_1)
	s_and_not1_b32 vcc_lo, exec_lo, s2
	s_cbranch_vccnz .LBB14_2930
; %bb.2929:
	s_wait_xcnt 0x0
	v_bfe_i32 v1, v6, 0, 8
	s_delay_alu instid0(VALU_DEP_1) | instskip(NEXT) | instid1(VALU_DEP_1)
	v_cvt_f16_i16_e32 v1, v1
	v_and_b32_e32 v1, 0xffff, v1
	global_store_b32 v[2:3], v1, off
.LBB14_2930:
	s_mov_b32 s2, 0
.LBB14_2931:
	s_delay_alu instid0(SALU_CYCLE_1)
	s_and_not1_b32 vcc_lo, exec_lo, s2
	s_cbranch_vccnz .LBB14_2940
; %bb.2932:
	s_cmp_lt_i32 s0, 6
	s_mov_b32 s2, -1
	s_cbranch_scc1 .LBB14_2938
; %bb.2933:
	s_cmp_gt_i32 s0, 6
	s_cbranch_scc0 .LBB14_2935
; %bb.2934:
	s_wait_xcnt 0x0
	v_bfe_i32 v1, v6, 0, 8
	s_mov_b32 s2, 0
	s_delay_alu instid0(VALU_DEP_1) | instskip(NEXT) | instid1(VALU_DEP_1)
	v_bfe_i32 v1, v1, 0, 16
	v_cvt_f64_i32_e32 v[8:9], v1
	global_store_b64 v[2:3], v[8:9], off
.LBB14_2935:
	s_and_not1_b32 vcc_lo, exec_lo, s2
	s_cbranch_vccnz .LBB14_2937
; %bb.2936:
	s_wait_xcnt 0x0
	v_bfe_i32 v1, v6, 0, 8
	s_delay_alu instid0(VALU_DEP_1) | instskip(NEXT) | instid1(VALU_DEP_1)
	v_bfe_i32 v1, v1, 0, 16
	v_cvt_f32_i32_e32 v1, v1
	global_store_b32 v[2:3], v1, off
.LBB14_2937:
	s_mov_b32 s2, 0
.LBB14_2938:
	s_delay_alu instid0(SALU_CYCLE_1)
	s_and_not1_b32 vcc_lo, exec_lo, s2
	s_cbranch_vccnz .LBB14_2940
; %bb.2939:
	s_wait_xcnt 0x0
	v_bfe_i32 v1, v6, 0, 8
	s_delay_alu instid0(VALU_DEP_1)
	v_cvt_f16_i16_e32 v1, v1
	global_store_b16 v[2:3], v1, off
.LBB14_2940:
	s_mov_b32 s2, 0
.LBB14_2941:
	s_delay_alu instid0(SALU_CYCLE_1)
	s_and_not1_b32 vcc_lo, exec_lo, s2
	s_cbranch_vccnz .LBB14_2957
; %bb.2942:
	s_cmp_lt_i32 s0, 2
	s_mov_b32 s2, -1
	s_cbranch_scc1 .LBB14_2952
; %bb.2943:
	s_cmp_lt_i32 s0, 3
	s_cbranch_scc1 .LBB14_2949
; %bb.2944:
	s_cmp_gt_i32 s0, 3
	s_cbranch_scc0 .LBB14_2946
; %bb.2945:
	s_wait_xcnt 0x0
	v_bfe_i32 v8, v6, 0, 8
	s_mov_b32 s2, 0
	s_delay_alu instid0(VALU_DEP_1)
	v_ashrrev_i32_e32 v9, 31, v8
	global_store_b64 v[2:3], v[8:9], off
.LBB14_2946:
	s_and_not1_b32 vcc_lo, exec_lo, s2
	s_cbranch_vccnz .LBB14_2948
; %bb.2947:
	s_wait_xcnt 0x0
	v_bfe_i32 v1, v6, 0, 8
	global_store_b32 v[2:3], v1, off
.LBB14_2948:
	s_mov_b32 s2, 0
.LBB14_2949:
	s_delay_alu instid0(SALU_CYCLE_1)
	s_and_not1_b32 vcc_lo, exec_lo, s2
	s_cbranch_vccnz .LBB14_2951
; %bb.2950:
	s_wait_xcnt 0x0
	v_bfe_i32 v1, v6, 0, 8
	global_store_b16 v[2:3], v1, off
.LBB14_2951:
	s_mov_b32 s2, 0
.LBB14_2952:
	s_delay_alu instid0(SALU_CYCLE_1)
	s_and_not1_b32 vcc_lo, exec_lo, s2
	s_cbranch_vccnz .LBB14_2957
; %bb.2953:
	s_cmp_gt_i32 s0, 0
	s_mov_b32 s0, -1
	s_cbranch_scc0 .LBB14_2955
; %bb.2954:
	s_mov_b32 s0, 0
	global_store_b8 v[2:3], v6, off
.LBB14_2955:
	s_and_not1_b32 vcc_lo, exec_lo, s0
	s_cbranch_vccnz .LBB14_2957
; %bb.2956:
	global_store_b8 v[2:3], v6, off
.LBB14_2957:
	s_mov_b32 s6, -1
.LBB14_2958:
	s_delay_alu instid0(SALU_CYCLE_1)
	s_and_not1_b32 vcc_lo, exec_lo, s6
	s_cbranch_vccnz .LBB14_3035
; %bb.2959:
	v_add_nc_u32_e32 v0, s1, v0
	s_cmp_lt_i32 s16, 11
	s_wait_xcnt 0x0
	s_delay_alu instid0(VALU_DEP_1) | instskip(NEXT) | instid1(VALU_DEP_1)
	v_ashrrev_i32_e32 v1, 31, v0
	v_add_nc_u64_e32 v[0:1], s[4:5], v[0:1]
	s_cbranch_scc1 .LBB14_3036
; %bb.2960:
	s_and_b32 s1, 0xffff, s16
	s_mov_b32 s3, -1
	s_mov_b32 s2, 0
	s_cmp_gt_i32 s1, 25
	s_mov_b32 s0, 0
	s_cbranch_scc0 .LBB14_2993
; %bb.2961:
	s_cmp_gt_i32 s1, 28
	s_cbranch_scc0 .LBB14_2977
; %bb.2962:
	s_cmp_gt_i32 s1, 43
	;; [unrolled: 3-line block ×3, first 2 shown]
	s_cbranch_scc0 .LBB14_2967
; %bb.2964:
	s_cmp_eq_u32 s1, 46
	s_mov_b32 s0, -1
	s_cbranch_scc0 .LBB14_2966
; %bb.2965:
	v_bfe_i32 v2, v4, 0, 8
	s_mov_b32 s0, 0
	s_delay_alu instid0(VALU_DEP_1) | instskip(NEXT) | instid1(VALU_DEP_1)
	v_bfe_i32 v2, v2, 0, 16
	v_cvt_f32_i32_e32 v2, v2
	s_delay_alu instid0(VALU_DEP_1) | instskip(NEXT) | instid1(VALU_DEP_1)
	v_bfe_u32 v3, v2, 16, 1
	v_add3_u32 v2, v2, v3, 0x7fff
	s_delay_alu instid0(VALU_DEP_1)
	v_lshrrev_b32_e32 v2, 16, v2
	global_store_b32 v[0:1], v2, off
.LBB14_2966:
	s_mov_b32 s3, 0
.LBB14_2967:
	s_delay_alu instid0(SALU_CYCLE_1)
	s_and_b32 vcc_lo, exec_lo, s3
	s_cbranch_vccz .LBB14_2972
; %bb.2968:
	s_cmp_eq_u32 s1, 44
	s_mov_b32 s0, -1
	s_cbranch_scc0 .LBB14_2972
; %bb.2969:
	s_wait_xcnt 0x0
	v_bfe_i32 v2, v4, 0, 8
	v_mov_b32_e32 v3, 0xff
	s_mov_b32 s3, exec_lo
	s_delay_alu instid0(VALU_DEP_2) | instskip(NEXT) | instid1(VALU_DEP_1)
	v_bfe_i32 v2, v2, 0, 16
	v_cvt_f32_i32_e32 v2, v2
	s_delay_alu instid0(VALU_DEP_1) | instskip(NEXT) | instid1(VALU_DEP_1)
	v_bfe_u32 v5, v2, 23, 8
	v_cmpx_ne_u32_e32 0xff, v5
	s_cbranch_execz .LBB14_2971
; %bb.2970:
	v_and_b32_e32 v3, 0x400000, v2
	v_and_or_b32 v5, 0x3fffff, v2, v5
	v_lshrrev_b32_e32 v2, 23, v2
	s_delay_alu instid0(VALU_DEP_3) | instskip(NEXT) | instid1(VALU_DEP_3)
	v_cmp_ne_u32_e32 vcc_lo, 0, v3
	v_cmp_ne_u32_e64 s0, 0, v5
	s_and_b32 s0, vcc_lo, s0
	s_delay_alu instid0(SALU_CYCLE_1) | instskip(NEXT) | instid1(VALU_DEP_1)
	v_cndmask_b32_e64 v3, 0, 1, s0
	v_add_nc_u32_e32 v3, v2, v3
.LBB14_2971:
	s_or_b32 exec_lo, exec_lo, s3
	s_mov_b32 s0, 0
	global_store_b8 v[0:1], v3, off
.LBB14_2972:
	s_mov_b32 s3, 0
.LBB14_2973:
	s_delay_alu instid0(SALU_CYCLE_1)
	s_and_b32 vcc_lo, exec_lo, s3
	s_cbranch_vccz .LBB14_2976
; %bb.2974:
	s_cmp_eq_u32 s1, 29
	s_mov_b32 s0, -1
	s_cbranch_scc0 .LBB14_2976
; %bb.2975:
	s_wait_xcnt 0x0
	v_bfe_i32 v2, v4, 0, 8
	s_mov_b32 s0, 0
	s_delay_alu instid0(VALU_DEP_1)
	v_ashrrev_i32_e32 v3, 31, v2
	global_store_b64 v[0:1], v[2:3], off
.LBB14_2976:
	s_mov_b32 s3, 0
.LBB14_2977:
	s_delay_alu instid0(SALU_CYCLE_1)
	s_and_b32 vcc_lo, exec_lo, s3
	s_cbranch_vccz .LBB14_2992
; %bb.2978:
	s_cmp_lt_i32 s1, 27
	s_mov_b32 s3, -1
	s_cbranch_scc1 .LBB14_2984
; %bb.2979:
	s_cmp_gt_i32 s1, 27
	s_cbranch_scc0 .LBB14_2981
; %bb.2980:
	s_wait_xcnt 0x0
	v_bfe_i32 v2, v4, 0, 8
	s_mov_b32 s3, 0
	global_store_b32 v[0:1], v2, off
.LBB14_2981:
	s_and_not1_b32 vcc_lo, exec_lo, s3
	s_cbranch_vccnz .LBB14_2983
; %bb.2982:
	s_wait_xcnt 0x0
	v_bfe_i32 v2, v4, 0, 8
	global_store_b16 v[0:1], v2, off
.LBB14_2983:
	s_mov_b32 s3, 0
.LBB14_2984:
	s_delay_alu instid0(SALU_CYCLE_1)
	s_and_not1_b32 vcc_lo, exec_lo, s3
	s_cbranch_vccnz .LBB14_2992
; %bb.2985:
	s_wait_xcnt 0x0
	v_bfe_i32 v2, v4, 0, 8
	v_mov_b32_e32 v5, 0x80
	s_mov_b32 s3, exec_lo
	s_delay_alu instid0(VALU_DEP_2) | instskip(NEXT) | instid1(VALU_DEP_1)
	v_bfe_i32 v2, v2, 0, 16
	v_cvt_f32_i32_e32 v2, v2
	s_delay_alu instid0(VALU_DEP_1) | instskip(NEXT) | instid1(VALU_DEP_1)
	v_and_b32_e32 v3, 0x7fffffff, v2
	v_cmpx_gt_u32_e32 0x43800000, v3
	s_cbranch_execz .LBB14_2991
; %bb.2986:
	v_cmp_lt_u32_e32 vcc_lo, 0x3bffffff, v3
	s_mov_b32 s4, 0
                                        ; implicit-def: $vgpr3
	s_and_saveexec_b32 s5, vcc_lo
	s_delay_alu instid0(SALU_CYCLE_1)
	s_xor_b32 s5, exec_lo, s5
	s_cbranch_execz .LBB14_3053
; %bb.2987:
	v_bfe_u32 v3, v2, 20, 1
	s_mov_b32 s4, exec_lo
	s_delay_alu instid0(VALU_DEP_1) | instskip(NEXT) | instid1(VALU_DEP_1)
	v_add3_u32 v3, v2, v3, 0x487ffff
	v_lshrrev_b32_e32 v3, 20, v3
	s_and_not1_saveexec_b32 s5, s5
	s_cbranch_execnz .LBB14_3054
.LBB14_2988:
	s_or_b32 exec_lo, exec_lo, s5
	v_mov_b32_e32 v5, 0
	s_and_saveexec_b32 s5, s4
.LBB14_2989:
	v_lshrrev_b32_e32 v2, 24, v2
	s_delay_alu instid0(VALU_DEP_1)
	v_and_or_b32 v5, 0x80, v2, v3
.LBB14_2990:
	s_or_b32 exec_lo, exec_lo, s5
.LBB14_2991:
	s_delay_alu instid0(SALU_CYCLE_1)
	s_or_b32 exec_lo, exec_lo, s3
	global_store_b8 v[0:1], v5, off
.LBB14_2992:
	s_mov_b32 s3, 0
.LBB14_2993:
	s_delay_alu instid0(SALU_CYCLE_1)
	s_and_b32 vcc_lo, exec_lo, s3
	s_cbranch_vccz .LBB14_3033
; %bb.2994:
	s_cmp_gt_i32 s1, 22
	s_mov_b32 s2, -1
	s_cbranch_scc0 .LBB14_3026
; %bb.2995:
	s_cmp_lt_i32 s1, 24
	s_cbranch_scc1 .LBB14_3015
; %bb.2996:
	s_cmp_gt_i32 s1, 24
	s_cbranch_scc0 .LBB14_3004
; %bb.2997:
	s_wait_xcnt 0x0
	v_bfe_i32 v2, v4, 0, 8
	v_mov_b32_e32 v5, 0x80
	s_mov_b32 s2, exec_lo
	s_delay_alu instid0(VALU_DEP_2) | instskip(NEXT) | instid1(VALU_DEP_1)
	v_bfe_i32 v2, v2, 0, 16
	v_cvt_f32_i32_e32 v2, v2
	s_delay_alu instid0(VALU_DEP_1) | instskip(NEXT) | instid1(VALU_DEP_1)
	v_and_b32_e32 v3, 0x7fffffff, v2
	v_cmpx_gt_u32_e32 0x47800000, v3
	s_cbranch_execz .LBB14_3003
; %bb.2998:
	v_cmp_lt_u32_e32 vcc_lo, 0x37ffffff, v3
	s_mov_b32 s3, 0
                                        ; implicit-def: $vgpr3
	s_and_saveexec_b32 s4, vcc_lo
	s_delay_alu instid0(SALU_CYCLE_1)
	s_xor_b32 s4, exec_lo, s4
	s_cbranch_execz .LBB14_3056
; %bb.2999:
	v_bfe_u32 v3, v2, 21, 1
	s_mov_b32 s3, exec_lo
	s_delay_alu instid0(VALU_DEP_1) | instskip(NEXT) | instid1(VALU_DEP_1)
	v_add3_u32 v3, v2, v3, 0x88fffff
	v_lshrrev_b32_e32 v3, 21, v3
	s_and_not1_saveexec_b32 s4, s4
	s_cbranch_execnz .LBB14_3057
.LBB14_3000:
	s_or_b32 exec_lo, exec_lo, s4
	v_mov_b32_e32 v5, 0
	s_and_saveexec_b32 s4, s3
.LBB14_3001:
	v_lshrrev_b32_e32 v2, 24, v2
	s_delay_alu instid0(VALU_DEP_1)
	v_and_or_b32 v5, 0x80, v2, v3
.LBB14_3002:
	s_or_b32 exec_lo, exec_lo, s4
.LBB14_3003:
	s_delay_alu instid0(SALU_CYCLE_1)
	s_or_b32 exec_lo, exec_lo, s2
	s_mov_b32 s2, 0
	global_store_b8 v[0:1], v5, off
.LBB14_3004:
	s_and_b32 vcc_lo, exec_lo, s2
	s_cbranch_vccz .LBB14_3014
; %bb.3005:
	s_wait_xcnt 0x0
	v_bfe_i32 v2, v4, 0, 8
	s_mov_b32 s2, exec_lo
                                        ; implicit-def: $vgpr3
	s_delay_alu instid0(VALU_DEP_1) | instskip(NEXT) | instid1(VALU_DEP_1)
	v_bfe_i32 v2, v2, 0, 16
	v_cvt_f32_i32_e32 v2, v2
	s_delay_alu instid0(VALU_DEP_1) | instskip(NEXT) | instid1(VALU_DEP_1)
	v_and_b32_e32 v5, 0x7fffffff, v2
	v_cmpx_gt_u32_e32 0x43f00000, v5
	s_xor_b32 s2, exec_lo, s2
	s_cbranch_execz .LBB14_3011
; %bb.3006:
	s_mov_b32 s3, exec_lo
                                        ; implicit-def: $vgpr3
	v_cmpx_lt_u32_e32 0x3c7fffff, v5
	s_xor_b32 s3, exec_lo, s3
; %bb.3007:
	v_bfe_u32 v3, v2, 20, 1
	s_delay_alu instid0(VALU_DEP_1) | instskip(NEXT) | instid1(VALU_DEP_1)
	v_add3_u32 v3, v2, v3, 0x407ffff
	v_and_b32_e32 v5, 0xff00000, v3
	v_lshrrev_b32_e32 v3, 20, v3
	s_delay_alu instid0(VALU_DEP_2) | instskip(NEXT) | instid1(VALU_DEP_2)
	v_cmp_ne_u32_e32 vcc_lo, 0x7f00000, v5
	v_cndmask_b32_e32 v3, 0x7e, v3, vcc_lo
; %bb.3008:
	s_and_not1_saveexec_b32 s3, s3
; %bb.3009:
	v_add_f32_e64 v3, 0x46800000, |v2|
; %bb.3010:
	s_or_b32 exec_lo, exec_lo, s3
                                        ; implicit-def: $vgpr5
.LBB14_3011:
	s_and_not1_saveexec_b32 s2, s2
; %bb.3012:
	v_mov_b32_e32 v3, 0x7f
	v_cmp_lt_u32_e32 vcc_lo, 0x7f800000, v5
	s_delay_alu instid0(VALU_DEP_2)
	v_cndmask_b32_e32 v3, 0x7e, v3, vcc_lo
; %bb.3013:
	s_or_b32 exec_lo, exec_lo, s2
	v_lshrrev_b32_e32 v2, 24, v2
	s_delay_alu instid0(VALU_DEP_1)
	v_and_or_b32 v2, 0x80, v2, v3
	global_store_b8 v[0:1], v2, off
.LBB14_3014:
	s_mov_b32 s2, 0
.LBB14_3015:
	s_delay_alu instid0(SALU_CYCLE_1)
	s_and_not1_b32 vcc_lo, exec_lo, s2
	s_cbranch_vccnz .LBB14_3025
; %bb.3016:
	s_wait_xcnt 0x0
	v_bfe_i32 v2, v4, 0, 8
	s_mov_b32 s2, exec_lo
                                        ; implicit-def: $vgpr3
	s_delay_alu instid0(VALU_DEP_1) | instskip(NEXT) | instid1(VALU_DEP_1)
	v_bfe_i32 v2, v2, 0, 16
	v_cvt_f32_i32_e32 v2, v2
	s_delay_alu instid0(VALU_DEP_1) | instskip(NEXT) | instid1(VALU_DEP_1)
	v_and_b32_e32 v5, 0x7fffffff, v2
	v_cmpx_gt_u32_e32 0x47800000, v5
	s_xor_b32 s2, exec_lo, s2
	s_cbranch_execz .LBB14_3022
; %bb.3017:
	s_mov_b32 s3, exec_lo
                                        ; implicit-def: $vgpr3
	v_cmpx_lt_u32_e32 0x387fffff, v5
	s_xor_b32 s3, exec_lo, s3
; %bb.3018:
	v_bfe_u32 v3, v2, 21, 1
	s_delay_alu instid0(VALU_DEP_1) | instskip(NEXT) | instid1(VALU_DEP_1)
	v_add3_u32 v3, v2, v3, 0x80fffff
	v_lshrrev_b32_e32 v3, 21, v3
; %bb.3019:
	s_and_not1_saveexec_b32 s3, s3
; %bb.3020:
	v_add_f32_e64 v3, 0x43000000, |v2|
; %bb.3021:
	s_or_b32 exec_lo, exec_lo, s3
                                        ; implicit-def: $vgpr5
.LBB14_3022:
	s_and_not1_saveexec_b32 s2, s2
; %bb.3023:
	v_mov_b32_e32 v3, 0x7f
	v_cmp_lt_u32_e32 vcc_lo, 0x7f800000, v5
	s_delay_alu instid0(VALU_DEP_2)
	v_cndmask_b32_e32 v3, 0x7c, v3, vcc_lo
; %bb.3024:
	s_or_b32 exec_lo, exec_lo, s2
	v_lshrrev_b32_e32 v2, 24, v2
	s_delay_alu instid0(VALU_DEP_1)
	v_and_or_b32 v2, 0x80, v2, v3
	global_store_b8 v[0:1], v2, off
.LBB14_3025:
	s_mov_b32 s2, 0
.LBB14_3026:
	s_delay_alu instid0(SALU_CYCLE_1)
	s_and_not1_b32 vcc_lo, exec_lo, s2
	s_mov_b32 s2, 0
	s_cbranch_vccnz .LBB14_3033
; %bb.3027:
	s_cmp_gt_i32 s1, 14
	s_mov_b32 s2, -1
	s_cbranch_scc0 .LBB14_3031
; %bb.3028:
	s_cmp_eq_u32 s1, 15
	s_mov_b32 s0, -1
	s_cbranch_scc0 .LBB14_3030
; %bb.3029:
	s_wait_xcnt 0x0
	v_bfe_i32 v2, v4, 0, 8
	s_mov_b32 s0, 0
	s_delay_alu instid0(VALU_DEP_1) | instskip(NEXT) | instid1(VALU_DEP_1)
	v_bfe_i32 v2, v2, 0, 16
	v_cvt_f32_i32_e32 v2, v2
	s_delay_alu instid0(VALU_DEP_1) | instskip(NEXT) | instid1(VALU_DEP_1)
	v_bfe_u32 v3, v2, 16, 1
	v_add3_u32 v2, v2, v3, 0x7fff
	global_store_d16_hi_b16 v[0:1], v2, off
.LBB14_3030:
	s_mov_b32 s2, 0
.LBB14_3031:
	s_delay_alu instid0(SALU_CYCLE_1)
	s_and_b32 vcc_lo, exec_lo, s2
	s_mov_b32 s2, 0
	s_cbranch_vccz .LBB14_3033
; %bb.3032:
	s_cmp_lg_u32 s1, 11
	s_mov_b32 s2, -1
	s_cselect_b32 s0, -1, 0
.LBB14_3033:
	s_delay_alu instid0(SALU_CYCLE_1)
	s_and_b32 vcc_lo, exec_lo, s0
	s_cbranch_vccnz .LBB14_3055
.LBB14_3034:
	s_mov_b32 s0, 0
	s_branch .LBB14_2636
.LBB14_3035:
	s_mov_b32 s0, 0
	s_mov_b32 s2, 0
                                        ; implicit-def: $sgpr16
                                        ; implicit-def: $vgpr0_vgpr1
	s_branch .LBB14_2636
.LBB14_3036:
	s_mov_b32 s2, 0
	s_mov_b32 s0, -1
	s_branch .LBB14_2636
.LBB14_3037:
	s_or_b32 s12, s12, exec_lo
	s_trap 2
	s_cbranch_execz .LBB14_2501
	s_branch .LBB14_2502
.LBB14_3038:
	s_and_not1_saveexec_b32 s7, s7
	s_cbranch_execz .LBB14_2585
.LBB14_3039:
	v_add_f32_e64 v5, 0x46000000, |v1|
	s_and_not1_b32 s6, s6, exec_lo
	s_delay_alu instid0(VALU_DEP_1) | instskip(NEXT) | instid1(VALU_DEP_1)
	v_and_b32_e32 v5, 0xff, v5
	v_cmp_ne_u32_e32 vcc_lo, 0, v5
	s_and_b32 s9, vcc_lo, exec_lo
	s_delay_alu instid0(SALU_CYCLE_1)
	s_or_b32 s6, s6, s9
	s_or_b32 exec_lo, exec_lo, s7
	v_mov_b32_e32 v7, 0
	s_and_saveexec_b32 s7, s6
	s_cbranch_execnz .LBB14_2586
	s_branch .LBB14_2587
.LBB14_3040:
	s_or_b32 s12, s12, exec_lo
	s_trap 2
	s_cbranch_execz .LBB14_2633
	s_branch .LBB14_2634
.LBB14_3041:
	s_and_not1_saveexec_b32 s6, s6
	s_cbranch_execz .LBB14_2598
.LBB14_3042:
	v_add_f32_e64 v5, 0x42800000, |v1|
	s_and_not1_b32 s3, s3, exec_lo
	s_delay_alu instid0(VALU_DEP_1) | instskip(NEXT) | instid1(VALU_DEP_1)
	v_and_b32_e32 v5, 0xff, v5
	v_cmp_ne_u32_e32 vcc_lo, 0, v5
	s_and_b32 s7, vcc_lo, exec_lo
	s_delay_alu instid0(SALU_CYCLE_1)
	s_or_b32 s3, s3, s7
	s_or_b32 exec_lo, exec_lo, s6
	v_mov_b32_e32 v7, 0
	s_and_saveexec_b32 s6, s3
	s_cbranch_execnz .LBB14_2599
	s_branch .LBB14_2600
.LBB14_3043:
	s_and_not1_saveexec_b32 s8, s8
	s_cbranch_execz .LBB14_2749
.LBB14_3044:
	v_add_f32_e64 v5, 0x46000000, |v1|
	s_and_not1_b32 s7, s7, exec_lo
	s_delay_alu instid0(VALU_DEP_1) | instskip(NEXT) | instid1(VALU_DEP_1)
	v_and_b32_e32 v5, 0xff, v5
	v_cmp_ne_u32_e32 vcc_lo, 0, v5
	s_and_b32 s9, vcc_lo, exec_lo
	s_delay_alu instid0(SALU_CYCLE_1)
	s_or_b32 s7, s7, s9
	s_or_b32 exec_lo, exec_lo, s8
	v_mov_b32_e32 v7, 0
	s_and_saveexec_b32 s8, s7
	s_cbranch_execnz .LBB14_2750
	s_branch .LBB14_2751
.LBB14_3045:
	s_or_b32 s12, s12, exec_lo
	s_trap 2
	s_cbranch_execz .LBB14_2797
	s_branch .LBB14_2798
.LBB14_3046:
	s_and_not1_saveexec_b32 s7, s7
	s_cbranch_execz .LBB14_2762
.LBB14_3047:
	v_add_f32_e64 v5, 0x42800000, |v1|
	s_and_not1_b32 s6, s6, exec_lo
	s_delay_alu instid0(VALU_DEP_1) | instskip(NEXT) | instid1(VALU_DEP_1)
	v_and_b32_e32 v5, 0xff, v5
	v_cmp_ne_u32_e32 vcc_lo, 0, v5
	s_and_b32 s8, vcc_lo, exec_lo
	s_delay_alu instid0(SALU_CYCLE_1)
	s_or_b32 s6, s6, s8
	s_or_b32 exec_lo, exec_lo, s7
	v_mov_b32_e32 v7, 0
	s_and_saveexec_b32 s7, s6
	s_cbranch_execnz .LBB14_2763
	s_branch .LBB14_2764
.LBB14_3048:
	s_and_not1_saveexec_b32 s8, s8
	s_cbranch_execz .LBB14_2868
.LBB14_3049:
	v_add_f32_e64 v5, 0x46000000, |v1|
	s_and_not1_b32 s7, s7, exec_lo
	s_delay_alu instid0(VALU_DEP_1) | instskip(NEXT) | instid1(VALU_DEP_1)
	v_and_b32_e32 v5, 0xff, v5
	v_cmp_ne_u32_e32 vcc_lo, 0, v5
	s_and_b32 s9, vcc_lo, exec_lo
	s_delay_alu instid0(SALU_CYCLE_1)
	s_or_b32 s7, s7, s9
	s_or_b32 exec_lo, exec_lo, s8
	v_mov_b32_e32 v7, 0
	s_and_saveexec_b32 s8, s7
	s_cbranch_execnz .LBB14_2869
	s_branch .LBB14_2870
.LBB14_3050:
	s_or_b32 s12, s12, exec_lo
	s_trap 2
	s_cbranch_execz .LBB14_2916
	s_branch .LBB14_2917
.LBB14_3051:
	s_and_not1_saveexec_b32 s7, s7
	s_cbranch_execz .LBB14_2881
.LBB14_3052:
	v_add_f32_e64 v5, 0x42800000, |v1|
	s_and_not1_b32 s6, s6, exec_lo
	s_delay_alu instid0(VALU_DEP_1) | instskip(NEXT) | instid1(VALU_DEP_1)
	v_and_b32_e32 v5, 0xff, v5
	v_cmp_ne_u32_e32 vcc_lo, 0, v5
	s_and_b32 s8, vcc_lo, exec_lo
	s_delay_alu instid0(SALU_CYCLE_1)
	s_or_b32 s6, s6, s8
	s_or_b32 exec_lo, exec_lo, s7
	v_mov_b32_e32 v7, 0
	s_and_saveexec_b32 s7, s6
	s_cbranch_execnz .LBB14_2882
	s_branch .LBB14_2883
.LBB14_3053:
	s_and_not1_saveexec_b32 s5, s5
	s_cbranch_execz .LBB14_2988
.LBB14_3054:
	v_add_f32_e64 v3, 0x46000000, |v2|
	s_and_not1_b32 s4, s4, exec_lo
	s_delay_alu instid0(VALU_DEP_1) | instskip(NEXT) | instid1(VALU_DEP_1)
	v_and_b32_e32 v3, 0xff, v3
	v_cmp_ne_u32_e32 vcc_lo, 0, v3
	s_and_b32 s6, vcc_lo, exec_lo
	s_delay_alu instid0(SALU_CYCLE_1)
	s_or_b32 s4, s4, s6
	s_or_b32 exec_lo, exec_lo, s5
	v_mov_b32_e32 v5, 0
	s_and_saveexec_b32 s5, s4
	s_cbranch_execnz .LBB14_2989
	s_branch .LBB14_2990
.LBB14_3055:
	s_mov_b32 s2, 0
	s_or_b32 s12, s12, exec_lo
	s_trap 2
	s_branch .LBB14_3034
.LBB14_3056:
	s_and_not1_saveexec_b32 s4, s4
	s_cbranch_execz .LBB14_3000
.LBB14_3057:
	v_add_f32_e64 v3, 0x42800000, |v2|
	s_and_not1_b32 s3, s3, exec_lo
	s_delay_alu instid0(VALU_DEP_1) | instskip(NEXT) | instid1(VALU_DEP_1)
	v_and_b32_e32 v3, 0xff, v3
	v_cmp_ne_u32_e32 vcc_lo, 0, v3
	s_and_b32 s5, vcc_lo, exec_lo
	s_delay_alu instid0(SALU_CYCLE_1)
	s_or_b32 s3, s3, s5
	s_or_b32 exec_lo, exec_lo, s4
	v_mov_b32_e32 v5, 0
	s_and_saveexec_b32 s4, s3
	s_cbranch_execnz .LBB14_3001
	s_branch .LBB14_3002
	.section	.rodata,"a",@progbits
	.p2align	6, 0x0
	.amdhsa_kernel _ZN2at6native32elementwise_kernel_manual_unrollILi128ELi4EZNS0_15gpu_kernel_implIZZZNS0_15gcd_kernel_cudaERNS_18TensorIteratorBaseEENKUlvE_clEvENKUlvE0_clEvEUlaaE_EEvS4_RKT_EUlibE_EEviT1_
		.amdhsa_group_segment_fixed_size 0
		.amdhsa_private_segment_fixed_size 0
		.amdhsa_kernarg_size 48
		.amdhsa_user_sgpr_count 2
		.amdhsa_user_sgpr_dispatch_ptr 0
		.amdhsa_user_sgpr_queue_ptr 0
		.amdhsa_user_sgpr_kernarg_segment_ptr 1
		.amdhsa_user_sgpr_dispatch_id 0
		.amdhsa_user_sgpr_kernarg_preload_length 0
		.amdhsa_user_sgpr_kernarg_preload_offset 0
		.amdhsa_user_sgpr_private_segment_size 0
		.amdhsa_wavefront_size32 1
		.amdhsa_uses_dynamic_stack 0
		.amdhsa_enable_private_segment 0
		.amdhsa_system_sgpr_workgroup_id_x 1
		.amdhsa_system_sgpr_workgroup_id_y 0
		.amdhsa_system_sgpr_workgroup_id_z 0
		.amdhsa_system_sgpr_workgroup_info 0
		.amdhsa_system_vgpr_workitem_id 0
		.amdhsa_next_free_vgpr 18
		.amdhsa_next_free_sgpr 35
		.amdhsa_named_barrier_count 0
		.amdhsa_reserve_vcc 1
		.amdhsa_float_round_mode_32 0
		.amdhsa_float_round_mode_16_64 0
		.amdhsa_float_denorm_mode_32 3
		.amdhsa_float_denorm_mode_16_64 3
		.amdhsa_fp16_overflow 0
		.amdhsa_memory_ordered 1
		.amdhsa_forward_progress 1
		.amdhsa_inst_pref_size 255
		.amdhsa_round_robin_scheduling 0
		.amdhsa_exception_fp_ieee_invalid_op 0
		.amdhsa_exception_fp_denorm_src 0
		.amdhsa_exception_fp_ieee_div_zero 0
		.amdhsa_exception_fp_ieee_overflow 0
		.amdhsa_exception_fp_ieee_underflow 0
		.amdhsa_exception_fp_ieee_inexact 0
		.amdhsa_exception_int_div_zero 0
	.end_amdhsa_kernel
	.section	.text._ZN2at6native32elementwise_kernel_manual_unrollILi128ELi4EZNS0_15gpu_kernel_implIZZZNS0_15gcd_kernel_cudaERNS_18TensorIteratorBaseEENKUlvE_clEvENKUlvE0_clEvEUlaaE_EEvS4_RKT_EUlibE_EEviT1_,"axG",@progbits,_ZN2at6native32elementwise_kernel_manual_unrollILi128ELi4EZNS0_15gpu_kernel_implIZZZNS0_15gcd_kernel_cudaERNS_18TensorIteratorBaseEENKUlvE_clEvENKUlvE0_clEvEUlaaE_EEvS4_RKT_EUlibE_EEviT1_,comdat
.Lfunc_end14:
	.size	_ZN2at6native32elementwise_kernel_manual_unrollILi128ELi4EZNS0_15gpu_kernel_implIZZZNS0_15gcd_kernel_cudaERNS_18TensorIteratorBaseEENKUlvE_clEvENKUlvE0_clEvEUlaaE_EEvS4_RKT_EUlibE_EEviT1_, .Lfunc_end14-_ZN2at6native32elementwise_kernel_manual_unrollILi128ELi4EZNS0_15gpu_kernel_implIZZZNS0_15gcd_kernel_cudaERNS_18TensorIteratorBaseEENKUlvE_clEvENKUlvE0_clEvEUlaaE_EEvS4_RKT_EUlibE_EEviT1_
                                        ; -- End function
	.set _ZN2at6native32elementwise_kernel_manual_unrollILi128ELi4EZNS0_15gpu_kernel_implIZZZNS0_15gcd_kernel_cudaERNS_18TensorIteratorBaseEENKUlvE_clEvENKUlvE0_clEvEUlaaE_EEvS4_RKT_EUlibE_EEviT1_.num_vgpr, 18
	.set _ZN2at6native32elementwise_kernel_manual_unrollILi128ELi4EZNS0_15gpu_kernel_implIZZZNS0_15gcd_kernel_cudaERNS_18TensorIteratorBaseEENKUlvE_clEvENKUlvE0_clEvEUlaaE_EEvS4_RKT_EUlibE_EEviT1_.num_agpr, 0
	.set _ZN2at6native32elementwise_kernel_manual_unrollILi128ELi4EZNS0_15gpu_kernel_implIZZZNS0_15gcd_kernel_cudaERNS_18TensorIteratorBaseEENKUlvE_clEvENKUlvE0_clEvEUlaaE_EEvS4_RKT_EUlibE_EEviT1_.numbered_sgpr, 35
	.set _ZN2at6native32elementwise_kernel_manual_unrollILi128ELi4EZNS0_15gpu_kernel_implIZZZNS0_15gcd_kernel_cudaERNS_18TensorIteratorBaseEENKUlvE_clEvENKUlvE0_clEvEUlaaE_EEvS4_RKT_EUlibE_EEviT1_.num_named_barrier, 0
	.set _ZN2at6native32elementwise_kernel_manual_unrollILi128ELi4EZNS0_15gpu_kernel_implIZZZNS0_15gcd_kernel_cudaERNS_18TensorIteratorBaseEENKUlvE_clEvENKUlvE0_clEvEUlaaE_EEvS4_RKT_EUlibE_EEviT1_.private_seg_size, 0
	.set _ZN2at6native32elementwise_kernel_manual_unrollILi128ELi4EZNS0_15gpu_kernel_implIZZZNS0_15gcd_kernel_cudaERNS_18TensorIteratorBaseEENKUlvE_clEvENKUlvE0_clEvEUlaaE_EEvS4_RKT_EUlibE_EEviT1_.uses_vcc, 1
	.set _ZN2at6native32elementwise_kernel_manual_unrollILi128ELi4EZNS0_15gpu_kernel_implIZZZNS0_15gcd_kernel_cudaERNS_18TensorIteratorBaseEENKUlvE_clEvENKUlvE0_clEvEUlaaE_EEvS4_RKT_EUlibE_EEviT1_.uses_flat_scratch, 0
	.set _ZN2at6native32elementwise_kernel_manual_unrollILi128ELi4EZNS0_15gpu_kernel_implIZZZNS0_15gcd_kernel_cudaERNS_18TensorIteratorBaseEENKUlvE_clEvENKUlvE0_clEvEUlaaE_EEvS4_RKT_EUlibE_EEviT1_.has_dyn_sized_stack, 0
	.set _ZN2at6native32elementwise_kernel_manual_unrollILi128ELi4EZNS0_15gpu_kernel_implIZZZNS0_15gcd_kernel_cudaERNS_18TensorIteratorBaseEENKUlvE_clEvENKUlvE0_clEvEUlaaE_EEvS4_RKT_EUlibE_EEviT1_.has_recursion, 0
	.set _ZN2at6native32elementwise_kernel_manual_unrollILi128ELi4EZNS0_15gpu_kernel_implIZZZNS0_15gcd_kernel_cudaERNS_18TensorIteratorBaseEENKUlvE_clEvENKUlvE0_clEvEUlaaE_EEvS4_RKT_EUlibE_EEviT1_.has_indirect_call, 0
	.section	.AMDGPU.csdata,"",@progbits
; Kernel info:
; codeLenInByte = 56172
; TotalNumSgprs: 37
; NumVgprs: 18
; ScratchSize: 0
; MemoryBound: 1
; FloatMode: 240
; IeeeMode: 1
; LDSByteSize: 0 bytes/workgroup (compile time only)
; SGPRBlocks: 0
; VGPRBlocks: 1
; NumSGPRsForWavesPerEU: 37
; NumVGPRsForWavesPerEU: 18
; NamedBarCnt: 0
; Occupancy: 16
; WaveLimiterHint : 0
; COMPUTE_PGM_RSRC2:SCRATCH_EN: 0
; COMPUTE_PGM_RSRC2:USER_SGPR: 2
; COMPUTE_PGM_RSRC2:TRAP_HANDLER: 0
; COMPUTE_PGM_RSRC2:TGID_X_EN: 1
; COMPUTE_PGM_RSRC2:TGID_Y_EN: 0
; COMPUTE_PGM_RSRC2:TGID_Z_EN: 0
; COMPUTE_PGM_RSRC2:TIDIG_COMP_CNT: 0
	.section	.text._ZN2at6native32elementwise_kernel_manual_unrollILi128ELi4EZNS0_15gpu_kernel_implIZZZNS0_15gcd_kernel_cudaERNS_18TensorIteratorBaseEENKUlvE_clEvENKUlvE0_clEvEUlaaE_EEvS4_RKT_EUlibE0_EEviT1_,"axG",@progbits,_ZN2at6native32elementwise_kernel_manual_unrollILi128ELi4EZNS0_15gpu_kernel_implIZZZNS0_15gcd_kernel_cudaERNS_18TensorIteratorBaseEENKUlvE_clEvENKUlvE0_clEvEUlaaE_EEvS4_RKT_EUlibE0_EEviT1_,comdat
	.globl	_ZN2at6native32elementwise_kernel_manual_unrollILi128ELi4EZNS0_15gpu_kernel_implIZZZNS0_15gcd_kernel_cudaERNS_18TensorIteratorBaseEENKUlvE_clEvENKUlvE0_clEvEUlaaE_EEvS4_RKT_EUlibE0_EEviT1_ ; -- Begin function _ZN2at6native32elementwise_kernel_manual_unrollILi128ELi4EZNS0_15gpu_kernel_implIZZZNS0_15gcd_kernel_cudaERNS_18TensorIteratorBaseEENKUlvE_clEvENKUlvE0_clEvEUlaaE_EEvS4_RKT_EUlibE0_EEviT1_
	.p2align	8
	.type	_ZN2at6native32elementwise_kernel_manual_unrollILi128ELi4EZNS0_15gpu_kernel_implIZZZNS0_15gcd_kernel_cudaERNS_18TensorIteratorBaseEENKUlvE_clEvENKUlvE0_clEvEUlaaE_EEvS4_RKT_EUlibE0_EEviT1_,@function
_ZN2at6native32elementwise_kernel_manual_unrollILi128ELi4EZNS0_15gpu_kernel_implIZZZNS0_15gcd_kernel_cudaERNS_18TensorIteratorBaseEENKUlvE_clEvENKUlvE0_clEvEUlaaE_EEvS4_RKT_EUlibE0_EEviT1_: ; @_ZN2at6native32elementwise_kernel_manual_unrollILi128ELi4EZNS0_15gpu_kernel_implIZZZNS0_15gcd_kernel_cudaERNS_18TensorIteratorBaseEENKUlvE_clEvENKUlvE0_clEvEUlaaE_EEvS4_RKT_EUlibE0_EEviT1_
; %bb.0:
	s_clause 0x1
	s_load_b32 s26, s[0:1], 0x8
	s_load_b32 s36, s[0:1], 0x0
	s_bfe_u32 s2, ttmp6, 0x4000c
	s_and_b32 s3, ttmp6, 15
	s_add_co_i32 s2, s2, 1
	s_getreg_b32 s4, hwreg(HW_REG_IB_STS2, 6, 4)
	s_mul_i32 s2, ttmp9, s2
	s_mov_b32 s28, 0
	s_add_co_i32 s3, s3, s2
	s_cmp_eq_u32 s4, 0
	s_mov_b32 s25, -1
	s_cselect_b32 s2, ttmp9, s3
	s_mov_b32 s8, 0
	v_lshl_or_b32 v0, s2, 9, v0
	s_add_nc_u64 s[2:3], s[0:1], 8
	s_wait_xcnt 0x0
	s_mov_b32 s0, exec_lo
	s_delay_alu instid0(VALU_DEP_1) | instskip(SKIP_2) | instid1(SALU_CYCLE_1)
	v_or_b32_e32 v1, 0x180, v0
	s_wait_kmcnt 0x0
	s_add_co_i32 s27, s26, -1
	s_cmp_gt_u32 s27, 1
	s_cselect_b32 s29, -1, 0
	v_cmpx_le_i32_e64 s36, v1
	s_xor_b32 s30, exec_lo, s0
	s_cbranch_execz .LBB15_1577
; %bb.1:
	v_mov_b32_e32 v1, 0
	s_cmp_lg_u32 s26, 0
	s_mov_b32 s19, 0
	s_cselect_b32 s37, -1, 0
	s_min_u32 s35, s27, 15
	s_clause 0x1
	global_load_u16 v2, v1, s[2:3] offset:417
	global_load_i8 v3, v1, s[2:3] offset:419
	s_clause 0x5
	s_load_b128 s[8:11], s[2:3], 0x4
	s_load_b64 s[0:1], s[2:3], 0x14
	s_load_b128 s[12:15], s[2:3], 0xc4
	s_load_b64 s[20:21], s[2:3], 0xd4
	s_load_b64 s[16:17], s[2:3], 0x198
	s_load_b128 s[4:7], s[2:3], 0x188
	s_cmp_gt_u32 s26, 1
	s_mov_b32 s23, s19
	s_mov_b32 s40, s19
	;; [unrolled: 1-line block ×3, first 2 shown]
	s_cselect_b32 s34, -1, 0
	s_mov_b32 s38, s19
	s_mov_b32 s41, exec_lo
	s_wait_kmcnt 0x0
	s_mov_b32 s18, s9
	s_mov_b32 s22, s0
	s_wait_loadcnt 0x1
	v_readfirstlane_b32 s31, v2
	s_wait_loadcnt 0x0
	v_readfirstlane_b32 s9, v3
	s_lshr_b32 s33, s31, 8
	v_cmpx_gt_i32_e64 s36, v0
	s_cbranch_execz .LBB15_389
; %bb.2:
	s_and_not1_b32 vcc_lo, exec_lo, s29
	s_cbranch_vccnz .LBB15_8
; %bb.3:
	s_and_not1_b32 vcc_lo, exec_lo, s37
	s_cbranch_vccnz .LBB15_9
; %bb.4:
	v_dual_mov_b32 v2, 0 :: v_dual_mov_b32 v1, v0
	v_dual_mov_b32 v4, 0 :: v_dual_mov_b32 v6, 0
	s_add_co_i32 s0, s35, 1
	s_mov_b64 s[24:25], 0xffffffffffffffe8
	s_and_b32 s0, s0, 30
	s_add_nc_u64 s[24:25], s[2:3], s[24:25]
.LBB15_5:                               ; =>This Inner Loop Header: Depth=1
	s_clause 0x3
	s_load_b128 s[44:47], s[24:25], 0x1c
	s_load_b64 s[38:39], s[24:25], 0x2c
	s_load_b128 s[48:51], s[24:25], 0xdc
	s_load_b64 s[42:43], s[24:25], 0xec
	s_add_co_i32 s0, s0, -2
	s_wait_xcnt 0x0
	s_add_nc_u64 s[24:25], s[24:25], 24
	s_cmp_lg_u32 s0, 0
	s_wait_kmcnt 0x0
	v_mul_hi_u32 v3, s45, v1
	s_delay_alu instid0(VALU_DEP_1) | instskip(NEXT) | instid1(VALU_DEP_1)
	v_add_nc_u32_e32 v3, v1, v3
	v_lshrrev_b32_e32 v3, s46, v3
	s_delay_alu instid0(VALU_DEP_1) | instskip(SKIP_1) | instid1(VALU_DEP_1)
	v_mul_hi_u32 v5, s38, v3
	v_mul_lo_u32 v7, v3, s44
	v_dual_add_nc_u32 v5, v3, v5 :: v_dual_sub_nc_u32 v7, v1, v7
	s_delay_alu instid0(VALU_DEP_1) | instskip(NEXT) | instid1(VALU_DEP_2)
	v_lshrrev_b32_e32 v1, s39, v5
	v_mad_u32 v2, v7, s48, v2
	v_mad_u32 v6, v7, s50, v6
	;; [unrolled: 1-line block ×3, first 2 shown]
	s_delay_alu instid0(VALU_DEP_4) | instskip(NEXT) | instid1(VALU_DEP_1)
	v_mul_lo_u32 v5, v1, s47
	v_sub_nc_u32_e32 v3, v3, v5
	s_delay_alu instid0(VALU_DEP_1)
	v_mad_u32 v2, v3, s51, v2
	v_mad_u32 v6, v3, s43, v6
	;; [unrolled: 1-line block ×3, first 2 shown]
	s_cbranch_scc1 .LBB15_5
; %bb.6:
	s_bitcmp1_b32 s35, 0
	s_cselect_b32 s0, -1, 0
	s_delay_alu instid0(SALU_CYCLE_1)
	s_and_b32 vcc_lo, exec_lo, s0
	s_cbranch_vccnz .LBB15_10
; %bb.7:
	s_clause 0x1
	s_load_b96 s[44:46], s[24:25], 0x1c
	s_load_b96 s[48:50], s[24:25], 0xdc
	s_wait_kmcnt 0x0
	v_mul_hi_u32 v3, s45, v1
	s_delay_alu instid0(VALU_DEP_1) | instskip(NEXT) | instid1(VALU_DEP_1)
	v_add_nc_u32_e32 v3, v1, v3
	v_lshrrev_b32_e32 v3, s46, v3
	s_delay_alu instid0(VALU_DEP_1) | instskip(NEXT) | instid1(VALU_DEP_1)
	v_mul_lo_u32 v3, v3, s44
	v_sub_nc_u32_e32 v1, v1, v3
	s_delay_alu instid0(VALU_DEP_1)
	v_mad_u32 v2, v1, s48, v2
	v_mad_u32 v4, v1, s49, v4
	;; [unrolled: 1-line block ×3, first 2 shown]
	s_cbranch_execz .LBB15_11
	s_branch .LBB15_13
.LBB15_8:
                                        ; implicit-def: $vgpr6
                                        ; implicit-def: $vgpr4
                                        ; implicit-def: $vgpr2
	s_branch .LBB15_11
.LBB15_9:
	v_dual_mov_b32 v6, 0 :: v_dual_mov_b32 v4, 0
	v_mov_b32_e32 v2, 0
.LBB15_10:
	s_cbranch_execnz .LBB15_13
.LBB15_11:
	v_mov_b32_e32 v1, 0
	s_and_not1_b32 vcc_lo, exec_lo, s34
	s_delay_alu instid0(VALU_DEP_1) | instskip(NEXT) | instid1(VALU_DEP_1)
	v_mul_u64_e32 v[2:3], s[18:19], v[0:1]
	v_add_nc_u32_e32 v2, v0, v3
	s_delay_alu instid0(VALU_DEP_1) | instskip(NEXT) | instid1(VALU_DEP_1)
	v_lshrrev_b32_e32 v8, s10, v2
	v_mul_lo_u32 v2, v8, s8
	s_delay_alu instid0(VALU_DEP_1) | instskip(NEXT) | instid1(VALU_DEP_1)
	v_sub_nc_u32_e32 v3, v0, v2
	v_mul_lo_u32 v2, v3, s12
	v_mul_lo_u32 v6, v3, s14
	;; [unrolled: 1-line block ×3, first 2 shown]
	s_cbranch_vccnz .LBB15_13
; %bb.12:
	v_mov_b32_e32 v9, v1
	s_delay_alu instid0(VALU_DEP_1) | instskip(NEXT) | instid1(VALU_DEP_1)
	v_mul_u64_e32 v[10:11], s[22:23], v[8:9]
	v_add_nc_u32_e32 v1, v8, v11
	s_delay_alu instid0(VALU_DEP_1) | instskip(NEXT) | instid1(VALU_DEP_1)
	v_lshrrev_b32_e32 v1, s1, v1
	v_mul_lo_u32 v1, v1, s11
	s_delay_alu instid0(VALU_DEP_1) | instskip(NEXT) | instid1(VALU_DEP_1)
	v_sub_nc_u32_e32 v1, v8, v1
	v_mad_u32 v2, v1, s15, v2
	v_mad_u32 v4, v1, s20, v4
	;; [unrolled: 1-line block ×3, first 2 shown]
.LBB15_13:
	v_mov_b32_e32 v5, 0
	s_and_b32 s0, s33, 0xff
	s_delay_alu instid0(SALU_CYCLE_1) | instskip(NEXT) | instid1(VALU_DEP_1)
	s_cmp_lt_i32 s0, 11
	v_add_nc_u64_e32 v[8:9], s[6:7], v[4:5]
	s_cbranch_scc1 .LBB15_20
; %bb.14:
	s_and_b32 s25, 0xffff, s0
	s_delay_alu instid0(SALU_CYCLE_1)
	s_cmp_gt_i32 s25, 25
	s_cbranch_scc0 .LBB15_29
; %bb.15:
	s_cmp_gt_i32 s25, 28
	s_cbranch_scc0 .LBB15_43
; %bb.16:
	;; [unrolled: 3-line block ×4, first 2 shown]
	s_cmp_eq_u32 s25, 46
	s_mov_b32 s39, 0
	s_cbranch_scc0 .LBB15_52
; %bb.19:
	global_load_b32 v1, v[8:9], off
	s_mov_b32 s38, -1
	s_mov_b32 s24, 0
	s_wait_loadcnt 0x0
	v_lshlrev_b32_e32 v1, 16, v1
	s_delay_alu instid0(VALU_DEP_1)
	v_cvt_i32_f32_e32 v4, v1
	s_branch .LBB15_54
.LBB15_20:
	s_mov_b32 s24, 0
	s_mov_b32 s38, 0
                                        ; implicit-def: $vgpr4
	s_cbranch_execnz .LBB15_116
.LBB15_21:
	s_and_not1_b32 vcc_lo, exec_lo, s38
	s_cbranch_vccnz .LBB15_163
.LBB15_22:
	v_mov_b32_e32 v7, 0
	s_and_b32 s0, s9, 0xff
	s_delay_alu instid0(SALU_CYCLE_1) | instskip(NEXT) | instid1(VALU_DEP_1)
	s_cmp_lt_i32 s0, 11
	v_add_nc_u64_e32 v[6:7], s[16:17], v[6:7]
	s_cbranch_scc1 .LBB15_30
; %bb.23:
	s_and_b32 s38, 0xffff, s0
	s_delay_alu instid0(SALU_CYCLE_1)
	s_cmp_gt_i32 s38, 25
	s_cbranch_scc0 .LBB15_44
; %bb.24:
	s_cmp_gt_i32 s38, 28
	s_cbranch_scc0 .LBB15_47
; %bb.25:
	;; [unrolled: 3-line block ×4, first 2 shown]
	s_cmp_eq_u32 s38, 46
	s_mov_b32 s40, 0
	s_cbranch_scc0 .LBB15_164
; %bb.28:
	global_load_b32 v1, v[6:7], off
	s_mov_b32 s39, -1
	s_mov_b32 s25, 0
	s_wait_loadcnt 0x0
	v_lshlrev_b32_e32 v1, 16, v1
	s_delay_alu instid0(VALU_DEP_1)
	v_cvt_i32_f32_e32 v8, v1
	s_branch .LBB15_166
.LBB15_29:
	s_mov_b32 s24, 0
	s_mov_b32 s38, 0
                                        ; implicit-def: $vgpr4
	s_cbranch_execnz .LBB15_83
	s_branch .LBB15_115
.LBB15_30:
	s_mov_b32 s25, 0
	s_mov_b32 s39, 0
                                        ; implicit-def: $vgpr8
	s_cbranch_execnz .LBB15_338
.LBB15_31:
	s_and_not1_b32 vcc_lo, exec_lo, s39
	s_cbranch_vccnz .LBB15_386
.LBB15_32:
	s_wait_loadcnt 0x0
	s_delay_alu instid0(VALU_DEP_1) | instskip(NEXT) | instid1(VALU_DEP_4)
	v_bfe_i32 v1, v8, 0, 8
	v_and_b32_e32 v5, 0xff, v4
	s_mov_b32 s38, 0
	s_mov_b32 s0, exec_lo
	s_delay_alu instid0(VALU_DEP_2) | instskip(NEXT) | instid1(VALU_DEP_1)
	v_sub_nc_u16 v3, 0, v1
	v_max_i16 v1, v1, v3
	v_cmpx_ne_u16_e32 0, v5
	s_cbranch_execz .LBB15_36
; %bb.33:
	v_bfe_i32 v3, v4, 0, 8
	s_delay_alu instid0(VALU_DEP_1) | instskip(NEXT) | instid1(VALU_DEP_1)
	v_sub_nc_u16 v4, 0, v3
	v_max_i16 v4, v3, v4
	v_and_b32_e32 v3, 0xff, v1
	s_delay_alu instid0(VALU_DEP_2)
	v_and_b32_e32 v4, 0xffff, v4
.LBB15_34:                              ; =>This Inner Loop Header: Depth=1
	s_delay_alu instid0(VALU_DEP_2) | instskip(NEXT) | instid1(VALU_DEP_2)
	v_bfe_i32 v6, v3, 0, 8
	v_mov_b32_e32 v1, v4
	s_delay_alu instid0(VALU_DEP_2) | instskip(NEXT) | instid1(VALU_DEP_2)
	v_cvt_f32_i32_e32 v8, v6
	v_bfe_i32 v4, v1, 0, 8
	s_delay_alu instid0(VALU_DEP_1) | instskip(SKIP_1) | instid1(VALU_DEP_2)
	v_cvt_f32_i32_e32 v5, v4
	v_xor_b32_e32 v4, v6, v4
	v_rcp_iflag_f32_e32 v7, v5
	v_nop
	s_delay_alu instid0(TRANS32_DEP_1) | instskip(NEXT) | instid1(VALU_DEP_1)
	v_dual_ashrrev_i32 v4, 30, v4 :: v_dual_mul_f32 v6, v8, v7
	v_trunc_f32_e32 v6, v6
	s_delay_alu instid0(VALU_DEP_1) | instskip(SKIP_1) | instid1(VALU_DEP_2)
	v_dual_fma_f32 v7, -v6, v5, v8 :: v_dual_bitop2_b32 v4, 1, v4 bitop3:0x54
	v_cvt_i32_f32_e32 v6, v6
	v_cmp_ge_f32_e64 vcc_lo, |v7|, |v5|
	s_delay_alu instid0(VALU_DEP_3) | instskip(NEXT) | instid1(VALU_DEP_1)
	v_cndmask_b32_e32 v4, 0, v4, vcc_lo
	v_add_nc_u32_e32 v4, v6, v4
	s_delay_alu instid0(VALU_DEP_1) | instskip(NEXT) | instid1(VALU_DEP_1)
	v_mul_lo_u32 v4, v4, v1
	v_sub_nc_u32_e32 v3, v3, v4
	s_delay_alu instid0(VALU_DEP_1) | instskip(SKIP_1) | instid1(VALU_DEP_2)
	v_bfe_i32 v4, v3, 0, 8
	v_mov_b32_e32 v3, v1
	v_cmp_eq_u16_e32 vcc_lo, 0, v4
	v_and_b32_e32 v4, 0xffff, v4
	s_or_b32 s38, vcc_lo, s38
	s_delay_alu instid0(SALU_CYCLE_1)
	s_and_not1_b32 exec_lo, exec_lo, s38
	s_cbranch_execnz .LBB15_34
; %bb.35:
	s_or_b32 exec_lo, exec_lo, s38
.LBB15_36:
	s_delay_alu instid0(SALU_CYCLE_1) | instskip(SKIP_2) | instid1(SALU_CYCLE_1)
	s_or_b32 exec_lo, exec_lo, s0
	v_mov_b32_e32 v3, 0
	s_and_b32 s38, s31, 0xff
	s_cmp_lt_i32 s38, 11
	s_delay_alu instid0(VALU_DEP_1)
	v_add_nc_u64_e32 v[2:3], s[4:5], v[2:3]
	s_cbranch_scc1 .LBB15_45
; %bb.37:
	s_and_b32 s39, 0xffff, s38
	s_delay_alu instid0(SALU_CYCLE_1)
	s_cmp_gt_i32 s39, 25
	s_cbranch_scc0 .LBB15_48
; %bb.38:
	s_cmp_gt_i32 s39, 28
	s_cbranch_scc0 .LBB15_51
; %bb.39:
	;; [unrolled: 3-line block ×4, first 2 shown]
	s_mov_b32 s42, 0
	s_mov_b32 s0, -1
	s_cmp_eq_u32 s39, 46
	s_mov_b32 s40, 0
	s_cbranch_scc0 .LBB15_170
; %bb.42:
	v_bfe_i32 v4, v1, 0, 8
	s_mov_b32 s40, -1
	s_mov_b32 s0, 0
	s_delay_alu instid0(VALU_DEP_1) | instskip(NEXT) | instid1(VALU_DEP_1)
	v_bfe_i32 v4, v4, 0, 16
	v_cvt_f32_i32_e32 v4, v4
	s_delay_alu instid0(VALU_DEP_1) | instskip(NEXT) | instid1(VALU_DEP_1)
	v_bfe_u32 v5, v4, 16, 1
	v_add3_u32 v4, v4, v5, 0x7fff
	s_delay_alu instid0(VALU_DEP_1)
	v_lshrrev_b32_e32 v4, 16, v4
	global_store_b32 v[2:3], v4, off
	s_branch .LBB15_170
.LBB15_43:
	s_mov_b32 s39, -1
	s_mov_b32 s24, 0
	s_mov_b32 s38, 0
                                        ; implicit-def: $vgpr4
	s_branch .LBB15_66
.LBB15_44:
	s_mov_b32 s40, -1
	s_mov_b32 s25, 0
	s_mov_b32 s39, 0
                                        ; implicit-def: $vgpr8
	s_branch .LBB15_304
.LBB15_45:
	s_mov_b32 s39, -1
	s_mov_b32 s0, 0
	s_mov_b32 s40, 0
	s_branch .LBB15_239
.LBB15_46:
	s_mov_b32 s39, -1
	s_mov_b32 s24, 0
	s_mov_b32 s38, 0
                                        ; implicit-def: $vgpr4
	s_branch .LBB15_61
.LBB15_47:
	s_mov_b32 s40, -1
	s_mov_b32 s25, 0
	s_mov_b32 s39, 0
                                        ; implicit-def: $vgpr8
	s_branch .LBB15_287
.LBB15_48:
	s_mov_b32 s42, -1
	s_mov_b32 s0, 0
	s_mov_b32 s40, 0
	s_branch .LBB15_197
.LBB15_49:
	s_mov_b32 s39, -1
	s_mov_b32 s24, 0
	s_branch .LBB15_53
.LBB15_50:
	s_mov_b32 s40, -1
	s_mov_b32 s25, 0
	s_mov_b32 s39, 0
                                        ; implicit-def: $vgpr8
	s_branch .LBB15_282
.LBB15_51:
	s_mov_b32 s42, -1
	s_mov_b32 s0, 0
	s_mov_b32 s40, 0
	s_branch .LBB15_180
.LBB15_52:
	s_mov_b32 s24, -1
.LBB15_53:
	s_mov_b32 s38, 0
                                        ; implicit-def: $vgpr4
.LBB15_54:
	s_and_b32 vcc_lo, exec_lo, s39
	s_cbranch_vccz .LBB15_60
; %bb.55:
	s_cmp_eq_u32 s25, 44
	s_cbranch_scc0 .LBB15_59
; %bb.56:
	global_load_u8 v1, v[8:9], off
	s_mov_b32 s24, 0
	s_mov_b32 s38, -1
	s_wait_loadcnt 0x0
	v_lshlrev_b32_e32 v3, 23, v1
	v_cmp_ne_u32_e32 vcc_lo, 0, v1
	s_delay_alu instid0(VALU_DEP_2) | instskip(NEXT) | instid1(VALU_DEP_1)
	v_cvt_i32_f32_e32 v3, v3
	v_cndmask_b32_e32 v4, 0, v3, vcc_lo
	s_branch .LBB15_60
.LBB15_57:
	s_mov_b32 s40, -1
	s_mov_b32 s25, 0
	s_branch .LBB15_165
.LBB15_58:
	s_mov_b32 s42, -1
	s_mov_b32 s0, 0
	s_mov_b32 s40, 0
	s_branch .LBB15_176
.LBB15_59:
	s_mov_b32 s24, -1
                                        ; implicit-def: $vgpr4
.LBB15_60:
	s_mov_b32 s39, 0
.LBB15_61:
	s_delay_alu instid0(SALU_CYCLE_1)
	s_and_b32 vcc_lo, exec_lo, s39
	s_cbranch_vccz .LBB15_65
; %bb.62:
	s_cmp_eq_u32 s25, 29
	s_cbranch_scc0 .LBB15_64
; %bb.63:
	global_load_b64 v[4:5], v[8:9], off
	s_mov_b32 s38, -1
	s_mov_b32 s24, 0
	s_branch .LBB15_65
.LBB15_64:
	s_mov_b32 s24, -1
                                        ; implicit-def: $vgpr4
.LBB15_65:
	s_mov_b32 s39, 0
.LBB15_66:
	s_delay_alu instid0(SALU_CYCLE_1)
	s_and_b32 vcc_lo, exec_lo, s39
	s_cbranch_vccz .LBB15_82
; %bb.67:
	s_cmp_lt_i32 s25, 27
	s_cbranch_scc1 .LBB15_70
; %bb.68:
	s_cmp_gt_i32 s25, 27
	s_cbranch_scc0 .LBB15_71
; %bb.69:
	s_wait_loadcnt 0x0
	global_load_b32 v4, v[8:9], off
	s_mov_b32 s38, 0
	s_branch .LBB15_72
.LBB15_70:
	s_mov_b32 s38, -1
                                        ; implicit-def: $vgpr4
	s_branch .LBB15_75
.LBB15_71:
	s_mov_b32 s38, -1
                                        ; implicit-def: $vgpr4
.LBB15_72:
	s_delay_alu instid0(SALU_CYCLE_1)
	s_and_not1_b32 vcc_lo, exec_lo, s38
	s_cbranch_vccnz .LBB15_74
; %bb.73:
	s_wait_loadcnt 0x0
	global_load_u16 v4, v[8:9], off
.LBB15_74:
	s_mov_b32 s38, 0
.LBB15_75:
	s_delay_alu instid0(SALU_CYCLE_1)
	s_and_not1_b32 vcc_lo, exec_lo, s38
	s_cbranch_vccnz .LBB15_81
; %bb.76:
	global_load_u8 v1, v[8:9], off
	s_mov_b32 s39, 0
	s_mov_b32 s38, exec_lo
	s_wait_loadcnt 0x0
	v_cmpx_lt_i16_e32 0x7f, v1
	s_xor_b32 s38, exec_lo, s38
	s_cbranch_execz .LBB15_92
; %bb.77:
	v_cmp_ne_u16_e32 vcc_lo, 0x80, v1
	s_and_b32 s39, vcc_lo, exec_lo
	s_and_not1_saveexec_b32 s38, s38
	s_cbranch_execnz .LBB15_93
.LBB15_78:
	s_or_b32 exec_lo, exec_lo, s38
	v_mov_b32_e32 v4, 0
	s_and_saveexec_b32 s38, s39
	s_cbranch_execz .LBB15_80
.LBB15_79:
	v_and_b32_e32 v3, 0xffff, v1
	s_delay_alu instid0(VALU_DEP_1) | instskip(SKIP_1) | instid1(VALU_DEP_2)
	v_and_b32_e32 v4, 7, v3
	v_bfe_u32 v10, v3, 3, 4
	v_clz_i32_u32_e32 v5, v4
	s_delay_alu instid0(VALU_DEP_2) | instskip(NEXT) | instid1(VALU_DEP_2)
	v_cmp_eq_u32_e32 vcc_lo, 0, v10
	v_min_u32_e32 v5, 32, v5
	s_delay_alu instid0(VALU_DEP_1) | instskip(NEXT) | instid1(VALU_DEP_1)
	v_subrev_nc_u32_e32 v7, 28, v5
	v_dual_lshlrev_b32 v3, v7, v3 :: v_dual_sub_nc_u32 v5, 29, v5
	s_delay_alu instid0(VALU_DEP_1) | instskip(NEXT) | instid1(VALU_DEP_1)
	v_dual_lshlrev_b32 v1, 24, v1 :: v_dual_bitop2_b32 v3, 7, v3 bitop3:0x40
	v_dual_cndmask_b32 v3, v4, v3, vcc_lo :: v_dual_cndmask_b32 v5, v10, v5, vcc_lo
	s_delay_alu instid0(VALU_DEP_2) | instskip(NEXT) | instid1(VALU_DEP_2)
	v_and_b32_e32 v1, 0x80000000, v1
	v_lshlrev_b32_e32 v3, 20, v3
	s_delay_alu instid0(VALU_DEP_3) | instskip(NEXT) | instid1(VALU_DEP_1)
	v_lshl_add_u32 v4, v5, 23, 0x3b800000
	v_or3_b32 v1, v1, v4, v3
	s_delay_alu instid0(VALU_DEP_1)
	v_cvt_i32_f32_e32 v4, v1
.LBB15_80:
	s_or_b32 exec_lo, exec_lo, s38
.LBB15_81:
	s_mov_b32 s38, -1
.LBB15_82:
	s_branch .LBB15_115
.LBB15_83:
	s_cmp_gt_i32 s25, 22
	s_cbranch_scc0 .LBB15_91
; %bb.84:
	s_cmp_lt_i32 s25, 24
	s_cbranch_scc1 .LBB15_94
; %bb.85:
	s_cmp_gt_i32 s25, 24
	s_cbranch_scc0 .LBB15_95
; %bb.86:
	global_load_u8 v1, v[8:9], off
	s_mov_b32 s39, 0
	s_mov_b32 s38, exec_lo
	s_wait_loadcnt 0x0
	v_cmpx_lt_i16_e32 0x7f, v1
	s_xor_b32 s38, exec_lo, s38
	s_cbranch_execz .LBB15_107
; %bb.87:
	v_cmp_ne_u16_e32 vcc_lo, 0x80, v1
	s_and_b32 s39, vcc_lo, exec_lo
	s_and_not1_saveexec_b32 s38, s38
	s_cbranch_execnz .LBB15_108
.LBB15_88:
	s_or_b32 exec_lo, exec_lo, s38
	v_mov_b32_e32 v4, 0
	s_and_saveexec_b32 s38, s39
	s_cbranch_execz .LBB15_90
.LBB15_89:
	v_and_b32_e32 v3, 0xffff, v1
	s_delay_alu instid0(VALU_DEP_1) | instskip(SKIP_1) | instid1(VALU_DEP_2)
	v_and_b32_e32 v4, 3, v3
	v_bfe_u32 v10, v3, 2, 5
	v_clz_i32_u32_e32 v5, v4
	s_delay_alu instid0(VALU_DEP_2) | instskip(NEXT) | instid1(VALU_DEP_2)
	v_cmp_eq_u32_e32 vcc_lo, 0, v10
	v_min_u32_e32 v5, 32, v5
	s_delay_alu instid0(VALU_DEP_1) | instskip(NEXT) | instid1(VALU_DEP_1)
	v_subrev_nc_u32_e32 v7, 29, v5
	v_dual_lshlrev_b32 v3, v7, v3 :: v_dual_sub_nc_u32 v5, 30, v5
	s_delay_alu instid0(VALU_DEP_1) | instskip(NEXT) | instid1(VALU_DEP_1)
	v_dual_lshlrev_b32 v1, 24, v1 :: v_dual_bitop2_b32 v3, 3, v3 bitop3:0x40
	v_dual_cndmask_b32 v3, v4, v3, vcc_lo :: v_dual_cndmask_b32 v5, v10, v5, vcc_lo
	s_delay_alu instid0(VALU_DEP_2) | instskip(NEXT) | instid1(VALU_DEP_2)
	v_and_b32_e32 v1, 0x80000000, v1
	v_lshlrev_b32_e32 v3, 21, v3
	s_delay_alu instid0(VALU_DEP_3) | instskip(NEXT) | instid1(VALU_DEP_1)
	v_lshl_add_u32 v4, v5, 23, 0x37800000
	v_or3_b32 v1, v1, v4, v3
	s_delay_alu instid0(VALU_DEP_1)
	v_cvt_i32_f32_e32 v4, v1
.LBB15_90:
	s_or_b32 exec_lo, exec_lo, s38
	s_mov_b32 s38, 0
	s_branch .LBB15_96
.LBB15_91:
	s_mov_b32 s39, -1
                                        ; implicit-def: $vgpr4
	s_branch .LBB15_102
.LBB15_92:
	s_and_not1_saveexec_b32 s38, s38
	s_cbranch_execz .LBB15_78
.LBB15_93:
	v_cmp_ne_u16_e32 vcc_lo, 0, v1
	s_and_not1_b32 s39, s39, exec_lo
	s_and_b32 s40, vcc_lo, exec_lo
	s_delay_alu instid0(SALU_CYCLE_1)
	s_or_b32 s39, s39, s40
	s_or_b32 exec_lo, exec_lo, s38
	v_mov_b32_e32 v4, 0
	s_and_saveexec_b32 s38, s39
	s_cbranch_execnz .LBB15_79
	s_branch .LBB15_80
.LBB15_94:
	s_mov_b32 s38, -1
                                        ; implicit-def: $vgpr4
	s_branch .LBB15_99
.LBB15_95:
	s_mov_b32 s38, -1
                                        ; implicit-def: $vgpr4
.LBB15_96:
	s_delay_alu instid0(SALU_CYCLE_1)
	s_and_b32 vcc_lo, exec_lo, s38
	s_cbranch_vccz .LBB15_98
; %bb.97:
	global_load_u8 v1, v[8:9], off
	s_wait_loadcnt 0x0
	v_lshlrev_b32_e32 v1, 24, v1
	s_delay_alu instid0(VALU_DEP_1) | instskip(NEXT) | instid1(VALU_DEP_1)
	v_and_b32_e32 v3, 0x7f000000, v1
	v_clz_i32_u32_e32 v4, v3
	v_add_nc_u32_e32 v7, 0x1000000, v3
	v_cmp_ne_u32_e32 vcc_lo, 0, v3
	s_delay_alu instid0(VALU_DEP_3) | instskip(NEXT) | instid1(VALU_DEP_1)
	v_min_u32_e32 v4, 32, v4
	v_sub_nc_u32_e64 v4, v4, 4 clamp
	s_delay_alu instid0(VALU_DEP_1) | instskip(NEXT) | instid1(VALU_DEP_1)
	v_dual_lshlrev_b32 v5, v4, v3 :: v_dual_lshlrev_b32 v4, 23, v4
	v_lshrrev_b32_e32 v5, 4, v5
	s_delay_alu instid0(VALU_DEP_1) | instskip(NEXT) | instid1(VALU_DEP_1)
	v_dual_sub_nc_u32 v4, v5, v4 :: v_dual_ashrrev_i32 v5, 8, v7
	v_add_nc_u32_e32 v4, 0x3c000000, v4
	s_delay_alu instid0(VALU_DEP_1) | instskip(NEXT) | instid1(VALU_DEP_1)
	v_and_or_b32 v4, 0x7f800000, v5, v4
	v_cndmask_b32_e32 v3, 0, v4, vcc_lo
	s_delay_alu instid0(VALU_DEP_1) | instskip(NEXT) | instid1(VALU_DEP_1)
	v_and_or_b32 v1, 0x80000000, v1, v3
	v_cvt_i32_f32_e32 v4, v1
.LBB15_98:
	s_mov_b32 s38, 0
.LBB15_99:
	s_delay_alu instid0(SALU_CYCLE_1)
	s_and_not1_b32 vcc_lo, exec_lo, s38
	s_cbranch_vccnz .LBB15_101
; %bb.100:
	global_load_u8 v1, v[8:9], off
	s_wait_loadcnt 0x0
	v_lshlrev_b32_e32 v3, 25, v1
	v_lshlrev_b16 v1, 8, v1
	s_delay_alu instid0(VALU_DEP_1) | instskip(NEXT) | instid1(VALU_DEP_3)
	v_and_or_b32 v5, 0x7f00, v1, 0.5
	v_lshrrev_b32_e32 v4, 4, v3
	v_bfe_i32 v1, v1, 0, 16
	s_delay_alu instid0(VALU_DEP_3) | instskip(NEXT) | instid1(VALU_DEP_3)
	v_add_f32_e32 v5, -0.5, v5
	v_or_b32_e32 v4, 0x70000000, v4
	s_delay_alu instid0(VALU_DEP_1) | instskip(SKIP_1) | instid1(VALU_DEP_2)
	v_mul_f32_e32 v4, 0x7800000, v4
	v_cmp_gt_u32_e32 vcc_lo, 0x8000000, v3
	v_cndmask_b32_e32 v3, v4, v5, vcc_lo
	s_delay_alu instid0(VALU_DEP_1) | instskip(NEXT) | instid1(VALU_DEP_1)
	v_and_or_b32 v1, 0x80000000, v1, v3
	v_cvt_i32_f32_e32 v4, v1
.LBB15_101:
	s_mov_b32 s39, 0
	s_mov_b32 s38, -1
.LBB15_102:
	s_and_not1_b32 vcc_lo, exec_lo, s39
	s_cbranch_vccnz .LBB15_115
; %bb.103:
	s_cmp_gt_i32 s25, 14
	s_cbranch_scc0 .LBB15_106
; %bb.104:
	s_cmp_eq_u32 s25, 15
	s_cbranch_scc0 .LBB15_109
; %bb.105:
	global_load_u16 v1, v[8:9], off
	s_mov_b32 s38, -1
	s_mov_b32 s24, 0
	s_wait_loadcnt 0x0
	v_lshlrev_b32_e32 v1, 16, v1
	s_delay_alu instid0(VALU_DEP_1)
	v_cvt_i32_f32_e32 v4, v1
	s_branch .LBB15_110
.LBB15_106:
	s_mov_b32 s39, -1
                                        ; implicit-def: $vgpr4
	s_branch .LBB15_111
.LBB15_107:
	s_and_not1_saveexec_b32 s38, s38
	s_cbranch_execz .LBB15_88
.LBB15_108:
	v_cmp_ne_u16_e32 vcc_lo, 0, v1
	s_and_not1_b32 s39, s39, exec_lo
	s_and_b32 s40, vcc_lo, exec_lo
	s_delay_alu instid0(SALU_CYCLE_1)
	s_or_b32 s39, s39, s40
	s_or_b32 exec_lo, exec_lo, s38
	v_mov_b32_e32 v4, 0
	s_and_saveexec_b32 s38, s39
	s_cbranch_execnz .LBB15_89
	s_branch .LBB15_90
.LBB15_109:
	s_mov_b32 s24, -1
                                        ; implicit-def: $vgpr4
.LBB15_110:
	s_mov_b32 s39, 0
.LBB15_111:
	s_delay_alu instid0(SALU_CYCLE_1)
	s_and_b32 vcc_lo, exec_lo, s39
	s_cbranch_vccz .LBB15_115
; %bb.112:
	s_cmp_eq_u32 s25, 11
	s_cbranch_scc0 .LBB15_114
; %bb.113:
	global_load_u8 v1, v[8:9], off
	s_mov_b32 s24, 0
	s_mov_b32 s38, -1
	s_wait_loadcnt 0x0
	v_cmp_ne_u16_e32 vcc_lo, 0, v1
	v_cndmask_b32_e64 v4, 0, 1, vcc_lo
	s_branch .LBB15_115
.LBB15_114:
	s_mov_b32 s24, -1
                                        ; implicit-def: $vgpr4
.LBB15_115:
	s_branch .LBB15_21
.LBB15_116:
	s_and_b32 s0, 0xffff, s0
	s_delay_alu instid0(SALU_CYCLE_1)
	s_cmp_lt_i32 s0, 5
	s_cbranch_scc1 .LBB15_121
; %bb.117:
	s_cmp_lt_i32 s0, 8
	s_cbranch_scc1 .LBB15_122
; %bb.118:
	;; [unrolled: 3-line block ×3, first 2 shown]
	s_cmp_gt_i32 s0, 9
	s_cbranch_scc0 .LBB15_124
; %bb.120:
	s_wait_loadcnt 0x0
	global_load_b64 v[4:5], v[8:9], off
	s_mov_b32 s25, 0
	s_wait_loadcnt 0x0
	v_cvt_i32_f64_e32 v4, v[4:5]
	s_branch .LBB15_125
.LBB15_121:
                                        ; implicit-def: $vgpr4
	s_branch .LBB15_143
.LBB15_122:
	s_mov_b32 s25, -1
                                        ; implicit-def: $vgpr4
	s_branch .LBB15_131
.LBB15_123:
	s_mov_b32 s25, -1
                                        ; implicit-def: $vgpr4
	s_branch .LBB15_128
.LBB15_124:
	s_mov_b32 s25, -1
                                        ; implicit-def: $vgpr4
.LBB15_125:
	s_delay_alu instid0(SALU_CYCLE_1)
	s_and_not1_b32 vcc_lo, exec_lo, s25
	s_cbranch_vccnz .LBB15_127
; %bb.126:
	global_load_b32 v1, v[8:9], off
	s_wait_loadcnt 0x0
	v_cvt_i32_f32_e32 v4, v1
.LBB15_127:
	s_mov_b32 s25, 0
.LBB15_128:
	s_delay_alu instid0(SALU_CYCLE_1)
	s_and_not1_b32 vcc_lo, exec_lo, s25
	s_cbranch_vccnz .LBB15_130
; %bb.129:
	global_load_b32 v1, v[8:9], off
	s_wait_loadcnt 0x0
	v_cvt_i16_f16_e32 v4, v1
.LBB15_130:
	s_mov_b32 s25, 0
.LBB15_131:
	s_delay_alu instid0(SALU_CYCLE_1)
	s_and_not1_b32 vcc_lo, exec_lo, s25
	s_cbranch_vccnz .LBB15_142
; %bb.132:
	s_cmp_lt_i32 s0, 6
	s_cbranch_scc1 .LBB15_135
; %bb.133:
	s_cmp_gt_i32 s0, 6
	s_cbranch_scc0 .LBB15_136
; %bb.134:
	s_wait_loadcnt 0x0
	global_load_b64 v[4:5], v[8:9], off
	s_mov_b32 s25, 0
	s_wait_loadcnt 0x0
	v_cvt_i32_f64_e32 v4, v[4:5]
	s_branch .LBB15_137
.LBB15_135:
	s_mov_b32 s25, -1
                                        ; implicit-def: $vgpr4
	s_branch .LBB15_140
.LBB15_136:
	s_mov_b32 s25, -1
                                        ; implicit-def: $vgpr4
.LBB15_137:
	s_delay_alu instid0(SALU_CYCLE_1)
	s_and_not1_b32 vcc_lo, exec_lo, s25
	s_cbranch_vccnz .LBB15_139
; %bb.138:
	global_load_b32 v1, v[8:9], off
	s_wait_loadcnt 0x0
	v_cvt_i32_f32_e32 v4, v1
.LBB15_139:
	s_mov_b32 s25, 0
.LBB15_140:
	s_delay_alu instid0(SALU_CYCLE_1)
	s_and_not1_b32 vcc_lo, exec_lo, s25
	s_cbranch_vccnz .LBB15_142
; %bb.141:
	global_load_u16 v1, v[8:9], off
	s_wait_loadcnt 0x0
	v_cvt_i16_f16_e32 v4, v1
.LBB15_142:
	s_cbranch_execnz .LBB15_162
.LBB15_143:
	s_cmp_lt_i32 s0, 2
	s_cbranch_scc1 .LBB15_147
; %bb.144:
	s_cmp_lt_i32 s0, 3
	s_cbranch_scc1 .LBB15_148
; %bb.145:
	s_cmp_gt_i32 s0, 3
	s_cbranch_scc0 .LBB15_149
; %bb.146:
	s_wait_loadcnt 0x0
	global_load_b64 v[4:5], v[8:9], off
	s_mov_b32 s25, 0
	s_branch .LBB15_150
.LBB15_147:
	s_mov_b32 s25, -1
                                        ; implicit-def: $vgpr4
	s_branch .LBB15_156
.LBB15_148:
	s_mov_b32 s25, -1
                                        ; implicit-def: $vgpr4
	s_branch .LBB15_153
.LBB15_149:
	s_mov_b32 s25, -1
                                        ; implicit-def: $vgpr4
.LBB15_150:
	s_delay_alu instid0(SALU_CYCLE_1)
	s_and_not1_b32 vcc_lo, exec_lo, s25
	s_cbranch_vccnz .LBB15_152
; %bb.151:
	s_wait_loadcnt 0x0
	global_load_b32 v4, v[8:9], off
.LBB15_152:
	s_mov_b32 s25, 0
.LBB15_153:
	s_delay_alu instid0(SALU_CYCLE_1)
	s_and_not1_b32 vcc_lo, exec_lo, s25
	s_cbranch_vccnz .LBB15_155
; %bb.154:
	s_wait_loadcnt 0x0
	global_load_u16 v4, v[8:9], off
.LBB15_155:
	s_mov_b32 s25, 0
.LBB15_156:
	s_delay_alu instid0(SALU_CYCLE_1)
	s_and_not1_b32 vcc_lo, exec_lo, s25
	s_cbranch_vccnz .LBB15_162
; %bb.157:
	s_cmp_gt_i32 s0, 0
	s_mov_b32 s0, 0
	s_cbranch_scc0 .LBB15_159
; %bb.158:
	s_wait_loadcnt 0x0
	global_load_u8 v4, v[8:9], off
	s_branch .LBB15_160
.LBB15_159:
	s_mov_b32 s0, -1
                                        ; implicit-def: $vgpr4
.LBB15_160:
	s_delay_alu instid0(SALU_CYCLE_1)
	s_and_not1_b32 vcc_lo, exec_lo, s0
	s_cbranch_vccnz .LBB15_162
; %bb.161:
	s_wait_loadcnt 0x0
	global_load_u8 v4, v[8:9], off
.LBB15_162:
	s_branch .LBB15_22
.LBB15_163:
	s_mov_b32 s0, 0
	s_mov_b32 s25, 0
	s_branch .LBB15_387
.LBB15_164:
	s_mov_b32 s25, -1
.LBB15_165:
	s_mov_b32 s39, 0
                                        ; implicit-def: $vgpr8
.LBB15_166:
	s_and_b32 vcc_lo, exec_lo, s40
	s_cbranch_vccz .LBB15_281
; %bb.167:
	s_cmp_eq_u32 s38, 44
	s_cbranch_scc0 .LBB15_280
; %bb.168:
	global_load_u8 v1, v[6:7], off
	s_mov_b32 s25, 0
	s_mov_b32 s39, -1
	s_wait_loadcnt 0x0
	v_lshlrev_b32_e32 v3, 23, v1
	v_cmp_ne_u32_e32 vcc_lo, 0, v1
	s_delay_alu instid0(VALU_DEP_2) | instskip(NEXT) | instid1(VALU_DEP_1)
	v_cvt_i32_f32_e32 v3, v3
	v_cndmask_b32_e32 v8, 0, v3, vcc_lo
	s_branch .LBB15_281
.LBB15_169:
	s_mov_b32 s42, -1
	s_mov_b32 s0, 0
	s_mov_b32 s40, 0
.LBB15_170:
	s_and_b32 vcc_lo, exec_lo, s42
	s_cbranch_vccz .LBB15_175
; %bb.171:
	s_cmp_eq_u32 s39, 44
	s_mov_b32 s0, -1
	s_cbranch_scc0 .LBB15_175
; %bb.172:
	s_wait_xcnt 0x0
	v_bfe_i32 v4, v1, 0, 8
	v_mov_b32_e32 v5, 0xff
	s_mov_b32 s40, exec_lo
	s_delay_alu instid0(VALU_DEP_2) | instskip(NEXT) | instid1(VALU_DEP_1)
	v_bfe_i32 v4, v4, 0, 16
	v_cvt_f32_i32_e32 v4, v4
	s_delay_alu instid0(VALU_DEP_1) | instskip(NEXT) | instid1(VALU_DEP_1)
	v_bfe_u32 v6, v4, 23, 8
	v_cmpx_ne_u32_e32 0xff, v6
	s_cbranch_execz .LBB15_174
; %bb.173:
	v_and_b32_e32 v5, 0x400000, v4
	v_and_or_b32 v6, 0x3fffff, v4, v6
	v_lshrrev_b32_e32 v4, 23, v4
	s_delay_alu instid0(VALU_DEP_3) | instskip(NEXT) | instid1(VALU_DEP_3)
	v_cmp_ne_u32_e32 vcc_lo, 0, v5
	v_cmp_ne_u32_e64 s0, 0, v6
	s_and_b32 s0, vcc_lo, s0
	s_delay_alu instid0(SALU_CYCLE_1) | instskip(NEXT) | instid1(VALU_DEP_1)
	v_cndmask_b32_e64 v5, 0, 1, s0
	v_add_nc_u32_e32 v5, v4, v5
.LBB15_174:
	s_or_b32 exec_lo, exec_lo, s40
	s_mov_b32 s40, -1
	s_mov_b32 s0, 0
	global_store_b8 v[2:3], v5, off
.LBB15_175:
	s_mov_b32 s42, 0
.LBB15_176:
	s_delay_alu instid0(SALU_CYCLE_1)
	s_and_b32 vcc_lo, exec_lo, s42
	s_cbranch_vccz .LBB15_179
; %bb.177:
	s_cmp_eq_u32 s39, 29
	s_mov_b32 s0, -1
	s_cbranch_scc0 .LBB15_179
; %bb.178:
	s_wait_xcnt 0x0
	v_bfe_i32 v4, v1, 0, 8
	s_mov_b32 s40, -1
	s_mov_b32 s0, 0
	s_mov_b32 s42, 0
	s_delay_alu instid0(VALU_DEP_1)
	v_ashrrev_i32_e32 v5, 31, v4
	global_store_b64 v[2:3], v[4:5], off
	s_branch .LBB15_180
.LBB15_179:
	s_mov_b32 s42, 0
.LBB15_180:
	s_delay_alu instid0(SALU_CYCLE_1)
	s_and_b32 vcc_lo, exec_lo, s42
	s_cbranch_vccz .LBB15_196
; %bb.181:
	s_cmp_lt_i32 s39, 27
	s_mov_b32 s40, -1
	s_cbranch_scc1 .LBB15_187
; %bb.182:
	s_cmp_gt_i32 s39, 27
	s_cbranch_scc0 .LBB15_184
; %bb.183:
	s_wait_xcnt 0x0
	v_bfe_i32 v4, v1, 0, 8
	s_mov_b32 s40, 0
	global_store_b32 v[2:3], v4, off
.LBB15_184:
	s_and_not1_b32 vcc_lo, exec_lo, s40
	s_cbranch_vccnz .LBB15_186
; %bb.185:
	s_wait_xcnt 0x0
	v_bfe_i32 v4, v1, 0, 8
	global_store_b16 v[2:3], v4, off
.LBB15_186:
	s_mov_b32 s40, 0
.LBB15_187:
	s_delay_alu instid0(SALU_CYCLE_1)
	s_and_not1_b32 vcc_lo, exec_lo, s40
	s_cbranch_vccnz .LBB15_195
; %bb.188:
	s_wait_xcnt 0x0
	v_bfe_i32 v4, v1, 0, 8
	v_mov_b32_e32 v6, 0x80
	s_mov_b32 s40, exec_lo
	s_delay_alu instid0(VALU_DEP_2) | instskip(NEXT) | instid1(VALU_DEP_1)
	v_bfe_i32 v4, v4, 0, 16
	v_cvt_f32_i32_e32 v4, v4
	s_delay_alu instid0(VALU_DEP_1) | instskip(NEXT) | instid1(VALU_DEP_1)
	v_and_b32_e32 v5, 0x7fffffff, v4
	v_cmpx_gt_u32_e32 0x43800000, v5
	s_cbranch_execz .LBB15_194
; %bb.189:
	v_cmp_lt_u32_e32 vcc_lo, 0x3bffffff, v5
	s_mov_b32 s42, 0
                                        ; implicit-def: $vgpr5
	s_and_saveexec_b32 s43, vcc_lo
	s_delay_alu instid0(SALU_CYCLE_1)
	s_xor_b32 s43, exec_lo, s43
	s_cbranch_execz .LBB15_429
; %bb.190:
	v_bfe_u32 v5, v4, 20, 1
	s_mov_b32 s42, exec_lo
	s_delay_alu instid0(VALU_DEP_1) | instskip(NEXT) | instid1(VALU_DEP_1)
	v_add3_u32 v5, v4, v5, 0x487ffff
	v_lshrrev_b32_e32 v5, 20, v5
	s_and_not1_saveexec_b32 s43, s43
	s_cbranch_execnz .LBB15_430
.LBB15_191:
	s_or_b32 exec_lo, exec_lo, s43
	v_mov_b32_e32 v6, 0
	s_and_saveexec_b32 s43, s42
.LBB15_192:
	v_lshrrev_b32_e32 v4, 24, v4
	s_delay_alu instid0(VALU_DEP_1)
	v_and_or_b32 v6, 0x80, v4, v5
.LBB15_193:
	s_or_b32 exec_lo, exec_lo, s43
.LBB15_194:
	s_delay_alu instid0(SALU_CYCLE_1)
	s_or_b32 exec_lo, exec_lo, s40
	global_store_b8 v[2:3], v6, off
.LBB15_195:
	s_mov_b32 s40, -1
.LBB15_196:
	s_mov_b32 s42, 0
.LBB15_197:
	s_delay_alu instid0(SALU_CYCLE_1)
	s_and_b32 vcc_lo, exec_lo, s42
	s_cbranch_vccz .LBB15_238
; %bb.198:
	s_cmp_gt_i32 s39, 22
	s_mov_b32 s42, -1
	s_cbranch_scc0 .LBB15_230
; %bb.199:
	s_cmp_lt_i32 s39, 24
	s_mov_b32 s40, -1
	s_cbranch_scc1 .LBB15_219
; %bb.200:
	s_cmp_gt_i32 s39, 24
	s_cbranch_scc0 .LBB15_208
; %bb.201:
	s_wait_xcnt 0x0
	v_bfe_i32 v4, v1, 0, 8
	v_mov_b32_e32 v6, 0x80
	s_mov_b32 s40, exec_lo
	s_delay_alu instid0(VALU_DEP_2) | instskip(NEXT) | instid1(VALU_DEP_1)
	v_bfe_i32 v4, v4, 0, 16
	v_cvt_f32_i32_e32 v4, v4
	s_delay_alu instid0(VALU_DEP_1) | instskip(NEXT) | instid1(VALU_DEP_1)
	v_and_b32_e32 v5, 0x7fffffff, v4
	v_cmpx_gt_u32_e32 0x47800000, v5
	s_cbranch_execz .LBB15_207
; %bb.202:
	v_cmp_lt_u32_e32 vcc_lo, 0x37ffffff, v5
	s_mov_b32 s42, 0
                                        ; implicit-def: $vgpr5
	s_and_saveexec_b32 s43, vcc_lo
	s_delay_alu instid0(SALU_CYCLE_1)
	s_xor_b32 s43, exec_lo, s43
	s_cbranch_execz .LBB15_544
; %bb.203:
	v_bfe_u32 v5, v4, 21, 1
	s_mov_b32 s42, exec_lo
	s_delay_alu instid0(VALU_DEP_1) | instskip(NEXT) | instid1(VALU_DEP_1)
	v_add3_u32 v5, v4, v5, 0x88fffff
	v_lshrrev_b32_e32 v5, 21, v5
	s_and_not1_saveexec_b32 s43, s43
	s_cbranch_execnz .LBB15_545
.LBB15_204:
	s_or_b32 exec_lo, exec_lo, s43
	v_mov_b32_e32 v6, 0
	s_and_saveexec_b32 s43, s42
.LBB15_205:
	v_lshrrev_b32_e32 v4, 24, v4
	s_delay_alu instid0(VALU_DEP_1)
	v_and_or_b32 v6, 0x80, v4, v5
.LBB15_206:
	s_or_b32 exec_lo, exec_lo, s43
.LBB15_207:
	s_delay_alu instid0(SALU_CYCLE_1)
	s_or_b32 exec_lo, exec_lo, s40
	s_mov_b32 s40, 0
	global_store_b8 v[2:3], v6, off
.LBB15_208:
	s_and_b32 vcc_lo, exec_lo, s40
	s_cbranch_vccz .LBB15_218
; %bb.209:
	s_wait_xcnt 0x0
	v_bfe_i32 v4, v1, 0, 8
	s_mov_b32 s40, exec_lo
                                        ; implicit-def: $vgpr5
	s_delay_alu instid0(VALU_DEP_1) | instskip(NEXT) | instid1(VALU_DEP_1)
	v_bfe_i32 v4, v4, 0, 16
	v_cvt_f32_i32_e32 v4, v4
	s_delay_alu instid0(VALU_DEP_1) | instskip(NEXT) | instid1(VALU_DEP_1)
	v_and_b32_e32 v6, 0x7fffffff, v4
	v_cmpx_gt_u32_e32 0x43f00000, v6
	s_xor_b32 s40, exec_lo, s40
	s_cbranch_execz .LBB15_215
; %bb.210:
	s_mov_b32 s42, exec_lo
                                        ; implicit-def: $vgpr5
	v_cmpx_lt_u32_e32 0x3c7fffff, v6
	s_xor_b32 s42, exec_lo, s42
; %bb.211:
	v_bfe_u32 v5, v4, 20, 1
	s_delay_alu instid0(VALU_DEP_1) | instskip(NEXT) | instid1(VALU_DEP_1)
	v_add3_u32 v5, v4, v5, 0x407ffff
	v_and_b32_e32 v6, 0xff00000, v5
	v_lshrrev_b32_e32 v5, 20, v5
	s_delay_alu instid0(VALU_DEP_2) | instskip(NEXT) | instid1(VALU_DEP_2)
	v_cmp_ne_u32_e32 vcc_lo, 0x7f00000, v6
	v_cndmask_b32_e32 v5, 0x7e, v5, vcc_lo
; %bb.212:
	s_and_not1_saveexec_b32 s42, s42
; %bb.213:
	v_add_f32_e64 v5, 0x46800000, |v4|
; %bb.214:
	s_or_b32 exec_lo, exec_lo, s42
                                        ; implicit-def: $vgpr6
.LBB15_215:
	s_and_not1_saveexec_b32 s40, s40
; %bb.216:
	v_mov_b32_e32 v5, 0x7f
	v_cmp_lt_u32_e32 vcc_lo, 0x7f800000, v6
	s_delay_alu instid0(VALU_DEP_2)
	v_cndmask_b32_e32 v5, 0x7e, v5, vcc_lo
; %bb.217:
	s_or_b32 exec_lo, exec_lo, s40
	v_lshrrev_b32_e32 v4, 24, v4
	s_delay_alu instid0(VALU_DEP_1)
	v_and_or_b32 v4, 0x80, v4, v5
	global_store_b8 v[2:3], v4, off
.LBB15_218:
	s_mov_b32 s40, 0
.LBB15_219:
	s_delay_alu instid0(SALU_CYCLE_1)
	s_and_not1_b32 vcc_lo, exec_lo, s40
	s_cbranch_vccnz .LBB15_229
; %bb.220:
	s_wait_xcnt 0x0
	v_bfe_i32 v4, v1, 0, 8
	s_mov_b32 s40, exec_lo
                                        ; implicit-def: $vgpr5
	s_delay_alu instid0(VALU_DEP_1) | instskip(NEXT) | instid1(VALU_DEP_1)
	v_bfe_i32 v4, v4, 0, 16
	v_cvt_f32_i32_e32 v4, v4
	s_delay_alu instid0(VALU_DEP_1) | instskip(NEXT) | instid1(VALU_DEP_1)
	v_and_b32_e32 v6, 0x7fffffff, v4
	v_cmpx_gt_u32_e32 0x47800000, v6
	s_xor_b32 s40, exec_lo, s40
	s_cbranch_execz .LBB15_226
; %bb.221:
	s_mov_b32 s42, exec_lo
                                        ; implicit-def: $vgpr5
	v_cmpx_lt_u32_e32 0x387fffff, v6
	s_xor_b32 s42, exec_lo, s42
; %bb.222:
	v_bfe_u32 v5, v4, 21, 1
	s_delay_alu instid0(VALU_DEP_1) | instskip(NEXT) | instid1(VALU_DEP_1)
	v_add3_u32 v5, v4, v5, 0x80fffff
	v_lshrrev_b32_e32 v5, 21, v5
; %bb.223:
	s_and_not1_saveexec_b32 s42, s42
; %bb.224:
	v_add_f32_e64 v5, 0x43000000, |v4|
; %bb.225:
	s_or_b32 exec_lo, exec_lo, s42
                                        ; implicit-def: $vgpr6
.LBB15_226:
	s_and_not1_saveexec_b32 s40, s40
; %bb.227:
	v_mov_b32_e32 v5, 0x7f
	v_cmp_lt_u32_e32 vcc_lo, 0x7f800000, v6
	s_delay_alu instid0(VALU_DEP_2)
	v_cndmask_b32_e32 v5, 0x7c, v5, vcc_lo
; %bb.228:
	s_or_b32 exec_lo, exec_lo, s40
	v_lshrrev_b32_e32 v4, 24, v4
	s_delay_alu instid0(VALU_DEP_1)
	v_and_or_b32 v4, 0x80, v4, v5
	global_store_b8 v[2:3], v4, off
.LBB15_229:
	s_mov_b32 s42, 0
	s_mov_b32 s40, -1
.LBB15_230:
	s_and_not1_b32 vcc_lo, exec_lo, s42
	s_cbranch_vccnz .LBB15_238
; %bb.231:
	s_cmp_gt_i32 s39, 14
	s_mov_b32 s42, -1
	s_cbranch_scc0 .LBB15_235
; %bb.232:
	s_cmp_eq_u32 s39, 15
	s_mov_b32 s0, -1
	s_cbranch_scc0 .LBB15_234
; %bb.233:
	s_wait_xcnt 0x0
	v_bfe_i32 v4, v1, 0, 8
	s_mov_b32 s40, -1
	s_mov_b32 s0, 0
	s_delay_alu instid0(VALU_DEP_1) | instskip(NEXT) | instid1(VALU_DEP_1)
	v_bfe_i32 v4, v4, 0, 16
	v_cvt_f32_i32_e32 v4, v4
	s_delay_alu instid0(VALU_DEP_1) | instskip(NEXT) | instid1(VALU_DEP_1)
	v_bfe_u32 v5, v4, 16, 1
	v_add3_u32 v4, v4, v5, 0x7fff
	global_store_d16_hi_b16 v[2:3], v4, off
.LBB15_234:
	s_mov_b32 s42, 0
.LBB15_235:
	s_delay_alu instid0(SALU_CYCLE_1)
	s_and_b32 vcc_lo, exec_lo, s42
	s_cbranch_vccz .LBB15_238
; %bb.236:
	s_cmp_eq_u32 s39, 11
	s_mov_b32 s0, -1
	s_cbranch_scc0 .LBB15_238
; %bb.237:
	s_wait_xcnt 0x0
	v_and_b32_e32 v4, 0xff, v1
	s_mov_b32 s0, 0
	s_mov_b32 s40, -1
	s_delay_alu instid0(VALU_DEP_1)
	v_cmp_ne_u16_e32 vcc_lo, 0, v4
	v_cndmask_b32_e64 v4, 0, 1, vcc_lo
	global_store_b8 v[2:3], v4, off
.LBB15_238:
	s_mov_b32 s39, 0
.LBB15_239:
	s_delay_alu instid0(SALU_CYCLE_1)
	s_and_b32 vcc_lo, exec_lo, s39
	s_cbranch_vccz .LBB15_278
; %bb.240:
	s_and_b32 s38, 0xffff, s38
	s_mov_b32 s39, -1
	s_cmp_lt_i32 s38, 5
	s_cbranch_scc1 .LBB15_261
; %bb.241:
	s_cmp_lt_i32 s38, 8
	s_cbranch_scc1 .LBB15_251
; %bb.242:
	;; [unrolled: 3-line block ×3, first 2 shown]
	s_cmp_gt_i32 s38, 9
	s_cbranch_scc0 .LBB15_245
; %bb.244:
	s_wait_xcnt 0x0
	v_bfe_i32 v4, v1, 0, 8
	v_mov_b32_e32 v6, 0
	s_mov_b32 s39, 0
	s_delay_alu instid0(VALU_DEP_2) | instskip(NEXT) | instid1(VALU_DEP_2)
	v_bfe_i32 v4, v4, 0, 16
	v_mov_b32_e32 v7, v6
	s_delay_alu instid0(VALU_DEP_2)
	v_cvt_f64_i32_e32 v[4:5], v4
	global_store_b128 v[2:3], v[4:7], off
.LBB15_245:
	s_and_not1_b32 vcc_lo, exec_lo, s39
	s_cbranch_vccnz .LBB15_247
; %bb.246:
	s_wait_xcnt 0x0
	v_bfe_i32 v4, v1, 0, 8
	v_mov_b32_e32 v5, 0
	s_delay_alu instid0(VALU_DEP_2) | instskip(NEXT) | instid1(VALU_DEP_1)
	v_bfe_i32 v4, v4, 0, 16
	v_cvt_f32_i32_e32 v4, v4
	global_store_b64 v[2:3], v[4:5], off
.LBB15_247:
	s_mov_b32 s39, 0
.LBB15_248:
	s_delay_alu instid0(SALU_CYCLE_1)
	s_and_not1_b32 vcc_lo, exec_lo, s39
	s_cbranch_vccnz .LBB15_250
; %bb.249:
	s_wait_xcnt 0x0
	v_bfe_i32 v4, v1, 0, 8
	s_delay_alu instid0(VALU_DEP_1) | instskip(NEXT) | instid1(VALU_DEP_1)
	v_cvt_f16_i16_e32 v4, v4
	v_and_b32_e32 v4, 0xffff, v4
	global_store_b32 v[2:3], v4, off
.LBB15_250:
	s_mov_b32 s39, 0
.LBB15_251:
	s_delay_alu instid0(SALU_CYCLE_1)
	s_and_not1_b32 vcc_lo, exec_lo, s39
	s_cbranch_vccnz .LBB15_260
; %bb.252:
	s_cmp_lt_i32 s38, 6
	s_mov_b32 s39, -1
	s_cbranch_scc1 .LBB15_258
; %bb.253:
	s_cmp_gt_i32 s38, 6
	s_cbranch_scc0 .LBB15_255
; %bb.254:
	s_wait_xcnt 0x0
	v_bfe_i32 v4, v1, 0, 8
	s_mov_b32 s39, 0
	s_delay_alu instid0(VALU_DEP_1) | instskip(NEXT) | instid1(VALU_DEP_1)
	v_bfe_i32 v4, v4, 0, 16
	v_cvt_f64_i32_e32 v[4:5], v4
	global_store_b64 v[2:3], v[4:5], off
.LBB15_255:
	s_and_not1_b32 vcc_lo, exec_lo, s39
	s_cbranch_vccnz .LBB15_257
; %bb.256:
	s_wait_xcnt 0x0
	v_bfe_i32 v4, v1, 0, 8
	s_delay_alu instid0(VALU_DEP_1) | instskip(NEXT) | instid1(VALU_DEP_1)
	v_bfe_i32 v4, v4, 0, 16
	v_cvt_f32_i32_e32 v4, v4
	global_store_b32 v[2:3], v4, off
.LBB15_257:
	s_mov_b32 s39, 0
.LBB15_258:
	s_delay_alu instid0(SALU_CYCLE_1)
	s_and_not1_b32 vcc_lo, exec_lo, s39
	s_cbranch_vccnz .LBB15_260
; %bb.259:
	s_wait_xcnt 0x0
	v_bfe_i32 v4, v1, 0, 8
	s_delay_alu instid0(VALU_DEP_1)
	v_cvt_f16_i16_e32 v4, v4
	global_store_b16 v[2:3], v4, off
.LBB15_260:
	s_mov_b32 s39, 0
.LBB15_261:
	s_delay_alu instid0(SALU_CYCLE_1)
	s_and_not1_b32 vcc_lo, exec_lo, s39
	s_cbranch_vccnz .LBB15_277
; %bb.262:
	s_cmp_lt_i32 s38, 2
	s_mov_b32 s39, -1
	s_cbranch_scc1 .LBB15_272
; %bb.263:
	s_cmp_lt_i32 s38, 3
	s_cbranch_scc1 .LBB15_269
; %bb.264:
	s_cmp_gt_i32 s38, 3
	s_cbranch_scc0 .LBB15_266
; %bb.265:
	s_wait_xcnt 0x0
	v_bfe_i32 v4, v1, 0, 8
	s_mov_b32 s39, 0
	s_delay_alu instid0(VALU_DEP_1)
	v_ashrrev_i32_e32 v5, 31, v4
	global_store_b64 v[2:3], v[4:5], off
.LBB15_266:
	s_and_not1_b32 vcc_lo, exec_lo, s39
	s_cbranch_vccnz .LBB15_268
; %bb.267:
	s_wait_xcnt 0x0
	v_bfe_i32 v4, v1, 0, 8
	global_store_b32 v[2:3], v4, off
.LBB15_268:
	s_mov_b32 s39, 0
.LBB15_269:
	s_delay_alu instid0(SALU_CYCLE_1)
	s_and_not1_b32 vcc_lo, exec_lo, s39
	s_cbranch_vccnz .LBB15_271
; %bb.270:
	s_wait_xcnt 0x0
	v_bfe_i32 v4, v1, 0, 8
	global_store_b16 v[2:3], v4, off
.LBB15_271:
	s_mov_b32 s39, 0
.LBB15_272:
	s_delay_alu instid0(SALU_CYCLE_1)
	s_and_not1_b32 vcc_lo, exec_lo, s39
	s_cbranch_vccnz .LBB15_277
; %bb.273:
	s_cmp_gt_i32 s38, 0
	s_mov_b32 s38, -1
	s_cbranch_scc0 .LBB15_275
; %bb.274:
	s_mov_b32 s38, 0
	global_store_b8 v[2:3], v1, off
.LBB15_275:
	s_and_not1_b32 vcc_lo, exec_lo, s38
	s_cbranch_vccnz .LBB15_277
; %bb.276:
	global_store_b8 v[2:3], v1, off
.LBB15_277:
	s_mov_b32 s40, -1
.LBB15_278:
	s_delay_alu instid0(SALU_CYCLE_1)
	s_and_not1_b32 vcc_lo, exec_lo, s40
	s_cbranch_vccnz .LBB15_387
; %bb.279:
	v_add_nc_u32_e32 v0, 0x80, v0
	s_mov_b32 s42, -1
	s_branch .LBB15_388
.LBB15_280:
	s_mov_b32 s25, -1
                                        ; implicit-def: $vgpr8
.LBB15_281:
	s_mov_b32 s40, 0
.LBB15_282:
	s_delay_alu instid0(SALU_CYCLE_1)
	s_and_b32 vcc_lo, exec_lo, s40
	s_cbranch_vccz .LBB15_286
; %bb.283:
	s_cmp_eq_u32 s38, 29
	s_cbranch_scc0 .LBB15_285
; %bb.284:
	global_load_b64 v[8:9], v[6:7], off
	s_mov_b32 s39, -1
	s_mov_b32 s25, 0
	s_branch .LBB15_286
.LBB15_285:
	s_mov_b32 s25, -1
                                        ; implicit-def: $vgpr8
.LBB15_286:
	s_mov_b32 s40, 0
.LBB15_287:
	s_delay_alu instid0(SALU_CYCLE_1)
	s_and_b32 vcc_lo, exec_lo, s40
	s_cbranch_vccz .LBB15_303
; %bb.288:
	s_cmp_lt_i32 s38, 27
	s_cbranch_scc1 .LBB15_291
; %bb.289:
	s_cmp_gt_i32 s38, 27
	s_cbranch_scc0 .LBB15_292
; %bb.290:
	s_wait_loadcnt 0x0
	global_load_b32 v8, v[6:7], off
	s_mov_b32 s39, 0
	s_branch .LBB15_293
.LBB15_291:
	s_mov_b32 s39, -1
                                        ; implicit-def: $vgpr8
	s_branch .LBB15_296
.LBB15_292:
	s_mov_b32 s39, -1
                                        ; implicit-def: $vgpr8
.LBB15_293:
	s_delay_alu instid0(SALU_CYCLE_1)
	s_and_not1_b32 vcc_lo, exec_lo, s39
	s_cbranch_vccnz .LBB15_295
; %bb.294:
	s_wait_loadcnt 0x0
	global_load_u16 v8, v[6:7], off
.LBB15_295:
	s_mov_b32 s39, 0
.LBB15_296:
	s_delay_alu instid0(SALU_CYCLE_1)
	s_and_not1_b32 vcc_lo, exec_lo, s39
	s_cbranch_vccnz .LBB15_302
; %bb.297:
	global_load_u8 v1, v[6:7], off
	s_mov_b32 s40, 0
	s_mov_b32 s39, exec_lo
	s_wait_loadcnt 0x0
	v_cmpx_lt_i16_e32 0x7f, v1
	s_xor_b32 s39, exec_lo, s39
	s_cbranch_execz .LBB15_314
; %bb.298:
	v_cmp_ne_u16_e32 vcc_lo, 0x80, v1
	s_and_b32 s40, vcc_lo, exec_lo
	s_and_not1_saveexec_b32 s39, s39
	s_cbranch_execnz .LBB15_315
.LBB15_299:
	s_or_b32 exec_lo, exec_lo, s39
	v_mov_b32_e32 v8, 0
	s_and_saveexec_b32 s39, s40
	s_cbranch_execz .LBB15_301
.LBB15_300:
	v_and_b32_e32 v3, 0xffff, v1
	s_delay_alu instid0(VALU_DEP_1) | instskip(SKIP_1) | instid1(VALU_DEP_2)
	v_and_b32_e32 v5, 7, v3
	v_bfe_u32 v10, v3, 3, 4
	v_clz_i32_u32_e32 v8, v5
	s_delay_alu instid0(VALU_DEP_2) | instskip(NEXT) | instid1(VALU_DEP_2)
	v_cmp_eq_u32_e32 vcc_lo, 0, v10
	v_min_u32_e32 v8, 32, v8
	s_delay_alu instid0(VALU_DEP_1) | instskip(NEXT) | instid1(VALU_DEP_1)
	v_subrev_nc_u32_e32 v9, 28, v8
	v_dual_lshlrev_b32 v3, v9, v3 :: v_dual_sub_nc_u32 v8, 29, v8
	s_delay_alu instid0(VALU_DEP_1) | instskip(NEXT) | instid1(VALU_DEP_1)
	v_dual_lshlrev_b32 v1, 24, v1 :: v_dual_bitop2_b32 v3, 7, v3 bitop3:0x40
	v_dual_cndmask_b32 v8, v10, v8 :: v_dual_cndmask_b32 v3, v5, v3
	s_delay_alu instid0(VALU_DEP_2) | instskip(NEXT) | instid1(VALU_DEP_2)
	v_and_b32_e32 v1, 0x80000000, v1
	v_lshl_add_u32 v5, v8, 23, 0x3b800000
	s_delay_alu instid0(VALU_DEP_3) | instskip(NEXT) | instid1(VALU_DEP_1)
	v_lshlrev_b32_e32 v3, 20, v3
	v_or3_b32 v1, v1, v5, v3
	s_delay_alu instid0(VALU_DEP_1)
	v_cvt_i32_f32_e32 v8, v1
.LBB15_301:
	s_or_b32 exec_lo, exec_lo, s39
.LBB15_302:
	s_mov_b32 s39, -1
.LBB15_303:
	s_mov_b32 s40, 0
.LBB15_304:
	s_delay_alu instid0(SALU_CYCLE_1)
	s_and_b32 vcc_lo, exec_lo, s40
	s_cbranch_vccz .LBB15_337
; %bb.305:
	s_cmp_gt_i32 s38, 22
	s_cbranch_scc0 .LBB15_313
; %bb.306:
	s_cmp_lt_i32 s38, 24
	s_cbranch_scc1 .LBB15_316
; %bb.307:
	s_cmp_gt_i32 s38, 24
	s_cbranch_scc0 .LBB15_317
; %bb.308:
	global_load_u8 v1, v[6:7], off
	s_mov_b32 s40, 0
	s_mov_b32 s39, exec_lo
	s_wait_loadcnt 0x0
	v_cmpx_lt_i16_e32 0x7f, v1
	s_xor_b32 s39, exec_lo, s39
	s_cbranch_execz .LBB15_329
; %bb.309:
	v_cmp_ne_u16_e32 vcc_lo, 0x80, v1
	s_and_b32 s40, vcc_lo, exec_lo
	s_and_not1_saveexec_b32 s39, s39
	s_cbranch_execnz .LBB15_330
.LBB15_310:
	s_or_b32 exec_lo, exec_lo, s39
	v_mov_b32_e32 v8, 0
	s_and_saveexec_b32 s39, s40
	s_cbranch_execz .LBB15_312
.LBB15_311:
	v_and_b32_e32 v3, 0xffff, v1
	s_delay_alu instid0(VALU_DEP_1) | instskip(SKIP_1) | instid1(VALU_DEP_2)
	v_and_b32_e32 v5, 3, v3
	v_bfe_u32 v10, v3, 2, 5
	v_clz_i32_u32_e32 v8, v5
	s_delay_alu instid0(VALU_DEP_2) | instskip(NEXT) | instid1(VALU_DEP_2)
	v_cmp_eq_u32_e32 vcc_lo, 0, v10
	v_min_u32_e32 v8, 32, v8
	s_delay_alu instid0(VALU_DEP_1) | instskip(NEXT) | instid1(VALU_DEP_1)
	v_subrev_nc_u32_e32 v9, 29, v8
	v_dual_lshlrev_b32 v3, v9, v3 :: v_dual_sub_nc_u32 v8, 30, v8
	s_delay_alu instid0(VALU_DEP_1) | instskip(NEXT) | instid1(VALU_DEP_1)
	v_dual_lshlrev_b32 v1, 24, v1 :: v_dual_bitop2_b32 v3, 3, v3 bitop3:0x40
	v_dual_cndmask_b32 v8, v10, v8 :: v_dual_cndmask_b32 v3, v5, v3
	s_delay_alu instid0(VALU_DEP_2) | instskip(NEXT) | instid1(VALU_DEP_2)
	v_and_b32_e32 v1, 0x80000000, v1
	v_lshl_add_u32 v5, v8, 23, 0x37800000
	s_delay_alu instid0(VALU_DEP_3) | instskip(NEXT) | instid1(VALU_DEP_1)
	v_lshlrev_b32_e32 v3, 21, v3
	v_or3_b32 v1, v1, v5, v3
	s_delay_alu instid0(VALU_DEP_1)
	v_cvt_i32_f32_e32 v8, v1
.LBB15_312:
	s_or_b32 exec_lo, exec_lo, s39
	s_mov_b32 s39, 0
	s_branch .LBB15_318
.LBB15_313:
	s_mov_b32 s40, -1
                                        ; implicit-def: $vgpr8
	s_branch .LBB15_324
.LBB15_314:
	s_and_not1_saveexec_b32 s39, s39
	s_cbranch_execz .LBB15_299
.LBB15_315:
	v_cmp_ne_u16_e32 vcc_lo, 0, v1
	s_and_not1_b32 s40, s40, exec_lo
	s_and_b32 s42, vcc_lo, exec_lo
	s_delay_alu instid0(SALU_CYCLE_1)
	s_or_b32 s40, s40, s42
	s_or_b32 exec_lo, exec_lo, s39
	v_mov_b32_e32 v8, 0
	s_and_saveexec_b32 s39, s40
	s_cbranch_execnz .LBB15_300
	s_branch .LBB15_301
.LBB15_316:
	s_mov_b32 s39, -1
                                        ; implicit-def: $vgpr8
	s_branch .LBB15_321
.LBB15_317:
	s_mov_b32 s39, -1
                                        ; implicit-def: $vgpr8
.LBB15_318:
	s_delay_alu instid0(SALU_CYCLE_1)
	s_and_b32 vcc_lo, exec_lo, s39
	s_cbranch_vccz .LBB15_320
; %bb.319:
	global_load_u8 v1, v[6:7], off
	s_wait_loadcnt 0x0
	v_lshlrev_b32_e32 v1, 24, v1
	s_delay_alu instid0(VALU_DEP_1) | instskip(NEXT) | instid1(VALU_DEP_1)
	v_and_b32_e32 v3, 0x7f000000, v1
	v_clz_i32_u32_e32 v5, v3
	v_add_nc_u32_e32 v9, 0x1000000, v3
	v_cmp_ne_u32_e32 vcc_lo, 0, v3
	s_delay_alu instid0(VALU_DEP_3) | instskip(NEXT) | instid1(VALU_DEP_1)
	v_min_u32_e32 v5, 32, v5
	v_sub_nc_u32_e64 v5, v5, 4 clamp
	s_delay_alu instid0(VALU_DEP_1) | instskip(NEXT) | instid1(VALU_DEP_1)
	v_dual_lshlrev_b32 v8, v5, v3 :: v_dual_lshlrev_b32 v5, 23, v5
	v_lshrrev_b32_e32 v8, 4, v8
	s_delay_alu instid0(VALU_DEP_1) | instskip(SKIP_1) | instid1(VALU_DEP_2)
	v_sub_nc_u32_e32 v5, v8, v5
	v_ashrrev_i32_e32 v8, 8, v9
	v_add_nc_u32_e32 v5, 0x3c000000, v5
	s_delay_alu instid0(VALU_DEP_1) | instskip(NEXT) | instid1(VALU_DEP_1)
	v_and_or_b32 v5, 0x7f800000, v8, v5
	v_cndmask_b32_e32 v3, 0, v5, vcc_lo
	s_delay_alu instid0(VALU_DEP_1) | instskip(NEXT) | instid1(VALU_DEP_1)
	v_and_or_b32 v1, 0x80000000, v1, v3
	v_cvt_i32_f32_e32 v8, v1
.LBB15_320:
	s_mov_b32 s39, 0
.LBB15_321:
	s_delay_alu instid0(SALU_CYCLE_1)
	s_and_not1_b32 vcc_lo, exec_lo, s39
	s_cbranch_vccnz .LBB15_323
; %bb.322:
	global_load_u8 v1, v[6:7], off
	s_wait_loadcnt 0x0
	v_lshlrev_b32_e32 v3, 25, v1
	v_lshlrev_b16 v1, 8, v1
	s_delay_alu instid0(VALU_DEP_1) | instskip(SKIP_1) | instid1(VALU_DEP_2)
	v_and_or_b32 v8, 0x7f00, v1, 0.5
	v_bfe_i32 v1, v1, 0, 16
	v_dual_add_f32 v8, -0.5, v8 :: v_dual_lshrrev_b32 v5, 4, v3
	v_cmp_gt_u32_e32 vcc_lo, 0x8000000, v3
	s_delay_alu instid0(VALU_DEP_2) | instskip(NEXT) | instid1(VALU_DEP_1)
	v_or_b32_e32 v5, 0x70000000, v5
	v_mul_f32_e32 v5, 0x7800000, v5
	s_delay_alu instid0(VALU_DEP_1) | instskip(NEXT) | instid1(VALU_DEP_1)
	v_cndmask_b32_e32 v3, v5, v8, vcc_lo
	v_and_or_b32 v1, 0x80000000, v1, v3
	s_delay_alu instid0(VALU_DEP_1)
	v_cvt_i32_f32_e32 v8, v1
.LBB15_323:
	s_mov_b32 s40, 0
	s_mov_b32 s39, -1
.LBB15_324:
	s_and_not1_b32 vcc_lo, exec_lo, s40
	s_cbranch_vccnz .LBB15_337
; %bb.325:
	s_cmp_gt_i32 s38, 14
	s_cbranch_scc0 .LBB15_328
; %bb.326:
	s_cmp_eq_u32 s38, 15
	s_cbranch_scc0 .LBB15_331
; %bb.327:
	global_load_u16 v1, v[6:7], off
	s_mov_b32 s39, -1
	s_mov_b32 s25, 0
	s_wait_loadcnt 0x0
	v_lshlrev_b32_e32 v1, 16, v1
	s_delay_alu instid0(VALU_DEP_1)
	v_cvt_i32_f32_e32 v8, v1
	s_branch .LBB15_332
.LBB15_328:
	s_mov_b32 s40, -1
                                        ; implicit-def: $vgpr8
	s_branch .LBB15_333
.LBB15_329:
	s_and_not1_saveexec_b32 s39, s39
	s_cbranch_execz .LBB15_310
.LBB15_330:
	v_cmp_ne_u16_e32 vcc_lo, 0, v1
	s_and_not1_b32 s40, s40, exec_lo
	s_and_b32 s42, vcc_lo, exec_lo
	s_delay_alu instid0(SALU_CYCLE_1)
	s_or_b32 s40, s40, s42
	s_or_b32 exec_lo, exec_lo, s39
	v_mov_b32_e32 v8, 0
	s_and_saveexec_b32 s39, s40
	s_cbranch_execnz .LBB15_311
	s_branch .LBB15_312
.LBB15_331:
	s_mov_b32 s25, -1
                                        ; implicit-def: $vgpr8
.LBB15_332:
	s_mov_b32 s40, 0
.LBB15_333:
	s_delay_alu instid0(SALU_CYCLE_1)
	s_and_b32 vcc_lo, exec_lo, s40
	s_cbranch_vccz .LBB15_337
; %bb.334:
	s_cmp_eq_u32 s38, 11
	s_cbranch_scc0 .LBB15_336
; %bb.335:
	global_load_u8 v1, v[6:7], off
	s_mov_b32 s25, 0
	s_mov_b32 s39, -1
	s_wait_loadcnt 0x0
	v_cmp_ne_u16_e32 vcc_lo, 0, v1
	v_cndmask_b32_e64 v8, 0, 1, vcc_lo
	s_branch .LBB15_337
.LBB15_336:
	s_mov_b32 s25, -1
                                        ; implicit-def: $vgpr8
.LBB15_337:
	s_branch .LBB15_31
.LBB15_338:
	s_and_b32 s0, 0xffff, s0
	s_delay_alu instid0(SALU_CYCLE_1)
	s_cmp_lt_i32 s0, 5
	s_cbranch_scc1 .LBB15_343
; %bb.339:
	s_cmp_lt_i32 s0, 8
	s_cbranch_scc1 .LBB15_344
; %bb.340:
	;; [unrolled: 3-line block ×3, first 2 shown]
	s_cmp_gt_i32 s0, 9
	s_cbranch_scc0 .LBB15_346
; %bb.342:
	s_wait_loadcnt 0x0
	global_load_b64 v[8:9], v[6:7], off
	s_mov_b32 s38, 0
	s_wait_loadcnt 0x0
	v_cvt_i32_f64_e32 v8, v[8:9]
	s_branch .LBB15_347
.LBB15_343:
	s_mov_b32 s38, -1
                                        ; implicit-def: $vgpr8
	s_branch .LBB15_365
.LBB15_344:
	s_mov_b32 s38, -1
                                        ; implicit-def: $vgpr8
	s_branch .LBB15_353
.LBB15_345:
	s_mov_b32 s38, -1
                                        ; implicit-def: $vgpr8
	s_branch .LBB15_350
.LBB15_346:
	s_mov_b32 s38, -1
                                        ; implicit-def: $vgpr8
.LBB15_347:
	s_delay_alu instid0(SALU_CYCLE_1)
	s_and_not1_b32 vcc_lo, exec_lo, s38
	s_cbranch_vccnz .LBB15_349
; %bb.348:
	global_load_b32 v1, v[6:7], off
	s_wait_loadcnt 0x0
	v_cvt_i32_f32_e32 v8, v1
.LBB15_349:
	s_mov_b32 s38, 0
.LBB15_350:
	s_delay_alu instid0(SALU_CYCLE_1)
	s_and_not1_b32 vcc_lo, exec_lo, s38
	s_cbranch_vccnz .LBB15_352
; %bb.351:
	global_load_b32 v1, v[6:7], off
	s_wait_loadcnt 0x0
	v_cvt_i16_f16_e32 v8, v1
.LBB15_352:
	s_mov_b32 s38, 0
.LBB15_353:
	s_delay_alu instid0(SALU_CYCLE_1)
	s_and_not1_b32 vcc_lo, exec_lo, s38
	s_cbranch_vccnz .LBB15_364
; %bb.354:
	s_cmp_lt_i32 s0, 6
	s_cbranch_scc1 .LBB15_357
; %bb.355:
	s_cmp_gt_i32 s0, 6
	s_cbranch_scc0 .LBB15_358
; %bb.356:
	s_wait_loadcnt 0x0
	global_load_b64 v[8:9], v[6:7], off
	s_mov_b32 s38, 0
	s_wait_loadcnt 0x0
	v_cvt_i32_f64_e32 v8, v[8:9]
	s_branch .LBB15_359
.LBB15_357:
	s_mov_b32 s38, -1
                                        ; implicit-def: $vgpr8
	s_branch .LBB15_362
.LBB15_358:
	s_mov_b32 s38, -1
                                        ; implicit-def: $vgpr8
.LBB15_359:
	s_delay_alu instid0(SALU_CYCLE_1)
	s_and_not1_b32 vcc_lo, exec_lo, s38
	s_cbranch_vccnz .LBB15_361
; %bb.360:
	global_load_b32 v1, v[6:7], off
	s_wait_loadcnt 0x0
	v_cvt_i32_f32_e32 v8, v1
.LBB15_361:
	s_mov_b32 s38, 0
.LBB15_362:
	s_delay_alu instid0(SALU_CYCLE_1)
	s_and_not1_b32 vcc_lo, exec_lo, s38
	s_cbranch_vccnz .LBB15_364
; %bb.363:
	global_load_u16 v1, v[6:7], off
	s_wait_loadcnt 0x0
	v_cvt_i16_f16_e32 v8, v1
.LBB15_364:
	s_mov_b32 s38, 0
.LBB15_365:
	s_delay_alu instid0(SALU_CYCLE_1)
	s_and_not1_b32 vcc_lo, exec_lo, s38
	s_cbranch_vccnz .LBB15_385
; %bb.366:
	s_cmp_lt_i32 s0, 2
	s_cbranch_scc1 .LBB15_370
; %bb.367:
	s_cmp_lt_i32 s0, 3
	s_cbranch_scc1 .LBB15_371
; %bb.368:
	s_cmp_gt_i32 s0, 3
	s_cbranch_scc0 .LBB15_372
; %bb.369:
	s_wait_loadcnt 0x0
	global_load_b64 v[8:9], v[6:7], off
	s_mov_b32 s38, 0
	s_branch .LBB15_373
.LBB15_370:
	s_mov_b32 s38, -1
                                        ; implicit-def: $vgpr8
	s_branch .LBB15_379
.LBB15_371:
	s_mov_b32 s38, -1
                                        ; implicit-def: $vgpr8
	s_branch .LBB15_376
.LBB15_372:
	s_mov_b32 s38, -1
                                        ; implicit-def: $vgpr8
.LBB15_373:
	s_delay_alu instid0(SALU_CYCLE_1)
	s_and_not1_b32 vcc_lo, exec_lo, s38
	s_cbranch_vccnz .LBB15_375
; %bb.374:
	s_wait_loadcnt 0x0
	global_load_b32 v8, v[6:7], off
.LBB15_375:
	s_mov_b32 s38, 0
.LBB15_376:
	s_delay_alu instid0(SALU_CYCLE_1)
	s_and_not1_b32 vcc_lo, exec_lo, s38
	s_cbranch_vccnz .LBB15_378
; %bb.377:
	s_wait_loadcnt 0x0
	global_load_u16 v8, v[6:7], off
.LBB15_378:
	s_mov_b32 s38, 0
.LBB15_379:
	s_delay_alu instid0(SALU_CYCLE_1)
	s_and_not1_b32 vcc_lo, exec_lo, s38
	s_cbranch_vccnz .LBB15_385
; %bb.380:
	s_cmp_gt_i32 s0, 0
	s_mov_b32 s0, 0
	s_cbranch_scc0 .LBB15_382
; %bb.381:
	s_wait_loadcnt 0x0
	global_load_u8 v8, v[6:7], off
	s_branch .LBB15_383
.LBB15_382:
	s_mov_b32 s0, -1
                                        ; implicit-def: $vgpr8
.LBB15_383:
	s_delay_alu instid0(SALU_CYCLE_1)
	s_and_not1_b32 vcc_lo, exec_lo, s0
	s_cbranch_vccnz .LBB15_385
; %bb.384:
	s_wait_loadcnt 0x0
	global_load_u8 v8, v[6:7], off
.LBB15_385:
	s_branch .LBB15_32
.LBB15_386:
	s_mov_b32 s0, 0
.LBB15_387:
	s_mov_b32 s42, 0
                                        ; implicit-def: $vgpr0
.LBB15_388:
	s_and_b32 s38, s0, exec_lo
	s_and_b32 s39, s25, exec_lo
	s_and_b32 s40, s24, exec_lo
	s_or_not1_b32 s25, s42, exec_lo
.LBB15_389:
	s_wait_xcnt 0x0
	s_or_b32 exec_lo, exec_lo, s41
	s_mov_b32 s43, 0
	s_mov_b32 s24, 0
                                        ; implicit-def: $sgpr0
                                        ; implicit-def: $vgpr8_vgpr9
                                        ; implicit-def: $vgpr6
                                        ; implicit-def: $vgpr2
                                        ; implicit-def: $vgpr4
	s_and_saveexec_b32 s41, s25
	s_cbranch_execz .LBB15_397
; %bb.390:
	s_mov_b32 s47, -1
	s_mov_b32 s42, s40
	s_mov_b32 s44, s39
	;; [unrolled: 1-line block ×3, first 2 shown]
	s_mov_b32 s45, exec_lo
	v_cmpx_gt_i32_e64 s36, v0
	s_cbranch_execz .LBB15_789
; %bb.391:
	s_and_not1_b32 vcc_lo, exec_lo, s29
	s_cbranch_vccnz .LBB15_400
; %bb.392:
	s_and_not1_b32 vcc_lo, exec_lo, s37
	s_cbranch_vccnz .LBB15_401
; %bb.393:
	v_dual_mov_b32 v2, 0 :: v_dual_mov_b32 v1, v0
	s_wait_loadcnt 0x0
	v_dual_mov_b32 v4, 0 :: v_dual_mov_b32 v6, 0
	s_add_co_i32 s0, s35, 1
	s_mov_b64 s[24:25], 0xffffffffffffffe8
	s_and_b32 s0, s0, 30
	s_add_nc_u64 s[24:25], s[2:3], s[24:25]
.LBB15_394:                             ; =>This Inner Loop Header: Depth=1
	s_clause 0x3
	s_load_b128 s[48:51], s[24:25], 0x1c
	s_load_b64 s[42:43], s[24:25], 0x2c
	s_load_b128 s[52:55], s[24:25], 0xdc
	s_load_b64 s[46:47], s[24:25], 0xec
	s_add_co_i32 s0, s0, -2
	s_wait_xcnt 0x0
	s_add_nc_u64 s[24:25], s[24:25], 24
	s_cmp_eq_u32 s0, 0
	s_wait_kmcnt 0x0
	v_mul_hi_u32 v3, s49, v1
	s_delay_alu instid0(VALU_DEP_1) | instskip(NEXT) | instid1(VALU_DEP_1)
	v_add_nc_u32_e32 v3, v1, v3
	v_lshrrev_b32_e32 v3, s50, v3
	s_delay_alu instid0(VALU_DEP_1) | instskip(SKIP_1) | instid1(VALU_DEP_1)
	v_mul_hi_u32 v5, s42, v3
	v_mul_lo_u32 v7, v3, s48
	v_dual_add_nc_u32 v5, v3, v5 :: v_dual_sub_nc_u32 v7, v1, v7
	s_delay_alu instid0(VALU_DEP_1) | instskip(NEXT) | instid1(VALU_DEP_2)
	v_lshrrev_b32_e32 v1, s43, v5
	v_mad_u32 v2, v7, s52, v2
	v_mad_u32 v6, v7, s54, v6
	;; [unrolled: 1-line block ×3, first 2 shown]
	s_delay_alu instid0(VALU_DEP_4) | instskip(NEXT) | instid1(VALU_DEP_1)
	v_mul_lo_u32 v5, v1, s51
	v_sub_nc_u32_e32 v3, v3, v5
	s_delay_alu instid0(VALU_DEP_1)
	v_mad_u32 v2, v3, s55, v2
	v_mad_u32 v6, v3, s47, v6
	;; [unrolled: 1-line block ×3, first 2 shown]
	s_cbranch_scc0 .LBB15_394
; %bb.395:
	s_bitcmp1_b32 s35, 0
	s_cselect_b32 s0, -1, 0
	s_delay_alu instid0(SALU_CYCLE_1)
	s_and_b32 vcc_lo, exec_lo, s0
	s_cbranch_vccnz .LBB15_402
; %bb.396:
	s_clause 0x1
	s_load_b96 s[48:50], s[24:25], 0x1c
	s_load_b96 s[52:54], s[24:25], 0xdc
	s_wait_kmcnt 0x0
	v_mul_hi_u32 v3, s49, v1
	s_delay_alu instid0(VALU_DEP_1) | instskip(NEXT) | instid1(VALU_DEP_1)
	v_add_nc_u32_e32 v3, v1, v3
	v_lshrrev_b32_e32 v3, s50, v3
	s_delay_alu instid0(VALU_DEP_1) | instskip(NEXT) | instid1(VALU_DEP_1)
	v_mul_lo_u32 v3, v3, s48
	v_sub_nc_u32_e32 v1, v1, v3
	s_delay_alu instid0(VALU_DEP_1)
	v_mad_u32 v2, v1, s52, v2
	v_mad_u32 v4, v1, s53, v4
	;; [unrolled: 1-line block ×3, first 2 shown]
	s_branch .LBB15_402
.LBB15_397:
	s_or_b32 exec_lo, exec_lo, s41
	s_mov_b32 s1, 0
	s_and_saveexec_b32 s6, s40
	s_cbranch_execnz .LBB15_1281
.LBB15_398:
	s_or_b32 exec_lo, exec_lo, s6
	s_and_saveexec_b32 s6, s19
	s_delay_alu instid0(SALU_CYCLE_1)
	s_xor_b32 s6, exec_lo, s6
	s_cbranch_execz .LBB15_1282
.LBB15_399:
	s_wait_loadcnt 0x0
	global_load_u8 v0, v[8:9], off
	s_or_b32 s24, s24, exec_lo
	s_wait_loadcnt 0x0
	v_cmp_ne_u16_e32 vcc_lo, 0, v0
	v_cndmask_b32_e64 v4, 0, 1, vcc_lo
	s_wait_xcnt 0x0
	s_or_b32 exec_lo, exec_lo, s6
	s_and_saveexec_b32 s6, s43
	s_cbranch_execz .LBB15_1328
	s_branch .LBB15_1283
.LBB15_400:
                                        ; implicit-def: $vgpr6
                                        ; implicit-def: $vgpr4
                                        ; implicit-def: $vgpr2
	s_branch .LBB15_403
.LBB15_401:
	s_wait_loadcnt 0x0
	v_dual_mov_b32 v6, 0 :: v_dual_mov_b32 v4, 0
	v_mov_b32_e32 v2, 0
.LBB15_402:
	s_cbranch_execnz .LBB15_405
.LBB15_403:
	v_mov_b32_e32 v1, 0
	s_and_not1_b32 vcc_lo, exec_lo, s34
	s_delay_alu instid0(VALU_DEP_1) | instskip(NEXT) | instid1(VALU_DEP_1)
	v_mul_u64_e32 v[2:3], s[18:19], v[0:1]
	v_add_nc_u32_e32 v2, v0, v3
	s_wait_loadcnt 0x0
	s_delay_alu instid0(VALU_DEP_1) | instskip(NEXT) | instid1(VALU_DEP_1)
	v_lshrrev_b32_e32 v8, s10, v2
	v_mul_lo_u32 v2, v8, s8
	s_delay_alu instid0(VALU_DEP_1) | instskip(NEXT) | instid1(VALU_DEP_1)
	v_sub_nc_u32_e32 v3, v0, v2
	v_mul_lo_u32 v2, v3, s12
	v_mul_lo_u32 v6, v3, s14
	;; [unrolled: 1-line block ×3, first 2 shown]
	s_cbranch_vccnz .LBB15_405
; %bb.404:
	v_mov_b32_e32 v9, v1
	s_delay_alu instid0(VALU_DEP_1) | instskip(NEXT) | instid1(VALU_DEP_1)
	v_mul_u64_e32 v[10:11], s[22:23], v[8:9]
	v_add_nc_u32_e32 v1, v8, v11
	s_delay_alu instid0(VALU_DEP_1) | instskip(NEXT) | instid1(VALU_DEP_1)
	v_lshrrev_b32_e32 v1, s1, v1
	v_mul_lo_u32 v1, v1, s11
	s_delay_alu instid0(VALU_DEP_1) | instskip(NEXT) | instid1(VALU_DEP_1)
	v_sub_nc_u32_e32 v1, v8, v1
	v_mad_u32 v2, v1, s15, v2
	v_mad_u32 v4, v1, s20, v4
	;; [unrolled: 1-line block ×3, first 2 shown]
.LBB15_405:
	s_wait_loadcnt 0x0
	v_mov_b32_e32 v5, 0
	s_and_b32 s0, s33, 0xff
	s_delay_alu instid0(SALU_CYCLE_1) | instskip(NEXT) | instid1(VALU_DEP_1)
	s_cmp_lt_i32 s0, 11
	v_add_nc_u64_e32 v[8:9], s[6:7], v[4:5]
	s_cbranch_scc1 .LBB15_412
; %bb.406:
	s_and_b32 s25, 0xffff, s0
	s_delay_alu instid0(SALU_CYCLE_1)
	s_cmp_gt_i32 s25, 25
	s_cbranch_scc0 .LBB15_421
; %bb.407:
	s_cmp_gt_i32 s25, 28
	s_cbranch_scc0 .LBB15_423
; %bb.408:
	;; [unrolled: 3-line block ×4, first 2 shown]
	s_cmp_eq_u32 s25, 46
	s_mov_b32 s43, 0
	s_cbranch_scc0 .LBB15_431
; %bb.411:
	global_load_b32 v1, v[8:9], off
	s_mov_b32 s42, -1
	s_mov_b32 s24, 0
	s_wait_loadcnt 0x0
	v_lshlrev_b32_e32 v1, 16, v1
	s_delay_alu instid0(VALU_DEP_1)
	v_cvt_i32_f32_e32 v4, v1
	s_branch .LBB15_433
.LBB15_412:
	s_mov_b32 s42, 0
	s_mov_b32 s24, s40
                                        ; implicit-def: $vgpr4
	s_cbranch_execnz .LBB15_495
.LBB15_413:
	s_and_not1_b32 vcc_lo, exec_lo, s42
	s_cbranch_vccnz .LBB15_543
.LBB15_414:
	v_mov_b32_e32 v7, 0
	s_and_b32 s0, s9, 0xff
	s_delay_alu instid0(SALU_CYCLE_1) | instskip(NEXT) | instid1(VALU_DEP_1)
	s_cmp_lt_i32 s0, 11
	v_add_nc_u64_e32 v[6:7], s[16:17], v[6:7]
	s_cbranch_scc1 .LBB15_422
; %bb.415:
	s_and_b32 s42, 0xffff, s0
	s_delay_alu instid0(SALU_CYCLE_1)
	s_cmp_gt_i32 s42, 25
	s_cbranch_scc0 .LBB15_424
; %bb.416:
	s_cmp_gt_i32 s42, 28
	s_cbranch_scc0 .LBB15_426
; %bb.417:
	;; [unrolled: 3-line block ×4, first 2 shown]
	s_cmp_eq_u32 s42, 46
	s_mov_b32 s44, 0
	s_cbranch_scc0 .LBB15_546
; %bb.420:
	global_load_b32 v1, v[6:7], off
	s_mov_b32 s43, -1
	s_mov_b32 s25, 0
	s_wait_loadcnt 0x0
	v_lshlrev_b32_e32 v1, 16, v1
	s_wait_xcnt 0x1
	s_delay_alu instid0(VALU_DEP_1)
	v_cvt_i32_f32_e32 v8, v1
	s_branch .LBB15_548
.LBB15_421:
	s_mov_b32 s43, -1
	s_mov_b32 s42, 0
	s_mov_b32 s24, s40
                                        ; implicit-def: $vgpr4
	s_branch .LBB15_461
.LBB15_422:
	s_mov_b32 s42, -1
	s_mov_b32 s43, 0
	s_mov_b32 s25, s39
                                        ; implicit-def: $vgpr8
	s_branch .LBB15_609
.LBB15_423:
	s_mov_b32 s43, -1
	s_mov_b32 s42, 0
	s_mov_b32 s24, s40
                                        ; implicit-def: $vgpr4
	s_branch .LBB15_444
.LBB15_424:
	s_mov_b32 s44, -1
	s_mov_b32 s43, 0
	s_mov_b32 s25, s39
                                        ; implicit-def: $vgpr8
	s_branch .LBB15_575
.LBB15_425:
	s_mov_b32 s43, -1
	s_mov_b32 s42, 0
	s_mov_b32 s24, s40
                                        ; implicit-def: $vgpr4
	s_branch .LBB15_439
.LBB15_426:
	s_mov_b32 s44, -1
	s_mov_b32 s43, 0
	s_mov_b32 s25, s39
                                        ; implicit-def: $vgpr8
	s_branch .LBB15_558
.LBB15_427:
	s_mov_b32 s43, -1
	s_mov_b32 s42, 0
	s_mov_b32 s24, s40
	s_branch .LBB15_432
.LBB15_428:
	s_mov_b32 s44, -1
	s_mov_b32 s43, 0
	s_mov_b32 s25, s39
                                        ; implicit-def: $vgpr8
	s_branch .LBB15_553
.LBB15_429:
	s_and_not1_saveexec_b32 s43, s43
	s_cbranch_execz .LBB15_191
.LBB15_430:
	v_add_f32_e64 v5, 0x46000000, |v4|
	s_and_not1_b32 s42, s42, exec_lo
	s_delay_alu instid0(VALU_DEP_1) | instskip(NEXT) | instid1(VALU_DEP_1)
	v_and_b32_e32 v5, 0xff, v5
	v_cmp_ne_u32_e32 vcc_lo, 0, v5
	s_and_b32 s44, vcc_lo, exec_lo
	s_delay_alu instid0(SALU_CYCLE_1)
	s_or_b32 s42, s42, s44
	s_or_b32 exec_lo, exec_lo, s43
	v_mov_b32_e32 v6, 0
	s_and_saveexec_b32 s43, s42
	s_cbranch_execnz .LBB15_192
	s_branch .LBB15_193
.LBB15_431:
	s_mov_b32 s24, -1
	s_mov_b32 s42, 0
.LBB15_432:
                                        ; implicit-def: $vgpr4
.LBB15_433:
	s_and_b32 vcc_lo, exec_lo, s43
	s_cbranch_vccz .LBB15_438
; %bb.434:
	s_cmp_eq_u32 s25, 44
	s_cbranch_scc0 .LBB15_437
; %bb.435:
	global_load_u8 v1, v[8:9], off
	s_mov_b32 s24, 0
	s_mov_b32 s42, -1
	s_wait_loadcnt 0x0
	v_lshlrev_b32_e32 v3, 23, v1
	v_cmp_ne_u32_e32 vcc_lo, 0, v1
	s_delay_alu instid0(VALU_DEP_2) | instskip(NEXT) | instid1(VALU_DEP_1)
	v_cvt_i32_f32_e32 v3, v3
	v_cndmask_b32_e32 v4, 0, v3, vcc_lo
	s_branch .LBB15_438
.LBB15_436:
	s_mov_b32 s44, -1
	s_mov_b32 s43, 0
	s_mov_b32 s25, s39
	s_branch .LBB15_547
.LBB15_437:
	s_mov_b32 s24, -1
                                        ; implicit-def: $vgpr4
.LBB15_438:
	s_mov_b32 s43, 0
.LBB15_439:
	s_delay_alu instid0(SALU_CYCLE_1)
	s_and_b32 vcc_lo, exec_lo, s43
	s_cbranch_vccz .LBB15_443
; %bb.440:
	s_cmp_eq_u32 s25, 29
	s_cbranch_scc0 .LBB15_442
; %bb.441:
	global_load_b64 v[4:5], v[8:9], off
	s_mov_b32 s42, -1
	s_mov_b32 s24, 0
	s_branch .LBB15_443
.LBB15_442:
	s_mov_b32 s24, -1
                                        ; implicit-def: $vgpr4
.LBB15_443:
	s_mov_b32 s43, 0
.LBB15_444:
	s_delay_alu instid0(SALU_CYCLE_1)
	s_and_b32 vcc_lo, exec_lo, s43
	s_cbranch_vccz .LBB15_460
; %bb.445:
	s_cmp_lt_i32 s25, 27
	s_cbranch_scc1 .LBB15_448
; %bb.446:
	s_cmp_gt_i32 s25, 27
	s_cbranch_scc0 .LBB15_449
; %bb.447:
	s_wait_loadcnt 0x0
	global_load_b32 v4, v[8:9], off
	s_mov_b32 s42, 0
	s_branch .LBB15_450
.LBB15_448:
	s_mov_b32 s42, -1
                                        ; implicit-def: $vgpr4
	s_branch .LBB15_453
.LBB15_449:
	s_mov_b32 s42, -1
                                        ; implicit-def: $vgpr4
.LBB15_450:
	s_delay_alu instid0(SALU_CYCLE_1)
	s_and_not1_b32 vcc_lo, exec_lo, s42
	s_cbranch_vccnz .LBB15_452
; %bb.451:
	s_wait_loadcnt 0x0
	global_load_u16 v4, v[8:9], off
.LBB15_452:
	s_mov_b32 s42, 0
.LBB15_453:
	s_delay_alu instid0(SALU_CYCLE_1)
	s_and_not1_b32 vcc_lo, exec_lo, s42
	s_cbranch_vccnz .LBB15_459
; %bb.454:
	global_load_u8 v1, v[8:9], off
	s_mov_b32 s43, 0
	s_mov_b32 s42, exec_lo
	s_wait_loadcnt 0x0
	v_cmpx_lt_i16_e32 0x7f, v1
	s_xor_b32 s42, exec_lo, s42
	s_cbranch_execz .LBB15_471
; %bb.455:
	v_cmp_ne_u16_e32 vcc_lo, 0x80, v1
	s_and_b32 s43, vcc_lo, exec_lo
	s_and_not1_saveexec_b32 s42, s42
	s_cbranch_execnz .LBB15_472
.LBB15_456:
	s_or_b32 exec_lo, exec_lo, s42
	v_mov_b32_e32 v4, 0
	s_and_saveexec_b32 s42, s43
	s_cbranch_execz .LBB15_458
.LBB15_457:
	v_and_b32_e32 v3, 0xffff, v1
	s_delay_alu instid0(VALU_DEP_1) | instskip(SKIP_1) | instid1(VALU_DEP_2)
	v_and_b32_e32 v4, 7, v3
	v_bfe_u32 v10, v3, 3, 4
	v_clz_i32_u32_e32 v5, v4
	s_delay_alu instid0(VALU_DEP_2) | instskip(NEXT) | instid1(VALU_DEP_2)
	v_cmp_eq_u32_e32 vcc_lo, 0, v10
	v_min_u32_e32 v5, 32, v5
	s_delay_alu instid0(VALU_DEP_1) | instskip(NEXT) | instid1(VALU_DEP_1)
	v_subrev_nc_u32_e32 v7, 28, v5
	v_dual_lshlrev_b32 v3, v7, v3 :: v_dual_sub_nc_u32 v5, 29, v5
	s_delay_alu instid0(VALU_DEP_1) | instskip(NEXT) | instid1(VALU_DEP_1)
	v_dual_lshlrev_b32 v1, 24, v1 :: v_dual_bitop2_b32 v3, 7, v3 bitop3:0x40
	v_dual_cndmask_b32 v3, v4, v3, vcc_lo :: v_dual_cndmask_b32 v5, v10, v5, vcc_lo
	s_delay_alu instid0(VALU_DEP_2) | instskip(NEXT) | instid1(VALU_DEP_2)
	v_and_b32_e32 v1, 0x80000000, v1
	v_lshlrev_b32_e32 v3, 20, v3
	s_delay_alu instid0(VALU_DEP_3) | instskip(NEXT) | instid1(VALU_DEP_1)
	v_lshl_add_u32 v4, v5, 23, 0x3b800000
	v_or3_b32 v1, v1, v4, v3
	s_delay_alu instid0(VALU_DEP_1)
	v_cvt_i32_f32_e32 v4, v1
.LBB15_458:
	s_or_b32 exec_lo, exec_lo, s42
.LBB15_459:
	s_mov_b32 s42, -1
.LBB15_460:
	s_mov_b32 s43, 0
.LBB15_461:
	s_delay_alu instid0(SALU_CYCLE_1)
	s_and_b32 vcc_lo, exec_lo, s43
	s_cbranch_vccz .LBB15_494
; %bb.462:
	s_cmp_gt_i32 s25, 22
	s_cbranch_scc0 .LBB15_470
; %bb.463:
	s_cmp_lt_i32 s25, 24
	s_cbranch_scc1 .LBB15_473
; %bb.464:
	s_cmp_gt_i32 s25, 24
	s_cbranch_scc0 .LBB15_474
; %bb.465:
	global_load_u8 v1, v[8:9], off
	s_mov_b32 s43, 0
	s_mov_b32 s42, exec_lo
	s_wait_loadcnt 0x0
	v_cmpx_lt_i16_e32 0x7f, v1
	s_xor_b32 s42, exec_lo, s42
	s_cbranch_execz .LBB15_486
; %bb.466:
	v_cmp_ne_u16_e32 vcc_lo, 0x80, v1
	s_and_b32 s43, vcc_lo, exec_lo
	s_and_not1_saveexec_b32 s42, s42
	s_cbranch_execnz .LBB15_487
.LBB15_467:
	s_or_b32 exec_lo, exec_lo, s42
	v_mov_b32_e32 v4, 0
	s_and_saveexec_b32 s42, s43
	s_cbranch_execz .LBB15_469
.LBB15_468:
	v_and_b32_e32 v3, 0xffff, v1
	s_delay_alu instid0(VALU_DEP_1) | instskip(SKIP_1) | instid1(VALU_DEP_2)
	v_and_b32_e32 v4, 3, v3
	v_bfe_u32 v10, v3, 2, 5
	v_clz_i32_u32_e32 v5, v4
	s_delay_alu instid0(VALU_DEP_2) | instskip(NEXT) | instid1(VALU_DEP_2)
	v_cmp_eq_u32_e32 vcc_lo, 0, v10
	v_min_u32_e32 v5, 32, v5
	s_delay_alu instid0(VALU_DEP_1) | instskip(NEXT) | instid1(VALU_DEP_1)
	v_subrev_nc_u32_e32 v7, 29, v5
	v_dual_lshlrev_b32 v3, v7, v3 :: v_dual_sub_nc_u32 v5, 30, v5
	s_delay_alu instid0(VALU_DEP_1) | instskip(NEXT) | instid1(VALU_DEP_1)
	v_dual_lshlrev_b32 v1, 24, v1 :: v_dual_bitop2_b32 v3, 3, v3 bitop3:0x40
	v_dual_cndmask_b32 v3, v4, v3, vcc_lo :: v_dual_cndmask_b32 v5, v10, v5, vcc_lo
	s_delay_alu instid0(VALU_DEP_2) | instskip(NEXT) | instid1(VALU_DEP_2)
	v_and_b32_e32 v1, 0x80000000, v1
	v_lshlrev_b32_e32 v3, 21, v3
	s_delay_alu instid0(VALU_DEP_3) | instskip(NEXT) | instid1(VALU_DEP_1)
	v_lshl_add_u32 v4, v5, 23, 0x37800000
	v_or3_b32 v1, v1, v4, v3
	s_delay_alu instid0(VALU_DEP_1)
	v_cvt_i32_f32_e32 v4, v1
.LBB15_469:
	s_or_b32 exec_lo, exec_lo, s42
	s_mov_b32 s42, 0
	s_branch .LBB15_475
.LBB15_470:
	s_mov_b32 s43, -1
                                        ; implicit-def: $vgpr4
	s_branch .LBB15_481
.LBB15_471:
	s_and_not1_saveexec_b32 s42, s42
	s_cbranch_execz .LBB15_456
.LBB15_472:
	v_cmp_ne_u16_e32 vcc_lo, 0, v1
	s_and_not1_b32 s43, s43, exec_lo
	s_and_b32 s44, vcc_lo, exec_lo
	s_delay_alu instid0(SALU_CYCLE_1)
	s_or_b32 s43, s43, s44
	s_or_b32 exec_lo, exec_lo, s42
	v_mov_b32_e32 v4, 0
	s_and_saveexec_b32 s42, s43
	s_cbranch_execnz .LBB15_457
	s_branch .LBB15_458
.LBB15_473:
	s_mov_b32 s42, -1
                                        ; implicit-def: $vgpr4
	s_branch .LBB15_478
.LBB15_474:
	s_mov_b32 s42, -1
                                        ; implicit-def: $vgpr4
.LBB15_475:
	s_delay_alu instid0(SALU_CYCLE_1)
	s_and_b32 vcc_lo, exec_lo, s42
	s_cbranch_vccz .LBB15_477
; %bb.476:
	global_load_u8 v1, v[8:9], off
	s_wait_loadcnt 0x0
	v_lshlrev_b32_e32 v1, 24, v1
	s_delay_alu instid0(VALU_DEP_1) | instskip(NEXT) | instid1(VALU_DEP_1)
	v_and_b32_e32 v3, 0x7f000000, v1
	v_clz_i32_u32_e32 v4, v3
	v_add_nc_u32_e32 v7, 0x1000000, v3
	v_cmp_ne_u32_e32 vcc_lo, 0, v3
	s_delay_alu instid0(VALU_DEP_3) | instskip(NEXT) | instid1(VALU_DEP_1)
	v_min_u32_e32 v4, 32, v4
	v_sub_nc_u32_e64 v4, v4, 4 clamp
	s_delay_alu instid0(VALU_DEP_1) | instskip(NEXT) | instid1(VALU_DEP_1)
	v_dual_lshlrev_b32 v5, v4, v3 :: v_dual_lshlrev_b32 v4, 23, v4
	v_lshrrev_b32_e32 v5, 4, v5
	s_delay_alu instid0(VALU_DEP_1) | instskip(NEXT) | instid1(VALU_DEP_1)
	v_dual_sub_nc_u32 v4, v5, v4 :: v_dual_ashrrev_i32 v5, 8, v7
	v_add_nc_u32_e32 v4, 0x3c000000, v4
	s_delay_alu instid0(VALU_DEP_1) | instskip(NEXT) | instid1(VALU_DEP_1)
	v_and_or_b32 v4, 0x7f800000, v5, v4
	v_cndmask_b32_e32 v3, 0, v4, vcc_lo
	s_delay_alu instid0(VALU_DEP_1) | instskip(NEXT) | instid1(VALU_DEP_1)
	v_and_or_b32 v1, 0x80000000, v1, v3
	v_cvt_i32_f32_e32 v4, v1
.LBB15_477:
	s_mov_b32 s42, 0
.LBB15_478:
	s_delay_alu instid0(SALU_CYCLE_1)
	s_and_not1_b32 vcc_lo, exec_lo, s42
	s_cbranch_vccnz .LBB15_480
; %bb.479:
	global_load_u8 v1, v[8:9], off
	s_wait_loadcnt 0x0
	v_lshlrev_b32_e32 v3, 25, v1
	v_lshlrev_b16 v1, 8, v1
	s_delay_alu instid0(VALU_DEP_1) | instskip(NEXT) | instid1(VALU_DEP_3)
	v_and_or_b32 v5, 0x7f00, v1, 0.5
	v_lshrrev_b32_e32 v4, 4, v3
	v_bfe_i32 v1, v1, 0, 16
	s_delay_alu instid0(VALU_DEP_3) | instskip(NEXT) | instid1(VALU_DEP_3)
	v_add_f32_e32 v5, -0.5, v5
	v_or_b32_e32 v4, 0x70000000, v4
	s_delay_alu instid0(VALU_DEP_1) | instskip(SKIP_1) | instid1(VALU_DEP_2)
	v_mul_f32_e32 v4, 0x7800000, v4
	v_cmp_gt_u32_e32 vcc_lo, 0x8000000, v3
	v_cndmask_b32_e32 v3, v4, v5, vcc_lo
	s_delay_alu instid0(VALU_DEP_1) | instskip(NEXT) | instid1(VALU_DEP_1)
	v_and_or_b32 v1, 0x80000000, v1, v3
	v_cvt_i32_f32_e32 v4, v1
.LBB15_480:
	s_mov_b32 s43, 0
	s_mov_b32 s42, -1
.LBB15_481:
	s_and_not1_b32 vcc_lo, exec_lo, s43
	s_cbranch_vccnz .LBB15_494
; %bb.482:
	s_cmp_gt_i32 s25, 14
	s_cbranch_scc0 .LBB15_485
; %bb.483:
	s_cmp_eq_u32 s25, 15
	s_cbranch_scc0 .LBB15_488
; %bb.484:
	global_load_u16 v1, v[8:9], off
	s_mov_b32 s42, -1
	s_mov_b32 s24, 0
	s_wait_loadcnt 0x0
	v_lshlrev_b32_e32 v1, 16, v1
	s_delay_alu instid0(VALU_DEP_1)
	v_cvt_i32_f32_e32 v4, v1
	s_branch .LBB15_489
.LBB15_485:
	s_mov_b32 s43, -1
                                        ; implicit-def: $vgpr4
	s_branch .LBB15_490
.LBB15_486:
	s_and_not1_saveexec_b32 s42, s42
	s_cbranch_execz .LBB15_467
.LBB15_487:
	v_cmp_ne_u16_e32 vcc_lo, 0, v1
	s_and_not1_b32 s43, s43, exec_lo
	s_and_b32 s44, vcc_lo, exec_lo
	s_delay_alu instid0(SALU_CYCLE_1)
	s_or_b32 s43, s43, s44
	s_or_b32 exec_lo, exec_lo, s42
	v_mov_b32_e32 v4, 0
	s_and_saveexec_b32 s42, s43
	s_cbranch_execnz .LBB15_468
	s_branch .LBB15_469
.LBB15_488:
	s_mov_b32 s24, -1
                                        ; implicit-def: $vgpr4
.LBB15_489:
	s_mov_b32 s43, 0
.LBB15_490:
	s_delay_alu instid0(SALU_CYCLE_1)
	s_and_b32 vcc_lo, exec_lo, s43
	s_cbranch_vccz .LBB15_494
; %bb.491:
	s_cmp_eq_u32 s25, 11
	s_cbranch_scc0 .LBB15_493
; %bb.492:
	global_load_u8 v1, v[8:9], off
	s_mov_b32 s24, 0
	s_mov_b32 s42, -1
	s_wait_loadcnt 0x0
	v_cmp_ne_u16_e32 vcc_lo, 0, v1
	v_cndmask_b32_e64 v4, 0, 1, vcc_lo
	s_branch .LBB15_494
.LBB15_493:
	s_mov_b32 s24, -1
                                        ; implicit-def: $vgpr4
.LBB15_494:
	s_branch .LBB15_413
.LBB15_495:
	s_and_b32 s0, 0xffff, s0
	s_delay_alu instid0(SALU_CYCLE_1)
	s_cmp_lt_i32 s0, 5
	s_cbranch_scc1 .LBB15_500
; %bb.496:
	s_cmp_lt_i32 s0, 8
	s_cbranch_scc1 .LBB15_501
; %bb.497:
	;; [unrolled: 3-line block ×3, first 2 shown]
	s_cmp_gt_i32 s0, 9
	s_cbranch_scc0 .LBB15_503
; %bb.499:
	s_wait_loadcnt 0x0
	global_load_b64 v[4:5], v[8:9], off
	s_mov_b32 s25, 0
	s_wait_loadcnt 0x0
	v_cvt_i32_f64_e32 v4, v[4:5]
	s_branch .LBB15_504
.LBB15_500:
	s_mov_b32 s25, -1
                                        ; implicit-def: $vgpr4
	s_branch .LBB15_522
.LBB15_501:
	s_mov_b32 s25, -1
                                        ; implicit-def: $vgpr4
	s_branch .LBB15_510
.LBB15_502:
	s_mov_b32 s25, -1
                                        ; implicit-def: $vgpr4
	s_branch .LBB15_507
.LBB15_503:
	s_mov_b32 s25, -1
                                        ; implicit-def: $vgpr4
.LBB15_504:
	s_delay_alu instid0(SALU_CYCLE_1)
	s_and_not1_b32 vcc_lo, exec_lo, s25
	s_cbranch_vccnz .LBB15_506
; %bb.505:
	global_load_b32 v1, v[8:9], off
	s_wait_loadcnt 0x0
	v_cvt_i32_f32_e32 v4, v1
.LBB15_506:
	s_mov_b32 s25, 0
.LBB15_507:
	s_delay_alu instid0(SALU_CYCLE_1)
	s_and_not1_b32 vcc_lo, exec_lo, s25
	s_cbranch_vccnz .LBB15_509
; %bb.508:
	global_load_b32 v1, v[8:9], off
	s_wait_loadcnt 0x0
	v_cvt_i16_f16_e32 v4, v1
.LBB15_509:
	s_mov_b32 s25, 0
.LBB15_510:
	s_delay_alu instid0(SALU_CYCLE_1)
	s_and_not1_b32 vcc_lo, exec_lo, s25
	s_cbranch_vccnz .LBB15_521
; %bb.511:
	s_cmp_lt_i32 s0, 6
	s_cbranch_scc1 .LBB15_514
; %bb.512:
	s_cmp_gt_i32 s0, 6
	s_cbranch_scc0 .LBB15_515
; %bb.513:
	s_wait_loadcnt 0x0
	global_load_b64 v[4:5], v[8:9], off
	s_mov_b32 s25, 0
	s_wait_loadcnt 0x0
	v_cvt_i32_f64_e32 v4, v[4:5]
	s_branch .LBB15_516
.LBB15_514:
	s_mov_b32 s25, -1
                                        ; implicit-def: $vgpr4
	s_branch .LBB15_519
.LBB15_515:
	s_mov_b32 s25, -1
                                        ; implicit-def: $vgpr4
.LBB15_516:
	s_delay_alu instid0(SALU_CYCLE_1)
	s_and_not1_b32 vcc_lo, exec_lo, s25
	s_cbranch_vccnz .LBB15_518
; %bb.517:
	global_load_b32 v1, v[8:9], off
	s_wait_loadcnt 0x0
	v_cvt_i32_f32_e32 v4, v1
.LBB15_518:
	s_mov_b32 s25, 0
.LBB15_519:
	s_delay_alu instid0(SALU_CYCLE_1)
	s_and_not1_b32 vcc_lo, exec_lo, s25
	s_cbranch_vccnz .LBB15_521
; %bb.520:
	global_load_u16 v1, v[8:9], off
	s_wait_loadcnt 0x0
	v_cvt_i16_f16_e32 v4, v1
.LBB15_521:
	s_mov_b32 s25, 0
.LBB15_522:
	s_delay_alu instid0(SALU_CYCLE_1)
	s_and_not1_b32 vcc_lo, exec_lo, s25
	s_cbranch_vccnz .LBB15_542
; %bb.523:
	s_cmp_lt_i32 s0, 2
	s_cbranch_scc1 .LBB15_527
; %bb.524:
	s_cmp_lt_i32 s0, 3
	s_cbranch_scc1 .LBB15_528
; %bb.525:
	s_cmp_gt_i32 s0, 3
	s_cbranch_scc0 .LBB15_529
; %bb.526:
	s_wait_loadcnt 0x0
	global_load_b64 v[4:5], v[8:9], off
	s_mov_b32 s25, 0
	s_branch .LBB15_530
.LBB15_527:
	s_mov_b32 s25, -1
                                        ; implicit-def: $vgpr4
	s_branch .LBB15_536
.LBB15_528:
	s_mov_b32 s25, -1
                                        ; implicit-def: $vgpr4
	s_branch .LBB15_533
.LBB15_529:
	s_mov_b32 s25, -1
                                        ; implicit-def: $vgpr4
.LBB15_530:
	s_delay_alu instid0(SALU_CYCLE_1)
	s_and_not1_b32 vcc_lo, exec_lo, s25
	s_cbranch_vccnz .LBB15_532
; %bb.531:
	s_wait_loadcnt 0x0
	global_load_b32 v4, v[8:9], off
.LBB15_532:
	s_mov_b32 s25, 0
.LBB15_533:
	s_delay_alu instid0(SALU_CYCLE_1)
	s_and_not1_b32 vcc_lo, exec_lo, s25
	s_cbranch_vccnz .LBB15_535
; %bb.534:
	s_wait_loadcnt 0x0
	global_load_u16 v4, v[8:9], off
.LBB15_535:
	s_mov_b32 s25, 0
.LBB15_536:
	s_delay_alu instid0(SALU_CYCLE_1)
	s_and_not1_b32 vcc_lo, exec_lo, s25
	s_cbranch_vccnz .LBB15_542
; %bb.537:
	s_cmp_gt_i32 s0, 0
	s_mov_b32 s0, 0
	s_cbranch_scc0 .LBB15_539
; %bb.538:
	s_wait_loadcnt 0x0
	global_load_u8 v4, v[8:9], off
	s_branch .LBB15_540
.LBB15_539:
	s_mov_b32 s0, -1
                                        ; implicit-def: $vgpr4
.LBB15_540:
	s_delay_alu instid0(SALU_CYCLE_1)
	s_and_not1_b32 vcc_lo, exec_lo, s0
	s_cbranch_vccnz .LBB15_542
; %bb.541:
	s_wait_loadcnt 0x0
	global_load_u8 v4, v[8:9], off
.LBB15_542:
	s_branch .LBB15_414
.LBB15_543:
	s_mov_b32 s46, 0
	s_mov_b32 s0, s38
	;; [unrolled: 1-line block ×3, first 2 shown]
	s_branch .LBB15_787
.LBB15_544:
	s_and_not1_saveexec_b32 s43, s43
	s_cbranch_execz .LBB15_204
.LBB15_545:
	v_add_f32_e64 v5, 0x42800000, |v4|
	s_and_not1_b32 s42, s42, exec_lo
	s_delay_alu instid0(VALU_DEP_1) | instskip(NEXT) | instid1(VALU_DEP_1)
	v_and_b32_e32 v5, 0xff, v5
	v_cmp_ne_u32_e32 vcc_lo, 0, v5
	s_and_b32 s44, vcc_lo, exec_lo
	s_delay_alu instid0(SALU_CYCLE_1)
	s_or_b32 s42, s42, s44
	s_or_b32 exec_lo, exec_lo, s43
	v_mov_b32_e32 v6, 0
	s_and_saveexec_b32 s43, s42
	s_cbranch_execnz .LBB15_205
	s_branch .LBB15_206
.LBB15_546:
	s_mov_b32 s25, -1
	s_mov_b32 s43, 0
.LBB15_547:
                                        ; implicit-def: $vgpr8
.LBB15_548:
	s_and_b32 vcc_lo, exec_lo, s44
	s_cbranch_vccz .LBB15_552
; %bb.549:
	s_cmp_eq_u32 s42, 44
	s_cbranch_scc0 .LBB15_551
; %bb.550:
	global_load_u8 v1, v[6:7], off
	s_mov_b32 s25, 0
	s_mov_b32 s43, -1
	s_wait_loadcnt 0x0
	v_lshlrev_b32_e32 v3, 23, v1
	v_cmp_ne_u32_e32 vcc_lo, 0, v1
	s_delay_alu instid0(VALU_DEP_2) | instskip(SKIP_1) | instid1(VALU_DEP_1)
	v_cvt_i32_f32_e32 v3, v3
	s_wait_xcnt 0x1
	v_cndmask_b32_e32 v8, 0, v3, vcc_lo
	s_branch .LBB15_552
.LBB15_551:
	s_mov_b32 s25, -1
                                        ; implicit-def: $vgpr8
.LBB15_552:
	s_mov_b32 s44, 0
.LBB15_553:
	s_delay_alu instid0(SALU_CYCLE_1)
	s_and_b32 vcc_lo, exec_lo, s44
	s_cbranch_vccz .LBB15_557
; %bb.554:
	s_cmp_eq_u32 s42, 29
	s_cbranch_scc0 .LBB15_556
; %bb.555:
	global_load_b64 v[8:9], v[6:7], off
	s_mov_b32 s43, -1
	s_mov_b32 s25, 0
	s_branch .LBB15_557
.LBB15_556:
	s_mov_b32 s25, -1
                                        ; implicit-def: $vgpr8
.LBB15_557:
	s_mov_b32 s44, 0
.LBB15_558:
	s_delay_alu instid0(SALU_CYCLE_1)
	s_and_b32 vcc_lo, exec_lo, s44
	s_cbranch_vccz .LBB15_574
; %bb.559:
	s_cmp_lt_i32 s42, 27
	s_cbranch_scc1 .LBB15_562
; %bb.560:
	s_cmp_gt_i32 s42, 27
	s_cbranch_scc0 .LBB15_563
; %bb.561:
	s_wait_loadcnt 0x0
	global_load_b32 v8, v[6:7], off
	s_mov_b32 s43, 0
	s_branch .LBB15_564
.LBB15_562:
	s_mov_b32 s43, -1
                                        ; implicit-def: $vgpr8
	s_branch .LBB15_567
.LBB15_563:
	s_mov_b32 s43, -1
                                        ; implicit-def: $vgpr8
.LBB15_564:
	s_delay_alu instid0(SALU_CYCLE_1)
	s_and_not1_b32 vcc_lo, exec_lo, s43
	s_cbranch_vccnz .LBB15_566
; %bb.565:
	s_wait_loadcnt 0x0
	global_load_u16 v8, v[6:7], off
.LBB15_566:
	s_mov_b32 s43, 0
.LBB15_567:
	s_delay_alu instid0(SALU_CYCLE_1)
	s_and_not1_b32 vcc_lo, exec_lo, s43
	s_cbranch_vccnz .LBB15_573
; %bb.568:
	global_load_u8 v1, v[6:7], off
	s_mov_b32 s44, 0
	s_mov_b32 s43, exec_lo
	s_wait_loadcnt 0x0
	v_cmpx_lt_i16_e32 0x7f, v1
	s_xor_b32 s43, exec_lo, s43
	s_cbranch_execz .LBB15_585
; %bb.569:
	v_cmp_ne_u16_e32 vcc_lo, 0x80, v1
	s_and_b32 s44, vcc_lo, exec_lo
	s_and_not1_saveexec_b32 s43, s43
	s_cbranch_execnz .LBB15_586
.LBB15_570:
	s_or_b32 exec_lo, exec_lo, s43
	v_mov_b32_e32 v8, 0
	s_and_saveexec_b32 s43, s44
	s_cbranch_execz .LBB15_572
.LBB15_571:
	v_and_b32_e32 v3, 0xffff, v1
	s_delay_alu instid0(VALU_DEP_1) | instskip(SKIP_1) | instid1(VALU_DEP_2)
	v_and_b32_e32 v5, 7, v3
	v_bfe_u32 v10, v3, 3, 4
	v_clz_i32_u32_e32 v8, v5
	s_delay_alu instid0(VALU_DEP_2) | instskip(NEXT) | instid1(VALU_DEP_2)
	v_cmp_eq_u32_e32 vcc_lo, 0, v10
	v_min_u32_e32 v8, 32, v8
	s_delay_alu instid0(VALU_DEP_1) | instskip(NEXT) | instid1(VALU_DEP_1)
	v_subrev_nc_u32_e32 v9, 28, v8
	v_dual_lshlrev_b32 v3, v9, v3 :: v_dual_sub_nc_u32 v8, 29, v8
	s_delay_alu instid0(VALU_DEP_1) | instskip(NEXT) | instid1(VALU_DEP_1)
	v_dual_lshlrev_b32 v1, 24, v1 :: v_dual_bitop2_b32 v3, 7, v3 bitop3:0x40
	v_dual_cndmask_b32 v8, v10, v8 :: v_dual_cndmask_b32 v3, v5, v3
	s_delay_alu instid0(VALU_DEP_2) | instskip(NEXT) | instid1(VALU_DEP_2)
	v_and_b32_e32 v1, 0x80000000, v1
	v_lshl_add_u32 v5, v8, 23, 0x3b800000
	s_delay_alu instid0(VALU_DEP_3) | instskip(NEXT) | instid1(VALU_DEP_1)
	v_lshlrev_b32_e32 v3, 20, v3
	v_or3_b32 v1, v1, v5, v3
	s_delay_alu instid0(VALU_DEP_1)
	v_cvt_i32_f32_e32 v8, v1
.LBB15_572:
	s_or_b32 exec_lo, exec_lo, s43
.LBB15_573:
	s_mov_b32 s43, -1
.LBB15_574:
	s_mov_b32 s44, 0
.LBB15_575:
	s_delay_alu instid0(SALU_CYCLE_1)
	s_and_b32 vcc_lo, exec_lo, s44
	s_cbranch_vccz .LBB15_608
; %bb.576:
	s_cmp_gt_i32 s42, 22
	s_cbranch_scc0 .LBB15_584
; %bb.577:
	s_cmp_lt_i32 s42, 24
	s_cbranch_scc1 .LBB15_587
; %bb.578:
	s_cmp_gt_i32 s42, 24
	s_cbranch_scc0 .LBB15_588
; %bb.579:
	global_load_u8 v1, v[6:7], off
	s_mov_b32 s44, 0
	s_mov_b32 s43, exec_lo
	s_wait_loadcnt 0x0
	v_cmpx_lt_i16_e32 0x7f, v1
	s_xor_b32 s43, exec_lo, s43
	s_cbranch_execz .LBB15_600
; %bb.580:
	v_cmp_ne_u16_e32 vcc_lo, 0x80, v1
	s_and_b32 s44, vcc_lo, exec_lo
	s_and_not1_saveexec_b32 s43, s43
	s_cbranch_execnz .LBB15_601
.LBB15_581:
	s_or_b32 exec_lo, exec_lo, s43
	v_mov_b32_e32 v8, 0
	s_and_saveexec_b32 s43, s44
	s_cbranch_execz .LBB15_583
.LBB15_582:
	v_and_b32_e32 v3, 0xffff, v1
	s_delay_alu instid0(VALU_DEP_1) | instskip(SKIP_1) | instid1(VALU_DEP_2)
	v_and_b32_e32 v5, 3, v3
	v_bfe_u32 v10, v3, 2, 5
	v_clz_i32_u32_e32 v8, v5
	s_delay_alu instid0(VALU_DEP_2) | instskip(NEXT) | instid1(VALU_DEP_2)
	v_cmp_eq_u32_e32 vcc_lo, 0, v10
	v_min_u32_e32 v8, 32, v8
	s_delay_alu instid0(VALU_DEP_1) | instskip(NEXT) | instid1(VALU_DEP_1)
	v_subrev_nc_u32_e32 v9, 29, v8
	v_dual_lshlrev_b32 v3, v9, v3 :: v_dual_sub_nc_u32 v8, 30, v8
	s_delay_alu instid0(VALU_DEP_1) | instskip(NEXT) | instid1(VALU_DEP_1)
	v_dual_lshlrev_b32 v1, 24, v1 :: v_dual_bitop2_b32 v3, 3, v3 bitop3:0x40
	v_dual_cndmask_b32 v8, v10, v8 :: v_dual_cndmask_b32 v3, v5, v3
	s_delay_alu instid0(VALU_DEP_2) | instskip(NEXT) | instid1(VALU_DEP_2)
	v_and_b32_e32 v1, 0x80000000, v1
	v_lshl_add_u32 v5, v8, 23, 0x37800000
	s_delay_alu instid0(VALU_DEP_3) | instskip(NEXT) | instid1(VALU_DEP_1)
	v_lshlrev_b32_e32 v3, 21, v3
	v_or3_b32 v1, v1, v5, v3
	s_delay_alu instid0(VALU_DEP_1)
	v_cvt_i32_f32_e32 v8, v1
.LBB15_583:
	s_or_b32 exec_lo, exec_lo, s43
	s_mov_b32 s43, 0
	s_branch .LBB15_589
.LBB15_584:
	s_mov_b32 s44, -1
                                        ; implicit-def: $vgpr8
	s_branch .LBB15_595
.LBB15_585:
	s_and_not1_saveexec_b32 s43, s43
	s_cbranch_execz .LBB15_570
.LBB15_586:
	v_cmp_ne_u16_e32 vcc_lo, 0, v1
	s_and_not1_b32 s44, s44, exec_lo
	s_and_b32 s46, vcc_lo, exec_lo
	s_delay_alu instid0(SALU_CYCLE_1)
	s_or_b32 s44, s44, s46
	s_or_b32 exec_lo, exec_lo, s43
	v_mov_b32_e32 v8, 0
	s_and_saveexec_b32 s43, s44
	s_cbranch_execnz .LBB15_571
	s_branch .LBB15_572
.LBB15_587:
	s_mov_b32 s43, -1
                                        ; implicit-def: $vgpr8
	s_branch .LBB15_592
.LBB15_588:
	s_mov_b32 s43, -1
                                        ; implicit-def: $vgpr8
.LBB15_589:
	s_delay_alu instid0(SALU_CYCLE_1)
	s_and_b32 vcc_lo, exec_lo, s43
	s_cbranch_vccz .LBB15_591
; %bb.590:
	global_load_u8 v1, v[6:7], off
	s_wait_loadcnt 0x0
	v_lshlrev_b32_e32 v1, 24, v1
	s_delay_alu instid0(VALU_DEP_1) | instskip(NEXT) | instid1(VALU_DEP_1)
	v_and_b32_e32 v3, 0x7f000000, v1
	v_clz_i32_u32_e32 v5, v3
	s_wait_xcnt 0x1
	v_add_nc_u32_e32 v9, 0x1000000, v3
	v_cmp_ne_u32_e32 vcc_lo, 0, v3
	s_delay_alu instid0(VALU_DEP_3) | instskip(NEXT) | instid1(VALU_DEP_1)
	v_min_u32_e32 v5, 32, v5
	v_sub_nc_u32_e64 v5, v5, 4 clamp
	s_delay_alu instid0(VALU_DEP_1) | instskip(NEXT) | instid1(VALU_DEP_1)
	v_dual_lshlrev_b32 v8, v5, v3 :: v_dual_lshlrev_b32 v5, 23, v5
	v_lshrrev_b32_e32 v8, 4, v8
	s_delay_alu instid0(VALU_DEP_1) | instskip(SKIP_1) | instid1(VALU_DEP_2)
	v_sub_nc_u32_e32 v5, v8, v5
	v_ashrrev_i32_e32 v8, 8, v9
	v_add_nc_u32_e32 v5, 0x3c000000, v5
	s_delay_alu instid0(VALU_DEP_1) | instskip(NEXT) | instid1(VALU_DEP_1)
	v_and_or_b32 v5, 0x7f800000, v8, v5
	v_cndmask_b32_e32 v3, 0, v5, vcc_lo
	s_delay_alu instid0(VALU_DEP_1) | instskip(NEXT) | instid1(VALU_DEP_1)
	v_and_or_b32 v1, 0x80000000, v1, v3
	v_cvt_i32_f32_e32 v8, v1
.LBB15_591:
	s_mov_b32 s43, 0
.LBB15_592:
	s_delay_alu instid0(SALU_CYCLE_1)
	s_and_not1_b32 vcc_lo, exec_lo, s43
	s_cbranch_vccnz .LBB15_594
; %bb.593:
	global_load_u8 v1, v[6:7], off
	s_wait_loadcnt 0x0
	v_lshlrev_b32_e32 v3, 25, v1
	v_lshlrev_b16 v1, 8, v1
	s_wait_xcnt 0x1
	s_delay_alu instid0(VALU_DEP_1) | instskip(SKIP_1) | instid1(VALU_DEP_2)
	v_and_or_b32 v8, 0x7f00, v1, 0.5
	v_bfe_i32 v1, v1, 0, 16
	v_dual_add_f32 v8, -0.5, v8 :: v_dual_lshrrev_b32 v5, 4, v3
	v_cmp_gt_u32_e32 vcc_lo, 0x8000000, v3
	s_delay_alu instid0(VALU_DEP_2) | instskip(NEXT) | instid1(VALU_DEP_1)
	v_or_b32_e32 v5, 0x70000000, v5
	v_mul_f32_e32 v5, 0x7800000, v5
	s_delay_alu instid0(VALU_DEP_1) | instskip(NEXT) | instid1(VALU_DEP_1)
	v_cndmask_b32_e32 v3, v5, v8, vcc_lo
	v_and_or_b32 v1, 0x80000000, v1, v3
	s_delay_alu instid0(VALU_DEP_1)
	v_cvt_i32_f32_e32 v8, v1
.LBB15_594:
	s_mov_b32 s44, 0
	s_mov_b32 s43, -1
.LBB15_595:
	s_and_not1_b32 vcc_lo, exec_lo, s44
	s_cbranch_vccnz .LBB15_608
; %bb.596:
	s_cmp_gt_i32 s42, 14
	s_cbranch_scc0 .LBB15_599
; %bb.597:
	s_cmp_eq_u32 s42, 15
	s_cbranch_scc0 .LBB15_602
; %bb.598:
	global_load_u16 v1, v[6:7], off
	s_mov_b32 s43, -1
	s_mov_b32 s25, 0
	s_wait_loadcnt 0x0
	v_lshlrev_b32_e32 v1, 16, v1
	s_wait_xcnt 0x1
	s_delay_alu instid0(VALU_DEP_1)
	v_cvt_i32_f32_e32 v8, v1
	s_branch .LBB15_603
.LBB15_599:
	s_mov_b32 s44, -1
                                        ; implicit-def: $vgpr8
	s_branch .LBB15_604
.LBB15_600:
	s_and_not1_saveexec_b32 s43, s43
	s_cbranch_execz .LBB15_581
.LBB15_601:
	v_cmp_ne_u16_e32 vcc_lo, 0, v1
	s_and_not1_b32 s44, s44, exec_lo
	s_and_b32 s46, vcc_lo, exec_lo
	s_delay_alu instid0(SALU_CYCLE_1)
	s_or_b32 s44, s44, s46
	s_or_b32 exec_lo, exec_lo, s43
	v_mov_b32_e32 v8, 0
	s_and_saveexec_b32 s43, s44
	s_cbranch_execnz .LBB15_582
	s_branch .LBB15_583
.LBB15_602:
	s_mov_b32 s25, -1
                                        ; implicit-def: $vgpr8
.LBB15_603:
	s_mov_b32 s44, 0
.LBB15_604:
	s_delay_alu instid0(SALU_CYCLE_1)
	s_and_b32 vcc_lo, exec_lo, s44
	s_cbranch_vccz .LBB15_608
; %bb.605:
	s_cmp_eq_u32 s42, 11
	s_cbranch_scc0 .LBB15_607
; %bb.606:
	global_load_u8 v1, v[6:7], off
	s_mov_b32 s25, 0
	s_mov_b32 s43, -1
	s_wait_loadcnt 0x0
	v_cmp_ne_u16_e32 vcc_lo, 0, v1
	s_wait_xcnt 0x1
	v_cndmask_b32_e64 v8, 0, 1, vcc_lo
	s_branch .LBB15_608
.LBB15_607:
	s_mov_b32 s25, -1
                                        ; implicit-def: $vgpr8
.LBB15_608:
	s_mov_b32 s42, 0
.LBB15_609:
	s_delay_alu instid0(SALU_CYCLE_1)
	s_and_b32 vcc_lo, exec_lo, s42
	s_cbranch_vccz .LBB15_658
; %bb.610:
	s_and_b32 s0, 0xffff, s0
	s_delay_alu instid0(SALU_CYCLE_1)
	s_cmp_lt_i32 s0, 5
	s_cbranch_scc1 .LBB15_615
; %bb.611:
	s_cmp_lt_i32 s0, 8
	s_cbranch_scc1 .LBB15_616
; %bb.612:
	;; [unrolled: 3-line block ×3, first 2 shown]
	s_cmp_gt_i32 s0, 9
	s_cbranch_scc0 .LBB15_618
; %bb.614:
	s_wait_loadcnt 0x0
	global_load_b64 v[8:9], v[6:7], off
	s_mov_b32 s42, 0
	s_wait_loadcnt 0x0
	v_cvt_i32_f64_e32 v8, v[8:9]
	s_branch .LBB15_619
.LBB15_615:
	s_mov_b32 s42, -1
                                        ; implicit-def: $vgpr8
	s_branch .LBB15_637
.LBB15_616:
	s_mov_b32 s42, -1
                                        ; implicit-def: $vgpr8
	s_branch .LBB15_625
.LBB15_617:
	s_mov_b32 s42, -1
                                        ; implicit-def: $vgpr8
	s_branch .LBB15_622
.LBB15_618:
	s_mov_b32 s42, -1
                                        ; implicit-def: $vgpr8
.LBB15_619:
	s_delay_alu instid0(SALU_CYCLE_1)
	s_and_not1_b32 vcc_lo, exec_lo, s42
	s_cbranch_vccnz .LBB15_621
; %bb.620:
	global_load_b32 v1, v[6:7], off
	s_wait_loadcnt 0x0
	s_wait_xcnt 0x1
	v_cvt_i32_f32_e32 v8, v1
.LBB15_621:
	s_mov_b32 s42, 0
.LBB15_622:
	s_delay_alu instid0(SALU_CYCLE_1)
	s_and_not1_b32 vcc_lo, exec_lo, s42
	s_cbranch_vccnz .LBB15_624
; %bb.623:
	global_load_b32 v1, v[6:7], off
	s_wait_loadcnt 0x0
	s_wait_xcnt 0x1
	v_cvt_i16_f16_e32 v8, v1
.LBB15_624:
	s_mov_b32 s42, 0
.LBB15_625:
	s_delay_alu instid0(SALU_CYCLE_1)
	s_and_not1_b32 vcc_lo, exec_lo, s42
	s_cbranch_vccnz .LBB15_636
; %bb.626:
	s_cmp_lt_i32 s0, 6
	s_cbranch_scc1 .LBB15_629
; %bb.627:
	s_cmp_gt_i32 s0, 6
	s_cbranch_scc0 .LBB15_630
; %bb.628:
	s_wait_loadcnt 0x0
	global_load_b64 v[8:9], v[6:7], off
	s_mov_b32 s42, 0
	s_wait_loadcnt 0x0
	v_cvt_i32_f64_e32 v8, v[8:9]
	s_branch .LBB15_631
.LBB15_629:
	s_mov_b32 s42, -1
                                        ; implicit-def: $vgpr8
	s_branch .LBB15_634
.LBB15_630:
	s_mov_b32 s42, -1
                                        ; implicit-def: $vgpr8
.LBB15_631:
	s_delay_alu instid0(SALU_CYCLE_1)
	s_and_not1_b32 vcc_lo, exec_lo, s42
	s_cbranch_vccnz .LBB15_633
; %bb.632:
	global_load_b32 v1, v[6:7], off
	s_wait_loadcnt 0x0
	s_wait_xcnt 0x1
	v_cvt_i32_f32_e32 v8, v1
.LBB15_633:
	s_mov_b32 s42, 0
.LBB15_634:
	s_delay_alu instid0(SALU_CYCLE_1)
	s_and_not1_b32 vcc_lo, exec_lo, s42
	s_cbranch_vccnz .LBB15_636
; %bb.635:
	global_load_u16 v1, v[6:7], off
	s_wait_loadcnt 0x0
	s_wait_xcnt 0x1
	v_cvt_i16_f16_e32 v8, v1
.LBB15_636:
	s_mov_b32 s42, 0
.LBB15_637:
	s_delay_alu instid0(SALU_CYCLE_1)
	s_and_not1_b32 vcc_lo, exec_lo, s42
	s_cbranch_vccnz .LBB15_657
; %bb.638:
	s_cmp_lt_i32 s0, 2
	s_cbranch_scc1 .LBB15_642
; %bb.639:
	s_cmp_lt_i32 s0, 3
	s_cbranch_scc1 .LBB15_643
; %bb.640:
	s_cmp_gt_i32 s0, 3
	s_cbranch_scc0 .LBB15_644
; %bb.641:
	s_wait_loadcnt 0x0
	global_load_b64 v[8:9], v[6:7], off
	s_mov_b32 s42, 0
	s_branch .LBB15_645
.LBB15_642:
	s_mov_b32 s42, -1
                                        ; implicit-def: $vgpr8
	s_branch .LBB15_651
.LBB15_643:
	s_mov_b32 s42, -1
                                        ; implicit-def: $vgpr8
	s_branch .LBB15_648
.LBB15_644:
	s_mov_b32 s42, -1
                                        ; implicit-def: $vgpr8
.LBB15_645:
	s_delay_alu instid0(SALU_CYCLE_1)
	s_and_not1_b32 vcc_lo, exec_lo, s42
	s_cbranch_vccnz .LBB15_647
; %bb.646:
	s_wait_loadcnt 0x0
	global_load_b32 v8, v[6:7], off
.LBB15_647:
	s_mov_b32 s42, 0
.LBB15_648:
	s_delay_alu instid0(SALU_CYCLE_1)
	s_and_not1_b32 vcc_lo, exec_lo, s42
	s_cbranch_vccnz .LBB15_650
; %bb.649:
	s_wait_loadcnt 0x0
	global_load_u16 v8, v[6:7], off
.LBB15_650:
	s_mov_b32 s42, 0
.LBB15_651:
	s_delay_alu instid0(SALU_CYCLE_1)
	s_and_not1_b32 vcc_lo, exec_lo, s42
	s_cbranch_vccnz .LBB15_657
; %bb.652:
	s_cmp_gt_i32 s0, 0
	s_mov_b32 s0, 0
	s_cbranch_scc0 .LBB15_654
; %bb.653:
	s_wait_loadcnt 0x0
	global_load_u8 v8, v[6:7], off
	s_branch .LBB15_655
.LBB15_654:
	s_mov_b32 s0, -1
                                        ; implicit-def: $vgpr8
.LBB15_655:
	s_delay_alu instid0(SALU_CYCLE_1)
	s_and_not1_b32 vcc_lo, exec_lo, s0
	s_cbranch_vccnz .LBB15_657
; %bb.656:
	s_wait_loadcnt 0x0
	global_load_u8 v8, v[6:7], off
.LBB15_657:
	s_mov_b32 s43, -1
.LBB15_658:
	s_delay_alu instid0(SALU_CYCLE_1)
	s_and_not1_b32 vcc_lo, exec_lo, s43
	s_cbranch_vccnz .LBB15_670
; %bb.659:
	s_wait_loadcnt 0x0
	s_delay_alu instid0(VALU_DEP_1) | instskip(NEXT) | instid1(VALU_DEP_4)
	v_bfe_i32 v1, v8, 0, 8
	v_and_b32_e32 v5, 0xff, v4
	s_mov_b32 s42, 0
	s_mov_b32 s0, exec_lo
	s_delay_alu instid0(VALU_DEP_2) | instskip(NEXT) | instid1(VALU_DEP_1)
	v_sub_nc_u16 v3, 0, v1
	v_max_i16 v1, v1, v3
	s_wait_xcnt 0x0
	v_cmpx_ne_u16_e32 0, v5
	s_cbranch_execz .LBB15_663
; %bb.660:
	v_bfe_i32 v3, v4, 0, 8
	s_delay_alu instid0(VALU_DEP_1) | instskip(NEXT) | instid1(VALU_DEP_1)
	v_sub_nc_u16 v4, 0, v3
	v_max_i16 v4, v3, v4
	v_and_b32_e32 v3, 0xff, v1
	s_delay_alu instid0(VALU_DEP_2)
	v_and_b32_e32 v4, 0xffff, v4
.LBB15_661:                             ; =>This Inner Loop Header: Depth=1
	s_delay_alu instid0(VALU_DEP_2) | instskip(NEXT) | instid1(VALU_DEP_2)
	v_bfe_i32 v6, v3, 0, 8
	v_mov_b32_e32 v1, v4
	s_delay_alu instid0(VALU_DEP_2) | instskip(NEXT) | instid1(VALU_DEP_2)
	v_cvt_f32_i32_e32 v8, v6
	v_bfe_i32 v4, v1, 0, 8
	s_delay_alu instid0(VALU_DEP_1) | instskip(SKIP_1) | instid1(VALU_DEP_2)
	v_cvt_f32_i32_e32 v5, v4
	v_xor_b32_e32 v4, v6, v4
	v_rcp_iflag_f32_e32 v7, v5
	v_nop
	s_delay_alu instid0(TRANS32_DEP_1) | instskip(NEXT) | instid1(VALU_DEP_1)
	v_dual_ashrrev_i32 v4, 30, v4 :: v_dual_mul_f32 v6, v8, v7
	v_trunc_f32_e32 v6, v6
	s_delay_alu instid0(VALU_DEP_1) | instskip(SKIP_1) | instid1(VALU_DEP_2)
	v_dual_fma_f32 v7, -v6, v5, v8 :: v_dual_bitop2_b32 v4, 1, v4 bitop3:0x54
	v_cvt_i32_f32_e32 v6, v6
	v_cmp_ge_f32_e64 vcc_lo, |v7|, |v5|
	s_delay_alu instid0(VALU_DEP_3) | instskip(NEXT) | instid1(VALU_DEP_1)
	v_cndmask_b32_e32 v4, 0, v4, vcc_lo
	v_add_nc_u32_e32 v4, v6, v4
	s_delay_alu instid0(VALU_DEP_1) | instskip(NEXT) | instid1(VALU_DEP_1)
	v_mul_lo_u32 v4, v4, v1
	v_sub_nc_u32_e32 v3, v3, v4
	s_delay_alu instid0(VALU_DEP_1) | instskip(SKIP_1) | instid1(VALU_DEP_2)
	v_bfe_i32 v4, v3, 0, 8
	v_mov_b32_e32 v3, v1
	v_cmp_eq_u16_e32 vcc_lo, 0, v4
	v_and_b32_e32 v4, 0xffff, v4
	s_or_b32 s42, vcc_lo, s42
	s_delay_alu instid0(SALU_CYCLE_1)
	s_and_not1_b32 exec_lo, exec_lo, s42
	s_cbranch_execnz .LBB15_661
; %bb.662:
	s_or_b32 exec_lo, exec_lo, s42
.LBB15_663:
	s_delay_alu instid0(SALU_CYCLE_1) | instskip(SKIP_2) | instid1(SALU_CYCLE_1)
	s_or_b32 exec_lo, exec_lo, s0
	v_mov_b32_e32 v3, 0
	s_and_b32 s42, s31, 0xff
	s_cmp_lt_i32 s42, 11
	s_delay_alu instid0(VALU_DEP_1)
	v_add_nc_u64_e32 v[2:3], s[4:5], v[2:3]
	s_cbranch_scc1 .LBB15_671
; %bb.664:
	s_and_b32 s43, 0xffff, s42
	s_delay_alu instid0(SALU_CYCLE_1)
	s_cmp_gt_i32 s43, 25
	s_cbranch_scc0 .LBB15_672
; %bb.665:
	s_cmp_gt_i32 s43, 28
	s_cbranch_scc0 .LBB15_673
; %bb.666:
	;; [unrolled: 3-line block ×4, first 2 shown]
	s_mov_b32 s46, 0
	s_mov_b32 s0, -1
	s_cmp_eq_u32 s43, 46
	s_mov_b32 s44, 0
	s_cbranch_scc0 .LBB15_676
; %bb.669:
	v_bfe_i32 v4, v1, 0, 8
	s_mov_b32 s44, -1
	s_mov_b32 s0, 0
	s_delay_alu instid0(VALU_DEP_1) | instskip(NEXT) | instid1(VALU_DEP_1)
	v_bfe_i32 v4, v4, 0, 16
	v_cvt_f32_i32_e32 v4, v4
	s_delay_alu instid0(VALU_DEP_1) | instskip(NEXT) | instid1(VALU_DEP_1)
	v_bfe_u32 v5, v4, 16, 1
	v_add3_u32 v4, v4, v5, 0x7fff
	s_delay_alu instid0(VALU_DEP_1)
	v_lshrrev_b32_e32 v4, 16, v4
	global_store_b32 v[2:3], v4, off
	s_branch .LBB15_676
.LBB15_670:
	s_mov_b32 s46, 0
	s_mov_b32 s0, s38
	s_branch .LBB15_787
.LBB15_671:
	s_mov_b32 s43, -1
	s_mov_b32 s44, 0
	s_mov_b32 s0, s38
	s_branch .LBB15_745
.LBB15_672:
	s_mov_b32 s46, -1
	s_mov_b32 s44, 0
	s_mov_b32 s0, s38
	s_branch .LBB15_703
.LBB15_673:
	s_mov_b32 s46, -1
	s_mov_b32 s44, 0
	s_mov_b32 s0, s38
	s_branch .LBB15_686
.LBB15_674:
	s_mov_b32 s46, -1
	s_mov_b32 s44, 0
	s_mov_b32 s0, s38
	s_branch .LBB15_682
.LBB15_675:
	s_mov_b32 s46, -1
	s_mov_b32 s44, 0
	s_mov_b32 s0, s38
.LBB15_676:
	s_and_b32 vcc_lo, exec_lo, s46
	s_cbranch_vccz .LBB15_681
; %bb.677:
	s_cmp_eq_u32 s43, 44
	s_mov_b32 s0, -1
	s_cbranch_scc0 .LBB15_681
; %bb.678:
	s_wait_xcnt 0x0
	v_bfe_i32 v4, v1, 0, 8
	v_mov_b32_e32 v5, 0xff
	s_mov_b32 s44, exec_lo
	s_delay_alu instid0(VALU_DEP_2) | instskip(NEXT) | instid1(VALU_DEP_1)
	v_bfe_i32 v4, v4, 0, 16
	v_cvt_f32_i32_e32 v4, v4
	s_delay_alu instid0(VALU_DEP_1) | instskip(NEXT) | instid1(VALU_DEP_1)
	v_bfe_u32 v6, v4, 23, 8
	v_cmpx_ne_u32_e32 0xff, v6
	s_cbranch_execz .LBB15_680
; %bb.679:
	v_and_b32_e32 v5, 0x400000, v4
	v_and_or_b32 v6, 0x3fffff, v4, v6
	v_lshrrev_b32_e32 v4, 23, v4
	s_delay_alu instid0(VALU_DEP_3) | instskip(NEXT) | instid1(VALU_DEP_3)
	v_cmp_ne_u32_e32 vcc_lo, 0, v5
	v_cmp_ne_u32_e64 s0, 0, v6
	s_and_b32 s0, vcc_lo, s0
	s_delay_alu instid0(SALU_CYCLE_1) | instskip(NEXT) | instid1(VALU_DEP_1)
	v_cndmask_b32_e64 v5, 0, 1, s0
	v_add_nc_u32_e32 v5, v4, v5
.LBB15_680:
	s_or_b32 exec_lo, exec_lo, s44
	s_mov_b32 s44, -1
	s_mov_b32 s0, 0
	global_store_b8 v[2:3], v5, off
.LBB15_681:
	s_mov_b32 s46, 0
.LBB15_682:
	s_delay_alu instid0(SALU_CYCLE_1)
	s_and_b32 vcc_lo, exec_lo, s46
	s_cbranch_vccz .LBB15_685
; %bb.683:
	s_cmp_eq_u32 s43, 29
	s_mov_b32 s0, -1
	s_cbranch_scc0 .LBB15_685
; %bb.684:
	s_wait_xcnt 0x0
	v_bfe_i32 v4, v1, 0, 8
	s_mov_b32 s44, -1
	s_mov_b32 s0, 0
	s_mov_b32 s46, 0
	s_delay_alu instid0(VALU_DEP_1)
	v_ashrrev_i32_e32 v5, 31, v4
	global_store_b64 v[2:3], v[4:5], off
	s_branch .LBB15_686
.LBB15_685:
	s_mov_b32 s46, 0
.LBB15_686:
	s_delay_alu instid0(SALU_CYCLE_1)
	s_and_b32 vcc_lo, exec_lo, s46
	s_cbranch_vccz .LBB15_702
; %bb.687:
	s_cmp_lt_i32 s43, 27
	s_mov_b32 s44, -1
	s_cbranch_scc1 .LBB15_693
; %bb.688:
	s_cmp_gt_i32 s43, 27
	s_cbranch_scc0 .LBB15_690
; %bb.689:
	s_wait_xcnt 0x0
	v_bfe_i32 v4, v1, 0, 8
	s_mov_b32 s44, 0
	global_store_b32 v[2:3], v4, off
.LBB15_690:
	s_and_not1_b32 vcc_lo, exec_lo, s44
	s_cbranch_vccnz .LBB15_692
; %bb.691:
	s_wait_xcnt 0x0
	v_bfe_i32 v4, v1, 0, 8
	global_store_b16 v[2:3], v4, off
.LBB15_692:
	s_mov_b32 s44, 0
.LBB15_693:
	s_delay_alu instid0(SALU_CYCLE_1)
	s_and_not1_b32 vcc_lo, exec_lo, s44
	s_cbranch_vccnz .LBB15_701
; %bb.694:
	s_wait_xcnt 0x0
	v_bfe_i32 v4, v1, 0, 8
	v_mov_b32_e32 v6, 0x80
	s_mov_b32 s44, exec_lo
	s_delay_alu instid0(VALU_DEP_2) | instskip(NEXT) | instid1(VALU_DEP_1)
	v_bfe_i32 v4, v4, 0, 16
	v_cvt_f32_i32_e32 v4, v4
	s_delay_alu instid0(VALU_DEP_1) | instskip(NEXT) | instid1(VALU_DEP_1)
	v_and_b32_e32 v5, 0x7fffffff, v4
	v_cmpx_gt_u32_e32 0x43800000, v5
	s_cbranch_execz .LBB15_700
; %bb.695:
	v_cmp_lt_u32_e32 vcc_lo, 0x3bffffff, v5
	s_mov_b32 s46, 0
                                        ; implicit-def: $vgpr5
	s_and_saveexec_b32 s47, vcc_lo
	s_delay_alu instid0(SALU_CYCLE_1)
	s_xor_b32 s47, exec_lo, s47
	s_cbranch_execz .LBB15_815
; %bb.696:
	v_bfe_u32 v5, v4, 20, 1
	s_mov_b32 s46, exec_lo
	s_delay_alu instid0(VALU_DEP_1) | instskip(NEXT) | instid1(VALU_DEP_1)
	v_add3_u32 v5, v4, v5, 0x487ffff
	v_lshrrev_b32_e32 v5, 20, v5
	s_and_not1_saveexec_b32 s47, s47
	s_cbranch_execnz .LBB15_816
.LBB15_697:
	s_or_b32 exec_lo, exec_lo, s47
	v_mov_b32_e32 v6, 0
	s_and_saveexec_b32 s47, s46
.LBB15_698:
	v_lshrrev_b32_e32 v4, 24, v4
	s_delay_alu instid0(VALU_DEP_1)
	v_and_or_b32 v6, 0x80, v4, v5
.LBB15_699:
	s_or_b32 exec_lo, exec_lo, s47
.LBB15_700:
	s_delay_alu instid0(SALU_CYCLE_1)
	s_or_b32 exec_lo, exec_lo, s44
	global_store_b8 v[2:3], v6, off
.LBB15_701:
	s_mov_b32 s44, -1
.LBB15_702:
	s_mov_b32 s46, 0
.LBB15_703:
	s_delay_alu instid0(SALU_CYCLE_1)
	s_and_b32 vcc_lo, exec_lo, s46
	s_cbranch_vccz .LBB15_744
; %bb.704:
	s_cmp_gt_i32 s43, 22
	s_mov_b32 s46, -1
	s_cbranch_scc0 .LBB15_736
; %bb.705:
	s_cmp_lt_i32 s43, 24
	s_mov_b32 s44, -1
	s_cbranch_scc1 .LBB15_725
; %bb.706:
	s_cmp_gt_i32 s43, 24
	s_cbranch_scc0 .LBB15_714
; %bb.707:
	s_wait_xcnt 0x0
	v_bfe_i32 v4, v1, 0, 8
	v_mov_b32_e32 v6, 0x80
	s_mov_b32 s44, exec_lo
	s_delay_alu instid0(VALU_DEP_2) | instskip(NEXT) | instid1(VALU_DEP_1)
	v_bfe_i32 v4, v4, 0, 16
	v_cvt_f32_i32_e32 v4, v4
	s_delay_alu instid0(VALU_DEP_1) | instskip(NEXT) | instid1(VALU_DEP_1)
	v_and_b32_e32 v5, 0x7fffffff, v4
	v_cmpx_gt_u32_e32 0x47800000, v5
	s_cbranch_execz .LBB15_713
; %bb.708:
	v_cmp_lt_u32_e32 vcc_lo, 0x37ffffff, v5
	s_mov_b32 s46, 0
                                        ; implicit-def: $vgpr5
	s_and_saveexec_b32 s47, vcc_lo
	s_delay_alu instid0(SALU_CYCLE_1)
	s_xor_b32 s47, exec_lo, s47
	s_cbranch_execz .LBB15_943
; %bb.709:
	v_bfe_u32 v5, v4, 21, 1
	s_mov_b32 s46, exec_lo
	s_delay_alu instid0(VALU_DEP_1) | instskip(NEXT) | instid1(VALU_DEP_1)
	v_add3_u32 v5, v4, v5, 0x88fffff
	v_lshrrev_b32_e32 v5, 21, v5
	s_and_not1_saveexec_b32 s47, s47
	s_cbranch_execnz .LBB15_944
.LBB15_710:
	s_or_b32 exec_lo, exec_lo, s47
	v_mov_b32_e32 v6, 0
	s_and_saveexec_b32 s47, s46
.LBB15_711:
	v_lshrrev_b32_e32 v4, 24, v4
	s_delay_alu instid0(VALU_DEP_1)
	v_and_or_b32 v6, 0x80, v4, v5
.LBB15_712:
	s_or_b32 exec_lo, exec_lo, s47
.LBB15_713:
	s_delay_alu instid0(SALU_CYCLE_1)
	s_or_b32 exec_lo, exec_lo, s44
	s_mov_b32 s44, 0
	global_store_b8 v[2:3], v6, off
.LBB15_714:
	s_and_b32 vcc_lo, exec_lo, s44
	s_cbranch_vccz .LBB15_724
; %bb.715:
	s_wait_xcnt 0x0
	v_bfe_i32 v4, v1, 0, 8
	s_mov_b32 s44, exec_lo
                                        ; implicit-def: $vgpr5
	s_delay_alu instid0(VALU_DEP_1) | instskip(NEXT) | instid1(VALU_DEP_1)
	v_bfe_i32 v4, v4, 0, 16
	v_cvt_f32_i32_e32 v4, v4
	s_delay_alu instid0(VALU_DEP_1) | instskip(NEXT) | instid1(VALU_DEP_1)
	v_and_b32_e32 v6, 0x7fffffff, v4
	v_cmpx_gt_u32_e32 0x43f00000, v6
	s_xor_b32 s44, exec_lo, s44
	s_cbranch_execz .LBB15_721
; %bb.716:
	s_mov_b32 s46, exec_lo
                                        ; implicit-def: $vgpr5
	v_cmpx_lt_u32_e32 0x3c7fffff, v6
	s_xor_b32 s46, exec_lo, s46
; %bb.717:
	v_bfe_u32 v5, v4, 20, 1
	s_delay_alu instid0(VALU_DEP_1) | instskip(NEXT) | instid1(VALU_DEP_1)
	v_add3_u32 v5, v4, v5, 0x407ffff
	v_and_b32_e32 v6, 0xff00000, v5
	v_lshrrev_b32_e32 v5, 20, v5
	s_delay_alu instid0(VALU_DEP_2) | instskip(NEXT) | instid1(VALU_DEP_2)
	v_cmp_ne_u32_e32 vcc_lo, 0x7f00000, v6
	v_cndmask_b32_e32 v5, 0x7e, v5, vcc_lo
; %bb.718:
	s_and_not1_saveexec_b32 s46, s46
; %bb.719:
	v_add_f32_e64 v5, 0x46800000, |v4|
; %bb.720:
	s_or_b32 exec_lo, exec_lo, s46
                                        ; implicit-def: $vgpr6
.LBB15_721:
	s_and_not1_saveexec_b32 s44, s44
; %bb.722:
	v_mov_b32_e32 v5, 0x7f
	v_cmp_lt_u32_e32 vcc_lo, 0x7f800000, v6
	s_delay_alu instid0(VALU_DEP_2)
	v_cndmask_b32_e32 v5, 0x7e, v5, vcc_lo
; %bb.723:
	s_or_b32 exec_lo, exec_lo, s44
	v_lshrrev_b32_e32 v4, 24, v4
	s_delay_alu instid0(VALU_DEP_1)
	v_and_or_b32 v4, 0x80, v4, v5
	global_store_b8 v[2:3], v4, off
.LBB15_724:
	s_mov_b32 s44, 0
.LBB15_725:
	s_delay_alu instid0(SALU_CYCLE_1)
	s_and_not1_b32 vcc_lo, exec_lo, s44
	s_cbranch_vccnz .LBB15_735
; %bb.726:
	s_wait_xcnt 0x0
	v_bfe_i32 v4, v1, 0, 8
	s_mov_b32 s44, exec_lo
                                        ; implicit-def: $vgpr5
	s_delay_alu instid0(VALU_DEP_1) | instskip(NEXT) | instid1(VALU_DEP_1)
	v_bfe_i32 v4, v4, 0, 16
	v_cvt_f32_i32_e32 v4, v4
	s_delay_alu instid0(VALU_DEP_1) | instskip(NEXT) | instid1(VALU_DEP_1)
	v_and_b32_e32 v6, 0x7fffffff, v4
	v_cmpx_gt_u32_e32 0x47800000, v6
	s_xor_b32 s44, exec_lo, s44
	s_cbranch_execz .LBB15_732
; %bb.727:
	s_mov_b32 s46, exec_lo
                                        ; implicit-def: $vgpr5
	v_cmpx_lt_u32_e32 0x387fffff, v6
	s_xor_b32 s46, exec_lo, s46
; %bb.728:
	v_bfe_u32 v5, v4, 21, 1
	s_delay_alu instid0(VALU_DEP_1) | instskip(NEXT) | instid1(VALU_DEP_1)
	v_add3_u32 v5, v4, v5, 0x80fffff
	v_lshrrev_b32_e32 v5, 21, v5
; %bb.729:
	s_and_not1_saveexec_b32 s46, s46
; %bb.730:
	v_add_f32_e64 v5, 0x43000000, |v4|
; %bb.731:
	s_or_b32 exec_lo, exec_lo, s46
                                        ; implicit-def: $vgpr6
.LBB15_732:
	s_and_not1_saveexec_b32 s44, s44
; %bb.733:
	v_mov_b32_e32 v5, 0x7f
	v_cmp_lt_u32_e32 vcc_lo, 0x7f800000, v6
	s_delay_alu instid0(VALU_DEP_2)
	v_cndmask_b32_e32 v5, 0x7c, v5, vcc_lo
; %bb.734:
	s_or_b32 exec_lo, exec_lo, s44
	v_lshrrev_b32_e32 v4, 24, v4
	s_delay_alu instid0(VALU_DEP_1)
	v_and_or_b32 v4, 0x80, v4, v5
	global_store_b8 v[2:3], v4, off
.LBB15_735:
	s_mov_b32 s46, 0
	s_mov_b32 s44, -1
.LBB15_736:
	s_and_not1_b32 vcc_lo, exec_lo, s46
	s_cbranch_vccnz .LBB15_744
; %bb.737:
	s_cmp_gt_i32 s43, 14
	s_mov_b32 s46, -1
	s_cbranch_scc0 .LBB15_741
; %bb.738:
	s_cmp_eq_u32 s43, 15
	s_mov_b32 s0, -1
	s_cbranch_scc0 .LBB15_740
; %bb.739:
	s_wait_xcnt 0x0
	v_bfe_i32 v4, v1, 0, 8
	s_mov_b32 s44, -1
	s_mov_b32 s0, 0
	s_delay_alu instid0(VALU_DEP_1) | instskip(NEXT) | instid1(VALU_DEP_1)
	v_bfe_i32 v4, v4, 0, 16
	v_cvt_f32_i32_e32 v4, v4
	s_delay_alu instid0(VALU_DEP_1) | instskip(NEXT) | instid1(VALU_DEP_1)
	v_bfe_u32 v5, v4, 16, 1
	v_add3_u32 v4, v4, v5, 0x7fff
	global_store_d16_hi_b16 v[2:3], v4, off
.LBB15_740:
	s_mov_b32 s46, 0
.LBB15_741:
	s_delay_alu instid0(SALU_CYCLE_1)
	s_and_b32 vcc_lo, exec_lo, s46
	s_cbranch_vccz .LBB15_744
; %bb.742:
	s_cmp_eq_u32 s43, 11
	s_mov_b32 s0, -1
	s_cbranch_scc0 .LBB15_744
; %bb.743:
	s_wait_xcnt 0x0
	v_and_b32_e32 v4, 0xff, v1
	s_mov_b32 s0, 0
	s_mov_b32 s44, -1
	s_delay_alu instid0(VALU_DEP_1)
	v_cmp_ne_u16_e32 vcc_lo, 0, v4
	v_cndmask_b32_e64 v4, 0, 1, vcc_lo
	global_store_b8 v[2:3], v4, off
.LBB15_744:
	s_mov_b32 s43, 0
.LBB15_745:
	s_delay_alu instid0(SALU_CYCLE_1)
	s_and_b32 vcc_lo, exec_lo, s43
	s_cbranch_vccz .LBB15_784
; %bb.746:
	s_and_b32 s42, 0xffff, s42
	s_mov_b32 s43, -1
	s_cmp_lt_i32 s42, 5
	s_cbranch_scc1 .LBB15_767
; %bb.747:
	s_cmp_lt_i32 s42, 8
	s_cbranch_scc1 .LBB15_757
; %bb.748:
	;; [unrolled: 3-line block ×3, first 2 shown]
	s_cmp_gt_i32 s42, 9
	s_cbranch_scc0 .LBB15_751
; %bb.750:
	s_wait_xcnt 0x0
	v_bfe_i32 v4, v1, 0, 8
	v_mov_b32_e32 v6, 0
	s_mov_b32 s43, 0
	s_delay_alu instid0(VALU_DEP_2) | instskip(NEXT) | instid1(VALU_DEP_2)
	v_bfe_i32 v4, v4, 0, 16
	v_mov_b32_e32 v7, v6
	s_delay_alu instid0(VALU_DEP_2)
	v_cvt_f64_i32_e32 v[4:5], v4
	global_store_b128 v[2:3], v[4:7], off
.LBB15_751:
	s_and_not1_b32 vcc_lo, exec_lo, s43
	s_cbranch_vccnz .LBB15_753
; %bb.752:
	s_wait_xcnt 0x0
	v_bfe_i32 v4, v1, 0, 8
	v_mov_b32_e32 v5, 0
	s_delay_alu instid0(VALU_DEP_2) | instskip(NEXT) | instid1(VALU_DEP_1)
	v_bfe_i32 v4, v4, 0, 16
	v_cvt_f32_i32_e32 v4, v4
	global_store_b64 v[2:3], v[4:5], off
.LBB15_753:
	s_mov_b32 s43, 0
.LBB15_754:
	s_delay_alu instid0(SALU_CYCLE_1)
	s_and_not1_b32 vcc_lo, exec_lo, s43
	s_cbranch_vccnz .LBB15_756
; %bb.755:
	s_wait_xcnt 0x0
	v_bfe_i32 v4, v1, 0, 8
	s_delay_alu instid0(VALU_DEP_1) | instskip(NEXT) | instid1(VALU_DEP_1)
	v_cvt_f16_i16_e32 v4, v4
	v_and_b32_e32 v4, 0xffff, v4
	global_store_b32 v[2:3], v4, off
.LBB15_756:
	s_mov_b32 s43, 0
.LBB15_757:
	s_delay_alu instid0(SALU_CYCLE_1)
	s_and_not1_b32 vcc_lo, exec_lo, s43
	s_cbranch_vccnz .LBB15_766
; %bb.758:
	s_cmp_lt_i32 s42, 6
	s_mov_b32 s43, -1
	s_cbranch_scc1 .LBB15_764
; %bb.759:
	s_cmp_gt_i32 s42, 6
	s_cbranch_scc0 .LBB15_761
; %bb.760:
	s_wait_xcnt 0x0
	v_bfe_i32 v4, v1, 0, 8
	s_mov_b32 s43, 0
	s_delay_alu instid0(VALU_DEP_1) | instskip(NEXT) | instid1(VALU_DEP_1)
	v_bfe_i32 v4, v4, 0, 16
	v_cvt_f64_i32_e32 v[4:5], v4
	global_store_b64 v[2:3], v[4:5], off
.LBB15_761:
	s_and_not1_b32 vcc_lo, exec_lo, s43
	s_cbranch_vccnz .LBB15_763
; %bb.762:
	s_wait_xcnt 0x0
	v_bfe_i32 v4, v1, 0, 8
	s_delay_alu instid0(VALU_DEP_1) | instskip(NEXT) | instid1(VALU_DEP_1)
	v_bfe_i32 v4, v4, 0, 16
	v_cvt_f32_i32_e32 v4, v4
	global_store_b32 v[2:3], v4, off
.LBB15_763:
	s_mov_b32 s43, 0
.LBB15_764:
	s_delay_alu instid0(SALU_CYCLE_1)
	s_and_not1_b32 vcc_lo, exec_lo, s43
	s_cbranch_vccnz .LBB15_766
; %bb.765:
	s_wait_xcnt 0x0
	v_bfe_i32 v4, v1, 0, 8
	s_delay_alu instid0(VALU_DEP_1)
	v_cvt_f16_i16_e32 v4, v4
	global_store_b16 v[2:3], v4, off
.LBB15_766:
	s_mov_b32 s43, 0
.LBB15_767:
	s_delay_alu instid0(SALU_CYCLE_1)
	s_and_not1_b32 vcc_lo, exec_lo, s43
	s_cbranch_vccnz .LBB15_783
; %bb.768:
	s_cmp_lt_i32 s42, 2
	s_mov_b32 s43, -1
	s_cbranch_scc1 .LBB15_778
; %bb.769:
	s_cmp_lt_i32 s42, 3
	s_cbranch_scc1 .LBB15_775
; %bb.770:
	s_cmp_gt_i32 s42, 3
	s_cbranch_scc0 .LBB15_772
; %bb.771:
	s_wait_xcnt 0x0
	v_bfe_i32 v4, v1, 0, 8
	s_mov_b32 s43, 0
	s_delay_alu instid0(VALU_DEP_1)
	v_ashrrev_i32_e32 v5, 31, v4
	global_store_b64 v[2:3], v[4:5], off
.LBB15_772:
	s_and_not1_b32 vcc_lo, exec_lo, s43
	s_cbranch_vccnz .LBB15_774
; %bb.773:
	s_wait_xcnt 0x0
	v_bfe_i32 v4, v1, 0, 8
	global_store_b32 v[2:3], v4, off
.LBB15_774:
	s_mov_b32 s43, 0
.LBB15_775:
	s_delay_alu instid0(SALU_CYCLE_1)
	s_and_not1_b32 vcc_lo, exec_lo, s43
	s_cbranch_vccnz .LBB15_777
; %bb.776:
	s_wait_xcnt 0x0
	v_bfe_i32 v4, v1, 0, 8
	global_store_b16 v[2:3], v4, off
.LBB15_777:
	s_mov_b32 s43, 0
.LBB15_778:
	s_delay_alu instid0(SALU_CYCLE_1)
	s_and_not1_b32 vcc_lo, exec_lo, s43
	s_cbranch_vccnz .LBB15_783
; %bb.779:
	s_cmp_gt_i32 s42, 0
	s_mov_b32 s42, -1
	s_cbranch_scc0 .LBB15_781
; %bb.780:
	s_mov_b32 s42, 0
	global_store_b8 v[2:3], v1, off
.LBB15_781:
	s_and_not1_b32 vcc_lo, exec_lo, s42
	s_cbranch_vccnz .LBB15_783
; %bb.782:
	global_store_b8 v[2:3], v1, off
.LBB15_783:
	s_mov_b32 s44, -1
.LBB15_784:
	s_delay_alu instid0(SALU_CYCLE_1)
	s_and_not1_b32 vcc_lo, exec_lo, s44
	s_cbranch_vccnz .LBB15_786
; %bb.785:
	v_add_nc_u32_e32 v0, 0x80, v0
	s_mov_b32 s46, -1
	s_branch .LBB15_788
.LBB15_786:
	s_mov_b32 s46, 0
.LBB15_787:
                                        ; implicit-def: $vgpr0
.LBB15_788:
	s_and_not1_b32 s42, s38, exec_lo
	s_and_b32 s0, s0, exec_lo
	s_and_b32 s25, s25, exec_lo
	s_or_b32 s43, s42, s0
	s_and_not1_b32 s0, s39, exec_lo
	s_and_not1_b32 s42, s40, exec_lo
	s_and_b32 s24, s24, exec_lo
	s_or_b32 s44, s0, s25
	s_or_b32 s42, s42, s24
	s_or_not1_b32 s47, s46, exec_lo
.LBB15_789:
	s_wait_xcnt 0x0
	s_or_b32 exec_lo, exec_lo, s45
	s_mov_b32 s25, 0
	s_mov_b32 s46, 0
	;; [unrolled: 1-line block ×3, first 2 shown]
                                        ; implicit-def: $sgpr0
                                        ; implicit-def: $vgpr8_vgpr9
                                        ; implicit-def: $vgpr6
                                        ; implicit-def: $vgpr2
                                        ; implicit-def: $vgpr4
	s_and_saveexec_b32 s45, s47
	s_cbranch_execz .LBB15_1280
; %bb.790:
	s_mov_b32 s51, -1
	s_mov_b32 s47, s42
	s_mov_b32 s49, s44
	;; [unrolled: 1-line block ×3, first 2 shown]
	s_mov_b32 s46, exec_lo
	v_cmpx_gt_i32_e64 s36, v0
	s_cbranch_execz .LBB15_1188
; %bb.791:
	s_and_not1_b32 vcc_lo, exec_lo, s29
	s_cbranch_vccnz .LBB15_797
; %bb.792:
	s_and_not1_b32 vcc_lo, exec_lo, s37
	s_cbranch_vccnz .LBB15_798
; %bb.793:
	v_dual_mov_b32 v2, 0 :: v_dual_mov_b32 v1, v0
	s_wait_loadcnt 0x0
	v_dual_mov_b32 v4, 0 :: v_dual_mov_b32 v6, 0
	s_add_co_i32 s0, s35, 1
	s_mov_b64 s[24:25], 0xffffffffffffffe8
	s_and_b32 s0, s0, 30
	s_add_nc_u64 s[24:25], s[2:3], s[24:25]
.LBB15_794:                             ; =>This Inner Loop Header: Depth=1
	s_clause 0x1
	s_load_b128 s[48:51], s[24:25], 0x1c
	s_load_b64 s[56:57], s[24:25], 0x2c
	s_add_co_i32 s0, s0, -2
	s_delay_alu instid0(SALU_CYCLE_1) | instskip(SKIP_2) | instid1(VALU_DEP_1)
	s_cmp_eq_u32 s0, 0
	s_wait_kmcnt 0x0
	v_mul_hi_u32 v3, s49, v1
	v_add_nc_u32_e32 v3, v1, v3
	s_delay_alu instid0(VALU_DEP_1) | instskip(NEXT) | instid1(VALU_DEP_1)
	v_lshrrev_b32_e32 v3, s50, v3
	v_mul_hi_u32 v5, s56, v3
	v_mul_lo_u32 v7, v3, s48
	s_clause 0x1
	s_load_b128 s[52:55], s[24:25], 0xdc
	s_load_b64 s[48:49], s[24:25], 0xec
	s_wait_xcnt 0x0
	s_add_nc_u64 s[24:25], s[24:25], 24
	s_delay_alu instid0(VALU_DEP_1) | instskip(NEXT) | instid1(VALU_DEP_1)
	v_dual_add_nc_u32 v5, v3, v5 :: v_dual_sub_nc_u32 v7, v1, v7
	v_lshrrev_b32_e32 v1, s57, v5
	s_wait_kmcnt 0x0
	s_delay_alu instid0(VALU_DEP_2) | instskip(NEXT) | instid1(VALU_DEP_2)
	v_mad_u32 v2, v7, s52, v2
	v_mul_lo_u32 v5, v1, s51
	v_mad_u32 v6, v7, s54, v6
	v_mad_u32 v4, v7, s53, v4
	s_delay_alu instid0(VALU_DEP_3) | instskip(NEXT) | instid1(VALU_DEP_1)
	v_sub_nc_u32_e32 v3, v3, v5
	v_mad_u32 v2, v3, s55, v2
	s_delay_alu instid0(VALU_DEP_4) | instskip(NEXT) | instid1(VALU_DEP_4)
	v_mad_u32 v6, v3, s49, v6
	v_mad_u32 v4, v3, s48, v4
	s_cbranch_scc0 .LBB15_794
; %bb.795:
	s_bitcmp1_b32 s35, 0
	s_cselect_b32 s0, -1, 0
	s_delay_alu instid0(SALU_CYCLE_1)
	s_and_b32 vcc_lo, exec_lo, s0
	s_cbranch_vccnz .LBB15_799
; %bb.796:
	s_clause 0x1
	s_load_b96 s[48:50], s[24:25], 0x1c
	s_load_b96 s[52:54], s[24:25], 0xdc
	s_wait_kmcnt 0x0
	v_mul_hi_u32 v3, s49, v1
	s_delay_alu instid0(VALU_DEP_1) | instskip(NEXT) | instid1(VALU_DEP_1)
	v_add_nc_u32_e32 v3, v1, v3
	v_lshrrev_b32_e32 v3, s50, v3
	s_delay_alu instid0(VALU_DEP_1) | instskip(NEXT) | instid1(VALU_DEP_1)
	v_mul_lo_u32 v3, v3, s48
	v_sub_nc_u32_e32 v1, v1, v3
	s_delay_alu instid0(VALU_DEP_1)
	v_mad_u32 v2, v1, s52, v2
	v_mad_u32 v4, v1, s53, v4
	;; [unrolled: 1-line block ×3, first 2 shown]
	s_branch .LBB15_799
.LBB15_797:
	s_mov_b32 s0, -1
                                        ; implicit-def: $vgpr6
                                        ; implicit-def: $vgpr4
                                        ; implicit-def: $vgpr2
	s_branch .LBB15_800
.LBB15_798:
	s_wait_loadcnt 0x0
	v_dual_mov_b32 v6, 0 :: v_dual_mov_b32 v4, 0
	v_mov_b32_e32 v2, 0
.LBB15_799:
	s_mov_b32 s0, 0
.LBB15_800:
	s_delay_alu instid0(SALU_CYCLE_1)
	s_and_not1_b32 vcc_lo, exec_lo, s0
	s_cbranch_vccnz .LBB15_803
; %bb.801:
	v_mov_b32_e32 v1, 0
	s_and_not1_b32 vcc_lo, exec_lo, s34
	s_delay_alu instid0(VALU_DEP_1) | instskip(NEXT) | instid1(VALU_DEP_1)
	v_mul_u64_e32 v[2:3], s[18:19], v[0:1]
	v_add_nc_u32_e32 v2, v0, v3
	s_wait_loadcnt 0x0
	s_delay_alu instid0(VALU_DEP_1) | instskip(NEXT) | instid1(VALU_DEP_1)
	v_lshrrev_b32_e32 v8, s10, v2
	v_mul_lo_u32 v2, v8, s8
	s_delay_alu instid0(VALU_DEP_1) | instskip(NEXT) | instid1(VALU_DEP_1)
	v_sub_nc_u32_e32 v3, v0, v2
	v_mul_lo_u32 v2, v3, s12
	v_mul_lo_u32 v6, v3, s14
	;; [unrolled: 1-line block ×3, first 2 shown]
	s_cbranch_vccnz .LBB15_803
; %bb.802:
	v_mov_b32_e32 v9, v1
	s_delay_alu instid0(VALU_DEP_1) | instskip(NEXT) | instid1(VALU_DEP_1)
	v_mul_u64_e32 v[10:11], s[22:23], v[8:9]
	v_add_nc_u32_e32 v1, v8, v11
	s_delay_alu instid0(VALU_DEP_1) | instskip(NEXT) | instid1(VALU_DEP_1)
	v_lshrrev_b32_e32 v1, s1, v1
	v_mul_lo_u32 v1, v1, s11
	s_delay_alu instid0(VALU_DEP_1) | instskip(NEXT) | instid1(VALU_DEP_1)
	v_sub_nc_u32_e32 v1, v8, v1
	v_mad_u32 v2, v1, s15, v2
	v_mad_u32 v4, v1, s20, v4
	;; [unrolled: 1-line block ×3, first 2 shown]
.LBB15_803:
	s_wait_loadcnt 0x0
	v_mov_b32_e32 v5, 0
	s_and_b32 s0, s33, 0xff
	s_delay_alu instid0(SALU_CYCLE_1) | instskip(NEXT) | instid1(VALU_DEP_1)
	s_cmp_lt_i32 s0, 11
	v_add_nc_u64_e32 v[8:9], s[6:7], v[4:5]
	s_cbranch_scc1 .LBB15_810
; %bb.804:
	s_and_b32 s25, 0xffff, s0
	s_delay_alu instid0(SALU_CYCLE_1)
	s_cmp_gt_i32 s25, 25
	s_cbranch_scc0 .LBB15_811
; %bb.805:
	s_cmp_gt_i32 s25, 28
	s_cbranch_scc0 .LBB15_812
; %bb.806:
	;; [unrolled: 3-line block ×4, first 2 shown]
	s_cmp_eq_u32 s25, 46
	s_mov_b32 s48, 0
	s_cbranch_scc0 .LBB15_817
; %bb.809:
	global_load_b32 v1, v[8:9], off
	s_mov_b32 s47, -1
	s_mov_b32 s24, 0
	s_wait_loadcnt 0x0
	v_lshlrev_b32_e32 v1, 16, v1
	s_delay_alu instid0(VALU_DEP_1)
	v_cvt_i32_f32_e32 v4, v1
	s_branch .LBB15_819
.LBB15_810:
	s_mov_b32 s25, -1
	s_mov_b32 s47, 0
	s_mov_b32 s24, s42
                                        ; implicit-def: $vgpr4
	s_branch .LBB15_880
.LBB15_811:
	s_mov_b32 s48, -1
	s_mov_b32 s47, 0
	s_mov_b32 s24, s42
                                        ; implicit-def: $vgpr4
	s_branch .LBB15_846
.LBB15_812:
	s_mov_b32 s48, -1
	s_mov_b32 s47, 0
	s_mov_b32 s24, s42
                                        ; implicit-def: $vgpr4
	s_branch .LBB15_829
.LBB15_813:
	s_mov_b32 s48, -1
	s_mov_b32 s47, 0
	s_mov_b32 s24, s42
                                        ; implicit-def: $vgpr4
	s_branch .LBB15_824
.LBB15_814:
	s_mov_b32 s48, -1
	s_mov_b32 s47, 0
	s_mov_b32 s24, s42
	s_branch .LBB15_818
.LBB15_815:
	s_and_not1_saveexec_b32 s47, s47
	s_cbranch_execz .LBB15_697
.LBB15_816:
	v_add_f32_e64 v5, 0x46000000, |v4|
	s_and_not1_b32 s46, s46, exec_lo
	s_delay_alu instid0(VALU_DEP_1) | instskip(NEXT) | instid1(VALU_DEP_1)
	v_and_b32_e32 v5, 0xff, v5
	v_cmp_ne_u32_e32 vcc_lo, 0, v5
	s_and_b32 s48, vcc_lo, exec_lo
	s_delay_alu instid0(SALU_CYCLE_1)
	s_or_b32 s46, s46, s48
	s_or_b32 exec_lo, exec_lo, s47
	v_mov_b32_e32 v6, 0
	s_and_saveexec_b32 s47, s46
	s_cbranch_execnz .LBB15_698
	s_branch .LBB15_699
.LBB15_817:
	s_mov_b32 s24, -1
	s_mov_b32 s47, 0
.LBB15_818:
                                        ; implicit-def: $vgpr4
.LBB15_819:
	s_and_b32 vcc_lo, exec_lo, s48
	s_cbranch_vccz .LBB15_823
; %bb.820:
	s_cmp_eq_u32 s25, 44
	s_cbranch_scc0 .LBB15_822
; %bb.821:
	global_load_u8 v1, v[8:9], off
	s_mov_b32 s24, 0
	s_mov_b32 s47, -1
	s_wait_loadcnt 0x0
	v_lshlrev_b32_e32 v3, 23, v1
	v_cmp_ne_u32_e32 vcc_lo, 0, v1
	s_delay_alu instid0(VALU_DEP_2) | instskip(NEXT) | instid1(VALU_DEP_1)
	v_cvt_i32_f32_e32 v3, v3
	v_cndmask_b32_e32 v4, 0, v3, vcc_lo
	s_branch .LBB15_823
.LBB15_822:
	s_mov_b32 s24, -1
                                        ; implicit-def: $vgpr4
.LBB15_823:
	s_mov_b32 s48, 0
.LBB15_824:
	s_delay_alu instid0(SALU_CYCLE_1)
	s_and_b32 vcc_lo, exec_lo, s48
	s_cbranch_vccz .LBB15_828
; %bb.825:
	s_cmp_eq_u32 s25, 29
	s_cbranch_scc0 .LBB15_827
; %bb.826:
	global_load_b64 v[4:5], v[8:9], off
	s_mov_b32 s47, -1
	s_mov_b32 s24, 0
	s_branch .LBB15_828
.LBB15_827:
	s_mov_b32 s24, -1
                                        ; implicit-def: $vgpr4
.LBB15_828:
	s_mov_b32 s48, 0
.LBB15_829:
	s_delay_alu instid0(SALU_CYCLE_1)
	s_and_b32 vcc_lo, exec_lo, s48
	s_cbranch_vccz .LBB15_845
; %bb.830:
	s_cmp_lt_i32 s25, 27
	s_cbranch_scc1 .LBB15_833
; %bb.831:
	s_cmp_gt_i32 s25, 27
	s_cbranch_scc0 .LBB15_834
; %bb.832:
	s_wait_loadcnt 0x0
	global_load_b32 v4, v[8:9], off
	s_mov_b32 s47, 0
	s_branch .LBB15_835
.LBB15_833:
	s_mov_b32 s47, -1
                                        ; implicit-def: $vgpr4
	s_branch .LBB15_838
.LBB15_834:
	s_mov_b32 s47, -1
                                        ; implicit-def: $vgpr4
.LBB15_835:
	s_delay_alu instid0(SALU_CYCLE_1)
	s_and_not1_b32 vcc_lo, exec_lo, s47
	s_cbranch_vccnz .LBB15_837
; %bb.836:
	s_wait_loadcnt 0x0
	global_load_u16 v4, v[8:9], off
.LBB15_837:
	s_mov_b32 s47, 0
.LBB15_838:
	s_delay_alu instid0(SALU_CYCLE_1)
	s_and_not1_b32 vcc_lo, exec_lo, s47
	s_cbranch_vccnz .LBB15_844
; %bb.839:
	global_load_u8 v1, v[8:9], off
	s_mov_b32 s48, 0
	s_mov_b32 s47, exec_lo
	s_wait_loadcnt 0x0
	v_cmpx_lt_i16_e32 0x7f, v1
	s_xor_b32 s47, exec_lo, s47
	s_cbranch_execz .LBB15_856
; %bb.840:
	v_cmp_ne_u16_e32 vcc_lo, 0x80, v1
	s_and_b32 s48, vcc_lo, exec_lo
	s_and_not1_saveexec_b32 s47, s47
	s_cbranch_execnz .LBB15_857
.LBB15_841:
	s_or_b32 exec_lo, exec_lo, s47
	v_mov_b32_e32 v4, 0
	s_and_saveexec_b32 s47, s48
	s_cbranch_execz .LBB15_843
.LBB15_842:
	v_and_b32_e32 v3, 0xffff, v1
	s_delay_alu instid0(VALU_DEP_1) | instskip(SKIP_1) | instid1(VALU_DEP_2)
	v_and_b32_e32 v4, 7, v3
	v_bfe_u32 v10, v3, 3, 4
	v_clz_i32_u32_e32 v5, v4
	s_delay_alu instid0(VALU_DEP_2) | instskip(NEXT) | instid1(VALU_DEP_2)
	v_cmp_eq_u32_e32 vcc_lo, 0, v10
	v_min_u32_e32 v5, 32, v5
	s_delay_alu instid0(VALU_DEP_1) | instskip(NEXT) | instid1(VALU_DEP_1)
	v_subrev_nc_u32_e32 v7, 28, v5
	v_dual_lshlrev_b32 v3, v7, v3 :: v_dual_sub_nc_u32 v5, 29, v5
	s_delay_alu instid0(VALU_DEP_1) | instskip(NEXT) | instid1(VALU_DEP_1)
	v_dual_lshlrev_b32 v1, 24, v1 :: v_dual_bitop2_b32 v3, 7, v3 bitop3:0x40
	v_dual_cndmask_b32 v3, v4, v3, vcc_lo :: v_dual_cndmask_b32 v5, v10, v5, vcc_lo
	s_delay_alu instid0(VALU_DEP_2) | instskip(NEXT) | instid1(VALU_DEP_2)
	v_and_b32_e32 v1, 0x80000000, v1
	v_lshlrev_b32_e32 v3, 20, v3
	s_delay_alu instid0(VALU_DEP_3) | instskip(NEXT) | instid1(VALU_DEP_1)
	v_lshl_add_u32 v4, v5, 23, 0x3b800000
	v_or3_b32 v1, v1, v4, v3
	s_delay_alu instid0(VALU_DEP_1)
	v_cvt_i32_f32_e32 v4, v1
.LBB15_843:
	s_or_b32 exec_lo, exec_lo, s47
.LBB15_844:
	s_mov_b32 s47, -1
.LBB15_845:
	s_mov_b32 s48, 0
.LBB15_846:
	s_delay_alu instid0(SALU_CYCLE_1)
	s_and_b32 vcc_lo, exec_lo, s48
	s_cbranch_vccz .LBB15_879
; %bb.847:
	s_cmp_gt_i32 s25, 22
	s_cbranch_scc0 .LBB15_855
; %bb.848:
	s_cmp_lt_i32 s25, 24
	s_cbranch_scc1 .LBB15_858
; %bb.849:
	s_cmp_gt_i32 s25, 24
	s_cbranch_scc0 .LBB15_859
; %bb.850:
	global_load_u8 v1, v[8:9], off
	s_mov_b32 s48, 0
	s_mov_b32 s47, exec_lo
	s_wait_loadcnt 0x0
	v_cmpx_lt_i16_e32 0x7f, v1
	s_xor_b32 s47, exec_lo, s47
	s_cbranch_execz .LBB15_871
; %bb.851:
	v_cmp_ne_u16_e32 vcc_lo, 0x80, v1
	s_and_b32 s48, vcc_lo, exec_lo
	s_and_not1_saveexec_b32 s47, s47
	s_cbranch_execnz .LBB15_872
.LBB15_852:
	s_or_b32 exec_lo, exec_lo, s47
	v_mov_b32_e32 v4, 0
	s_and_saveexec_b32 s47, s48
	s_cbranch_execz .LBB15_854
.LBB15_853:
	v_and_b32_e32 v3, 0xffff, v1
	s_delay_alu instid0(VALU_DEP_1) | instskip(SKIP_1) | instid1(VALU_DEP_2)
	v_and_b32_e32 v4, 3, v3
	v_bfe_u32 v10, v3, 2, 5
	v_clz_i32_u32_e32 v5, v4
	s_delay_alu instid0(VALU_DEP_2) | instskip(NEXT) | instid1(VALU_DEP_2)
	v_cmp_eq_u32_e32 vcc_lo, 0, v10
	v_min_u32_e32 v5, 32, v5
	s_delay_alu instid0(VALU_DEP_1) | instskip(NEXT) | instid1(VALU_DEP_1)
	v_subrev_nc_u32_e32 v7, 29, v5
	v_dual_lshlrev_b32 v3, v7, v3 :: v_dual_sub_nc_u32 v5, 30, v5
	s_delay_alu instid0(VALU_DEP_1) | instskip(NEXT) | instid1(VALU_DEP_1)
	v_dual_lshlrev_b32 v1, 24, v1 :: v_dual_bitop2_b32 v3, 3, v3 bitop3:0x40
	v_dual_cndmask_b32 v3, v4, v3, vcc_lo :: v_dual_cndmask_b32 v5, v10, v5, vcc_lo
	s_delay_alu instid0(VALU_DEP_2) | instskip(NEXT) | instid1(VALU_DEP_2)
	v_and_b32_e32 v1, 0x80000000, v1
	v_lshlrev_b32_e32 v3, 21, v3
	s_delay_alu instid0(VALU_DEP_3) | instskip(NEXT) | instid1(VALU_DEP_1)
	v_lshl_add_u32 v4, v5, 23, 0x37800000
	v_or3_b32 v1, v1, v4, v3
	s_delay_alu instid0(VALU_DEP_1)
	v_cvt_i32_f32_e32 v4, v1
.LBB15_854:
	s_or_b32 exec_lo, exec_lo, s47
	s_mov_b32 s47, 0
	s_branch .LBB15_860
.LBB15_855:
	s_mov_b32 s48, -1
                                        ; implicit-def: $vgpr4
	s_branch .LBB15_866
.LBB15_856:
	s_and_not1_saveexec_b32 s47, s47
	s_cbranch_execz .LBB15_841
.LBB15_857:
	v_cmp_ne_u16_e32 vcc_lo, 0, v1
	s_and_not1_b32 s48, s48, exec_lo
	s_and_b32 s49, vcc_lo, exec_lo
	s_delay_alu instid0(SALU_CYCLE_1)
	s_or_b32 s48, s48, s49
	s_or_b32 exec_lo, exec_lo, s47
	v_mov_b32_e32 v4, 0
	s_and_saveexec_b32 s47, s48
	s_cbranch_execnz .LBB15_842
	s_branch .LBB15_843
.LBB15_858:
	s_mov_b32 s47, -1
                                        ; implicit-def: $vgpr4
	s_branch .LBB15_863
.LBB15_859:
	s_mov_b32 s47, -1
                                        ; implicit-def: $vgpr4
.LBB15_860:
	s_delay_alu instid0(SALU_CYCLE_1)
	s_and_b32 vcc_lo, exec_lo, s47
	s_cbranch_vccz .LBB15_862
; %bb.861:
	global_load_u8 v1, v[8:9], off
	s_wait_loadcnt 0x0
	v_lshlrev_b32_e32 v1, 24, v1
	s_delay_alu instid0(VALU_DEP_1) | instskip(NEXT) | instid1(VALU_DEP_1)
	v_and_b32_e32 v3, 0x7f000000, v1
	v_clz_i32_u32_e32 v4, v3
	v_add_nc_u32_e32 v7, 0x1000000, v3
	v_cmp_ne_u32_e32 vcc_lo, 0, v3
	s_delay_alu instid0(VALU_DEP_3) | instskip(NEXT) | instid1(VALU_DEP_1)
	v_min_u32_e32 v4, 32, v4
	v_sub_nc_u32_e64 v4, v4, 4 clamp
	s_delay_alu instid0(VALU_DEP_1) | instskip(NEXT) | instid1(VALU_DEP_1)
	v_dual_lshlrev_b32 v5, v4, v3 :: v_dual_lshlrev_b32 v4, 23, v4
	v_lshrrev_b32_e32 v5, 4, v5
	s_delay_alu instid0(VALU_DEP_1) | instskip(NEXT) | instid1(VALU_DEP_1)
	v_dual_sub_nc_u32 v4, v5, v4 :: v_dual_ashrrev_i32 v5, 8, v7
	v_add_nc_u32_e32 v4, 0x3c000000, v4
	s_delay_alu instid0(VALU_DEP_1) | instskip(NEXT) | instid1(VALU_DEP_1)
	v_and_or_b32 v4, 0x7f800000, v5, v4
	v_cndmask_b32_e32 v3, 0, v4, vcc_lo
	s_delay_alu instid0(VALU_DEP_1) | instskip(NEXT) | instid1(VALU_DEP_1)
	v_and_or_b32 v1, 0x80000000, v1, v3
	v_cvt_i32_f32_e32 v4, v1
.LBB15_862:
	s_mov_b32 s47, 0
.LBB15_863:
	s_delay_alu instid0(SALU_CYCLE_1)
	s_and_not1_b32 vcc_lo, exec_lo, s47
	s_cbranch_vccnz .LBB15_865
; %bb.864:
	global_load_u8 v1, v[8:9], off
	s_wait_loadcnt 0x0
	v_lshlrev_b32_e32 v3, 25, v1
	v_lshlrev_b16 v1, 8, v1
	s_delay_alu instid0(VALU_DEP_1) | instskip(NEXT) | instid1(VALU_DEP_3)
	v_and_or_b32 v5, 0x7f00, v1, 0.5
	v_lshrrev_b32_e32 v4, 4, v3
	v_bfe_i32 v1, v1, 0, 16
	s_delay_alu instid0(VALU_DEP_3) | instskip(NEXT) | instid1(VALU_DEP_3)
	v_add_f32_e32 v5, -0.5, v5
	v_or_b32_e32 v4, 0x70000000, v4
	s_delay_alu instid0(VALU_DEP_1) | instskip(SKIP_1) | instid1(VALU_DEP_2)
	v_mul_f32_e32 v4, 0x7800000, v4
	v_cmp_gt_u32_e32 vcc_lo, 0x8000000, v3
	v_cndmask_b32_e32 v3, v4, v5, vcc_lo
	s_delay_alu instid0(VALU_DEP_1) | instskip(NEXT) | instid1(VALU_DEP_1)
	v_and_or_b32 v1, 0x80000000, v1, v3
	v_cvt_i32_f32_e32 v4, v1
.LBB15_865:
	s_mov_b32 s48, 0
	s_mov_b32 s47, -1
.LBB15_866:
	s_and_not1_b32 vcc_lo, exec_lo, s48
	s_cbranch_vccnz .LBB15_879
; %bb.867:
	s_cmp_gt_i32 s25, 14
	s_cbranch_scc0 .LBB15_870
; %bb.868:
	s_cmp_eq_u32 s25, 15
	s_cbranch_scc0 .LBB15_873
; %bb.869:
	global_load_u16 v1, v[8:9], off
	s_mov_b32 s47, -1
	s_mov_b32 s24, 0
	s_wait_loadcnt 0x0
	v_lshlrev_b32_e32 v1, 16, v1
	s_delay_alu instid0(VALU_DEP_1)
	v_cvt_i32_f32_e32 v4, v1
	s_branch .LBB15_874
.LBB15_870:
	s_mov_b32 s48, -1
                                        ; implicit-def: $vgpr4
	s_branch .LBB15_875
.LBB15_871:
	s_and_not1_saveexec_b32 s47, s47
	s_cbranch_execz .LBB15_852
.LBB15_872:
	v_cmp_ne_u16_e32 vcc_lo, 0, v1
	s_and_not1_b32 s48, s48, exec_lo
	s_and_b32 s49, vcc_lo, exec_lo
	s_delay_alu instid0(SALU_CYCLE_1)
	s_or_b32 s48, s48, s49
	s_or_b32 exec_lo, exec_lo, s47
	v_mov_b32_e32 v4, 0
	s_and_saveexec_b32 s47, s48
	s_cbranch_execnz .LBB15_853
	s_branch .LBB15_854
.LBB15_873:
	s_mov_b32 s24, -1
                                        ; implicit-def: $vgpr4
.LBB15_874:
	s_mov_b32 s48, 0
.LBB15_875:
	s_delay_alu instid0(SALU_CYCLE_1)
	s_and_b32 vcc_lo, exec_lo, s48
	s_cbranch_vccz .LBB15_879
; %bb.876:
	s_cmp_eq_u32 s25, 11
	s_cbranch_scc0 .LBB15_878
; %bb.877:
	global_load_u8 v1, v[8:9], off
	s_mov_b32 s24, 0
	s_mov_b32 s47, -1
	s_wait_loadcnt 0x0
	v_cmp_ne_u16_e32 vcc_lo, 0, v1
	v_cndmask_b32_e64 v4, 0, 1, vcc_lo
	s_branch .LBB15_879
.LBB15_878:
	s_mov_b32 s24, -1
                                        ; implicit-def: $vgpr4
.LBB15_879:
	s_mov_b32 s25, 0
.LBB15_880:
	s_delay_alu instid0(SALU_CYCLE_1)
	s_and_b32 vcc_lo, exec_lo, s25
	s_cbranch_vccz .LBB15_929
; %bb.881:
	s_and_b32 s0, 0xffff, s0
	s_delay_alu instid0(SALU_CYCLE_1)
	s_cmp_lt_i32 s0, 5
	s_cbranch_scc1 .LBB15_886
; %bb.882:
	s_cmp_lt_i32 s0, 8
	s_cbranch_scc1 .LBB15_887
; %bb.883:
	s_cmp_lt_i32 s0, 9
	s_cbranch_scc1 .LBB15_888
; %bb.884:
	s_cmp_gt_i32 s0, 9
	s_cbranch_scc0 .LBB15_889
; %bb.885:
	s_wait_loadcnt 0x0
	global_load_b64 v[4:5], v[8:9], off
	s_mov_b32 s25, 0
	s_wait_loadcnt 0x0
	v_cvt_i32_f64_e32 v4, v[4:5]
	s_branch .LBB15_890
.LBB15_886:
	s_mov_b32 s25, -1
                                        ; implicit-def: $vgpr4
	s_branch .LBB15_908
.LBB15_887:
	s_mov_b32 s25, -1
                                        ; implicit-def: $vgpr4
	s_branch .LBB15_896
.LBB15_888:
	s_mov_b32 s25, -1
                                        ; implicit-def: $vgpr4
	s_branch .LBB15_893
.LBB15_889:
	s_mov_b32 s25, -1
                                        ; implicit-def: $vgpr4
.LBB15_890:
	s_delay_alu instid0(SALU_CYCLE_1)
	s_and_not1_b32 vcc_lo, exec_lo, s25
	s_cbranch_vccnz .LBB15_892
; %bb.891:
	global_load_b32 v1, v[8:9], off
	s_wait_loadcnt 0x0
	v_cvt_i32_f32_e32 v4, v1
.LBB15_892:
	s_mov_b32 s25, 0
.LBB15_893:
	s_delay_alu instid0(SALU_CYCLE_1)
	s_and_not1_b32 vcc_lo, exec_lo, s25
	s_cbranch_vccnz .LBB15_895
; %bb.894:
	global_load_b32 v1, v[8:9], off
	s_wait_loadcnt 0x0
	v_cvt_i16_f16_e32 v4, v1
.LBB15_895:
	s_mov_b32 s25, 0
.LBB15_896:
	s_delay_alu instid0(SALU_CYCLE_1)
	s_and_not1_b32 vcc_lo, exec_lo, s25
	s_cbranch_vccnz .LBB15_907
; %bb.897:
	s_cmp_lt_i32 s0, 6
	s_cbranch_scc1 .LBB15_900
; %bb.898:
	s_cmp_gt_i32 s0, 6
	s_cbranch_scc0 .LBB15_901
; %bb.899:
	s_wait_loadcnt 0x0
	global_load_b64 v[4:5], v[8:9], off
	s_mov_b32 s25, 0
	s_wait_loadcnt 0x0
	v_cvt_i32_f64_e32 v4, v[4:5]
	s_branch .LBB15_902
.LBB15_900:
	s_mov_b32 s25, -1
                                        ; implicit-def: $vgpr4
	s_branch .LBB15_905
.LBB15_901:
	s_mov_b32 s25, -1
                                        ; implicit-def: $vgpr4
.LBB15_902:
	s_delay_alu instid0(SALU_CYCLE_1)
	s_and_not1_b32 vcc_lo, exec_lo, s25
	s_cbranch_vccnz .LBB15_904
; %bb.903:
	global_load_b32 v1, v[8:9], off
	s_wait_loadcnt 0x0
	v_cvt_i32_f32_e32 v4, v1
.LBB15_904:
	s_mov_b32 s25, 0
.LBB15_905:
	s_delay_alu instid0(SALU_CYCLE_1)
	s_and_not1_b32 vcc_lo, exec_lo, s25
	s_cbranch_vccnz .LBB15_907
; %bb.906:
	global_load_u16 v1, v[8:9], off
	s_wait_loadcnt 0x0
	v_cvt_i16_f16_e32 v4, v1
.LBB15_907:
	s_mov_b32 s25, 0
.LBB15_908:
	s_delay_alu instid0(SALU_CYCLE_1)
	s_and_not1_b32 vcc_lo, exec_lo, s25
	s_cbranch_vccnz .LBB15_928
; %bb.909:
	s_cmp_lt_i32 s0, 2
	s_cbranch_scc1 .LBB15_913
; %bb.910:
	s_cmp_lt_i32 s0, 3
	s_cbranch_scc1 .LBB15_914
; %bb.911:
	s_cmp_gt_i32 s0, 3
	s_cbranch_scc0 .LBB15_915
; %bb.912:
	s_wait_loadcnt 0x0
	global_load_b64 v[4:5], v[8:9], off
	s_mov_b32 s25, 0
	s_branch .LBB15_916
.LBB15_913:
	s_mov_b32 s25, -1
                                        ; implicit-def: $vgpr4
	s_branch .LBB15_922
.LBB15_914:
	s_mov_b32 s25, -1
                                        ; implicit-def: $vgpr4
	s_branch .LBB15_919
.LBB15_915:
	s_mov_b32 s25, -1
                                        ; implicit-def: $vgpr4
.LBB15_916:
	s_delay_alu instid0(SALU_CYCLE_1)
	s_and_not1_b32 vcc_lo, exec_lo, s25
	s_cbranch_vccnz .LBB15_918
; %bb.917:
	s_wait_loadcnt 0x0
	global_load_b32 v4, v[8:9], off
.LBB15_918:
	s_mov_b32 s25, 0
.LBB15_919:
	s_delay_alu instid0(SALU_CYCLE_1)
	s_and_not1_b32 vcc_lo, exec_lo, s25
	s_cbranch_vccnz .LBB15_921
; %bb.920:
	s_wait_loadcnt 0x0
	global_load_u16 v4, v[8:9], off
.LBB15_921:
	s_mov_b32 s25, 0
.LBB15_922:
	s_delay_alu instid0(SALU_CYCLE_1)
	s_and_not1_b32 vcc_lo, exec_lo, s25
	s_cbranch_vccnz .LBB15_928
; %bb.923:
	s_cmp_gt_i32 s0, 0
	s_mov_b32 s0, 0
	s_cbranch_scc0 .LBB15_925
; %bb.924:
	s_wait_loadcnt 0x0
	global_load_u8 v4, v[8:9], off
	s_branch .LBB15_926
.LBB15_925:
	s_mov_b32 s0, -1
                                        ; implicit-def: $vgpr4
.LBB15_926:
	s_delay_alu instid0(SALU_CYCLE_1)
	s_and_not1_b32 vcc_lo, exec_lo, s0
	s_cbranch_vccnz .LBB15_928
; %bb.927:
	s_wait_loadcnt 0x0
	global_load_u8 v4, v[8:9], off
.LBB15_928:
	s_mov_b32 s47, -1
.LBB15_929:
	s_delay_alu instid0(SALU_CYCLE_1)
	s_and_not1_b32 vcc_lo, exec_lo, s47
	s_cbranch_vccnz .LBB15_937
; %bb.930:
	v_mov_b32_e32 v7, 0
	s_and_b32 s0, s9, 0xff
	s_delay_alu instid0(SALU_CYCLE_1) | instskip(NEXT) | instid1(VALU_DEP_1)
	s_cmp_lt_i32 s0, 11
	v_add_nc_u64_e32 v[6:7], s[16:17], v[6:7]
	s_cbranch_scc1 .LBB15_938
; %bb.931:
	s_and_b32 s47, 0xffff, s0
	s_delay_alu instid0(SALU_CYCLE_1)
	s_cmp_gt_i32 s47, 25
	s_cbranch_scc0 .LBB15_939
; %bb.932:
	s_cmp_gt_i32 s47, 28
	s_cbranch_scc0 .LBB15_940
; %bb.933:
	;; [unrolled: 3-line block ×4, first 2 shown]
	s_cmp_eq_u32 s47, 46
	s_mov_b32 s49, 0
	s_cbranch_scc0 .LBB15_945
; %bb.936:
	global_load_b32 v1, v[6:7], off
	s_mov_b32 s48, -1
	s_mov_b32 s25, 0
	s_wait_loadcnt 0x0
	v_lshlrev_b32_e32 v1, 16, v1
	s_wait_xcnt 0x1
	s_delay_alu instid0(VALU_DEP_1)
	v_cvt_i32_f32_e32 v8, v1
	s_branch .LBB15_947
.LBB15_937:
	s_mov_b32 s50, 0
	s_mov_b32 s0, s43
	;; [unrolled: 1-line block ×3, first 2 shown]
	s_branch .LBB15_1186
.LBB15_938:
	s_mov_b32 s47, -1
	s_mov_b32 s48, 0
	s_mov_b32 s25, s44
                                        ; implicit-def: $vgpr8
	s_branch .LBB15_1008
.LBB15_939:
	s_mov_b32 s49, -1
	s_mov_b32 s48, 0
	s_mov_b32 s25, s44
                                        ; implicit-def: $vgpr8
	s_branch .LBB15_974
.LBB15_940:
	s_mov_b32 s49, -1
	s_mov_b32 s48, 0
	s_mov_b32 s25, s44
                                        ; implicit-def: $vgpr8
	s_branch .LBB15_957
.LBB15_941:
	s_mov_b32 s49, -1
	s_mov_b32 s48, 0
	s_mov_b32 s25, s44
                                        ; implicit-def: $vgpr8
	s_branch .LBB15_952
.LBB15_942:
	s_mov_b32 s49, -1
	s_mov_b32 s48, 0
	s_mov_b32 s25, s44
	s_branch .LBB15_946
.LBB15_943:
	s_and_not1_saveexec_b32 s47, s47
	s_cbranch_execz .LBB15_710
.LBB15_944:
	v_add_f32_e64 v5, 0x42800000, |v4|
	s_and_not1_b32 s46, s46, exec_lo
	s_delay_alu instid0(VALU_DEP_1) | instskip(NEXT) | instid1(VALU_DEP_1)
	v_and_b32_e32 v5, 0xff, v5
	v_cmp_ne_u32_e32 vcc_lo, 0, v5
	s_and_b32 s48, vcc_lo, exec_lo
	s_delay_alu instid0(SALU_CYCLE_1)
	s_or_b32 s46, s46, s48
	s_or_b32 exec_lo, exec_lo, s47
	v_mov_b32_e32 v6, 0
	s_and_saveexec_b32 s47, s46
	s_cbranch_execnz .LBB15_711
	s_branch .LBB15_712
.LBB15_945:
	s_mov_b32 s25, -1
	s_mov_b32 s48, 0
.LBB15_946:
                                        ; implicit-def: $vgpr8
.LBB15_947:
	s_and_b32 vcc_lo, exec_lo, s49
	s_cbranch_vccz .LBB15_951
; %bb.948:
	s_cmp_eq_u32 s47, 44
	s_cbranch_scc0 .LBB15_950
; %bb.949:
	global_load_u8 v1, v[6:7], off
	s_mov_b32 s25, 0
	s_mov_b32 s48, -1
	s_wait_loadcnt 0x0
	v_lshlrev_b32_e32 v3, 23, v1
	v_cmp_ne_u32_e32 vcc_lo, 0, v1
	s_delay_alu instid0(VALU_DEP_2) | instskip(SKIP_1) | instid1(VALU_DEP_1)
	v_cvt_i32_f32_e32 v3, v3
	s_wait_xcnt 0x1
	v_cndmask_b32_e32 v8, 0, v3, vcc_lo
	s_branch .LBB15_951
.LBB15_950:
	s_mov_b32 s25, -1
                                        ; implicit-def: $vgpr8
.LBB15_951:
	s_mov_b32 s49, 0
.LBB15_952:
	s_delay_alu instid0(SALU_CYCLE_1)
	s_and_b32 vcc_lo, exec_lo, s49
	s_cbranch_vccz .LBB15_956
; %bb.953:
	s_cmp_eq_u32 s47, 29
	s_cbranch_scc0 .LBB15_955
; %bb.954:
	global_load_b64 v[8:9], v[6:7], off
	s_mov_b32 s48, -1
	s_mov_b32 s25, 0
	s_branch .LBB15_956
.LBB15_955:
	s_mov_b32 s25, -1
                                        ; implicit-def: $vgpr8
.LBB15_956:
	s_mov_b32 s49, 0
.LBB15_957:
	s_delay_alu instid0(SALU_CYCLE_1)
	s_and_b32 vcc_lo, exec_lo, s49
	s_cbranch_vccz .LBB15_973
; %bb.958:
	s_cmp_lt_i32 s47, 27
	s_cbranch_scc1 .LBB15_961
; %bb.959:
	s_cmp_gt_i32 s47, 27
	s_cbranch_scc0 .LBB15_962
; %bb.960:
	s_wait_loadcnt 0x0
	global_load_b32 v8, v[6:7], off
	s_mov_b32 s48, 0
	s_branch .LBB15_963
.LBB15_961:
	s_mov_b32 s48, -1
                                        ; implicit-def: $vgpr8
	s_branch .LBB15_966
.LBB15_962:
	s_mov_b32 s48, -1
                                        ; implicit-def: $vgpr8
.LBB15_963:
	s_delay_alu instid0(SALU_CYCLE_1)
	s_and_not1_b32 vcc_lo, exec_lo, s48
	s_cbranch_vccnz .LBB15_965
; %bb.964:
	s_wait_loadcnt 0x0
	global_load_u16 v8, v[6:7], off
.LBB15_965:
	s_mov_b32 s48, 0
.LBB15_966:
	s_delay_alu instid0(SALU_CYCLE_1)
	s_and_not1_b32 vcc_lo, exec_lo, s48
	s_cbranch_vccnz .LBB15_972
; %bb.967:
	global_load_u8 v1, v[6:7], off
	s_mov_b32 s49, 0
	s_mov_b32 s48, exec_lo
	s_wait_loadcnt 0x0
	v_cmpx_lt_i16_e32 0x7f, v1
	s_xor_b32 s48, exec_lo, s48
	s_cbranch_execz .LBB15_984
; %bb.968:
	v_cmp_ne_u16_e32 vcc_lo, 0x80, v1
	s_and_b32 s49, vcc_lo, exec_lo
	s_and_not1_saveexec_b32 s48, s48
	s_cbranch_execnz .LBB15_985
.LBB15_969:
	s_or_b32 exec_lo, exec_lo, s48
	v_mov_b32_e32 v8, 0
	s_and_saveexec_b32 s48, s49
	s_cbranch_execz .LBB15_971
.LBB15_970:
	v_and_b32_e32 v3, 0xffff, v1
	s_delay_alu instid0(VALU_DEP_1) | instskip(SKIP_1) | instid1(VALU_DEP_2)
	v_and_b32_e32 v5, 7, v3
	v_bfe_u32 v10, v3, 3, 4
	v_clz_i32_u32_e32 v8, v5
	s_delay_alu instid0(VALU_DEP_2) | instskip(NEXT) | instid1(VALU_DEP_2)
	v_cmp_eq_u32_e32 vcc_lo, 0, v10
	v_min_u32_e32 v8, 32, v8
	s_delay_alu instid0(VALU_DEP_1) | instskip(NEXT) | instid1(VALU_DEP_1)
	v_subrev_nc_u32_e32 v9, 28, v8
	v_dual_lshlrev_b32 v3, v9, v3 :: v_dual_sub_nc_u32 v8, 29, v8
	s_delay_alu instid0(VALU_DEP_1) | instskip(NEXT) | instid1(VALU_DEP_1)
	v_dual_lshlrev_b32 v1, 24, v1 :: v_dual_bitop2_b32 v3, 7, v3 bitop3:0x40
	v_dual_cndmask_b32 v8, v10, v8 :: v_dual_cndmask_b32 v3, v5, v3
	s_delay_alu instid0(VALU_DEP_2) | instskip(NEXT) | instid1(VALU_DEP_2)
	v_and_b32_e32 v1, 0x80000000, v1
	v_lshl_add_u32 v5, v8, 23, 0x3b800000
	s_delay_alu instid0(VALU_DEP_3) | instskip(NEXT) | instid1(VALU_DEP_1)
	v_lshlrev_b32_e32 v3, 20, v3
	v_or3_b32 v1, v1, v5, v3
	s_delay_alu instid0(VALU_DEP_1)
	v_cvt_i32_f32_e32 v8, v1
.LBB15_971:
	s_or_b32 exec_lo, exec_lo, s48
.LBB15_972:
	s_mov_b32 s48, -1
.LBB15_973:
	s_mov_b32 s49, 0
.LBB15_974:
	s_delay_alu instid0(SALU_CYCLE_1)
	s_and_b32 vcc_lo, exec_lo, s49
	s_cbranch_vccz .LBB15_1007
; %bb.975:
	s_cmp_gt_i32 s47, 22
	s_cbranch_scc0 .LBB15_983
; %bb.976:
	s_cmp_lt_i32 s47, 24
	s_cbranch_scc1 .LBB15_986
; %bb.977:
	s_cmp_gt_i32 s47, 24
	s_cbranch_scc0 .LBB15_987
; %bb.978:
	global_load_u8 v1, v[6:7], off
	s_mov_b32 s49, 0
	s_mov_b32 s48, exec_lo
	s_wait_loadcnt 0x0
	v_cmpx_lt_i16_e32 0x7f, v1
	s_xor_b32 s48, exec_lo, s48
	s_cbranch_execz .LBB15_999
; %bb.979:
	v_cmp_ne_u16_e32 vcc_lo, 0x80, v1
	s_and_b32 s49, vcc_lo, exec_lo
	s_and_not1_saveexec_b32 s48, s48
	s_cbranch_execnz .LBB15_1000
.LBB15_980:
	s_or_b32 exec_lo, exec_lo, s48
	v_mov_b32_e32 v8, 0
	s_and_saveexec_b32 s48, s49
	s_cbranch_execz .LBB15_982
.LBB15_981:
	v_and_b32_e32 v3, 0xffff, v1
	s_delay_alu instid0(VALU_DEP_1) | instskip(SKIP_1) | instid1(VALU_DEP_2)
	v_and_b32_e32 v5, 3, v3
	v_bfe_u32 v10, v3, 2, 5
	v_clz_i32_u32_e32 v8, v5
	s_delay_alu instid0(VALU_DEP_2) | instskip(NEXT) | instid1(VALU_DEP_2)
	v_cmp_eq_u32_e32 vcc_lo, 0, v10
	v_min_u32_e32 v8, 32, v8
	s_delay_alu instid0(VALU_DEP_1) | instskip(NEXT) | instid1(VALU_DEP_1)
	v_subrev_nc_u32_e32 v9, 29, v8
	v_dual_lshlrev_b32 v3, v9, v3 :: v_dual_sub_nc_u32 v8, 30, v8
	s_delay_alu instid0(VALU_DEP_1) | instskip(NEXT) | instid1(VALU_DEP_1)
	v_dual_lshlrev_b32 v1, 24, v1 :: v_dual_bitop2_b32 v3, 3, v3 bitop3:0x40
	v_dual_cndmask_b32 v8, v10, v8 :: v_dual_cndmask_b32 v3, v5, v3
	s_delay_alu instid0(VALU_DEP_2) | instskip(NEXT) | instid1(VALU_DEP_2)
	v_and_b32_e32 v1, 0x80000000, v1
	v_lshl_add_u32 v5, v8, 23, 0x37800000
	s_delay_alu instid0(VALU_DEP_3) | instskip(NEXT) | instid1(VALU_DEP_1)
	v_lshlrev_b32_e32 v3, 21, v3
	v_or3_b32 v1, v1, v5, v3
	s_delay_alu instid0(VALU_DEP_1)
	v_cvt_i32_f32_e32 v8, v1
.LBB15_982:
	s_or_b32 exec_lo, exec_lo, s48
	s_mov_b32 s48, 0
	s_branch .LBB15_988
.LBB15_983:
	s_mov_b32 s49, -1
                                        ; implicit-def: $vgpr8
	s_branch .LBB15_994
.LBB15_984:
	s_and_not1_saveexec_b32 s48, s48
	s_cbranch_execz .LBB15_969
.LBB15_985:
	v_cmp_ne_u16_e32 vcc_lo, 0, v1
	s_and_not1_b32 s49, s49, exec_lo
	s_and_b32 s50, vcc_lo, exec_lo
	s_delay_alu instid0(SALU_CYCLE_1)
	s_or_b32 s49, s49, s50
	s_or_b32 exec_lo, exec_lo, s48
	v_mov_b32_e32 v8, 0
	s_and_saveexec_b32 s48, s49
	s_cbranch_execnz .LBB15_970
	s_branch .LBB15_971
.LBB15_986:
	s_mov_b32 s48, -1
                                        ; implicit-def: $vgpr8
	s_branch .LBB15_991
.LBB15_987:
	s_mov_b32 s48, -1
                                        ; implicit-def: $vgpr8
.LBB15_988:
	s_delay_alu instid0(SALU_CYCLE_1)
	s_and_b32 vcc_lo, exec_lo, s48
	s_cbranch_vccz .LBB15_990
; %bb.989:
	global_load_u8 v1, v[6:7], off
	s_wait_loadcnt 0x0
	v_lshlrev_b32_e32 v1, 24, v1
	s_delay_alu instid0(VALU_DEP_1) | instskip(NEXT) | instid1(VALU_DEP_1)
	v_and_b32_e32 v3, 0x7f000000, v1
	v_clz_i32_u32_e32 v5, v3
	s_wait_xcnt 0x1
	v_add_nc_u32_e32 v9, 0x1000000, v3
	v_cmp_ne_u32_e32 vcc_lo, 0, v3
	s_delay_alu instid0(VALU_DEP_3) | instskip(NEXT) | instid1(VALU_DEP_1)
	v_min_u32_e32 v5, 32, v5
	v_sub_nc_u32_e64 v5, v5, 4 clamp
	s_delay_alu instid0(VALU_DEP_1) | instskip(NEXT) | instid1(VALU_DEP_1)
	v_dual_lshlrev_b32 v8, v5, v3 :: v_dual_lshlrev_b32 v5, 23, v5
	v_lshrrev_b32_e32 v8, 4, v8
	s_delay_alu instid0(VALU_DEP_1) | instskip(SKIP_1) | instid1(VALU_DEP_2)
	v_sub_nc_u32_e32 v5, v8, v5
	v_ashrrev_i32_e32 v8, 8, v9
	v_add_nc_u32_e32 v5, 0x3c000000, v5
	s_delay_alu instid0(VALU_DEP_1) | instskip(NEXT) | instid1(VALU_DEP_1)
	v_and_or_b32 v5, 0x7f800000, v8, v5
	v_cndmask_b32_e32 v3, 0, v5, vcc_lo
	s_delay_alu instid0(VALU_DEP_1) | instskip(NEXT) | instid1(VALU_DEP_1)
	v_and_or_b32 v1, 0x80000000, v1, v3
	v_cvt_i32_f32_e32 v8, v1
.LBB15_990:
	s_mov_b32 s48, 0
.LBB15_991:
	s_delay_alu instid0(SALU_CYCLE_1)
	s_and_not1_b32 vcc_lo, exec_lo, s48
	s_cbranch_vccnz .LBB15_993
; %bb.992:
	global_load_u8 v1, v[6:7], off
	s_wait_loadcnt 0x0
	v_lshlrev_b32_e32 v3, 25, v1
	v_lshlrev_b16 v1, 8, v1
	s_wait_xcnt 0x1
	s_delay_alu instid0(VALU_DEP_1) | instskip(SKIP_1) | instid1(VALU_DEP_2)
	v_and_or_b32 v8, 0x7f00, v1, 0.5
	v_bfe_i32 v1, v1, 0, 16
	v_dual_add_f32 v8, -0.5, v8 :: v_dual_lshrrev_b32 v5, 4, v3
	v_cmp_gt_u32_e32 vcc_lo, 0x8000000, v3
	s_delay_alu instid0(VALU_DEP_2) | instskip(NEXT) | instid1(VALU_DEP_1)
	v_or_b32_e32 v5, 0x70000000, v5
	v_mul_f32_e32 v5, 0x7800000, v5
	s_delay_alu instid0(VALU_DEP_1) | instskip(NEXT) | instid1(VALU_DEP_1)
	v_cndmask_b32_e32 v3, v5, v8, vcc_lo
	v_and_or_b32 v1, 0x80000000, v1, v3
	s_delay_alu instid0(VALU_DEP_1)
	v_cvt_i32_f32_e32 v8, v1
.LBB15_993:
	s_mov_b32 s49, 0
	s_mov_b32 s48, -1
.LBB15_994:
	s_and_not1_b32 vcc_lo, exec_lo, s49
	s_cbranch_vccnz .LBB15_1007
; %bb.995:
	s_cmp_gt_i32 s47, 14
	s_cbranch_scc0 .LBB15_998
; %bb.996:
	s_cmp_eq_u32 s47, 15
	s_cbranch_scc0 .LBB15_1001
; %bb.997:
	global_load_u16 v1, v[6:7], off
	s_mov_b32 s48, -1
	s_mov_b32 s25, 0
	s_wait_loadcnt 0x0
	v_lshlrev_b32_e32 v1, 16, v1
	s_wait_xcnt 0x1
	s_delay_alu instid0(VALU_DEP_1)
	v_cvt_i32_f32_e32 v8, v1
	s_branch .LBB15_1002
.LBB15_998:
	s_mov_b32 s49, -1
                                        ; implicit-def: $vgpr8
	s_branch .LBB15_1003
.LBB15_999:
	s_and_not1_saveexec_b32 s48, s48
	s_cbranch_execz .LBB15_980
.LBB15_1000:
	v_cmp_ne_u16_e32 vcc_lo, 0, v1
	s_and_not1_b32 s49, s49, exec_lo
	s_and_b32 s50, vcc_lo, exec_lo
	s_delay_alu instid0(SALU_CYCLE_1)
	s_or_b32 s49, s49, s50
	s_or_b32 exec_lo, exec_lo, s48
	v_mov_b32_e32 v8, 0
	s_and_saveexec_b32 s48, s49
	s_cbranch_execnz .LBB15_981
	s_branch .LBB15_982
.LBB15_1001:
	s_mov_b32 s25, -1
                                        ; implicit-def: $vgpr8
.LBB15_1002:
	s_mov_b32 s49, 0
.LBB15_1003:
	s_delay_alu instid0(SALU_CYCLE_1)
	s_and_b32 vcc_lo, exec_lo, s49
	s_cbranch_vccz .LBB15_1007
; %bb.1004:
	s_cmp_eq_u32 s47, 11
	s_cbranch_scc0 .LBB15_1006
; %bb.1005:
	global_load_u8 v1, v[6:7], off
	s_mov_b32 s25, 0
	s_mov_b32 s48, -1
	s_wait_loadcnt 0x0
	v_cmp_ne_u16_e32 vcc_lo, 0, v1
	s_wait_xcnt 0x1
	v_cndmask_b32_e64 v8, 0, 1, vcc_lo
	s_branch .LBB15_1007
.LBB15_1006:
	s_mov_b32 s25, -1
                                        ; implicit-def: $vgpr8
.LBB15_1007:
	s_mov_b32 s47, 0
.LBB15_1008:
	s_delay_alu instid0(SALU_CYCLE_1)
	s_and_b32 vcc_lo, exec_lo, s47
	s_cbranch_vccz .LBB15_1057
; %bb.1009:
	s_and_b32 s0, 0xffff, s0
	s_delay_alu instid0(SALU_CYCLE_1)
	s_cmp_lt_i32 s0, 5
	s_cbranch_scc1 .LBB15_1014
; %bb.1010:
	s_cmp_lt_i32 s0, 8
	s_cbranch_scc1 .LBB15_1015
; %bb.1011:
	;; [unrolled: 3-line block ×3, first 2 shown]
	s_cmp_gt_i32 s0, 9
	s_cbranch_scc0 .LBB15_1017
; %bb.1013:
	s_wait_loadcnt 0x0
	global_load_b64 v[8:9], v[6:7], off
	s_mov_b32 s47, 0
	s_wait_loadcnt 0x0
	v_cvt_i32_f64_e32 v8, v[8:9]
	s_branch .LBB15_1018
.LBB15_1014:
	s_mov_b32 s47, -1
                                        ; implicit-def: $vgpr8
	s_branch .LBB15_1036
.LBB15_1015:
	s_mov_b32 s47, -1
                                        ; implicit-def: $vgpr8
	s_branch .LBB15_1024
.LBB15_1016:
	s_mov_b32 s47, -1
                                        ; implicit-def: $vgpr8
	s_branch .LBB15_1021
.LBB15_1017:
	s_mov_b32 s47, -1
                                        ; implicit-def: $vgpr8
.LBB15_1018:
	s_delay_alu instid0(SALU_CYCLE_1)
	s_and_not1_b32 vcc_lo, exec_lo, s47
	s_cbranch_vccnz .LBB15_1020
; %bb.1019:
	global_load_b32 v1, v[6:7], off
	s_wait_loadcnt 0x0
	s_wait_xcnt 0x1
	v_cvt_i32_f32_e32 v8, v1
.LBB15_1020:
	s_mov_b32 s47, 0
.LBB15_1021:
	s_delay_alu instid0(SALU_CYCLE_1)
	s_and_not1_b32 vcc_lo, exec_lo, s47
	s_cbranch_vccnz .LBB15_1023
; %bb.1022:
	global_load_b32 v1, v[6:7], off
	s_wait_loadcnt 0x0
	s_wait_xcnt 0x1
	v_cvt_i16_f16_e32 v8, v1
.LBB15_1023:
	s_mov_b32 s47, 0
.LBB15_1024:
	s_delay_alu instid0(SALU_CYCLE_1)
	s_and_not1_b32 vcc_lo, exec_lo, s47
	s_cbranch_vccnz .LBB15_1035
; %bb.1025:
	s_cmp_lt_i32 s0, 6
	s_cbranch_scc1 .LBB15_1028
; %bb.1026:
	s_cmp_gt_i32 s0, 6
	s_cbranch_scc0 .LBB15_1029
; %bb.1027:
	s_wait_loadcnt 0x0
	global_load_b64 v[8:9], v[6:7], off
	s_mov_b32 s47, 0
	s_wait_loadcnt 0x0
	v_cvt_i32_f64_e32 v8, v[8:9]
	s_branch .LBB15_1030
.LBB15_1028:
	s_mov_b32 s47, -1
                                        ; implicit-def: $vgpr8
	s_branch .LBB15_1033
.LBB15_1029:
	s_mov_b32 s47, -1
                                        ; implicit-def: $vgpr8
.LBB15_1030:
	s_delay_alu instid0(SALU_CYCLE_1)
	s_and_not1_b32 vcc_lo, exec_lo, s47
	s_cbranch_vccnz .LBB15_1032
; %bb.1031:
	global_load_b32 v1, v[6:7], off
	s_wait_loadcnt 0x0
	s_wait_xcnt 0x1
	v_cvt_i32_f32_e32 v8, v1
.LBB15_1032:
	s_mov_b32 s47, 0
.LBB15_1033:
	s_delay_alu instid0(SALU_CYCLE_1)
	s_and_not1_b32 vcc_lo, exec_lo, s47
	s_cbranch_vccnz .LBB15_1035
; %bb.1034:
	global_load_u16 v1, v[6:7], off
	s_wait_loadcnt 0x0
	s_wait_xcnt 0x1
	v_cvt_i16_f16_e32 v8, v1
.LBB15_1035:
	s_mov_b32 s47, 0
.LBB15_1036:
	s_delay_alu instid0(SALU_CYCLE_1)
	s_and_not1_b32 vcc_lo, exec_lo, s47
	s_cbranch_vccnz .LBB15_1056
; %bb.1037:
	s_cmp_lt_i32 s0, 2
	s_cbranch_scc1 .LBB15_1041
; %bb.1038:
	s_cmp_lt_i32 s0, 3
	s_cbranch_scc1 .LBB15_1042
; %bb.1039:
	s_cmp_gt_i32 s0, 3
	s_cbranch_scc0 .LBB15_1043
; %bb.1040:
	s_wait_loadcnt 0x0
	global_load_b64 v[8:9], v[6:7], off
	s_mov_b32 s47, 0
	s_branch .LBB15_1044
.LBB15_1041:
	s_mov_b32 s47, -1
                                        ; implicit-def: $vgpr8
	s_branch .LBB15_1050
.LBB15_1042:
	s_mov_b32 s47, -1
                                        ; implicit-def: $vgpr8
	s_branch .LBB15_1047
.LBB15_1043:
	s_mov_b32 s47, -1
                                        ; implicit-def: $vgpr8
.LBB15_1044:
	s_delay_alu instid0(SALU_CYCLE_1)
	s_and_not1_b32 vcc_lo, exec_lo, s47
	s_cbranch_vccnz .LBB15_1046
; %bb.1045:
	s_wait_loadcnt 0x0
	global_load_b32 v8, v[6:7], off
.LBB15_1046:
	s_mov_b32 s47, 0
.LBB15_1047:
	s_delay_alu instid0(SALU_CYCLE_1)
	s_and_not1_b32 vcc_lo, exec_lo, s47
	s_cbranch_vccnz .LBB15_1049
; %bb.1048:
	s_wait_loadcnt 0x0
	global_load_u16 v8, v[6:7], off
.LBB15_1049:
	s_mov_b32 s47, 0
.LBB15_1050:
	s_delay_alu instid0(SALU_CYCLE_1)
	s_and_not1_b32 vcc_lo, exec_lo, s47
	s_cbranch_vccnz .LBB15_1056
; %bb.1051:
	s_cmp_gt_i32 s0, 0
	s_mov_b32 s0, 0
	s_cbranch_scc0 .LBB15_1053
; %bb.1052:
	s_wait_loadcnt 0x0
	global_load_u8 v8, v[6:7], off
	s_branch .LBB15_1054
.LBB15_1053:
	s_mov_b32 s0, -1
                                        ; implicit-def: $vgpr8
.LBB15_1054:
	s_delay_alu instid0(SALU_CYCLE_1)
	s_and_not1_b32 vcc_lo, exec_lo, s0
	s_cbranch_vccnz .LBB15_1056
; %bb.1055:
	s_wait_loadcnt 0x0
	global_load_u8 v8, v[6:7], off
.LBB15_1056:
	s_mov_b32 s48, -1
.LBB15_1057:
	s_delay_alu instid0(SALU_CYCLE_1)
	s_and_not1_b32 vcc_lo, exec_lo, s48
	s_cbranch_vccnz .LBB15_1069
; %bb.1058:
	s_wait_loadcnt 0x0
	s_delay_alu instid0(VALU_DEP_1) | instskip(NEXT) | instid1(VALU_DEP_4)
	v_bfe_i32 v1, v8, 0, 8
	v_and_b32_e32 v5, 0xff, v4
	s_mov_b32 s47, 0
	s_mov_b32 s0, exec_lo
	s_delay_alu instid0(VALU_DEP_2) | instskip(NEXT) | instid1(VALU_DEP_1)
	v_sub_nc_u16 v3, 0, v1
	v_max_i16 v1, v1, v3
	s_wait_xcnt 0x0
	v_cmpx_ne_u16_e32 0, v5
	s_cbranch_execz .LBB15_1062
; %bb.1059:
	v_bfe_i32 v3, v4, 0, 8
	s_delay_alu instid0(VALU_DEP_1) | instskip(NEXT) | instid1(VALU_DEP_1)
	v_sub_nc_u16 v4, 0, v3
	v_max_i16 v4, v3, v4
	v_and_b32_e32 v3, 0xff, v1
	s_delay_alu instid0(VALU_DEP_2)
	v_and_b32_e32 v4, 0xffff, v4
.LBB15_1060:                            ; =>This Inner Loop Header: Depth=1
	s_delay_alu instid0(VALU_DEP_2) | instskip(NEXT) | instid1(VALU_DEP_2)
	v_bfe_i32 v6, v3, 0, 8
	v_mov_b32_e32 v1, v4
	s_delay_alu instid0(VALU_DEP_2) | instskip(NEXT) | instid1(VALU_DEP_2)
	v_cvt_f32_i32_e32 v8, v6
	v_bfe_i32 v4, v1, 0, 8
	s_delay_alu instid0(VALU_DEP_1) | instskip(SKIP_1) | instid1(VALU_DEP_2)
	v_cvt_f32_i32_e32 v5, v4
	v_xor_b32_e32 v4, v6, v4
	v_rcp_iflag_f32_e32 v7, v5
	v_nop
	s_delay_alu instid0(TRANS32_DEP_1) | instskip(NEXT) | instid1(VALU_DEP_1)
	v_dual_ashrrev_i32 v4, 30, v4 :: v_dual_mul_f32 v6, v8, v7
	v_trunc_f32_e32 v6, v6
	s_delay_alu instid0(VALU_DEP_1) | instskip(SKIP_1) | instid1(VALU_DEP_2)
	v_dual_fma_f32 v7, -v6, v5, v8 :: v_dual_bitop2_b32 v4, 1, v4 bitop3:0x54
	v_cvt_i32_f32_e32 v6, v6
	v_cmp_ge_f32_e64 vcc_lo, |v7|, |v5|
	s_delay_alu instid0(VALU_DEP_3) | instskip(NEXT) | instid1(VALU_DEP_1)
	v_cndmask_b32_e32 v4, 0, v4, vcc_lo
	v_add_nc_u32_e32 v4, v6, v4
	s_delay_alu instid0(VALU_DEP_1) | instskip(NEXT) | instid1(VALU_DEP_1)
	v_mul_lo_u32 v4, v4, v1
	v_sub_nc_u32_e32 v3, v3, v4
	s_delay_alu instid0(VALU_DEP_1) | instskip(SKIP_1) | instid1(VALU_DEP_2)
	v_bfe_i32 v4, v3, 0, 8
	v_mov_b32_e32 v3, v1
	v_cmp_eq_u16_e32 vcc_lo, 0, v4
	v_and_b32_e32 v4, 0xffff, v4
	s_or_b32 s47, vcc_lo, s47
	s_delay_alu instid0(SALU_CYCLE_1)
	s_and_not1_b32 exec_lo, exec_lo, s47
	s_cbranch_execnz .LBB15_1060
; %bb.1061:
	s_or_b32 exec_lo, exec_lo, s47
.LBB15_1062:
	s_delay_alu instid0(SALU_CYCLE_1) | instskip(SKIP_2) | instid1(SALU_CYCLE_1)
	s_or_b32 exec_lo, exec_lo, s0
	v_mov_b32_e32 v3, 0
	s_and_b32 s47, s31, 0xff
	s_cmp_lt_i32 s47, 11
	s_delay_alu instid0(VALU_DEP_1)
	v_add_nc_u64_e32 v[2:3], s[4:5], v[2:3]
	s_cbranch_scc1 .LBB15_1070
; %bb.1063:
	s_and_b32 s48, 0xffff, s47
	s_delay_alu instid0(SALU_CYCLE_1)
	s_cmp_gt_i32 s48, 25
	s_cbranch_scc0 .LBB15_1071
; %bb.1064:
	s_cmp_gt_i32 s48, 28
	s_cbranch_scc0 .LBB15_1072
; %bb.1065:
	;; [unrolled: 3-line block ×4, first 2 shown]
	s_mov_b32 s50, 0
	s_mov_b32 s0, -1
	s_cmp_eq_u32 s48, 46
	s_mov_b32 s49, 0
	s_cbranch_scc0 .LBB15_1075
; %bb.1068:
	v_bfe_i32 v4, v1, 0, 8
	s_mov_b32 s49, -1
	s_mov_b32 s0, 0
	s_delay_alu instid0(VALU_DEP_1) | instskip(NEXT) | instid1(VALU_DEP_1)
	v_bfe_i32 v4, v4, 0, 16
	v_cvt_f32_i32_e32 v4, v4
	s_delay_alu instid0(VALU_DEP_1) | instskip(NEXT) | instid1(VALU_DEP_1)
	v_bfe_u32 v5, v4, 16, 1
	v_add3_u32 v4, v4, v5, 0x7fff
	s_delay_alu instid0(VALU_DEP_1)
	v_lshrrev_b32_e32 v4, 16, v4
	global_store_b32 v[2:3], v4, off
	s_branch .LBB15_1075
.LBB15_1069:
	s_mov_b32 s50, 0
	s_mov_b32 s0, s43
	s_branch .LBB15_1186
.LBB15_1070:
	s_mov_b32 s48, -1
	s_mov_b32 s49, 0
	s_mov_b32 s0, s43
	s_branch .LBB15_1144
.LBB15_1071:
	s_mov_b32 s50, -1
	s_mov_b32 s49, 0
	s_mov_b32 s0, s43
	s_branch .LBB15_1102
.LBB15_1072:
	s_mov_b32 s50, -1
	s_mov_b32 s49, 0
	s_mov_b32 s0, s43
	s_branch .LBB15_1085
.LBB15_1073:
	s_mov_b32 s50, -1
	s_mov_b32 s49, 0
	s_mov_b32 s0, s43
	s_branch .LBB15_1081
.LBB15_1074:
	s_mov_b32 s50, -1
	s_mov_b32 s49, 0
	s_mov_b32 s0, s43
.LBB15_1075:
	s_and_b32 vcc_lo, exec_lo, s50
	s_cbranch_vccz .LBB15_1080
; %bb.1076:
	s_cmp_eq_u32 s48, 44
	s_mov_b32 s0, -1
	s_cbranch_scc0 .LBB15_1080
; %bb.1077:
	s_wait_xcnt 0x0
	v_bfe_i32 v4, v1, 0, 8
	v_mov_b32_e32 v5, 0xff
	s_mov_b32 s49, exec_lo
	s_delay_alu instid0(VALU_DEP_2) | instskip(NEXT) | instid1(VALU_DEP_1)
	v_bfe_i32 v4, v4, 0, 16
	v_cvt_f32_i32_e32 v4, v4
	s_delay_alu instid0(VALU_DEP_1) | instskip(NEXT) | instid1(VALU_DEP_1)
	v_bfe_u32 v6, v4, 23, 8
	v_cmpx_ne_u32_e32 0xff, v6
	s_cbranch_execz .LBB15_1079
; %bb.1078:
	v_and_b32_e32 v5, 0x400000, v4
	v_and_or_b32 v6, 0x3fffff, v4, v6
	v_lshrrev_b32_e32 v4, 23, v4
	s_delay_alu instid0(VALU_DEP_3) | instskip(NEXT) | instid1(VALU_DEP_3)
	v_cmp_ne_u32_e32 vcc_lo, 0, v5
	v_cmp_ne_u32_e64 s0, 0, v6
	s_and_b32 s0, vcc_lo, s0
	s_delay_alu instid0(SALU_CYCLE_1) | instskip(NEXT) | instid1(VALU_DEP_1)
	v_cndmask_b32_e64 v5, 0, 1, s0
	v_add_nc_u32_e32 v5, v4, v5
.LBB15_1079:
	s_or_b32 exec_lo, exec_lo, s49
	s_mov_b32 s49, -1
	s_mov_b32 s0, 0
	global_store_b8 v[2:3], v5, off
.LBB15_1080:
	s_mov_b32 s50, 0
.LBB15_1081:
	s_delay_alu instid0(SALU_CYCLE_1)
	s_and_b32 vcc_lo, exec_lo, s50
	s_cbranch_vccz .LBB15_1084
; %bb.1082:
	s_cmp_eq_u32 s48, 29
	s_mov_b32 s0, -1
	s_cbranch_scc0 .LBB15_1084
; %bb.1083:
	s_wait_xcnt 0x0
	v_bfe_i32 v4, v1, 0, 8
	s_mov_b32 s49, -1
	s_mov_b32 s0, 0
	s_mov_b32 s50, 0
	s_delay_alu instid0(VALU_DEP_1)
	v_ashrrev_i32_e32 v5, 31, v4
	global_store_b64 v[2:3], v[4:5], off
	s_branch .LBB15_1085
.LBB15_1084:
	s_mov_b32 s50, 0
.LBB15_1085:
	s_delay_alu instid0(SALU_CYCLE_1)
	s_and_b32 vcc_lo, exec_lo, s50
	s_cbranch_vccz .LBB15_1101
; %bb.1086:
	s_cmp_lt_i32 s48, 27
	s_mov_b32 s49, -1
	s_cbranch_scc1 .LBB15_1092
; %bb.1087:
	s_cmp_gt_i32 s48, 27
	s_cbranch_scc0 .LBB15_1089
; %bb.1088:
	s_wait_xcnt 0x0
	v_bfe_i32 v4, v1, 0, 8
	s_mov_b32 s49, 0
	global_store_b32 v[2:3], v4, off
.LBB15_1089:
	s_and_not1_b32 vcc_lo, exec_lo, s49
	s_cbranch_vccnz .LBB15_1091
; %bb.1090:
	s_wait_xcnt 0x0
	v_bfe_i32 v4, v1, 0, 8
	global_store_b16 v[2:3], v4, off
.LBB15_1091:
	s_mov_b32 s49, 0
.LBB15_1092:
	s_delay_alu instid0(SALU_CYCLE_1)
	s_and_not1_b32 vcc_lo, exec_lo, s49
	s_cbranch_vccnz .LBB15_1100
; %bb.1093:
	s_wait_xcnt 0x0
	v_bfe_i32 v4, v1, 0, 8
	v_mov_b32_e32 v6, 0x80
	s_mov_b32 s49, exec_lo
	s_delay_alu instid0(VALU_DEP_2) | instskip(NEXT) | instid1(VALU_DEP_1)
	v_bfe_i32 v4, v4, 0, 16
	v_cvt_f32_i32_e32 v4, v4
	s_delay_alu instid0(VALU_DEP_1) | instskip(NEXT) | instid1(VALU_DEP_1)
	v_and_b32_e32 v5, 0x7fffffff, v4
	v_cmpx_gt_u32_e32 0x43800000, v5
	s_cbranch_execz .LBB15_1099
; %bb.1094:
	v_cmp_lt_u32_e32 vcc_lo, 0x3bffffff, v5
	s_mov_b32 s50, 0
                                        ; implicit-def: $vgpr5
	s_and_saveexec_b32 s51, vcc_lo
	s_delay_alu instid0(SALU_CYCLE_1)
	s_xor_b32 s51, exec_lo, s51
	s_cbranch_execz .LBB15_1214
; %bb.1095:
	v_bfe_u32 v5, v4, 20, 1
	s_mov_b32 s50, exec_lo
	s_delay_alu instid0(VALU_DEP_1) | instskip(NEXT) | instid1(VALU_DEP_1)
	v_add3_u32 v5, v4, v5, 0x487ffff
	v_lshrrev_b32_e32 v5, 20, v5
	s_and_not1_saveexec_b32 s51, s51
	s_cbranch_execnz .LBB15_1215
.LBB15_1096:
	s_or_b32 exec_lo, exec_lo, s51
	v_mov_b32_e32 v6, 0
	s_and_saveexec_b32 s51, s50
.LBB15_1097:
	v_lshrrev_b32_e32 v4, 24, v4
	s_delay_alu instid0(VALU_DEP_1)
	v_and_or_b32 v6, 0x80, v4, v5
.LBB15_1098:
	s_or_b32 exec_lo, exec_lo, s51
.LBB15_1099:
	s_delay_alu instid0(SALU_CYCLE_1)
	s_or_b32 exec_lo, exec_lo, s49
	global_store_b8 v[2:3], v6, off
.LBB15_1100:
	s_mov_b32 s49, -1
.LBB15_1101:
	s_mov_b32 s50, 0
.LBB15_1102:
	s_delay_alu instid0(SALU_CYCLE_1)
	s_and_b32 vcc_lo, exec_lo, s50
	s_cbranch_vccz .LBB15_1143
; %bb.1103:
	s_cmp_gt_i32 s48, 22
	s_mov_b32 s50, -1
	s_cbranch_scc0 .LBB15_1135
; %bb.1104:
	s_cmp_lt_i32 s48, 24
	s_mov_b32 s49, -1
	s_cbranch_scc1 .LBB15_1124
; %bb.1105:
	s_cmp_gt_i32 s48, 24
	s_cbranch_scc0 .LBB15_1113
; %bb.1106:
	s_wait_xcnt 0x0
	v_bfe_i32 v4, v1, 0, 8
	v_mov_b32_e32 v6, 0x80
	s_mov_b32 s49, exec_lo
	s_delay_alu instid0(VALU_DEP_2) | instskip(NEXT) | instid1(VALU_DEP_1)
	v_bfe_i32 v4, v4, 0, 16
	v_cvt_f32_i32_e32 v4, v4
	s_delay_alu instid0(VALU_DEP_1) | instskip(NEXT) | instid1(VALU_DEP_1)
	v_and_b32_e32 v5, 0x7fffffff, v4
	v_cmpx_gt_u32_e32 0x47800000, v5
	s_cbranch_execz .LBB15_1112
; %bb.1107:
	v_cmp_lt_u32_e32 vcc_lo, 0x37ffffff, v5
	s_mov_b32 s50, 0
                                        ; implicit-def: $vgpr5
	s_and_saveexec_b32 s51, vcc_lo
	s_delay_alu instid0(SALU_CYCLE_1)
	s_xor_b32 s51, exec_lo, s51
	s_cbranch_execz .LBB15_2269
; %bb.1108:
	v_bfe_u32 v5, v4, 21, 1
	s_mov_b32 s50, exec_lo
	s_delay_alu instid0(VALU_DEP_1) | instskip(NEXT) | instid1(VALU_DEP_1)
	v_add3_u32 v5, v4, v5, 0x88fffff
	v_lshrrev_b32_e32 v5, 21, v5
	s_and_not1_saveexec_b32 s51, s51
	s_cbranch_execnz .LBB15_2270
.LBB15_1109:
	s_or_b32 exec_lo, exec_lo, s51
	v_mov_b32_e32 v6, 0
	s_and_saveexec_b32 s51, s50
.LBB15_1110:
	v_lshrrev_b32_e32 v4, 24, v4
	s_delay_alu instid0(VALU_DEP_1)
	v_and_or_b32 v6, 0x80, v4, v5
.LBB15_1111:
	s_or_b32 exec_lo, exec_lo, s51
.LBB15_1112:
	s_delay_alu instid0(SALU_CYCLE_1)
	s_or_b32 exec_lo, exec_lo, s49
	s_mov_b32 s49, 0
	global_store_b8 v[2:3], v6, off
.LBB15_1113:
	s_and_b32 vcc_lo, exec_lo, s49
	s_cbranch_vccz .LBB15_1123
; %bb.1114:
	s_wait_xcnt 0x0
	v_bfe_i32 v4, v1, 0, 8
	s_mov_b32 s49, exec_lo
                                        ; implicit-def: $vgpr5
	s_delay_alu instid0(VALU_DEP_1) | instskip(NEXT) | instid1(VALU_DEP_1)
	v_bfe_i32 v4, v4, 0, 16
	v_cvt_f32_i32_e32 v4, v4
	s_delay_alu instid0(VALU_DEP_1) | instskip(NEXT) | instid1(VALU_DEP_1)
	v_and_b32_e32 v6, 0x7fffffff, v4
	v_cmpx_gt_u32_e32 0x43f00000, v6
	s_xor_b32 s49, exec_lo, s49
	s_cbranch_execz .LBB15_1120
; %bb.1115:
	s_mov_b32 s50, exec_lo
                                        ; implicit-def: $vgpr5
	v_cmpx_lt_u32_e32 0x3c7fffff, v6
	s_xor_b32 s50, exec_lo, s50
; %bb.1116:
	v_bfe_u32 v5, v4, 20, 1
	s_delay_alu instid0(VALU_DEP_1) | instskip(NEXT) | instid1(VALU_DEP_1)
	v_add3_u32 v5, v4, v5, 0x407ffff
	v_and_b32_e32 v6, 0xff00000, v5
	v_lshrrev_b32_e32 v5, 20, v5
	s_delay_alu instid0(VALU_DEP_2) | instskip(NEXT) | instid1(VALU_DEP_2)
	v_cmp_ne_u32_e32 vcc_lo, 0x7f00000, v6
	v_cndmask_b32_e32 v5, 0x7e, v5, vcc_lo
; %bb.1117:
	s_and_not1_saveexec_b32 s50, s50
; %bb.1118:
	v_add_f32_e64 v5, 0x46800000, |v4|
; %bb.1119:
	s_or_b32 exec_lo, exec_lo, s50
                                        ; implicit-def: $vgpr6
.LBB15_1120:
	s_and_not1_saveexec_b32 s49, s49
; %bb.1121:
	v_mov_b32_e32 v5, 0x7f
	v_cmp_lt_u32_e32 vcc_lo, 0x7f800000, v6
	s_delay_alu instid0(VALU_DEP_2)
	v_cndmask_b32_e32 v5, 0x7e, v5, vcc_lo
; %bb.1122:
	s_or_b32 exec_lo, exec_lo, s49
	v_lshrrev_b32_e32 v4, 24, v4
	s_delay_alu instid0(VALU_DEP_1)
	v_and_or_b32 v4, 0x80, v4, v5
	global_store_b8 v[2:3], v4, off
.LBB15_1123:
	s_mov_b32 s49, 0
.LBB15_1124:
	s_delay_alu instid0(SALU_CYCLE_1)
	s_and_not1_b32 vcc_lo, exec_lo, s49
	s_cbranch_vccnz .LBB15_1134
; %bb.1125:
	s_wait_xcnt 0x0
	v_bfe_i32 v4, v1, 0, 8
	s_mov_b32 s49, exec_lo
                                        ; implicit-def: $vgpr5
	s_delay_alu instid0(VALU_DEP_1) | instskip(NEXT) | instid1(VALU_DEP_1)
	v_bfe_i32 v4, v4, 0, 16
	v_cvt_f32_i32_e32 v4, v4
	s_delay_alu instid0(VALU_DEP_1) | instskip(NEXT) | instid1(VALU_DEP_1)
	v_and_b32_e32 v6, 0x7fffffff, v4
	v_cmpx_gt_u32_e32 0x47800000, v6
	s_xor_b32 s49, exec_lo, s49
	s_cbranch_execz .LBB15_1131
; %bb.1126:
	s_mov_b32 s50, exec_lo
                                        ; implicit-def: $vgpr5
	v_cmpx_lt_u32_e32 0x387fffff, v6
	s_xor_b32 s50, exec_lo, s50
; %bb.1127:
	v_bfe_u32 v5, v4, 21, 1
	s_delay_alu instid0(VALU_DEP_1) | instskip(NEXT) | instid1(VALU_DEP_1)
	v_add3_u32 v5, v4, v5, 0x80fffff
	v_lshrrev_b32_e32 v5, 21, v5
; %bb.1128:
	s_and_not1_saveexec_b32 s50, s50
; %bb.1129:
	v_add_f32_e64 v5, 0x43000000, |v4|
; %bb.1130:
	s_or_b32 exec_lo, exec_lo, s50
                                        ; implicit-def: $vgpr6
.LBB15_1131:
	s_and_not1_saveexec_b32 s49, s49
; %bb.1132:
	v_mov_b32_e32 v5, 0x7f
	v_cmp_lt_u32_e32 vcc_lo, 0x7f800000, v6
	s_delay_alu instid0(VALU_DEP_2)
	v_cndmask_b32_e32 v5, 0x7c, v5, vcc_lo
; %bb.1133:
	s_or_b32 exec_lo, exec_lo, s49
	v_lshrrev_b32_e32 v4, 24, v4
	s_delay_alu instid0(VALU_DEP_1)
	v_and_or_b32 v4, 0x80, v4, v5
	global_store_b8 v[2:3], v4, off
.LBB15_1134:
	s_mov_b32 s50, 0
	s_mov_b32 s49, -1
.LBB15_1135:
	s_and_not1_b32 vcc_lo, exec_lo, s50
	s_cbranch_vccnz .LBB15_1143
; %bb.1136:
	s_cmp_gt_i32 s48, 14
	s_mov_b32 s50, -1
	s_cbranch_scc0 .LBB15_1140
; %bb.1137:
	s_cmp_eq_u32 s48, 15
	s_mov_b32 s0, -1
	s_cbranch_scc0 .LBB15_1139
; %bb.1138:
	s_wait_xcnt 0x0
	v_bfe_i32 v4, v1, 0, 8
	s_mov_b32 s49, -1
	s_mov_b32 s0, 0
	s_delay_alu instid0(VALU_DEP_1) | instskip(NEXT) | instid1(VALU_DEP_1)
	v_bfe_i32 v4, v4, 0, 16
	v_cvt_f32_i32_e32 v4, v4
	s_delay_alu instid0(VALU_DEP_1) | instskip(NEXT) | instid1(VALU_DEP_1)
	v_bfe_u32 v5, v4, 16, 1
	v_add3_u32 v4, v4, v5, 0x7fff
	global_store_d16_hi_b16 v[2:3], v4, off
.LBB15_1139:
	s_mov_b32 s50, 0
.LBB15_1140:
	s_delay_alu instid0(SALU_CYCLE_1)
	s_and_b32 vcc_lo, exec_lo, s50
	s_cbranch_vccz .LBB15_1143
; %bb.1141:
	s_cmp_eq_u32 s48, 11
	s_mov_b32 s0, -1
	s_cbranch_scc0 .LBB15_1143
; %bb.1142:
	s_wait_xcnt 0x0
	v_and_b32_e32 v4, 0xff, v1
	s_mov_b32 s0, 0
	s_mov_b32 s49, -1
	s_delay_alu instid0(VALU_DEP_1)
	v_cmp_ne_u16_e32 vcc_lo, 0, v4
	v_cndmask_b32_e64 v4, 0, 1, vcc_lo
	global_store_b8 v[2:3], v4, off
.LBB15_1143:
	s_mov_b32 s48, 0
.LBB15_1144:
	s_delay_alu instid0(SALU_CYCLE_1)
	s_and_b32 vcc_lo, exec_lo, s48
	s_cbranch_vccz .LBB15_1183
; %bb.1145:
	s_and_b32 s47, 0xffff, s47
	s_mov_b32 s48, -1
	s_cmp_lt_i32 s47, 5
	s_cbranch_scc1 .LBB15_1166
; %bb.1146:
	s_cmp_lt_i32 s47, 8
	s_cbranch_scc1 .LBB15_1156
; %bb.1147:
	;; [unrolled: 3-line block ×3, first 2 shown]
	s_cmp_gt_i32 s47, 9
	s_cbranch_scc0 .LBB15_1150
; %bb.1149:
	s_wait_xcnt 0x0
	v_bfe_i32 v4, v1, 0, 8
	v_mov_b32_e32 v6, 0
	s_mov_b32 s48, 0
	s_delay_alu instid0(VALU_DEP_2) | instskip(NEXT) | instid1(VALU_DEP_2)
	v_bfe_i32 v4, v4, 0, 16
	v_mov_b32_e32 v7, v6
	s_delay_alu instid0(VALU_DEP_2)
	v_cvt_f64_i32_e32 v[4:5], v4
	global_store_b128 v[2:3], v[4:7], off
.LBB15_1150:
	s_and_not1_b32 vcc_lo, exec_lo, s48
	s_cbranch_vccnz .LBB15_1152
; %bb.1151:
	s_wait_xcnt 0x0
	v_bfe_i32 v4, v1, 0, 8
	v_mov_b32_e32 v5, 0
	s_delay_alu instid0(VALU_DEP_2) | instskip(NEXT) | instid1(VALU_DEP_1)
	v_bfe_i32 v4, v4, 0, 16
	v_cvt_f32_i32_e32 v4, v4
	global_store_b64 v[2:3], v[4:5], off
.LBB15_1152:
	s_mov_b32 s48, 0
.LBB15_1153:
	s_delay_alu instid0(SALU_CYCLE_1)
	s_and_not1_b32 vcc_lo, exec_lo, s48
	s_cbranch_vccnz .LBB15_1155
; %bb.1154:
	s_wait_xcnt 0x0
	v_bfe_i32 v4, v1, 0, 8
	s_delay_alu instid0(VALU_DEP_1) | instskip(NEXT) | instid1(VALU_DEP_1)
	v_cvt_f16_i16_e32 v4, v4
	v_and_b32_e32 v4, 0xffff, v4
	global_store_b32 v[2:3], v4, off
.LBB15_1155:
	s_mov_b32 s48, 0
.LBB15_1156:
	s_delay_alu instid0(SALU_CYCLE_1)
	s_and_not1_b32 vcc_lo, exec_lo, s48
	s_cbranch_vccnz .LBB15_1165
; %bb.1157:
	s_cmp_lt_i32 s47, 6
	s_mov_b32 s48, -1
	s_cbranch_scc1 .LBB15_1163
; %bb.1158:
	s_cmp_gt_i32 s47, 6
	s_cbranch_scc0 .LBB15_1160
; %bb.1159:
	s_wait_xcnt 0x0
	v_bfe_i32 v4, v1, 0, 8
	s_mov_b32 s48, 0
	s_delay_alu instid0(VALU_DEP_1) | instskip(NEXT) | instid1(VALU_DEP_1)
	v_bfe_i32 v4, v4, 0, 16
	v_cvt_f64_i32_e32 v[4:5], v4
	global_store_b64 v[2:3], v[4:5], off
.LBB15_1160:
	s_and_not1_b32 vcc_lo, exec_lo, s48
	s_cbranch_vccnz .LBB15_1162
; %bb.1161:
	s_wait_xcnt 0x0
	v_bfe_i32 v4, v1, 0, 8
	s_delay_alu instid0(VALU_DEP_1) | instskip(NEXT) | instid1(VALU_DEP_1)
	v_bfe_i32 v4, v4, 0, 16
	v_cvt_f32_i32_e32 v4, v4
	global_store_b32 v[2:3], v4, off
.LBB15_1162:
	s_mov_b32 s48, 0
.LBB15_1163:
	s_delay_alu instid0(SALU_CYCLE_1)
	s_and_not1_b32 vcc_lo, exec_lo, s48
	s_cbranch_vccnz .LBB15_1165
; %bb.1164:
	s_wait_xcnt 0x0
	v_bfe_i32 v4, v1, 0, 8
	s_delay_alu instid0(VALU_DEP_1)
	v_cvt_f16_i16_e32 v4, v4
	global_store_b16 v[2:3], v4, off
.LBB15_1165:
	s_mov_b32 s48, 0
.LBB15_1166:
	s_delay_alu instid0(SALU_CYCLE_1)
	s_and_not1_b32 vcc_lo, exec_lo, s48
	s_cbranch_vccnz .LBB15_1182
; %bb.1167:
	s_cmp_lt_i32 s47, 2
	s_mov_b32 s48, -1
	s_cbranch_scc1 .LBB15_1177
; %bb.1168:
	s_cmp_lt_i32 s47, 3
	s_cbranch_scc1 .LBB15_1174
; %bb.1169:
	s_cmp_gt_i32 s47, 3
	s_cbranch_scc0 .LBB15_1171
; %bb.1170:
	s_wait_xcnt 0x0
	v_bfe_i32 v4, v1, 0, 8
	s_mov_b32 s48, 0
	s_delay_alu instid0(VALU_DEP_1)
	v_ashrrev_i32_e32 v5, 31, v4
	global_store_b64 v[2:3], v[4:5], off
.LBB15_1171:
	s_and_not1_b32 vcc_lo, exec_lo, s48
	s_cbranch_vccnz .LBB15_1173
; %bb.1172:
	s_wait_xcnt 0x0
	v_bfe_i32 v4, v1, 0, 8
	global_store_b32 v[2:3], v4, off
.LBB15_1173:
	s_mov_b32 s48, 0
.LBB15_1174:
	s_delay_alu instid0(SALU_CYCLE_1)
	s_and_not1_b32 vcc_lo, exec_lo, s48
	s_cbranch_vccnz .LBB15_1176
; %bb.1175:
	s_wait_xcnt 0x0
	v_bfe_i32 v4, v1, 0, 8
	global_store_b16 v[2:3], v4, off
.LBB15_1176:
	s_mov_b32 s48, 0
.LBB15_1177:
	s_delay_alu instid0(SALU_CYCLE_1)
	s_and_not1_b32 vcc_lo, exec_lo, s48
	s_cbranch_vccnz .LBB15_1182
; %bb.1178:
	s_cmp_gt_i32 s47, 0
	s_mov_b32 s47, -1
	s_cbranch_scc0 .LBB15_1180
; %bb.1179:
	s_mov_b32 s47, 0
	global_store_b8 v[2:3], v1, off
.LBB15_1180:
	s_and_not1_b32 vcc_lo, exec_lo, s47
	s_cbranch_vccnz .LBB15_1182
; %bb.1181:
	global_store_b8 v[2:3], v1, off
.LBB15_1182:
	s_mov_b32 s49, -1
.LBB15_1183:
	s_delay_alu instid0(SALU_CYCLE_1)
	s_and_not1_b32 vcc_lo, exec_lo, s49
	s_cbranch_vccnz .LBB15_1185
; %bb.1184:
	v_add_nc_u32_e32 v0, 0x80, v0
	s_mov_b32 s50, -1
	s_branch .LBB15_1187
.LBB15_1185:
	s_mov_b32 s50, 0
.LBB15_1186:
                                        ; implicit-def: $vgpr0
.LBB15_1187:
	s_and_not1_b32 s47, s43, exec_lo
	s_and_b32 s0, s0, exec_lo
	s_and_b32 s25, s25, exec_lo
	s_or_b32 s48, s47, s0
	s_and_not1_b32 s0, s44, exec_lo
	s_and_not1_b32 s47, s42, exec_lo
	s_and_b32 s24, s24, exec_lo
	s_or_b32 s49, s0, s25
	s_or_b32 s47, s47, s24
	s_or_not1_b32 s51, s50, exec_lo
.LBB15_1188:
	s_wait_xcnt 0x0
	s_or_b32 exec_lo, exec_lo, s46
	s_mov_b32 s25, 0
	s_mov_b32 s50, 0
	;; [unrolled: 1-line block ×3, first 2 shown]
                                        ; implicit-def: $sgpr0
                                        ; implicit-def: $vgpr8_vgpr9
                                        ; implicit-def: $vgpr6
                                        ; implicit-def: $vgpr2
                                        ; implicit-def: $vgpr4
	s_and_saveexec_b32 s46, s51
	s_cbranch_execz .LBB15_1279
; %bb.1189:
	v_cmp_gt_i32_e32 vcc_lo, s36, v0
	s_mov_b32 s51, s47
                                        ; implicit-def: $sgpr0
                                        ; implicit-def: $vgpr8_vgpr9
                                        ; implicit-def: $vgpr6
                                        ; implicit-def: $vgpr2
                                        ; implicit-def: $vgpr4
	s_and_saveexec_b32 s36, vcc_lo
	s_cbranch_execz .LBB15_1278
; %bb.1190:
	s_and_not1_b32 vcc_lo, exec_lo, s29
	s_cbranch_vccnz .LBB15_1196
; %bb.1191:
	s_and_not1_b32 vcc_lo, exec_lo, s37
	s_cbranch_vccnz .LBB15_1197
; %bb.1192:
	v_dual_mov_b32 v2, 0 :: v_dual_mov_b32 v1, v0
	s_wait_loadcnt 0x0
	v_dual_mov_b32 v4, 0 :: v_dual_mov_b32 v6, 0
	s_add_co_i32 s0, s35, 1
	s_mov_b64 s[24:25], 0xffffffffffffffe8
	s_and_b32 s0, s0, 30
	s_add_nc_u64 s[24:25], s[2:3], s[24:25]
.LBB15_1193:                            ; =>This Inner Loop Header: Depth=1
	s_clause 0x1
	s_load_b128 s[52:55], s[24:25], 0x1c
	s_load_b64 s[50:51], s[24:25], 0x2c
	s_add_co_i32 s0, s0, -2
	s_delay_alu instid0(SALU_CYCLE_1) | instskip(SKIP_2) | instid1(VALU_DEP_1)
	s_cmp_eq_u32 s0, 0
	s_wait_kmcnt 0x0
	v_mul_hi_u32 v3, s53, v1
	v_add_nc_u32_e32 v3, v1, v3
	s_delay_alu instid0(VALU_DEP_1) | instskip(NEXT) | instid1(VALU_DEP_1)
	v_lshrrev_b32_e32 v3, s54, v3
	v_mul_hi_u32 v5, s50, v3
	v_mul_lo_u32 v7, v3, s52
	s_clause 0x1
	s_load_b128 s[56:59], s[24:25], 0xdc
	s_load_b64 s[52:53], s[24:25], 0xec
	s_wait_xcnt 0x0
	s_add_nc_u64 s[24:25], s[24:25], 24
	s_delay_alu instid0(VALU_DEP_1) | instskip(NEXT) | instid1(VALU_DEP_1)
	v_dual_add_nc_u32 v5, v3, v5 :: v_dual_sub_nc_u32 v7, v1, v7
	v_lshrrev_b32_e32 v1, s51, v5
	s_wait_kmcnt 0x0
	s_delay_alu instid0(VALU_DEP_2) | instskip(NEXT) | instid1(VALU_DEP_2)
	v_mad_u32 v2, v7, s56, v2
	v_mul_lo_u32 v5, v1, s55
	v_mad_u32 v6, v7, s58, v6
	v_mad_u32 v4, v7, s57, v4
	s_delay_alu instid0(VALU_DEP_3) | instskip(NEXT) | instid1(VALU_DEP_1)
	v_sub_nc_u32_e32 v3, v3, v5
	v_mad_u32 v2, v3, s59, v2
	s_delay_alu instid0(VALU_DEP_4) | instskip(NEXT) | instid1(VALU_DEP_4)
	v_mad_u32 v6, v3, s53, v6
	v_mad_u32 v4, v3, s52, v4
	s_cbranch_scc0 .LBB15_1193
; %bb.1194:
	s_bitcmp1_b32 s35, 0
	s_cselect_b32 s0, -1, 0
	s_delay_alu instid0(SALU_CYCLE_1)
	s_and_b32 vcc_lo, exec_lo, s0
	s_cbranch_vccnz .LBB15_1198
; %bb.1195:
	s_clause 0x1
	s_load_b96 s[52:54], s[24:25], 0x1c
	s_load_b96 s[56:58], s[24:25], 0xdc
	s_wait_kmcnt 0x0
	v_mul_hi_u32 v3, s53, v1
	s_delay_alu instid0(VALU_DEP_1) | instskip(NEXT) | instid1(VALU_DEP_1)
	v_add_nc_u32_e32 v3, v1, v3
	v_lshrrev_b32_e32 v3, s54, v3
	s_delay_alu instid0(VALU_DEP_1) | instskip(NEXT) | instid1(VALU_DEP_1)
	v_mul_lo_u32 v3, v3, s52
	v_sub_nc_u32_e32 v1, v1, v3
	s_delay_alu instid0(VALU_DEP_1)
	v_mad_u32 v2, v1, s56, v2
	v_mad_u32 v4, v1, s57, v4
	;; [unrolled: 1-line block ×3, first 2 shown]
	s_branch .LBB15_1198
.LBB15_1196:
	s_mov_b32 s0, -1
                                        ; implicit-def: $vgpr6
                                        ; implicit-def: $vgpr4
                                        ; implicit-def: $vgpr2
	s_branch .LBB15_1199
.LBB15_1197:
	s_wait_loadcnt 0x0
	v_dual_mov_b32 v6, 0 :: v_dual_mov_b32 v4, 0
	v_mov_b32_e32 v2, 0
.LBB15_1198:
	s_mov_b32 s0, 0
.LBB15_1199:
	s_delay_alu instid0(SALU_CYCLE_1)
	s_and_not1_b32 vcc_lo, exec_lo, s0
	s_cbranch_vccnz .LBB15_1202
; %bb.1200:
	v_mov_b32_e32 v1, 0
	s_and_not1_b32 vcc_lo, exec_lo, s34
	s_delay_alu instid0(VALU_DEP_1) | instskip(NEXT) | instid1(VALU_DEP_1)
	v_mul_u64_e32 v[2:3], s[18:19], v[0:1]
	v_add_nc_u32_e32 v2, v0, v3
	s_wait_loadcnt 0x0
	s_delay_alu instid0(VALU_DEP_1) | instskip(NEXT) | instid1(VALU_DEP_1)
	v_lshrrev_b32_e32 v8, s10, v2
	v_mul_lo_u32 v2, v8, s8
	s_delay_alu instid0(VALU_DEP_1) | instskip(NEXT) | instid1(VALU_DEP_1)
	v_sub_nc_u32_e32 v0, v0, v2
	v_mul_lo_u32 v2, v0, s12
	v_mul_lo_u32 v6, v0, s14
	;; [unrolled: 1-line block ×3, first 2 shown]
	s_cbranch_vccnz .LBB15_1202
; %bb.1201:
	v_mov_b32_e32 v9, v1
	s_delay_alu instid0(VALU_DEP_1) | instskip(NEXT) | instid1(VALU_DEP_1)
	v_mul_u64_e32 v[0:1], s[22:23], v[8:9]
	v_add_nc_u32_e32 v0, v8, v1
	s_delay_alu instid0(VALU_DEP_1) | instskip(NEXT) | instid1(VALU_DEP_1)
	v_lshrrev_b32_e32 v0, s1, v0
	v_mul_lo_u32 v0, v0, s11
	s_delay_alu instid0(VALU_DEP_1) | instskip(NEXT) | instid1(VALU_DEP_1)
	v_sub_nc_u32_e32 v0, v8, v0
	v_mad_u32 v2, v0, s15, v2
	v_mad_u32 v4, v0, s20, v4
	;; [unrolled: 1-line block ×3, first 2 shown]
.LBB15_1202:
	s_wait_loadcnt 0x0
	v_mov_b32_e32 v5, 0
	s_and_b32 s0, s33, 0xff
	s_delay_alu instid0(SALU_CYCLE_1) | instskip(NEXT) | instid1(VALU_DEP_1)
	s_cmp_lt_i32 s0, 11
	v_add_nc_u64_e32 v[8:9], s[6:7], v[4:5]
	s_cbranch_scc1 .LBB15_1209
; %bb.1203:
	s_and_b32 s1, 0xffff, s0
	s_mov_b32 s7, 0
	s_cmp_gt_i32 s1, 25
	s_cbranch_scc0 .LBB15_1210
; %bb.1204:
	s_cmp_gt_i32 s1, 28
	s_cbranch_scc0 .LBB15_1211
; %bb.1205:
	;; [unrolled: 3-line block ×4, first 2 shown]
	s_cmp_eq_u32 s1, 46
	s_mov_b32 s10, 0
	s_cbranch_scc0 .LBB15_1216
; %bb.1208:
	global_load_b32 v0, v[8:9], off
	s_mov_b32 s6, 0
	s_mov_b32 s8, -1
	s_wait_loadcnt 0x0
	v_lshlrev_b32_e32 v0, 16, v0
	s_delay_alu instid0(VALU_DEP_1)
	v_cvt_i32_f32_e32 v4, v0
	s_branch .LBB15_1218
.LBB15_1209:
	s_mov_b32 s1, -1
	s_mov_b32 s8, 0
	s_mov_b32 s7, 0
	;; [unrolled: 1-line block ×3, first 2 shown]
                                        ; implicit-def: $vgpr4
	s_branch .LBB15_1277
.LBB15_1210:
	s_mov_b32 s10, -1
	s_mov_b32 s8, 0
	s_mov_b32 s6, s47
                                        ; implicit-def: $vgpr4
	s_branch .LBB15_1245
.LBB15_1211:
	s_mov_b32 s10, -1
	s_mov_b32 s8, 0
	s_mov_b32 s6, s47
                                        ; implicit-def: $vgpr4
	s_branch .LBB15_1228
.LBB15_1212:
	s_mov_b32 s10, -1
	s_mov_b32 s8, 0
	s_mov_b32 s6, s47
                                        ; implicit-def: $vgpr4
	s_branch .LBB15_1223
.LBB15_1213:
	s_mov_b32 s10, -1
	s_mov_b32 s8, 0
	s_mov_b32 s6, s47
	s_branch .LBB15_1217
.LBB15_1214:
	s_and_not1_saveexec_b32 s51, s51
	s_cbranch_execz .LBB15_1096
.LBB15_1215:
	v_add_f32_e64 v5, 0x46000000, |v4|
	s_and_not1_b32 s50, s50, exec_lo
	s_delay_alu instid0(VALU_DEP_1) | instskip(NEXT) | instid1(VALU_DEP_1)
	v_and_b32_e32 v5, 0xff, v5
	v_cmp_ne_u32_e32 vcc_lo, 0, v5
	s_and_b32 s52, vcc_lo, exec_lo
	s_delay_alu instid0(SALU_CYCLE_1)
	s_or_b32 s50, s50, s52
	s_or_b32 exec_lo, exec_lo, s51
	v_mov_b32_e32 v6, 0
	s_and_saveexec_b32 s51, s50
	s_cbranch_execnz .LBB15_1097
	s_branch .LBB15_1098
.LBB15_1216:
	s_mov_b32 s6, -1
	s_mov_b32 s8, 0
.LBB15_1217:
                                        ; implicit-def: $vgpr4
.LBB15_1218:
	s_and_b32 vcc_lo, exec_lo, s10
	s_cbranch_vccz .LBB15_1222
; %bb.1219:
	s_cmp_eq_u32 s1, 44
	s_cbranch_scc0 .LBB15_1221
; %bb.1220:
	global_load_u8 v0, v[8:9], off
	s_mov_b32 s6, 0
	s_mov_b32 s8, -1
	s_wait_loadcnt 0x0
	v_lshlrev_b32_e32 v1, 23, v0
	v_cmp_ne_u32_e32 vcc_lo, 0, v0
	s_delay_alu instid0(VALU_DEP_2) | instskip(NEXT) | instid1(VALU_DEP_1)
	v_cvt_i32_f32_e32 v1, v1
	v_cndmask_b32_e32 v4, 0, v1, vcc_lo
	s_branch .LBB15_1222
.LBB15_1221:
	s_mov_b32 s6, -1
                                        ; implicit-def: $vgpr4
.LBB15_1222:
	s_mov_b32 s10, 0
.LBB15_1223:
	s_delay_alu instid0(SALU_CYCLE_1)
	s_and_b32 vcc_lo, exec_lo, s10
	s_cbranch_vccz .LBB15_1227
; %bb.1224:
	s_cmp_eq_u32 s1, 29
	s_cbranch_scc0 .LBB15_1226
; %bb.1225:
	global_load_b64 v[4:5], v[8:9], off
	s_mov_b32 s6, 0
	s_mov_b32 s8, -1
	s_branch .LBB15_1227
.LBB15_1226:
	s_mov_b32 s6, -1
                                        ; implicit-def: $vgpr4
.LBB15_1227:
	s_mov_b32 s10, 0
.LBB15_1228:
	s_delay_alu instid0(SALU_CYCLE_1)
	s_and_b32 vcc_lo, exec_lo, s10
	s_cbranch_vccz .LBB15_1244
; %bb.1229:
	s_cmp_lt_i32 s1, 27
	s_cbranch_scc1 .LBB15_1232
; %bb.1230:
	s_cmp_gt_i32 s1, 27
	s_cbranch_scc0 .LBB15_1233
; %bb.1231:
	s_wait_loadcnt 0x0
	global_load_b32 v4, v[8:9], off
	s_mov_b32 s8, 0
	s_branch .LBB15_1234
.LBB15_1232:
	s_mov_b32 s8, -1
                                        ; implicit-def: $vgpr4
	s_branch .LBB15_1237
.LBB15_1233:
	s_mov_b32 s8, -1
                                        ; implicit-def: $vgpr4
.LBB15_1234:
	s_delay_alu instid0(SALU_CYCLE_1)
	s_and_not1_b32 vcc_lo, exec_lo, s8
	s_cbranch_vccnz .LBB15_1236
; %bb.1235:
	s_wait_loadcnt 0x0
	global_load_u16 v4, v[8:9], off
.LBB15_1236:
	s_mov_b32 s8, 0
.LBB15_1237:
	s_delay_alu instid0(SALU_CYCLE_1)
	s_and_not1_b32 vcc_lo, exec_lo, s8
	s_cbranch_vccnz .LBB15_1243
; %bb.1238:
	global_load_u8 v0, v[8:9], off
	s_mov_b32 s10, 0
	s_mov_b32 s8, exec_lo
	s_wait_loadcnt 0x0
	v_cmpx_lt_i16_e32 0x7f, v0
	s_xor_b32 s8, exec_lo, s8
	s_cbranch_execz .LBB15_1255
; %bb.1239:
	v_cmp_ne_u16_e32 vcc_lo, 0x80, v0
	s_and_b32 s10, vcc_lo, exec_lo
	s_and_not1_saveexec_b32 s8, s8
	s_cbranch_execnz .LBB15_1256
.LBB15_1240:
	s_or_b32 exec_lo, exec_lo, s8
	v_mov_b32_e32 v4, 0
	s_and_saveexec_b32 s8, s10
	s_cbranch_execz .LBB15_1242
.LBB15_1241:
	v_and_b32_e32 v1, 0xffff, v0
	s_delay_alu instid0(VALU_DEP_1) | instskip(SKIP_1) | instid1(VALU_DEP_2)
	v_and_b32_e32 v3, 7, v1
	v_bfe_u32 v7, v1, 3, 4
	v_clz_i32_u32_e32 v4, v3
	s_delay_alu instid0(VALU_DEP_2) | instskip(NEXT) | instid1(VALU_DEP_2)
	v_cmp_eq_u32_e32 vcc_lo, 0, v7
	v_min_u32_e32 v4, 32, v4
	s_delay_alu instid0(VALU_DEP_1) | instskip(NEXT) | instid1(VALU_DEP_1)
	v_subrev_nc_u32_e32 v5, 28, v4
	v_dual_lshlrev_b32 v1, v5, v1 :: v_dual_sub_nc_u32 v4, 29, v4
	s_delay_alu instid0(VALU_DEP_1) | instskip(NEXT) | instid1(VALU_DEP_1)
	v_dual_lshlrev_b32 v0, 24, v0 :: v_dual_bitop2_b32 v1, 7, v1 bitop3:0x40
	v_cndmask_b32_e32 v1, v3, v1, vcc_lo
	s_delay_alu instid0(VALU_DEP_3) | instskip(NEXT) | instid1(VALU_DEP_3)
	v_cndmask_b32_e32 v4, v7, v4, vcc_lo
	v_and_b32_e32 v0, 0x80000000, v0
	s_delay_alu instid0(VALU_DEP_3) | instskip(NEXT) | instid1(VALU_DEP_3)
	v_lshlrev_b32_e32 v1, 20, v1
	v_lshl_add_u32 v3, v4, 23, 0x3b800000
	s_delay_alu instid0(VALU_DEP_1) | instskip(NEXT) | instid1(VALU_DEP_1)
	v_or3_b32 v0, v0, v3, v1
	v_cvt_i32_f32_e32 v4, v0
.LBB15_1242:
	s_or_b32 exec_lo, exec_lo, s8
.LBB15_1243:
	s_mov_b32 s8, -1
.LBB15_1244:
	s_mov_b32 s10, 0
.LBB15_1245:
	s_delay_alu instid0(SALU_CYCLE_1)
	s_and_b32 vcc_lo, exec_lo, s10
	s_cbranch_vccz .LBB15_1276
; %bb.1246:
	s_cmp_gt_i32 s1, 22
	s_cbranch_scc0 .LBB15_1254
; %bb.1247:
	s_cmp_lt_i32 s1, 24
	s_cbranch_scc1 .LBB15_1257
; %bb.1248:
	s_cmp_gt_i32 s1, 24
	s_cbranch_scc0 .LBB15_1258
; %bb.1249:
	global_load_u8 v0, v[8:9], off
	s_mov_b32 s8, 0
	s_mov_b32 s7, exec_lo
	s_wait_loadcnt 0x0
	v_cmpx_lt_i16_e32 0x7f, v0
	s_xor_b32 s7, exec_lo, s7
	s_cbranch_execz .LBB15_1270
; %bb.1250:
	v_cmp_ne_u16_e32 vcc_lo, 0x80, v0
	s_and_b32 s8, vcc_lo, exec_lo
	s_and_not1_saveexec_b32 s7, s7
	s_cbranch_execnz .LBB15_1271
.LBB15_1251:
	s_or_b32 exec_lo, exec_lo, s7
	v_mov_b32_e32 v4, 0
	s_and_saveexec_b32 s7, s8
	s_cbranch_execz .LBB15_1253
.LBB15_1252:
	v_and_b32_e32 v1, 0xffff, v0
	s_delay_alu instid0(VALU_DEP_1) | instskip(SKIP_1) | instid1(VALU_DEP_2)
	v_and_b32_e32 v3, 3, v1
	v_bfe_u32 v7, v1, 2, 5
	v_clz_i32_u32_e32 v4, v3
	s_delay_alu instid0(VALU_DEP_2) | instskip(NEXT) | instid1(VALU_DEP_2)
	v_cmp_eq_u32_e32 vcc_lo, 0, v7
	v_min_u32_e32 v4, 32, v4
	s_delay_alu instid0(VALU_DEP_1) | instskip(NEXT) | instid1(VALU_DEP_1)
	v_subrev_nc_u32_e32 v5, 29, v4
	v_dual_lshlrev_b32 v1, v5, v1 :: v_dual_sub_nc_u32 v4, 30, v4
	s_delay_alu instid0(VALU_DEP_1) | instskip(NEXT) | instid1(VALU_DEP_1)
	v_dual_lshlrev_b32 v0, 24, v0 :: v_dual_bitop2_b32 v1, 3, v1 bitop3:0x40
	v_cndmask_b32_e32 v1, v3, v1, vcc_lo
	s_delay_alu instid0(VALU_DEP_3) | instskip(NEXT) | instid1(VALU_DEP_3)
	v_cndmask_b32_e32 v4, v7, v4, vcc_lo
	v_and_b32_e32 v0, 0x80000000, v0
	s_delay_alu instid0(VALU_DEP_3) | instskip(NEXT) | instid1(VALU_DEP_3)
	v_lshlrev_b32_e32 v1, 21, v1
	v_lshl_add_u32 v3, v4, 23, 0x37800000
	s_delay_alu instid0(VALU_DEP_1) | instskip(NEXT) | instid1(VALU_DEP_1)
	v_or3_b32 v0, v0, v3, v1
	v_cvt_i32_f32_e32 v4, v0
.LBB15_1253:
	s_or_b32 exec_lo, exec_lo, s7
	s_mov_b32 s7, 0
	s_branch .LBB15_1259
.LBB15_1254:
	s_mov_b32 s7, -1
                                        ; implicit-def: $vgpr4
	s_branch .LBB15_1265
.LBB15_1255:
	s_and_not1_saveexec_b32 s8, s8
	s_cbranch_execz .LBB15_1240
.LBB15_1256:
	v_cmp_ne_u16_e32 vcc_lo, 0, v0
	s_and_not1_b32 s10, s10, exec_lo
	s_and_b32 s11, vcc_lo, exec_lo
	s_delay_alu instid0(SALU_CYCLE_1)
	s_or_b32 s10, s10, s11
	s_or_b32 exec_lo, exec_lo, s8
	v_mov_b32_e32 v4, 0
	s_and_saveexec_b32 s8, s10
	s_cbranch_execnz .LBB15_1241
	s_branch .LBB15_1242
.LBB15_1257:
	s_mov_b32 s7, -1
                                        ; implicit-def: $vgpr4
	s_branch .LBB15_1262
.LBB15_1258:
	s_mov_b32 s7, -1
                                        ; implicit-def: $vgpr4
.LBB15_1259:
	s_delay_alu instid0(SALU_CYCLE_1)
	s_and_b32 vcc_lo, exec_lo, s7
	s_cbranch_vccz .LBB15_1261
; %bb.1260:
	global_load_u8 v0, v[8:9], off
	s_wait_loadcnt 0x0
	v_lshlrev_b32_e32 v0, 24, v0
	s_delay_alu instid0(VALU_DEP_1) | instskip(NEXT) | instid1(VALU_DEP_1)
	v_and_b32_e32 v1, 0x7f000000, v0
	v_clz_i32_u32_e32 v3, v1
	v_add_nc_u32_e32 v5, 0x1000000, v1
	v_cmp_ne_u32_e32 vcc_lo, 0, v1
	s_delay_alu instid0(VALU_DEP_3) | instskip(NEXT) | instid1(VALU_DEP_1)
	v_min_u32_e32 v3, 32, v3
	v_sub_nc_u32_e64 v3, v3, 4 clamp
	s_delay_alu instid0(VALU_DEP_1) | instskip(NEXT) | instid1(VALU_DEP_1)
	v_dual_lshlrev_b32 v4, v3, v1 :: v_dual_lshlrev_b32 v3, 23, v3
	v_lshrrev_b32_e32 v4, 4, v4
	s_delay_alu instid0(VALU_DEP_1) | instskip(NEXT) | instid1(VALU_DEP_1)
	v_dual_sub_nc_u32 v3, v4, v3 :: v_dual_ashrrev_i32 v4, 8, v5
	v_add_nc_u32_e32 v3, 0x3c000000, v3
	s_delay_alu instid0(VALU_DEP_1) | instskip(NEXT) | instid1(VALU_DEP_1)
	v_and_or_b32 v3, 0x7f800000, v4, v3
	v_cndmask_b32_e32 v1, 0, v3, vcc_lo
	s_delay_alu instid0(VALU_DEP_1) | instskip(NEXT) | instid1(VALU_DEP_1)
	v_and_or_b32 v0, 0x80000000, v0, v1
	v_cvt_i32_f32_e32 v4, v0
.LBB15_1261:
	s_mov_b32 s7, 0
.LBB15_1262:
	s_delay_alu instid0(SALU_CYCLE_1)
	s_and_not1_b32 vcc_lo, exec_lo, s7
	s_cbranch_vccnz .LBB15_1264
; %bb.1263:
	global_load_u8 v0, v[8:9], off
	s_wait_loadcnt 0x0
	v_lshlrev_b32_e32 v1, 25, v0
	v_lshlrev_b16 v0, 8, v0
	s_delay_alu instid0(VALU_DEP_2) | instskip(NEXT) | instid1(VALU_DEP_2)
	v_cmp_gt_u32_e32 vcc_lo, 0x8000000, v1
	v_and_or_b32 v4, 0x7f00, v0, 0.5
	v_lshrrev_b32_e32 v3, 4, v1
	v_bfe_i32 v0, v0, 0, 16
	s_delay_alu instid0(VALU_DEP_3) | instskip(NEXT) | instid1(VALU_DEP_3)
	v_add_f32_e32 v4, -0.5, v4
	v_or_b32_e32 v3, 0x70000000, v3
	s_delay_alu instid0(VALU_DEP_1) | instskip(NEXT) | instid1(VALU_DEP_1)
	v_mul_f32_e32 v3, 0x7800000, v3
	v_cndmask_b32_e32 v1, v3, v4, vcc_lo
	s_delay_alu instid0(VALU_DEP_1) | instskip(NEXT) | instid1(VALU_DEP_1)
	v_and_or_b32 v0, 0x80000000, v0, v1
	v_cvt_i32_f32_e32 v4, v0
.LBB15_1264:
	s_mov_b32 s7, 0
	s_mov_b32 s8, -1
.LBB15_1265:
	s_and_not1_b32 vcc_lo, exec_lo, s7
	s_mov_b32 s7, 0
	s_cbranch_vccnz .LBB15_1276
; %bb.1266:
	s_cmp_gt_i32 s1, 14
	s_cbranch_scc0 .LBB15_1269
; %bb.1267:
	s_cmp_eq_u32 s1, 15
	s_cbranch_scc0 .LBB15_1272
; %bb.1268:
	global_load_u16 v0, v[8:9], off
	s_mov_b32 s6, 0
	s_mov_b32 s8, -1
	s_wait_loadcnt 0x0
	v_lshlrev_b32_e32 v0, 16, v0
	s_delay_alu instid0(VALU_DEP_1)
	v_cvt_i32_f32_e32 v4, v0
	s_branch .LBB15_1274
.LBB15_1269:
	s_mov_b32 s7, -1
	s_branch .LBB15_1273
.LBB15_1270:
	s_and_not1_saveexec_b32 s7, s7
	s_cbranch_execz .LBB15_1251
.LBB15_1271:
	v_cmp_ne_u16_e32 vcc_lo, 0, v0
	s_and_not1_b32 s8, s8, exec_lo
	s_and_b32 s10, vcc_lo, exec_lo
	s_delay_alu instid0(SALU_CYCLE_1)
	s_or_b32 s8, s8, s10
	s_or_b32 exec_lo, exec_lo, s7
	v_mov_b32_e32 v4, 0
	s_and_saveexec_b32 s7, s8
	s_cbranch_execnz .LBB15_1252
	s_branch .LBB15_1253
.LBB15_1272:
	s_mov_b32 s6, -1
.LBB15_1273:
                                        ; implicit-def: $vgpr4
.LBB15_1274:
	s_and_b32 vcc_lo, exec_lo, s7
	s_mov_b32 s7, 0
	s_cbranch_vccz .LBB15_1276
; %bb.1275:
	s_cmp_lg_u32 s1, 11
	s_mov_b32 s7, -1
	s_cselect_b32 s1, -1, 0
	s_and_not1_b32 s6, s6, exec_lo
	s_and_b32 s1, s1, exec_lo
	s_delay_alu instid0(SALU_CYCLE_1)
	s_or_b32 s6, s6, s1
.LBB15_1276:
	s_mov_b32 s1, 0
.LBB15_1277:
	s_delay_alu instid0(SALU_CYCLE_1)
	s_and_b32 s50, s1, exec_lo
	s_and_not1_b32 s1, s47, exec_lo
	s_and_b32 s6, s6, exec_lo
	s_and_b32 s24, s8, exec_lo
	;; [unrolled: 1-line block ×3, first 2 shown]
	s_or_b32 s51, s1, s6
.LBB15_1278:
	s_wait_xcnt 0x0
	s_or_b32 exec_lo, exec_lo, s36
	s_delay_alu instid0(SALU_CYCLE_1)
	s_and_not1_b32 s1, s47, exec_lo
	s_and_b32 s6, s51, exec_lo
	s_and_b32 s24, s24, exec_lo
	;; [unrolled: 1-line block ×4, first 2 shown]
	s_or_b32 s47, s1, s6
.LBB15_1279:
	s_or_b32 exec_lo, exec_lo, s46
	s_delay_alu instid0(SALU_CYCLE_1)
	s_and_not1_b32 s1, s43, exec_lo
	s_and_b32 s6, s48, exec_lo
	s_and_not1_b32 s7, s44, exec_lo
	s_and_b32 s8, s49, exec_lo
	s_or_b32 s43, s1, s6
	s_and_not1_b32 s1, s42, exec_lo
	s_and_b32 s6, s47, exec_lo
	s_or_b32 s44, s7, s8
	s_and_b32 s24, s24, exec_lo
	s_and_b32 s46, s50, exec_lo
	;; [unrolled: 1-line block ×3, first 2 shown]
	s_or_b32 s42, s1, s6
.LBB15_1280:
	s_or_b32 exec_lo, exec_lo, s45
	s_delay_alu instid0(SALU_CYCLE_1)
	s_and_not1_b32 s1, s38, exec_lo
	s_and_b32 s6, s43, exec_lo
	s_and_not1_b32 s7, s39, exec_lo
	s_and_b32 s8, s44, exec_lo
	s_or_b32 s38, s1, s6
	s_and_not1_b32 s1, s40, exec_lo
	s_and_b32 s6, s42, exec_lo
	s_or_b32 s39, s7, s8
	s_and_b32 s24, s24, exec_lo
	s_and_b32 s43, s46, exec_lo
	;; [unrolled: 1-line block ×3, first 2 shown]
	s_or_b32 s40, s1, s6
	s_or_b32 exec_lo, exec_lo, s41
	s_mov_b32 s1, 0
	s_and_saveexec_b32 s6, s40
	s_cbranch_execz .LBB15_398
.LBB15_1281:
	s_mov_b32 s1, exec_lo
	s_and_not1_b32 s19, s19, exec_lo
	s_trap 2
	s_or_b32 exec_lo, exec_lo, s6
	s_and_saveexec_b32 s6, s19
	s_delay_alu instid0(SALU_CYCLE_1)
	s_xor_b32 s6, exec_lo, s6
	s_cbranch_execnz .LBB15_399
.LBB15_1282:
	s_or_b32 exec_lo, exec_lo, s6
	s_and_saveexec_b32 s6, s43
	s_cbranch_execz .LBB15_1328
.LBB15_1283:
	s_sext_i32_i16 s7, s0
	s_delay_alu instid0(SALU_CYCLE_1)
	s_cmp_lt_i32 s7, 5
	s_cbranch_scc1 .LBB15_1288
; %bb.1284:
	s_cmp_lt_i32 s7, 8
	s_cbranch_scc1 .LBB15_1289
; %bb.1285:
	;; [unrolled: 3-line block ×3, first 2 shown]
	s_cmp_gt_i32 s7, 9
	s_cbranch_scc0 .LBB15_1291
; %bb.1287:
	s_wait_loadcnt 0x0
	global_load_b64 v[0:1], v[8:9], off
	s_mov_b32 s7, 0
	s_wait_loadcnt 0x0
	v_cvt_i32_f64_e32 v4, v[0:1]
	s_branch .LBB15_1292
.LBB15_1288:
                                        ; implicit-def: $vgpr4
	s_branch .LBB15_1309
.LBB15_1289:
                                        ; implicit-def: $vgpr4
	s_branch .LBB15_1298
.LBB15_1290:
	s_mov_b32 s7, -1
                                        ; implicit-def: $vgpr4
	s_branch .LBB15_1295
.LBB15_1291:
	s_mov_b32 s7, -1
                                        ; implicit-def: $vgpr4
.LBB15_1292:
	s_delay_alu instid0(SALU_CYCLE_1)
	s_and_not1_b32 vcc_lo, exec_lo, s7
	s_cbranch_vccnz .LBB15_1294
; %bb.1293:
	s_wait_loadcnt 0x0
	global_load_b32 v0, v[8:9], off
	s_wait_loadcnt 0x0
	v_cvt_i32_f32_e32 v4, v0
.LBB15_1294:
	s_mov_b32 s7, 0
.LBB15_1295:
	s_delay_alu instid0(SALU_CYCLE_1)
	s_and_not1_b32 vcc_lo, exec_lo, s7
	s_cbranch_vccnz .LBB15_1297
; %bb.1296:
	s_wait_loadcnt 0x0
	global_load_b32 v0, v[8:9], off
	s_wait_loadcnt 0x0
	v_cvt_i16_f16_e32 v4, v0
.LBB15_1297:
	s_cbranch_execnz .LBB15_1308
.LBB15_1298:
	s_sext_i32_i16 s7, s0
	s_delay_alu instid0(SALU_CYCLE_1)
	s_cmp_lt_i32 s7, 6
	s_cbranch_scc1 .LBB15_1301
; %bb.1299:
	s_cmp_gt_i32 s7, 6
	s_cbranch_scc0 .LBB15_1302
; %bb.1300:
	s_wait_loadcnt 0x0
	global_load_b64 v[0:1], v[8:9], off
	s_mov_b32 s7, 0
	s_wait_loadcnt 0x0
	v_cvt_i32_f64_e32 v4, v[0:1]
	s_branch .LBB15_1303
.LBB15_1301:
	s_mov_b32 s7, -1
                                        ; implicit-def: $vgpr4
	s_branch .LBB15_1306
.LBB15_1302:
	s_mov_b32 s7, -1
                                        ; implicit-def: $vgpr4
.LBB15_1303:
	s_delay_alu instid0(SALU_CYCLE_1)
	s_and_not1_b32 vcc_lo, exec_lo, s7
	s_cbranch_vccnz .LBB15_1305
; %bb.1304:
	s_wait_loadcnt 0x0
	global_load_b32 v0, v[8:9], off
	s_wait_loadcnt 0x0
	v_cvt_i32_f32_e32 v4, v0
.LBB15_1305:
	s_mov_b32 s7, 0
.LBB15_1306:
	s_delay_alu instid0(SALU_CYCLE_1)
	s_and_not1_b32 vcc_lo, exec_lo, s7
	s_cbranch_vccnz .LBB15_1308
; %bb.1307:
	s_wait_loadcnt 0x0
	global_load_u16 v0, v[8:9], off
	s_wait_loadcnt 0x0
	v_cvt_i16_f16_e32 v4, v0
.LBB15_1308:
	s_cbranch_execnz .LBB15_1327
.LBB15_1309:
	s_sext_i32_i16 s7, s0
	s_delay_alu instid0(SALU_CYCLE_1)
	s_cmp_lt_i32 s7, 2
	s_cbranch_scc1 .LBB15_1313
; %bb.1310:
	s_cmp_lt_i32 s7, 3
	s_cbranch_scc1 .LBB15_1314
; %bb.1311:
	s_cmp_gt_i32 s7, 3
	s_cbranch_scc0 .LBB15_1315
; %bb.1312:
	s_wait_loadcnt 0x0
	global_load_b64 v[4:5], v[8:9], off
	s_mov_b32 s7, 0
	s_branch .LBB15_1316
.LBB15_1313:
                                        ; implicit-def: $vgpr4
	s_branch .LBB15_1322
.LBB15_1314:
	s_mov_b32 s7, -1
                                        ; implicit-def: $vgpr4
	s_branch .LBB15_1319
.LBB15_1315:
	s_mov_b32 s7, -1
                                        ; implicit-def: $vgpr4
.LBB15_1316:
	s_delay_alu instid0(SALU_CYCLE_1)
	s_and_not1_b32 vcc_lo, exec_lo, s7
	s_cbranch_vccnz .LBB15_1318
; %bb.1317:
	s_wait_loadcnt 0x0
	global_load_b32 v4, v[8:9], off
.LBB15_1318:
	s_mov_b32 s7, 0
.LBB15_1319:
	s_delay_alu instid0(SALU_CYCLE_1)
	s_and_not1_b32 vcc_lo, exec_lo, s7
	s_cbranch_vccnz .LBB15_1321
; %bb.1320:
	s_wait_loadcnt 0x0
	global_load_u16 v4, v[8:9], off
.LBB15_1321:
	s_cbranch_execnz .LBB15_1327
.LBB15_1322:
	s_sext_i32_i16 s0, s0
	s_delay_alu instid0(SALU_CYCLE_1)
	s_cmp_gt_i32 s0, 0
	s_mov_b32 s0, 0
	s_cbranch_scc0 .LBB15_1324
; %bb.1323:
	s_wait_loadcnt 0x0
	global_load_u8 v4, v[8:9], off
	s_branch .LBB15_1325
.LBB15_1324:
	s_mov_b32 s0, -1
                                        ; implicit-def: $vgpr4
.LBB15_1325:
	s_delay_alu instid0(SALU_CYCLE_1)
	s_and_not1_b32 vcc_lo, exec_lo, s0
	s_cbranch_vccnz .LBB15_1327
; %bb.1326:
	s_wait_loadcnt 0x0
	global_load_u8 v4, v[8:9], off
.LBB15_1327:
	s_or_b32 s24, s24, exec_lo
.LBB15_1328:
	s_wait_xcnt 0x0
	s_or_b32 exec_lo, exec_lo, s6
	s_mov_b32 s8, 0
	s_mov_b32 s7, 0
	;; [unrolled: 1-line block ×3, first 2 shown]
                                        ; implicit-def: $sgpr0
                                        ; implicit-def: $vgpr0_vgpr1
                                        ; implicit-def: $vgpr8
	s_and_saveexec_b32 s6, s24
	s_cbranch_execz .LBB15_1336
; %bb.1329:
	v_mov_b32_e32 v7, 0
	s_and_b32 s0, s9, 0xff
	s_delay_alu instid0(SALU_CYCLE_1) | instskip(NEXT) | instid1(VALU_DEP_1)
	s_cmp_lt_i32 s0, 11
	v_add_nc_u64_e32 v[0:1], s[16:17], v[6:7]
	s_cbranch_scc1 .LBB15_1339
; %bb.1330:
	s_and_b32 s7, 0xffff, s0
	s_mov_b32 s9, 0
	s_cmp_gt_i32 s7, 25
	s_cbranch_scc0 .LBB15_1340
; %bb.1331:
	s_cmp_gt_i32 s7, 28
	s_cbranch_scc0 .LBB15_1341
; %bb.1332:
	;; [unrolled: 3-line block ×4, first 2 shown]
	s_cmp_eq_u32 s7, 46
	s_mov_b32 s11, 0
	s_cbranch_scc0 .LBB15_1344
; %bb.1335:
	global_load_b32 v3, v[0:1], off
	s_mov_b32 s10, -1
	s_wait_loadcnt 0x0
	v_lshlrev_b32_e32 v3, 16, v3
	s_delay_alu instid0(VALU_DEP_1)
	v_cvt_i32_f32_e32 v8, v3
	s_branch .LBB15_1346
.LBB15_1336:
	s_or_b32 exec_lo, exec_lo, s6
	s_and_saveexec_b32 s6, s39
	s_cbranch_execnz .LBB15_1405
.LBB15_1337:
	s_or_b32 exec_lo, exec_lo, s6
	s_and_saveexec_b32 s6, s8
	s_delay_alu instid0(SALU_CYCLE_1)
	s_xor_b32 s6, exec_lo, s6
	s_cbranch_execz .LBB15_1406
.LBB15_1338:
	global_load_u8 v3, v[0:1], off
	s_or_b32 s10, s10, exec_lo
	s_wait_loadcnt 0x0
	v_cmp_ne_u16_e32 vcc_lo, 0, v3
	v_cndmask_b32_e64 v8, 0, 1, vcc_lo
	s_wait_xcnt 0x0
	s_or_b32 exec_lo, exec_lo, s6
	s_and_saveexec_b32 s6, s7
	s_cbranch_execz .LBB15_1452
	s_branch .LBB15_1407
.LBB15_1339:
	s_mov_b32 s7, -1
	s_mov_b32 s9, 0
	s_mov_b32 s8, s39
                                        ; implicit-def: $vgpr8
	s_branch .LBB15_1404
.LBB15_1340:
	s_mov_b32 s8, s39
                                        ; implicit-def: $vgpr8
	s_cbranch_execnz .LBB15_1373
	s_branch .LBB15_1403
.LBB15_1341:
	s_mov_b32 s11, -1
	s_mov_b32 s8, s39
                                        ; implicit-def: $vgpr8
	s_branch .LBB15_1356
.LBB15_1342:
	s_mov_b32 s11, -1
	s_mov_b32 s8, s39
                                        ; implicit-def: $vgpr8
	s_branch .LBB15_1351
.LBB15_1343:
	s_mov_b32 s11, -1
	s_mov_b32 s8, s39
	s_branch .LBB15_1345
.LBB15_1344:
	s_mov_b32 s8, -1
.LBB15_1345:
                                        ; implicit-def: $vgpr8
.LBB15_1346:
	s_and_b32 vcc_lo, exec_lo, s11
	s_cbranch_vccz .LBB15_1350
; %bb.1347:
	s_cmp_eq_u32 s7, 44
	s_cbranch_scc0 .LBB15_1349
; %bb.1348:
	global_load_u8 v3, v[0:1], off
	s_mov_b32 s8, 0
	s_mov_b32 s10, -1
	s_wait_loadcnt 0x0
	v_lshlrev_b32_e32 v5, 23, v3
	v_cmp_ne_u32_e32 vcc_lo, 0, v3
	s_delay_alu instid0(VALU_DEP_2) | instskip(NEXT) | instid1(VALU_DEP_1)
	v_cvt_i32_f32_e32 v5, v5
	v_cndmask_b32_e32 v8, 0, v5, vcc_lo
	s_branch .LBB15_1350
.LBB15_1349:
	s_mov_b32 s8, -1
                                        ; implicit-def: $vgpr8
.LBB15_1350:
	s_mov_b32 s11, 0
.LBB15_1351:
	s_delay_alu instid0(SALU_CYCLE_1)
	s_and_b32 vcc_lo, exec_lo, s11
	s_cbranch_vccz .LBB15_1355
; %bb.1352:
	s_cmp_eq_u32 s7, 29
	s_cbranch_scc0 .LBB15_1354
; %bb.1353:
	s_wait_loadcnt 0x0
	global_load_b64 v[8:9], v[0:1], off
	s_mov_b32 s8, 0
	s_mov_b32 s10, -1
	s_branch .LBB15_1355
.LBB15_1354:
	s_mov_b32 s8, -1
                                        ; implicit-def: $vgpr8
.LBB15_1355:
	s_mov_b32 s11, 0
.LBB15_1356:
	s_delay_alu instid0(SALU_CYCLE_1)
	s_and_b32 vcc_lo, exec_lo, s11
	s_cbranch_vccz .LBB15_1372
; %bb.1357:
	s_cmp_lt_i32 s7, 27
	s_cbranch_scc1 .LBB15_1360
; %bb.1358:
	s_cmp_gt_i32 s7, 27
	s_cbranch_scc0 .LBB15_1361
; %bb.1359:
	s_wait_loadcnt 0x0
	global_load_b32 v8, v[0:1], off
	s_mov_b32 s10, 0
	s_branch .LBB15_1362
.LBB15_1360:
	s_mov_b32 s10, -1
                                        ; implicit-def: $vgpr8
	s_branch .LBB15_1365
.LBB15_1361:
	s_mov_b32 s10, -1
                                        ; implicit-def: $vgpr8
.LBB15_1362:
	s_delay_alu instid0(SALU_CYCLE_1)
	s_and_not1_b32 vcc_lo, exec_lo, s10
	s_cbranch_vccnz .LBB15_1364
; %bb.1363:
	s_wait_loadcnt 0x0
	global_load_u16 v8, v[0:1], off
.LBB15_1364:
	s_mov_b32 s10, 0
.LBB15_1365:
	s_delay_alu instid0(SALU_CYCLE_1)
	s_and_not1_b32 vcc_lo, exec_lo, s10
	s_cbranch_vccnz .LBB15_1371
; %bb.1366:
	global_load_u8 v3, v[0:1], off
	s_mov_b32 s11, 0
	s_mov_b32 s10, exec_lo
	s_wait_loadcnt 0x0
	v_cmpx_lt_i16_e32 0x7f, v3
	s_xor_b32 s10, exec_lo, s10
	s_cbranch_execz .LBB15_1382
; %bb.1367:
	v_cmp_ne_u16_e32 vcc_lo, 0x80, v3
	s_and_b32 s11, vcc_lo, exec_lo
	s_and_not1_saveexec_b32 s10, s10
	s_cbranch_execnz .LBB15_1383
.LBB15_1368:
	s_or_b32 exec_lo, exec_lo, s10
	v_mov_b32_e32 v8, 0
	s_and_saveexec_b32 s10, s11
	s_cbranch_execz .LBB15_1370
.LBB15_1369:
	v_and_b32_e32 v5, 0xffff, v3
	s_delay_alu instid0(VALU_DEP_1) | instskip(SKIP_1) | instid1(VALU_DEP_2)
	v_and_b32_e32 v6, 7, v5
	v_bfe_u32 v9, v5, 3, 4
	v_clz_i32_u32_e32 v7, v6
	s_delay_alu instid0(VALU_DEP_2) | instskip(NEXT) | instid1(VALU_DEP_2)
	v_cmp_eq_u32_e32 vcc_lo, 0, v9
	v_min_u32_e32 v7, 32, v7
	s_delay_alu instid0(VALU_DEP_1) | instskip(NEXT) | instid1(VALU_DEP_1)
	v_subrev_nc_u32_e32 v8, 28, v7
	v_dual_lshlrev_b32 v5, v8, v5 :: v_dual_sub_nc_u32 v7, 29, v7
	s_delay_alu instid0(VALU_DEP_1) | instskip(NEXT) | instid1(VALU_DEP_1)
	v_dual_lshlrev_b32 v3, 24, v3 :: v_dual_bitop2_b32 v5, 7, v5 bitop3:0x40
	v_dual_cndmask_b32 v5, v6, v5, vcc_lo :: v_dual_cndmask_b32 v7, v9, v7, vcc_lo
	s_delay_alu instid0(VALU_DEP_2) | instskip(NEXT) | instid1(VALU_DEP_2)
	v_and_b32_e32 v3, 0x80000000, v3
	v_lshlrev_b32_e32 v5, 20, v5
	s_delay_alu instid0(VALU_DEP_3) | instskip(NEXT) | instid1(VALU_DEP_1)
	v_lshl_add_u32 v6, v7, 23, 0x3b800000
	v_or3_b32 v3, v3, v6, v5
	s_delay_alu instid0(VALU_DEP_1)
	v_cvt_i32_f32_e32 v8, v3
.LBB15_1370:
	s_or_b32 exec_lo, exec_lo, s10
.LBB15_1371:
	s_mov_b32 s10, -1
.LBB15_1372:
	s_branch .LBB15_1403
.LBB15_1373:
	s_cmp_gt_i32 s7, 22
	s_cbranch_scc0 .LBB15_1381
; %bb.1374:
	s_cmp_lt_i32 s7, 24
	s_cbranch_scc1 .LBB15_1384
; %bb.1375:
	s_cmp_gt_i32 s7, 24
	s_cbranch_scc0 .LBB15_1385
; %bb.1376:
	global_load_u8 v3, v[0:1], off
	s_mov_b32 s10, 0
	s_mov_b32 s9, exec_lo
	s_wait_loadcnt 0x0
	v_cmpx_lt_i16_e32 0x7f, v3
	s_xor_b32 s9, exec_lo, s9
	s_cbranch_execz .LBB15_1397
; %bb.1377:
	v_cmp_ne_u16_e32 vcc_lo, 0x80, v3
	s_and_b32 s10, vcc_lo, exec_lo
	s_and_not1_saveexec_b32 s9, s9
	s_cbranch_execnz .LBB15_1398
.LBB15_1378:
	s_or_b32 exec_lo, exec_lo, s9
	v_mov_b32_e32 v8, 0
	s_and_saveexec_b32 s9, s10
	s_cbranch_execz .LBB15_1380
.LBB15_1379:
	v_and_b32_e32 v5, 0xffff, v3
	s_delay_alu instid0(VALU_DEP_1) | instskip(SKIP_1) | instid1(VALU_DEP_2)
	v_and_b32_e32 v6, 3, v5
	v_bfe_u32 v9, v5, 2, 5
	v_clz_i32_u32_e32 v7, v6
	s_delay_alu instid0(VALU_DEP_2) | instskip(NEXT) | instid1(VALU_DEP_2)
	v_cmp_eq_u32_e32 vcc_lo, 0, v9
	v_min_u32_e32 v7, 32, v7
	s_delay_alu instid0(VALU_DEP_1) | instskip(NEXT) | instid1(VALU_DEP_1)
	v_subrev_nc_u32_e32 v8, 29, v7
	v_dual_lshlrev_b32 v5, v8, v5 :: v_dual_sub_nc_u32 v7, 30, v7
	s_delay_alu instid0(VALU_DEP_1) | instskip(NEXT) | instid1(VALU_DEP_1)
	v_dual_lshlrev_b32 v3, 24, v3 :: v_dual_bitop2_b32 v5, 3, v5 bitop3:0x40
	v_dual_cndmask_b32 v5, v6, v5, vcc_lo :: v_dual_cndmask_b32 v7, v9, v7, vcc_lo
	s_delay_alu instid0(VALU_DEP_2) | instskip(NEXT) | instid1(VALU_DEP_2)
	v_and_b32_e32 v3, 0x80000000, v3
	v_lshlrev_b32_e32 v5, 21, v5
	s_delay_alu instid0(VALU_DEP_3) | instskip(NEXT) | instid1(VALU_DEP_1)
	v_lshl_add_u32 v6, v7, 23, 0x37800000
	v_or3_b32 v3, v3, v6, v5
	s_delay_alu instid0(VALU_DEP_1)
	v_cvt_i32_f32_e32 v8, v3
.LBB15_1380:
	s_or_b32 exec_lo, exec_lo, s9
	s_mov_b32 s9, 0
	s_branch .LBB15_1386
.LBB15_1381:
	s_mov_b32 s9, -1
                                        ; implicit-def: $vgpr8
	s_branch .LBB15_1392
.LBB15_1382:
	s_and_not1_saveexec_b32 s10, s10
	s_cbranch_execz .LBB15_1368
.LBB15_1383:
	v_cmp_ne_u16_e32 vcc_lo, 0, v3
	s_and_not1_b32 s11, s11, exec_lo
	s_and_b32 s12, vcc_lo, exec_lo
	s_delay_alu instid0(SALU_CYCLE_1)
	s_or_b32 s11, s11, s12
	s_or_b32 exec_lo, exec_lo, s10
	v_mov_b32_e32 v8, 0
	s_and_saveexec_b32 s10, s11
	s_cbranch_execnz .LBB15_1369
	s_branch .LBB15_1370
.LBB15_1384:
	s_mov_b32 s9, -1
                                        ; implicit-def: $vgpr8
	s_branch .LBB15_1389
.LBB15_1385:
	s_mov_b32 s9, -1
                                        ; implicit-def: $vgpr8
.LBB15_1386:
	s_delay_alu instid0(SALU_CYCLE_1)
	s_and_b32 vcc_lo, exec_lo, s9
	s_cbranch_vccz .LBB15_1388
; %bb.1387:
	global_load_u8 v3, v[0:1], off
	s_wait_loadcnt 0x0
	v_lshlrev_b32_e32 v3, 24, v3
	s_delay_alu instid0(VALU_DEP_1) | instskip(NEXT) | instid1(VALU_DEP_1)
	v_and_b32_e32 v5, 0x7f000000, v3
	v_clz_i32_u32_e32 v6, v5
	v_cmp_ne_u32_e32 vcc_lo, 0, v5
	v_add_nc_u32_e32 v8, 0x1000000, v5
	s_delay_alu instid0(VALU_DEP_3) | instskip(NEXT) | instid1(VALU_DEP_1)
	v_min_u32_e32 v6, 32, v6
	v_sub_nc_u32_e64 v6, v6, 4 clamp
	s_delay_alu instid0(VALU_DEP_1) | instskip(NEXT) | instid1(VALU_DEP_1)
	v_dual_lshlrev_b32 v7, v6, v5 :: v_dual_lshlrev_b32 v6, 23, v6
	v_lshrrev_b32_e32 v7, 4, v7
	s_delay_alu instid0(VALU_DEP_1) | instskip(NEXT) | instid1(VALU_DEP_1)
	v_dual_sub_nc_u32 v6, v7, v6 :: v_dual_ashrrev_i32 v7, 8, v8
	v_add_nc_u32_e32 v6, 0x3c000000, v6
	s_delay_alu instid0(VALU_DEP_1) | instskip(NEXT) | instid1(VALU_DEP_1)
	v_and_or_b32 v6, 0x7f800000, v7, v6
	v_cndmask_b32_e32 v5, 0, v6, vcc_lo
	s_delay_alu instid0(VALU_DEP_1) | instskip(NEXT) | instid1(VALU_DEP_1)
	v_and_or_b32 v3, 0x80000000, v3, v5
	v_cvt_i32_f32_e32 v8, v3
.LBB15_1388:
	s_mov_b32 s9, 0
.LBB15_1389:
	s_delay_alu instid0(SALU_CYCLE_1)
	s_and_not1_b32 vcc_lo, exec_lo, s9
	s_cbranch_vccnz .LBB15_1391
; %bb.1390:
	global_load_u8 v3, v[0:1], off
	s_wait_loadcnt 0x0
	v_lshlrev_b32_e32 v5, 25, v3
	v_lshlrev_b16 v3, 8, v3
	s_delay_alu instid0(VALU_DEP_1) | instskip(NEXT) | instid1(VALU_DEP_3)
	v_and_or_b32 v7, 0x7f00, v3, 0.5
	v_lshrrev_b32_e32 v6, 4, v5
	v_bfe_i32 v3, v3, 0, 16
	s_delay_alu instid0(VALU_DEP_3) | instskip(NEXT) | instid1(VALU_DEP_3)
	v_add_f32_e32 v7, -0.5, v7
	v_or_b32_e32 v6, 0x70000000, v6
	s_delay_alu instid0(VALU_DEP_1) | instskip(SKIP_1) | instid1(VALU_DEP_2)
	v_mul_f32_e32 v6, 0x7800000, v6
	v_cmp_gt_u32_e32 vcc_lo, 0x8000000, v5
	v_cndmask_b32_e32 v5, v6, v7, vcc_lo
	s_delay_alu instid0(VALU_DEP_1) | instskip(NEXT) | instid1(VALU_DEP_1)
	v_and_or_b32 v3, 0x80000000, v3, v5
	v_cvt_i32_f32_e32 v8, v3
.LBB15_1391:
	s_mov_b32 s9, 0
	s_mov_b32 s10, -1
.LBB15_1392:
	s_and_not1_b32 vcc_lo, exec_lo, s9
	s_mov_b32 s9, 0
	s_cbranch_vccnz .LBB15_1403
; %bb.1393:
	s_cmp_gt_i32 s7, 14
	s_cbranch_scc0 .LBB15_1396
; %bb.1394:
	s_cmp_eq_u32 s7, 15
	s_cbranch_scc0 .LBB15_1399
; %bb.1395:
	global_load_u16 v3, v[0:1], off
	s_mov_b32 s8, 0
	s_mov_b32 s10, -1
	s_wait_loadcnt 0x0
	v_lshlrev_b32_e32 v3, 16, v3
	s_delay_alu instid0(VALU_DEP_1)
	v_cvt_i32_f32_e32 v8, v3
	s_branch .LBB15_1401
.LBB15_1396:
	s_mov_b32 s9, -1
	s_branch .LBB15_1400
.LBB15_1397:
	s_and_not1_saveexec_b32 s9, s9
	s_cbranch_execz .LBB15_1378
.LBB15_1398:
	v_cmp_ne_u16_e32 vcc_lo, 0, v3
	s_and_not1_b32 s10, s10, exec_lo
	s_and_b32 s11, vcc_lo, exec_lo
	s_delay_alu instid0(SALU_CYCLE_1)
	s_or_b32 s10, s10, s11
	s_or_b32 exec_lo, exec_lo, s9
	v_mov_b32_e32 v8, 0
	s_and_saveexec_b32 s9, s10
	s_cbranch_execnz .LBB15_1379
	s_branch .LBB15_1380
.LBB15_1399:
	s_mov_b32 s8, -1
.LBB15_1400:
                                        ; implicit-def: $vgpr8
.LBB15_1401:
	s_and_b32 vcc_lo, exec_lo, s9
	s_mov_b32 s9, 0
	s_cbranch_vccz .LBB15_1403
; %bb.1402:
	s_cmp_lg_u32 s7, 11
	s_mov_b32 s9, -1
	s_cselect_b32 s7, -1, 0
	s_and_not1_b32 s8, s8, exec_lo
	s_and_b32 s7, s7, exec_lo
	s_delay_alu instid0(SALU_CYCLE_1)
	s_or_b32 s8, s8, s7
.LBB15_1403:
	s_mov_b32 s7, 0
.LBB15_1404:
	s_and_not1_b32 s11, s39, exec_lo
	s_and_b32 s12, s8, exec_lo
	s_and_b32 s10, s10, exec_lo
	;; [unrolled: 1-line block ×4, first 2 shown]
	s_or_b32 s39, s11, s12
	s_wait_xcnt 0x0
	s_or_b32 exec_lo, exec_lo, s6
	s_and_saveexec_b32 s6, s39
	s_cbranch_execz .LBB15_1337
.LBB15_1405:
	s_or_b32 s1, s1, exec_lo
	s_and_not1_b32 s8, s8, exec_lo
	s_trap 2
	s_or_b32 exec_lo, exec_lo, s6
	s_and_saveexec_b32 s6, s8
	s_delay_alu instid0(SALU_CYCLE_1)
	s_xor_b32 s6, exec_lo, s6
	s_cbranch_execnz .LBB15_1338
.LBB15_1406:
	s_or_b32 exec_lo, exec_lo, s6
	s_and_saveexec_b32 s6, s7
	s_cbranch_execz .LBB15_1452
.LBB15_1407:
	s_sext_i32_i16 s7, s0
	s_delay_alu instid0(SALU_CYCLE_1)
	s_cmp_lt_i32 s7, 5
	s_cbranch_scc1 .LBB15_1412
; %bb.1408:
	s_cmp_lt_i32 s7, 8
	s_cbranch_scc1 .LBB15_1413
; %bb.1409:
	s_cmp_lt_i32 s7, 9
	s_cbranch_scc1 .LBB15_1414
; %bb.1410:
	s_cmp_gt_i32 s7, 9
	s_cbranch_scc0 .LBB15_1415
; %bb.1411:
	global_load_b64 v[6:7], v[0:1], off
	s_mov_b32 s7, 0
	s_wait_loadcnt 0x0
	v_cvt_i32_f64_e32 v8, v[6:7]
	s_branch .LBB15_1416
.LBB15_1412:
                                        ; implicit-def: $vgpr8
	s_branch .LBB15_1433
.LBB15_1413:
                                        ; implicit-def: $vgpr8
	s_branch .LBB15_1422
.LBB15_1414:
	s_mov_b32 s7, -1
                                        ; implicit-def: $vgpr8
	s_branch .LBB15_1419
.LBB15_1415:
	s_mov_b32 s7, -1
                                        ; implicit-def: $vgpr8
.LBB15_1416:
	s_delay_alu instid0(SALU_CYCLE_1)
	s_and_not1_b32 vcc_lo, exec_lo, s7
	s_cbranch_vccnz .LBB15_1418
; %bb.1417:
	global_load_b32 v3, v[0:1], off
	s_wait_loadcnt 0x0
	v_cvt_i32_f32_e32 v8, v3
.LBB15_1418:
	s_mov_b32 s7, 0
.LBB15_1419:
	s_delay_alu instid0(SALU_CYCLE_1)
	s_and_not1_b32 vcc_lo, exec_lo, s7
	s_cbranch_vccnz .LBB15_1421
; %bb.1420:
	global_load_b32 v3, v[0:1], off
	s_wait_loadcnt 0x0
	v_cvt_i16_f16_e32 v8, v3
.LBB15_1421:
	s_cbranch_execnz .LBB15_1432
.LBB15_1422:
	s_sext_i32_i16 s7, s0
	s_delay_alu instid0(SALU_CYCLE_1)
	s_cmp_lt_i32 s7, 6
	s_cbranch_scc1 .LBB15_1425
; %bb.1423:
	s_cmp_gt_i32 s7, 6
	s_cbranch_scc0 .LBB15_1426
; %bb.1424:
	global_load_b64 v[6:7], v[0:1], off
	s_mov_b32 s7, 0
	s_wait_loadcnt 0x0
	v_cvt_i32_f64_e32 v8, v[6:7]
	s_branch .LBB15_1427
.LBB15_1425:
	s_mov_b32 s7, -1
                                        ; implicit-def: $vgpr8
	s_branch .LBB15_1430
.LBB15_1426:
	s_mov_b32 s7, -1
                                        ; implicit-def: $vgpr8
.LBB15_1427:
	s_delay_alu instid0(SALU_CYCLE_1)
	s_and_not1_b32 vcc_lo, exec_lo, s7
	s_cbranch_vccnz .LBB15_1429
; %bb.1428:
	global_load_b32 v3, v[0:1], off
	s_wait_loadcnt 0x0
	v_cvt_i32_f32_e32 v8, v3
.LBB15_1429:
	s_mov_b32 s7, 0
.LBB15_1430:
	s_delay_alu instid0(SALU_CYCLE_1)
	s_and_not1_b32 vcc_lo, exec_lo, s7
	s_cbranch_vccnz .LBB15_1432
; %bb.1431:
	global_load_u16 v3, v[0:1], off
	s_wait_loadcnt 0x0
	v_cvt_i16_f16_e32 v8, v3
.LBB15_1432:
	s_cbranch_execnz .LBB15_1451
.LBB15_1433:
	s_sext_i32_i16 s7, s0
	s_delay_alu instid0(SALU_CYCLE_1)
	s_cmp_lt_i32 s7, 2
	s_cbranch_scc1 .LBB15_1437
; %bb.1434:
	s_cmp_lt_i32 s7, 3
	s_cbranch_scc1 .LBB15_1438
; %bb.1435:
	s_cmp_gt_i32 s7, 3
	s_cbranch_scc0 .LBB15_1439
; %bb.1436:
	s_wait_loadcnt 0x0
	global_load_b64 v[8:9], v[0:1], off
	s_mov_b32 s7, 0
	s_branch .LBB15_1440
.LBB15_1437:
                                        ; implicit-def: $vgpr8
	s_branch .LBB15_1446
.LBB15_1438:
	s_mov_b32 s7, -1
                                        ; implicit-def: $vgpr8
	s_branch .LBB15_1443
.LBB15_1439:
	s_mov_b32 s7, -1
                                        ; implicit-def: $vgpr8
.LBB15_1440:
	s_delay_alu instid0(SALU_CYCLE_1)
	s_and_not1_b32 vcc_lo, exec_lo, s7
	s_cbranch_vccnz .LBB15_1442
; %bb.1441:
	s_wait_loadcnt 0x0
	global_load_b32 v8, v[0:1], off
.LBB15_1442:
	s_mov_b32 s7, 0
.LBB15_1443:
	s_delay_alu instid0(SALU_CYCLE_1)
	s_and_not1_b32 vcc_lo, exec_lo, s7
	s_cbranch_vccnz .LBB15_1445
; %bb.1444:
	s_wait_loadcnt 0x0
	global_load_u16 v8, v[0:1], off
.LBB15_1445:
	s_cbranch_execnz .LBB15_1451
.LBB15_1446:
	s_sext_i32_i16 s0, s0
	s_delay_alu instid0(SALU_CYCLE_1)
	s_cmp_gt_i32 s0, 0
	s_mov_b32 s0, 0
	s_cbranch_scc0 .LBB15_1448
; %bb.1447:
	s_wait_loadcnt 0x0
	global_load_u8 v8, v[0:1], off
	s_branch .LBB15_1449
.LBB15_1448:
	s_mov_b32 s0, -1
                                        ; implicit-def: $vgpr8
.LBB15_1449:
	s_delay_alu instid0(SALU_CYCLE_1)
	s_and_not1_b32 vcc_lo, exec_lo, s0
	s_cbranch_vccnz .LBB15_1451
; %bb.1450:
	s_wait_loadcnt 0x0
	global_load_u8 v8, v[0:1], off
.LBB15_1451:
	s_or_b32 s10, s10, exec_lo
.LBB15_1452:
	s_wait_xcnt 0x0
	s_or_b32 exec_lo, exec_lo, s6
	s_mov_b32 s0, 0
	s_mov_b32 s8, 0
                                        ; implicit-def: $sgpr6
                                        ; implicit-def: $vgpr0_vgpr1
                                        ; implicit-def: $vgpr5
	s_and_saveexec_b32 s7, s10
	s_cbranch_execz .LBB15_1464
; %bb.1453:
	s_wait_loadcnt 0x0
	s_delay_alu instid0(VALU_DEP_1) | instskip(SKIP_3) | instid1(VALU_DEP_2)
	v_bfe_i32 v0, v8, 0, 8
	v_and_b32_e32 v3, 0xff, v4
	s_mov_b32 s6, 0
	s_mov_b32 s0, exec_lo
	v_sub_nc_u16 v1, 0, v0
	s_delay_alu instid0(VALU_DEP_1)
	v_max_i16 v5, v0, v1
	v_cmpx_ne_u16_e32 0, v3
	s_cbranch_execz .LBB15_1457
; %bb.1454:
	v_bfe_i32 v0, v4, 0, 8
	s_delay_alu instid0(VALU_DEP_1) | instskip(NEXT) | instid1(VALU_DEP_1)
	v_sub_nc_u16 v1, 0, v0
	v_max_i16 v1, v0, v1
	v_and_b32_e32 v0, 0xff, v5
	s_delay_alu instid0(VALU_DEP_2)
	v_and_b32_e32 v1, 0xffff, v1
.LBB15_1455:                            ; =>This Inner Loop Header: Depth=1
	s_delay_alu instid0(VALU_DEP_2) | instskip(NEXT) | instid1(VALU_DEP_2)
	v_bfe_i32 v4, v0, 0, 8
	v_mov_b32_e32 v5, v1
	s_delay_alu instid0(VALU_DEP_2) | instskip(NEXT) | instid1(VALU_DEP_2)
	v_cvt_f32_i32_e32 v7, v4
	v_bfe_i32 v1, v5, 0, 8
	s_delay_alu instid0(VALU_DEP_1) | instskip(SKIP_1) | instid1(VALU_DEP_2)
	v_cvt_f32_i32_e32 v3, v1
	v_xor_b32_e32 v1, v4, v1
	v_rcp_iflag_f32_e32 v6, v3
	v_nop
	s_delay_alu instid0(TRANS32_DEP_1) | instskip(NEXT) | instid1(VALU_DEP_1)
	v_dual_mul_f32 v4, v7, v6 :: v_dual_ashrrev_i32 v1, 30, v1
	v_trunc_f32_e32 v4, v4
	s_delay_alu instid0(VALU_DEP_1) | instskip(SKIP_1) | instid1(VALU_DEP_2)
	v_dual_fma_f32 v6, -v4, v3, v7 :: v_dual_bitop2_b32 v1, 1, v1 bitop3:0x54
	v_cvt_i32_f32_e32 v4, v4
	v_cmp_ge_f32_e64 vcc_lo, |v6|, |v3|
	s_delay_alu instid0(VALU_DEP_3) | instskip(NEXT) | instid1(VALU_DEP_1)
	v_cndmask_b32_e32 v1, 0, v1, vcc_lo
	v_add_nc_u32_e32 v1, v4, v1
	s_delay_alu instid0(VALU_DEP_1) | instskip(NEXT) | instid1(VALU_DEP_1)
	v_mul_lo_u32 v1, v1, v5
	v_sub_nc_u32_e32 v0, v0, v1
	s_delay_alu instid0(VALU_DEP_1) | instskip(SKIP_1) | instid1(VALU_DEP_2)
	v_bfe_i32 v1, v0, 0, 8
	v_mov_b32_e32 v0, v5
	v_cmp_eq_u16_e32 vcc_lo, 0, v1
	v_and_b32_e32 v1, 0xffff, v1
	s_or_b32 s6, vcc_lo, s6
	s_delay_alu instid0(SALU_CYCLE_1)
	s_and_not1_b32 exec_lo, exec_lo, s6
	s_cbranch_execnz .LBB15_1455
; %bb.1456:
	s_or_b32 exec_lo, exec_lo, s6
.LBB15_1457:
	s_delay_alu instid0(SALU_CYCLE_1) | instskip(SKIP_2) | instid1(SALU_CYCLE_1)
	s_or_b32 exec_lo, exec_lo, s0
	v_mov_b32_e32 v3, 0
	s_and_b32 s6, s31, 0xff
	s_cmp_lt_i32 s6, 11
	s_delay_alu instid0(VALU_DEP_1)
	v_add_nc_u64_e32 v[0:1], s[4:5], v[2:3]
	s_cbranch_scc1 .LBB15_1467
; %bb.1458:
	s_and_b32 s4, 0xffff, s6
	s_mov_b32 s5, -1
	s_cmp_gt_i32 s4, 25
	s_mov_b32 s0, s38
	s_cbranch_scc0 .LBB15_1495
; %bb.1459:
	s_cmp_gt_i32 s4, 28
	s_mov_b32 s0, s38
	s_cbranch_scc0 .LBB15_1479
; %bb.1460:
	;; [unrolled: 4-line block ×4, first 2 shown]
	s_cmp_eq_u32 s4, 46
	s_mov_b32 s0, -1
	s_cbranch_scc0 .LBB15_1468
; %bb.1463:
	v_bfe_i32 v2, v5, 0, 8
	s_mov_b32 s0, 0
	s_mov_b32 s5, 0
	s_delay_alu instid0(VALU_DEP_1) | instskip(NEXT) | instid1(VALU_DEP_1)
	v_bfe_i32 v2, v2, 0, 16
	v_cvt_f32_i32_e32 v2, v2
	s_delay_alu instid0(VALU_DEP_1) | instskip(NEXT) | instid1(VALU_DEP_1)
	v_bfe_u32 v3, v2, 16, 1
	v_add3_u32 v2, v2, v3, 0x7fff
	s_delay_alu instid0(VALU_DEP_1)
	v_lshrrev_b32_e32 v2, 16, v2
	global_store_b32 v[0:1], v2, off
	s_branch .LBB15_1469
.LBB15_1464:
	s_or_b32 exec_lo, exec_lo, s7
	s_and_saveexec_b32 s4, s38
	s_cbranch_execnz .LBB15_1537
.LBB15_1465:
	s_or_b32 exec_lo, exec_lo, s4
	s_and_saveexec_b32 s4, s0
	s_delay_alu instid0(SALU_CYCLE_1)
	s_xor_b32 s0, exec_lo, s4
	s_cbranch_execz .LBB15_1538
.LBB15_1466:
	s_wait_loadcnt 0x0
	v_and_b32_e32 v2, 0xff, v5
	s_delay_alu instid0(VALU_DEP_1)
	v_cmp_ne_u16_e32 vcc_lo, 0, v2
	v_cndmask_b32_e64 v2, 0, 1, vcc_lo
	global_store_b8 v[0:1], v2, off
	s_wait_xcnt 0x0
	s_or_b32 exec_lo, exec_lo, s0
	s_and_saveexec_b32 s0, s8
	s_delay_alu instid0(SALU_CYCLE_1)
	s_xor_b32 s0, exec_lo, s0
	s_cbranch_execz .LBB15_1576
	s_branch .LBB15_1539
.LBB15_1467:
	s_mov_b32 s9, 0
	s_mov_b32 s5, -1
	s_mov_b32 s0, s38
	s_branch .LBB15_1536
.LBB15_1468:
	s_mov_b32 s5, 0
.LBB15_1469:
	s_delay_alu instid0(SALU_CYCLE_1)
	s_and_b32 vcc_lo, exec_lo, s5
	s_cbranch_vccz .LBB15_1474
; %bb.1470:
	s_cmp_eq_u32 s4, 44
	s_mov_b32 s0, -1
	s_cbranch_scc0 .LBB15_1474
; %bb.1471:
	s_wait_xcnt 0x0
	v_bfe_i32 v2, v5, 0, 8
	v_mov_b32_e32 v3, 0xff
	s_mov_b32 s5, exec_lo
	s_delay_alu instid0(VALU_DEP_2) | instskip(NEXT) | instid1(VALU_DEP_1)
	v_bfe_i32 v2, v2, 0, 16
	v_cvt_f32_i32_e32 v2, v2
	s_delay_alu instid0(VALU_DEP_1) | instskip(NEXT) | instid1(VALU_DEP_1)
	v_bfe_u32 v4, v2, 23, 8
	v_cmpx_ne_u32_e32 0xff, v4
	s_cbranch_execz .LBB15_1473
; %bb.1472:
	v_and_b32_e32 v3, 0x400000, v2
	v_and_or_b32 v4, 0x3fffff, v2, v4
	v_lshrrev_b32_e32 v2, 23, v2
	s_delay_alu instid0(VALU_DEP_3) | instskip(NEXT) | instid1(VALU_DEP_3)
	v_cmp_ne_u32_e32 vcc_lo, 0, v3
	v_cmp_ne_u32_e64 s0, 0, v4
	s_and_b32 s0, vcc_lo, s0
	s_delay_alu instid0(SALU_CYCLE_1) | instskip(NEXT) | instid1(VALU_DEP_1)
	v_cndmask_b32_e64 v3, 0, 1, s0
	v_add_nc_u32_e32 v3, v2, v3
.LBB15_1473:
	s_or_b32 exec_lo, exec_lo, s5
	s_mov_b32 s0, 0
	global_store_b8 v[0:1], v3, off
.LBB15_1474:
	s_mov_b32 s5, 0
.LBB15_1475:
	s_delay_alu instid0(SALU_CYCLE_1)
	s_and_b32 vcc_lo, exec_lo, s5
	s_cbranch_vccz .LBB15_1478
; %bb.1476:
	s_cmp_eq_u32 s4, 29
	s_mov_b32 s0, -1
	s_cbranch_scc0 .LBB15_1478
; %bb.1477:
	s_wait_xcnt 0x0
	v_bfe_i32 v2, v5, 0, 8
	s_mov_b32 s0, 0
	s_mov_b32 s5, 0
	s_delay_alu instid0(VALU_DEP_1)
	v_ashrrev_i32_e32 v3, 31, v2
	global_store_b64 v[0:1], v[2:3], off
	s_branch .LBB15_1479
.LBB15_1478:
	s_mov_b32 s5, 0
.LBB15_1479:
	s_delay_alu instid0(SALU_CYCLE_1)
	s_and_b32 vcc_lo, exec_lo, s5
	s_cbranch_vccz .LBB15_1494
; %bb.1480:
	s_cmp_lt_i32 s4, 27
	s_mov_b32 s5, -1
	s_cbranch_scc1 .LBB15_1486
; %bb.1481:
	s_cmp_gt_i32 s4, 27
	s_cbranch_scc0 .LBB15_1483
; %bb.1482:
	s_wait_xcnt 0x0
	v_bfe_i32 v2, v5, 0, 8
	s_mov_b32 s5, 0
	global_store_b32 v[0:1], v2, off
.LBB15_1483:
	s_and_not1_b32 vcc_lo, exec_lo, s5
	s_cbranch_vccnz .LBB15_1485
; %bb.1484:
	s_wait_xcnt 0x0
	v_bfe_i32 v2, v5, 0, 8
	global_store_b16 v[0:1], v2, off
.LBB15_1485:
	s_mov_b32 s5, 0
.LBB15_1486:
	s_delay_alu instid0(SALU_CYCLE_1)
	s_and_not1_b32 vcc_lo, exec_lo, s5
	s_cbranch_vccnz .LBB15_1494
; %bb.1487:
	s_wait_xcnt 0x0
	v_bfe_i32 v2, v5, 0, 8
	v_mov_b32_e32 v4, 0x80
	s_mov_b32 s5, exec_lo
	s_delay_alu instid0(VALU_DEP_2) | instskip(NEXT) | instid1(VALU_DEP_1)
	v_bfe_i32 v2, v2, 0, 16
	v_cvt_f32_i32_e32 v2, v2
	s_delay_alu instid0(VALU_DEP_1) | instskip(NEXT) | instid1(VALU_DEP_1)
	v_and_b32_e32 v3, 0x7fffffff, v2
	v_cmpx_gt_u32_e32 0x43800000, v3
	s_cbranch_execz .LBB15_1493
; %bb.1488:
	v_cmp_lt_u32_e32 vcc_lo, 0x3bffffff, v3
	s_mov_b32 s8, 0
                                        ; implicit-def: $vgpr3
	s_and_saveexec_b32 s9, vcc_lo
	s_delay_alu instid0(SALU_CYCLE_1)
	s_xor_b32 s9, exec_lo, s9
	s_cbranch_execz .LBB15_1635
; %bb.1489:
	v_bfe_u32 v3, v2, 20, 1
	s_mov_b32 s8, exec_lo
	s_delay_alu instid0(VALU_DEP_1) | instskip(NEXT) | instid1(VALU_DEP_1)
	v_add3_u32 v3, v2, v3, 0x487ffff
	v_lshrrev_b32_e32 v3, 20, v3
	s_and_not1_saveexec_b32 s9, s9
	s_cbranch_execnz .LBB15_1636
.LBB15_1490:
	s_or_b32 exec_lo, exec_lo, s9
	v_mov_b32_e32 v4, 0
	s_and_saveexec_b32 s9, s8
.LBB15_1491:
	v_lshrrev_b32_e32 v2, 24, v2
	s_delay_alu instid0(VALU_DEP_1)
	v_and_or_b32 v4, 0x80, v2, v3
.LBB15_1492:
	s_or_b32 exec_lo, exec_lo, s9
.LBB15_1493:
	s_delay_alu instid0(SALU_CYCLE_1)
	s_or_b32 exec_lo, exec_lo, s5
	global_store_b8 v[0:1], v4, off
.LBB15_1494:
	s_mov_b32 s5, 0
.LBB15_1495:
	s_delay_alu instid0(SALU_CYCLE_1)
	s_and_b32 vcc_lo, exec_lo, s5
	s_mov_b32 s5, 0
	s_cbranch_vccz .LBB15_1535
; %bb.1496:
	s_cmp_gt_i32 s4, 22
	s_mov_b32 s8, -1
	s_cbranch_scc0 .LBB15_1528
; %bb.1497:
	s_cmp_lt_i32 s4, 24
	s_cbranch_scc1 .LBB15_1517
; %bb.1498:
	s_cmp_gt_i32 s4, 24
	s_cbranch_scc0 .LBB15_1506
; %bb.1499:
	s_wait_xcnt 0x0
	v_bfe_i32 v2, v5, 0, 8
	v_mov_b32_e32 v4, 0x80
	s_mov_b32 s8, exec_lo
	s_delay_alu instid0(VALU_DEP_2) | instskip(NEXT) | instid1(VALU_DEP_1)
	v_bfe_i32 v2, v2, 0, 16
	v_cvt_f32_i32_e32 v2, v2
	s_delay_alu instid0(VALU_DEP_1) | instskip(NEXT) | instid1(VALU_DEP_1)
	v_and_b32_e32 v3, 0x7fffffff, v2
	v_cmpx_gt_u32_e32 0x47800000, v3
	s_cbranch_execz .LBB15_1505
; %bb.1500:
	v_cmp_lt_u32_e32 vcc_lo, 0x37ffffff, v3
	s_mov_b32 s9, 0
                                        ; implicit-def: $vgpr3
	s_and_saveexec_b32 s10, vcc_lo
	s_delay_alu instid0(SALU_CYCLE_1)
	s_xor_b32 s10, exec_lo, s10
	s_cbranch_execz .LBB15_1756
; %bb.1501:
	v_bfe_u32 v3, v2, 21, 1
	s_mov_b32 s9, exec_lo
	s_delay_alu instid0(VALU_DEP_1) | instskip(NEXT) | instid1(VALU_DEP_1)
	v_add3_u32 v3, v2, v3, 0x88fffff
	v_lshrrev_b32_e32 v3, 21, v3
	s_and_not1_saveexec_b32 s10, s10
	s_cbranch_execnz .LBB15_1757
.LBB15_1502:
	s_or_b32 exec_lo, exec_lo, s10
	v_mov_b32_e32 v4, 0
	s_and_saveexec_b32 s10, s9
.LBB15_1503:
	v_lshrrev_b32_e32 v2, 24, v2
	s_delay_alu instid0(VALU_DEP_1)
	v_and_or_b32 v4, 0x80, v2, v3
.LBB15_1504:
	s_or_b32 exec_lo, exec_lo, s10
.LBB15_1505:
	s_delay_alu instid0(SALU_CYCLE_1)
	s_or_b32 exec_lo, exec_lo, s8
	s_mov_b32 s8, 0
	global_store_b8 v[0:1], v4, off
.LBB15_1506:
	s_and_b32 vcc_lo, exec_lo, s8
	s_cbranch_vccz .LBB15_1516
; %bb.1507:
	s_wait_xcnt 0x0
	v_bfe_i32 v2, v5, 0, 8
	s_mov_b32 s8, exec_lo
                                        ; implicit-def: $vgpr3
	s_delay_alu instid0(VALU_DEP_1) | instskip(NEXT) | instid1(VALU_DEP_1)
	v_bfe_i32 v2, v2, 0, 16
	v_cvt_f32_i32_e32 v2, v2
	s_delay_alu instid0(VALU_DEP_1) | instskip(NEXT) | instid1(VALU_DEP_1)
	v_and_b32_e32 v4, 0x7fffffff, v2
	v_cmpx_gt_u32_e32 0x43f00000, v4
	s_xor_b32 s8, exec_lo, s8
	s_cbranch_execz .LBB15_1513
; %bb.1508:
	s_mov_b32 s9, exec_lo
                                        ; implicit-def: $vgpr3
	v_cmpx_lt_u32_e32 0x3c7fffff, v4
	s_xor_b32 s9, exec_lo, s9
; %bb.1509:
	v_bfe_u32 v3, v2, 20, 1
	s_delay_alu instid0(VALU_DEP_1) | instskip(NEXT) | instid1(VALU_DEP_1)
	v_add3_u32 v3, v2, v3, 0x407ffff
	v_and_b32_e32 v4, 0xff00000, v3
	v_lshrrev_b32_e32 v3, 20, v3
	s_delay_alu instid0(VALU_DEP_2) | instskip(NEXT) | instid1(VALU_DEP_2)
	v_cmp_ne_u32_e32 vcc_lo, 0x7f00000, v4
	v_cndmask_b32_e32 v3, 0x7e, v3, vcc_lo
; %bb.1510:
	s_and_not1_saveexec_b32 s9, s9
; %bb.1511:
	v_add_f32_e64 v3, 0x46800000, |v2|
; %bb.1512:
	s_or_b32 exec_lo, exec_lo, s9
                                        ; implicit-def: $vgpr4
.LBB15_1513:
	s_and_not1_saveexec_b32 s8, s8
; %bb.1514:
	v_mov_b32_e32 v3, 0x7f
	v_cmp_lt_u32_e32 vcc_lo, 0x7f800000, v4
	s_delay_alu instid0(VALU_DEP_2)
	v_cndmask_b32_e32 v3, 0x7e, v3, vcc_lo
; %bb.1515:
	s_or_b32 exec_lo, exec_lo, s8
	v_lshrrev_b32_e32 v2, 24, v2
	s_delay_alu instid0(VALU_DEP_1)
	v_and_or_b32 v2, 0x80, v2, v3
	global_store_b8 v[0:1], v2, off
.LBB15_1516:
	s_mov_b32 s8, 0
.LBB15_1517:
	s_delay_alu instid0(SALU_CYCLE_1)
	s_and_not1_b32 vcc_lo, exec_lo, s8
	s_cbranch_vccnz .LBB15_1527
; %bb.1518:
	s_wait_xcnt 0x0
	v_bfe_i32 v2, v5, 0, 8
	s_mov_b32 s8, exec_lo
                                        ; implicit-def: $vgpr3
	s_delay_alu instid0(VALU_DEP_1) | instskip(NEXT) | instid1(VALU_DEP_1)
	v_bfe_i32 v2, v2, 0, 16
	v_cvt_f32_i32_e32 v2, v2
	s_delay_alu instid0(VALU_DEP_1) | instskip(NEXT) | instid1(VALU_DEP_1)
	v_and_b32_e32 v4, 0x7fffffff, v2
	v_cmpx_gt_u32_e32 0x47800000, v4
	s_xor_b32 s8, exec_lo, s8
	s_cbranch_execz .LBB15_1524
; %bb.1519:
	s_mov_b32 s9, exec_lo
                                        ; implicit-def: $vgpr3
	v_cmpx_lt_u32_e32 0x387fffff, v4
	s_xor_b32 s9, exec_lo, s9
; %bb.1520:
	v_bfe_u32 v3, v2, 21, 1
	s_delay_alu instid0(VALU_DEP_1) | instskip(NEXT) | instid1(VALU_DEP_1)
	v_add3_u32 v3, v2, v3, 0x80fffff
	v_lshrrev_b32_e32 v3, 21, v3
; %bb.1521:
	s_and_not1_saveexec_b32 s9, s9
; %bb.1522:
	v_add_f32_e64 v3, 0x43000000, |v2|
; %bb.1523:
	s_or_b32 exec_lo, exec_lo, s9
                                        ; implicit-def: $vgpr4
.LBB15_1524:
	s_and_not1_saveexec_b32 s8, s8
; %bb.1525:
	v_mov_b32_e32 v3, 0x7f
	v_cmp_lt_u32_e32 vcc_lo, 0x7f800000, v4
	s_delay_alu instid0(VALU_DEP_2)
	v_cndmask_b32_e32 v3, 0x7c, v3, vcc_lo
; %bb.1526:
	s_or_b32 exec_lo, exec_lo, s8
	v_lshrrev_b32_e32 v2, 24, v2
	s_delay_alu instid0(VALU_DEP_1)
	v_and_or_b32 v2, 0x80, v2, v3
	global_store_b8 v[0:1], v2, off
.LBB15_1527:
	s_mov_b32 s8, 0
.LBB15_1528:
	s_delay_alu instid0(SALU_CYCLE_1)
	s_and_not1_b32 vcc_lo, exec_lo, s8
	s_mov_b32 s9, 0
	s_cbranch_vccnz .LBB15_1536
; %bb.1529:
	s_cmp_gt_i32 s4, 14
	s_mov_b32 s8, -1
	s_cbranch_scc0 .LBB15_1533
; %bb.1530:
	s_cmp_eq_u32 s4, 15
	s_mov_b32 s0, -1
	s_cbranch_scc0 .LBB15_1532
; %bb.1531:
	s_wait_xcnt 0x0
	v_bfe_i32 v2, v5, 0, 8
	s_mov_b32 s0, 0
	s_delay_alu instid0(VALU_DEP_1) | instskip(NEXT) | instid1(VALU_DEP_1)
	v_bfe_i32 v2, v2, 0, 16
	v_cvt_f32_i32_e32 v2, v2
	s_delay_alu instid0(VALU_DEP_1) | instskip(NEXT) | instid1(VALU_DEP_1)
	v_bfe_u32 v3, v2, 16, 1
	v_add3_u32 v2, v2, v3, 0x7fff
	global_store_d16_hi_b16 v[0:1], v2, off
.LBB15_1532:
	s_mov_b32 s8, 0
.LBB15_1533:
	s_delay_alu instid0(SALU_CYCLE_1)
	s_and_b32 vcc_lo, exec_lo, s8
	s_cbranch_vccz .LBB15_1536
; %bb.1534:
	s_cmp_lg_u32 s4, 11
	s_mov_b32 s9, -1
	s_cselect_b32 s4, -1, 0
	s_and_not1_b32 s0, s0, exec_lo
	s_and_b32 s4, s4, exec_lo
	s_delay_alu instid0(SALU_CYCLE_1)
	s_or_b32 s0, s0, s4
	s_branch .LBB15_1536
.LBB15_1535:
	s_mov_b32 s9, 0
.LBB15_1536:
	s_and_b32 s8, s5, exec_lo
	s_and_not1_b32 s4, s38, exec_lo
	s_and_b32 s5, s0, exec_lo
	s_and_b32 s0, s9, exec_lo
	s_or_b32 s38, s4, s5
	s_wait_xcnt 0x0
	s_or_b32 exec_lo, exec_lo, s7
	s_and_saveexec_b32 s4, s38
	s_cbranch_execz .LBB15_1465
.LBB15_1537:
	s_or_b32 s1, s1, exec_lo
	s_and_not1_b32 s0, s0, exec_lo
	s_trap 2
	s_or_b32 exec_lo, exec_lo, s4
	s_and_saveexec_b32 s4, s0
	s_delay_alu instid0(SALU_CYCLE_1)
	s_xor_b32 s0, exec_lo, s4
	s_cbranch_execnz .LBB15_1466
.LBB15_1538:
	s_or_b32 exec_lo, exec_lo, s0
	s_and_saveexec_b32 s0, s8
	s_delay_alu instid0(SALU_CYCLE_1)
	s_xor_b32 s0, exec_lo, s0
	s_cbranch_execz .LBB15_1576
.LBB15_1539:
	s_sext_i32_i16 s5, s6
	s_mov_b32 s4, -1
	s_cmp_lt_i32 s5, 5
	s_cbranch_scc1 .LBB15_1560
; %bb.1540:
	s_cmp_lt_i32 s5, 8
	s_cbranch_scc1 .LBB15_1550
; %bb.1541:
	s_cmp_lt_i32 s5, 9
	s_cbranch_scc1 .LBB15_1547
; %bb.1542:
	s_wait_loadcnt 0x0
	v_bfe_i32 v2, v5, 0, 8
	s_cmp_gt_i32 s5, 9
	s_delay_alu instid0(VALU_DEP_1)
	v_bfe_i32 v2, v2, 0, 16
	s_cbranch_scc0 .LBB15_1544
; %bb.1543:
	s_delay_alu instid0(VALU_DEP_1) | instskip(SKIP_2) | instid1(VALU_DEP_1)
	v_cvt_f64_i32_e32 v[6:7], v2
	v_mov_b32_e32 v8, 0
	s_mov_b32 s4, 0
	v_mov_b32_e32 v9, v8
	global_store_b128 v[0:1], v[6:9], off
.LBB15_1544:
	s_and_not1_b32 vcc_lo, exec_lo, s4
	s_cbranch_vccnz .LBB15_1546
; %bb.1545:
	s_delay_alu instid0(VALU_DEP_1)
	v_cvt_f32_i32_e32 v2, v2
	v_mov_b32_e32 v3, 0
	global_store_b64 v[0:1], v[2:3], off
.LBB15_1546:
	s_mov_b32 s4, 0
.LBB15_1547:
	s_delay_alu instid0(SALU_CYCLE_1)
	s_and_not1_b32 vcc_lo, exec_lo, s4
	s_cbranch_vccnz .LBB15_1549
; %bb.1548:
	s_wait_loadcnt 0x0
	v_bfe_i32 v2, v5, 0, 8
	s_delay_alu instid0(VALU_DEP_1) | instskip(NEXT) | instid1(VALU_DEP_1)
	v_cvt_f16_i16_e32 v2, v2
	v_and_b32_e32 v2, 0xffff, v2
	global_store_b32 v[0:1], v2, off
.LBB15_1549:
	s_mov_b32 s4, 0
.LBB15_1550:
	s_delay_alu instid0(SALU_CYCLE_1)
	s_and_not1_b32 vcc_lo, exec_lo, s4
	s_cbranch_vccnz .LBB15_1559
; %bb.1551:
	s_sext_i32_i16 s5, s6
	s_mov_b32 s4, -1
	s_cmp_lt_i32 s5, 6
	s_cbranch_scc1 .LBB15_1557
; %bb.1552:
	s_wait_loadcnt 0x0
	v_bfe_i32 v2, v5, 0, 8
	s_cmp_gt_i32 s5, 6
	s_delay_alu instid0(VALU_DEP_1)
	v_bfe_i32 v2, v2, 0, 16
	s_cbranch_scc0 .LBB15_1554
; %bb.1553:
	s_delay_alu instid0(VALU_DEP_1)
	v_cvt_f64_i32_e32 v[6:7], v2
	s_mov_b32 s4, 0
	global_store_b64 v[0:1], v[6:7], off
.LBB15_1554:
	s_and_not1_b32 vcc_lo, exec_lo, s4
	s_cbranch_vccnz .LBB15_1556
; %bb.1555:
	s_delay_alu instid0(VALU_DEP_1)
	v_cvt_f32_i32_e32 v2, v2
	global_store_b32 v[0:1], v2, off
.LBB15_1556:
	s_mov_b32 s4, 0
.LBB15_1557:
	s_delay_alu instid0(SALU_CYCLE_1)
	s_and_not1_b32 vcc_lo, exec_lo, s4
	s_cbranch_vccnz .LBB15_1559
; %bb.1558:
	s_wait_loadcnt 0x0
	v_bfe_i32 v2, v5, 0, 8
	s_delay_alu instid0(VALU_DEP_1)
	v_cvt_f16_i16_e32 v2, v2
	global_store_b16 v[0:1], v2, off
.LBB15_1559:
	s_mov_b32 s4, 0
.LBB15_1560:
	s_delay_alu instid0(SALU_CYCLE_1)
	s_and_not1_b32 vcc_lo, exec_lo, s4
	s_cbranch_vccnz .LBB15_1576
; %bb.1561:
	s_sext_i32_i16 s5, s6
	s_mov_b32 s4, -1
	s_cmp_lt_i32 s5, 2
	s_cbranch_scc1 .LBB15_1571
; %bb.1562:
	s_cmp_lt_i32 s5, 3
	s_cbranch_scc1 .LBB15_1568
; %bb.1563:
	s_wait_loadcnt 0x0
	v_bfe_i32 v2, v5, 0, 8
	s_cmp_gt_i32 s5, 3
	s_cbranch_scc0 .LBB15_1565
; %bb.1564:
	s_delay_alu instid0(VALU_DEP_1)
	v_ashrrev_i32_e32 v3, 31, v2
	s_mov_b32 s4, 0
	global_store_b64 v[0:1], v[2:3], off
.LBB15_1565:
	s_and_not1_b32 vcc_lo, exec_lo, s4
	s_cbranch_vccnz .LBB15_1567
; %bb.1566:
	global_store_b32 v[0:1], v2, off
.LBB15_1567:
	s_mov_b32 s4, 0
.LBB15_1568:
	s_delay_alu instid0(SALU_CYCLE_1)
	s_and_not1_b32 vcc_lo, exec_lo, s4
	s_cbranch_vccnz .LBB15_1570
; %bb.1569:
	s_wait_loadcnt 0x0
	v_bfe_i32 v2, v5, 0, 8
	global_store_b16 v[0:1], v2, off
.LBB15_1570:
	s_mov_b32 s4, 0
.LBB15_1571:
	s_delay_alu instid0(SALU_CYCLE_1)
	s_and_not1_b32 vcc_lo, exec_lo, s4
	s_cbranch_vccnz .LBB15_1576
; %bb.1572:
	s_sext_i32_i16 s4, s6
	s_delay_alu instid0(SALU_CYCLE_1)
	s_cmp_gt_i32 s4, 0
	s_mov_b32 s4, -1
	s_cbranch_scc0 .LBB15_1574
; %bb.1573:
	s_mov_b32 s4, 0
	s_wait_loadcnt 0x0
	global_store_b8 v[0:1], v5, off
.LBB15_1574:
	s_and_not1_b32 vcc_lo, exec_lo, s4
	s_cbranch_vccnz .LBB15_1576
; %bb.1575:
	s_wait_loadcnt 0x0
	global_store_b8 v[0:1], v5, off
.LBB15_1576:
	s_wait_xcnt 0x0
	s_or_b32 exec_lo, exec_lo, s0
	s_delay_alu instid0(SALU_CYCLE_1)
	s_and_b32 s8, s1, exec_lo
                                        ; implicit-def: $vgpr1
                                        ; implicit-def: $vgpr0
.LBB15_1577:
	s_or_saveexec_b32 s9, s30
	s_mov_b32 s0, 0
                                        ; implicit-def: $vgpr2_vgpr3
                                        ; implicit-def: $sgpr1
                                        ; implicit-def: $vgpr8
	s_xor_b32 exec_lo, exec_lo, s9
	s_cbranch_execz .LBB15_2727
; %bb.1578:
	v_cndmask_b32_e64 v3, 0, 1, s29
	s_and_not1_b32 vcc_lo, exec_lo, s29
	s_cbranch_vccnz .LBB15_1584
; %bb.1579:
	s_cmp_lg_u32 s26, 0
	s_mov_b32 s4, 0
	s_cbranch_scc0 .LBB15_1588
; %bb.1580:
	s_min_u32 s5, s27, 15
	v_dual_mov_b32 v6, 0 :: v_dual_mov_b32 v2, v0
	v_dual_mov_b32 v22, 0 :: v_dual_mov_b32 v20, 0
	s_add_co_i32 s6, s5, 1
	s_mov_b64 s[0:1], 0xffffffffffffffe8
	s_and_b32 s6, s6, 30
	s_add_nc_u64 s[0:1], s[2:3], s[0:1]
.LBB15_1581:                            ; =>This Inner Loop Header: Depth=1
	s_clause 0x1
	s_load_b128 s[12:15], s[0:1], 0x1c
	s_load_b64 s[10:11], s[0:1], 0x2c
	s_add_co_i32 s6, s6, -2
	s_delay_alu instid0(SALU_CYCLE_1) | instskip(SKIP_3) | instid1(VALU_DEP_1)
	s_cmp_lg_u32 s6, 0
	s_wait_loadcnt 0x0
	s_wait_kmcnt 0x0
	v_mul_hi_u32 v4, s13, v2
	v_add_nc_u32_e32 v4, v2, v4
	s_delay_alu instid0(VALU_DEP_1) | instskip(NEXT) | instid1(VALU_DEP_1)
	v_lshrrev_b32_e32 v4, s14, v4
	v_mul_hi_u32 v5, s10, v4
	v_mul_lo_u32 v7, v4, s12
	s_clause 0x1
	s_load_b128 s[16:19], s[0:1], 0xdc
	s_load_b64 s[12:13], s[0:1], 0xec
	s_wait_xcnt 0x0
	s_add_nc_u64 s[0:1], s[0:1], 24
	s_delay_alu instid0(VALU_DEP_1) | instskip(NEXT) | instid1(VALU_DEP_1)
	v_dual_add_nc_u32 v5, v4, v5 :: v_dual_sub_nc_u32 v7, v2, v7
	v_lshrrev_b32_e32 v2, s11, v5
	s_wait_kmcnt 0x0
	s_delay_alu instid0(VALU_DEP_2) | instskip(NEXT) | instid1(VALU_DEP_2)
	v_mad_u32 v6, v7, s16, v6
	v_mul_lo_u32 v5, v2, s15
	v_mad_u32 v8, v7, s18, v20
	v_mad_u32 v7, v7, s17, v22
	s_delay_alu instid0(VALU_DEP_3) | instskip(NEXT) | instid1(VALU_DEP_1)
	v_sub_nc_u32_e32 v4, v4, v5
	v_mad_u32 v6, v4, s19, v6
	s_delay_alu instid0(VALU_DEP_4) | instskip(NEXT) | instid1(VALU_DEP_4)
	v_mad_u32 v20, v4, s13, v8
	v_mad_u32 v22, v4, s12, v7
	s_cbranch_scc1 .LBB15_1581
; %bb.1582:
	s_bitcmp1_b32 s5, 0
	s_cselect_b32 s5, -1, 0
	s_delay_alu instid0(SALU_CYCLE_1)
	s_and_b32 vcc_lo, exec_lo, s5
	s_cbranch_vccnz .LBB15_1585
; %bb.1583:
	s_clause 0x1
	s_load_b96 s[12:14], s[0:1], 0x1c
	s_load_b96 s[16:18], s[0:1], 0xdc
	s_wait_kmcnt 0x0
	v_mul_hi_u32 v4, s13, v2
	s_delay_alu instid0(VALU_DEP_1) | instskip(NEXT) | instid1(VALU_DEP_1)
	v_add_nc_u32_e32 v4, v2, v4
	v_lshrrev_b32_e32 v4, s14, v4
	s_delay_alu instid0(VALU_DEP_1) | instskip(NEXT) | instid1(VALU_DEP_1)
	v_mul_lo_u32 v4, v4, s12
	v_sub_nc_u32_e32 v2, v2, v4
	s_delay_alu instid0(VALU_DEP_1)
	v_mad_u32 v6, v2, s16, v6
	v_mad_u32 v22, v2, s17, v22
	;; [unrolled: 1-line block ×3, first 2 shown]
	s_and_not1_b32 vcc_lo, exec_lo, s4
	s_cbranch_vccz .LBB15_1586
	s_branch .LBB15_1589
.LBB15_1584:
	s_mov_b32 s4, -1
                                        ; implicit-def: $vgpr20
                                        ; implicit-def: $vgpr22
                                        ; implicit-def: $vgpr6
.LBB15_1585:
	s_delay_alu instid0(SALU_CYCLE_1)
	s_and_not1_b32 vcc_lo, exec_lo, s4
	s_cbranch_vccnz .LBB15_1589
.LBB15_1586:
	s_clause 0x1
	s_load_b96 s[4:6], s[2:3], 0x4
	s_load_b96 s[12:14], s[2:3], 0xc4
	s_cmp_lt_u32 s26, 2
	s_wait_kmcnt 0x0
	v_mul_hi_u32 v2, s5, v0
	s_delay_alu instid0(VALU_DEP_1) | instskip(NEXT) | instid1(VALU_DEP_1)
	v_add_nc_u32_e32 v2, v0, v2
	v_lshrrev_b32_e32 v2, s6, v2
	s_wait_loadcnt 0x0
	s_delay_alu instid0(VALU_DEP_1) | instskip(NEXT) | instid1(VALU_DEP_1)
	v_mul_lo_u32 v4, v2, s4
	v_sub_nc_u32_e32 v4, v0, v4
	s_delay_alu instid0(VALU_DEP_1)
	v_mul_lo_u32 v6, v4, s12
	v_mul_lo_u32 v20, v4, s14
	;; [unrolled: 1-line block ×3, first 2 shown]
	s_cbranch_scc1 .LBB15_1589
; %bb.1587:
	s_clause 0x1
	s_load_b96 s[4:6], s[2:3], 0x10
	s_load_b96 s[12:14], s[2:3], 0xd0
	s_wait_kmcnt 0x0
	v_mul_hi_u32 v4, s5, v2
	s_delay_alu instid0(VALU_DEP_1) | instskip(NEXT) | instid1(VALU_DEP_1)
	v_add_nc_u32_e32 v4, v2, v4
	v_lshrrev_b32_e32 v4, s6, v4
	s_delay_alu instid0(VALU_DEP_1) | instskip(NEXT) | instid1(VALU_DEP_1)
	v_mul_lo_u32 v4, v4, s4
	v_sub_nc_u32_e32 v2, v2, v4
	s_delay_alu instid0(VALU_DEP_1)
	v_mad_u32 v6, v2, s12, v6
	v_mad_u32 v22, v2, s13, v22
	;; [unrolled: 1-line block ×3, first 2 shown]
	s_branch .LBB15_1589
.LBB15_1588:
	v_dual_mov_b32 v20, 0 :: v_dual_mov_b32 v22, 0
	v_mov_b32_e32 v6, 0
	s_and_not1_b32 vcc_lo, exec_lo, s4
	s_cbranch_vccz .LBB15_1586
.LBB15_1589:
	v_cmp_ne_u32_e32 vcc_lo, 1, v3
	v_add_nc_u32_e32 v2, 0x80, v0
	s_cbranch_vccnz .LBB15_1595
; %bb.1590:
	s_cmp_lg_u32 s26, 0
	s_mov_b32 s4, 0
	s_cbranch_scc0 .LBB15_1599
; %bb.1591:
	s_min_u32 s5, s27, 15
	s_wait_loadcnt 0x0
	v_dual_mov_b32 v4, 0 :: v_dual_mov_b32 v5, v2
	v_dual_mov_b32 v18, 0 :: v_dual_mov_b32 v16, 0
	s_add_co_i32 s6, s5, 1
	s_mov_b64 s[0:1], 0xffffffffffffffe8
	s_and_b32 s6, s6, 30
	s_add_nc_u64 s[0:1], s[2:3], s[0:1]
.LBB15_1592:                            ; =>This Inner Loop Header: Depth=1
	s_clause 0x1
	s_load_b128 s[12:15], s[0:1], 0x1c
	s_load_b64 s[10:11], s[0:1], 0x2c
	s_add_co_i32 s6, s6, -2
	s_delay_alu instid0(SALU_CYCLE_1) | instskip(SKIP_2) | instid1(VALU_DEP_1)
	s_cmp_lg_u32 s6, 0
	s_wait_kmcnt 0x0
	v_mul_hi_u32 v7, s13, v5
	v_add_nc_u32_e32 v7, v5, v7
	s_delay_alu instid0(VALU_DEP_1) | instskip(NEXT) | instid1(VALU_DEP_1)
	v_lshrrev_b32_e32 v7, s14, v7
	v_mul_hi_u32 v8, s10, v7
	v_mul_lo_u32 v9, v7, s12
	s_clause 0x1
	s_load_b128 s[16:19], s[0:1], 0xdc
	s_load_b64 s[12:13], s[0:1], 0xec
	s_wait_xcnt 0x0
	s_add_nc_u64 s[0:1], s[0:1], 24
	s_delay_alu instid0(VALU_DEP_1) | instskip(NEXT) | instid1(VALU_DEP_1)
	v_dual_add_nc_u32 v8, v7, v8 :: v_dual_sub_nc_u32 v9, v5, v9
	v_lshrrev_b32_e32 v5, s11, v8
	s_wait_kmcnt 0x0
	s_delay_alu instid0(VALU_DEP_2) | instskip(NEXT) | instid1(VALU_DEP_2)
	v_mad_u32 v4, v9, s16, v4
	v_mul_lo_u32 v8, v5, s15
	v_mad_u32 v10, v9, s18, v16
	v_mad_u32 v9, v9, s17, v18
	s_delay_alu instid0(VALU_DEP_3) | instskip(NEXT) | instid1(VALU_DEP_1)
	v_sub_nc_u32_e32 v7, v7, v8
	v_mad_u32 v4, v7, s19, v4
	s_delay_alu instid0(VALU_DEP_4) | instskip(NEXT) | instid1(VALU_DEP_4)
	v_mad_u32 v16, v7, s13, v10
	v_mad_u32 v18, v7, s12, v9
	s_cbranch_scc1 .LBB15_1592
; %bb.1593:
	s_bitcmp1_b32 s5, 0
	s_cselect_b32 s5, -1, 0
	s_delay_alu instid0(SALU_CYCLE_1)
	s_and_b32 vcc_lo, exec_lo, s5
	s_cbranch_vccnz .LBB15_1596
; %bb.1594:
	s_clause 0x1
	s_load_b96 s[12:14], s[0:1], 0x1c
	s_load_b96 s[16:18], s[0:1], 0xdc
	s_wait_kmcnt 0x0
	v_mul_hi_u32 v7, s13, v5
	s_delay_alu instid0(VALU_DEP_1) | instskip(NEXT) | instid1(VALU_DEP_1)
	v_add_nc_u32_e32 v7, v5, v7
	v_lshrrev_b32_e32 v7, s14, v7
	s_delay_alu instid0(VALU_DEP_1) | instskip(NEXT) | instid1(VALU_DEP_1)
	v_mul_lo_u32 v7, v7, s12
	v_sub_nc_u32_e32 v5, v5, v7
	s_delay_alu instid0(VALU_DEP_1)
	v_mad_u32 v4, v5, s16, v4
	v_mad_u32 v18, v5, s17, v18
	;; [unrolled: 1-line block ×3, first 2 shown]
	s_and_not1_b32 vcc_lo, exec_lo, s4
	s_cbranch_vccz .LBB15_1597
	s_branch .LBB15_1600
.LBB15_1595:
	s_mov_b32 s4, -1
                                        ; implicit-def: $vgpr16
                                        ; implicit-def: $vgpr18
                                        ; implicit-def: $vgpr4
.LBB15_1596:
	s_delay_alu instid0(SALU_CYCLE_1)
	s_and_not1_b32 vcc_lo, exec_lo, s4
	s_cbranch_vccnz .LBB15_1600
.LBB15_1597:
	s_clause 0x1
	s_load_b96 s[4:6], s[2:3], 0x4
	s_load_b96 s[12:14], s[2:3], 0xc4
	s_cmp_lt_u32 s26, 2
	s_wait_loadcnt 0x0
	s_wait_kmcnt 0x0
	v_mul_hi_u32 v4, s5, v2
	s_delay_alu instid0(VALU_DEP_1) | instskip(NEXT) | instid1(VALU_DEP_1)
	v_add_nc_u32_e32 v4, v2, v4
	v_lshrrev_b32_e32 v5, s6, v4
	s_delay_alu instid0(VALU_DEP_1) | instskip(NEXT) | instid1(VALU_DEP_1)
	v_mul_lo_u32 v4, v5, s4
	v_sub_nc_u32_e32 v2, v2, v4
	s_delay_alu instid0(VALU_DEP_1)
	v_mul_lo_u32 v4, v2, s12
	v_mul_lo_u32 v16, v2, s14
	;; [unrolled: 1-line block ×3, first 2 shown]
	s_cbranch_scc1 .LBB15_1600
; %bb.1598:
	s_clause 0x1
	s_load_b96 s[4:6], s[2:3], 0x10
	s_load_b96 s[12:14], s[2:3], 0xd0
	s_wait_kmcnt 0x0
	v_mul_hi_u32 v2, s5, v5
	s_delay_alu instid0(VALU_DEP_1) | instskip(NEXT) | instid1(VALU_DEP_1)
	v_add_nc_u32_e32 v2, v5, v2
	v_lshrrev_b32_e32 v2, s6, v2
	s_delay_alu instid0(VALU_DEP_1) | instskip(NEXT) | instid1(VALU_DEP_1)
	v_mul_lo_u32 v2, v2, s4
	v_sub_nc_u32_e32 v2, v5, v2
	s_delay_alu instid0(VALU_DEP_1)
	v_mad_u32 v4, v2, s12, v4
	v_mad_u32 v18, v2, s13, v18
	v_mad_u32 v16, v2, s14, v16
	s_branch .LBB15_1600
.LBB15_1599:
	v_dual_mov_b32 v16, 0 :: v_dual_mov_b32 v18, 0
	s_wait_loadcnt 0x0
	v_mov_b32_e32 v4, 0
	s_and_not1_b32 vcc_lo, exec_lo, s4
	s_cbranch_vccz .LBB15_1597
.LBB15_1600:
	v_cmp_ne_u32_e32 vcc_lo, 1, v3
	v_add_nc_u32_e32 v0, 0x100, v0
	s_cbranch_vccnz .LBB15_1606
; %bb.1601:
	s_cmp_lg_u32 s26, 0
	s_mov_b32 s4, 0
	s_cbranch_scc0 .LBB15_1610
; %bb.1602:
	s_min_u32 s5, s27, 15
	s_wait_loadcnt 0x0
	v_dual_mov_b32 v2, 0 :: v_dual_mov_b32 v5, v0
	v_dual_mov_b32 v14, 0 :: v_dual_mov_b32 v12, 0
	s_add_co_i32 s6, s5, 1
	s_mov_b64 s[0:1], 0xffffffffffffffe8
	s_and_b32 s6, s6, 30
	s_add_nc_u64 s[0:1], s[2:3], s[0:1]
.LBB15_1603:                            ; =>This Inner Loop Header: Depth=1
	s_clause 0x1
	s_load_b128 s[12:15], s[0:1], 0x1c
	s_load_b64 s[10:11], s[0:1], 0x2c
	s_add_co_i32 s6, s6, -2
	s_delay_alu instid0(SALU_CYCLE_1) | instskip(SKIP_2) | instid1(VALU_DEP_1)
	s_cmp_lg_u32 s6, 0
	s_wait_kmcnt 0x0
	v_mul_hi_u32 v7, s13, v5
	v_add_nc_u32_e32 v7, v5, v7
	s_delay_alu instid0(VALU_DEP_1) | instskip(NEXT) | instid1(VALU_DEP_1)
	v_lshrrev_b32_e32 v7, s14, v7
	v_mul_hi_u32 v8, s10, v7
	v_mul_lo_u32 v9, v7, s12
	s_clause 0x1
	s_load_b128 s[16:19], s[0:1], 0xdc
	s_load_b64 s[12:13], s[0:1], 0xec
	s_wait_xcnt 0x0
	s_add_nc_u64 s[0:1], s[0:1], 24
	s_delay_alu instid0(VALU_DEP_1) | instskip(NEXT) | instid1(VALU_DEP_1)
	v_dual_add_nc_u32 v8, v7, v8 :: v_dual_sub_nc_u32 v9, v5, v9
	v_lshrrev_b32_e32 v5, s11, v8
	s_wait_kmcnt 0x0
	s_delay_alu instid0(VALU_DEP_2) | instskip(NEXT) | instid1(VALU_DEP_2)
	v_mad_u32 v2, v9, s16, v2
	v_mul_lo_u32 v8, v5, s15
	v_mad_u32 v10, v9, s18, v12
	v_mad_u32 v9, v9, s17, v14
	s_delay_alu instid0(VALU_DEP_3) | instskip(NEXT) | instid1(VALU_DEP_1)
	v_sub_nc_u32_e32 v7, v7, v8
	v_mad_u32 v2, v7, s19, v2
	s_delay_alu instid0(VALU_DEP_4) | instskip(NEXT) | instid1(VALU_DEP_4)
	v_mad_u32 v12, v7, s13, v10
	v_mad_u32 v14, v7, s12, v9
	s_cbranch_scc1 .LBB15_1603
; %bb.1604:
	s_bitcmp1_b32 s5, 0
	s_cselect_b32 s5, -1, 0
	s_delay_alu instid0(SALU_CYCLE_1)
	s_and_b32 vcc_lo, exec_lo, s5
	s_cbranch_vccnz .LBB15_1607
; %bb.1605:
	s_clause 0x1
	s_load_b96 s[12:14], s[0:1], 0x1c
	s_load_b96 s[16:18], s[0:1], 0xdc
	s_wait_kmcnt 0x0
	v_mul_hi_u32 v7, s13, v5
	s_delay_alu instid0(VALU_DEP_1) | instskip(NEXT) | instid1(VALU_DEP_1)
	v_add_nc_u32_e32 v7, v5, v7
	v_lshrrev_b32_e32 v7, s14, v7
	s_delay_alu instid0(VALU_DEP_1) | instskip(NEXT) | instid1(VALU_DEP_1)
	v_mul_lo_u32 v7, v7, s12
	v_sub_nc_u32_e32 v5, v5, v7
	s_delay_alu instid0(VALU_DEP_1)
	v_mad_u32 v2, v5, s16, v2
	v_mad_u32 v14, v5, s17, v14
	;; [unrolled: 1-line block ×3, first 2 shown]
	s_and_not1_b32 vcc_lo, exec_lo, s4
	s_cbranch_vccz .LBB15_1608
	s_branch .LBB15_1611
.LBB15_1606:
	s_mov_b32 s4, -1
                                        ; implicit-def: $vgpr12
                                        ; implicit-def: $vgpr14
                                        ; implicit-def: $vgpr2
.LBB15_1607:
	s_delay_alu instid0(SALU_CYCLE_1)
	s_and_not1_b32 vcc_lo, exec_lo, s4
	s_cbranch_vccnz .LBB15_1611
.LBB15_1608:
	s_clause 0x1
	s_load_b96 s[4:6], s[2:3], 0x4
	s_load_b96 s[12:14], s[2:3], 0xc4
	s_cmp_lt_u32 s26, 2
	s_wait_kmcnt 0x0
	v_mul_hi_u32 v2, s5, v0
	s_delay_alu instid0(VALU_DEP_1) | instskip(SKIP_1) | instid1(VALU_DEP_1)
	v_add_nc_u32_e32 v2, v0, v2
	s_wait_loadcnt 0x0
	v_lshrrev_b32_e32 v5, s6, v2
	s_delay_alu instid0(VALU_DEP_1) | instskip(NEXT) | instid1(VALU_DEP_1)
	v_mul_lo_u32 v2, v5, s4
	v_sub_nc_u32_e32 v0, v0, v2
	s_delay_alu instid0(VALU_DEP_1)
	v_mul_lo_u32 v2, v0, s12
	v_mul_lo_u32 v12, v0, s14
	;; [unrolled: 1-line block ×3, first 2 shown]
	s_cbranch_scc1 .LBB15_1611
; %bb.1609:
	s_clause 0x1
	s_load_b96 s[4:6], s[2:3], 0x10
	s_load_b96 s[12:14], s[2:3], 0xd0
	s_wait_kmcnt 0x0
	v_mul_hi_u32 v0, s5, v5
	s_delay_alu instid0(VALU_DEP_1) | instskip(NEXT) | instid1(VALU_DEP_1)
	v_add_nc_u32_e32 v0, v5, v0
	v_lshrrev_b32_e32 v0, s6, v0
	s_delay_alu instid0(VALU_DEP_1) | instskip(NEXT) | instid1(VALU_DEP_1)
	v_mul_lo_u32 v0, v0, s4
	v_sub_nc_u32_e32 v0, v5, v0
	s_delay_alu instid0(VALU_DEP_1)
	v_mad_u32 v2, v0, s12, v2
	v_mad_u32 v14, v0, s13, v14
	;; [unrolled: 1-line block ×3, first 2 shown]
	s_branch .LBB15_1611
.LBB15_1610:
	v_dual_mov_b32 v12, 0 :: v_dual_mov_b32 v14, 0
	v_mov_b32_e32 v2, 0
	s_and_not1_b32 vcc_lo, exec_lo, s4
	s_cbranch_vccz .LBB15_1608
.LBB15_1611:
	v_cmp_ne_u32_e32 vcc_lo, 1, v3
	s_cbranch_vccnz .LBB15_1617
; %bb.1612:
	s_cmp_lg_u32 s26, 0
	s_mov_b32 s4, 0
	s_cbranch_scc0 .LBB15_1621
; %bb.1613:
	s_min_u32 s5, s27, 15
	v_dual_mov_b32 v0, 0 :: v_dual_mov_b32 v3, v1
	s_wait_loadcnt 0x0
	v_dual_mov_b32 v10, 0 :: v_dual_mov_b32 v8, 0
	s_add_co_i32 s6, s5, 1
	s_mov_b64 s[0:1], 0xffffffffffffffe8
	s_and_b32 s6, s6, 30
	s_add_nc_u64 s[0:1], s[2:3], s[0:1]
.LBB15_1614:                            ; =>This Inner Loop Header: Depth=1
	s_clause 0x1
	s_load_b128 s[12:15], s[0:1], 0x1c
	s_load_b64 s[10:11], s[0:1], 0x2c
	s_add_co_i32 s6, s6, -2
	s_delay_alu instid0(SALU_CYCLE_1) | instskip(SKIP_2) | instid1(VALU_DEP_1)
	s_cmp_lg_u32 s6, 0
	s_wait_kmcnt 0x0
	v_mul_hi_u32 v5, s13, v3
	v_add_nc_u32_e32 v5, v3, v5
	s_delay_alu instid0(VALU_DEP_1) | instskip(NEXT) | instid1(VALU_DEP_1)
	v_lshrrev_b32_e32 v5, s14, v5
	v_mul_hi_u32 v7, s10, v5
	v_mul_lo_u32 v9, v5, s12
	s_clause 0x1
	s_load_b128 s[16:19], s[0:1], 0xdc
	s_load_b64 s[12:13], s[0:1], 0xec
	s_wait_xcnt 0x0
	s_add_nc_u64 s[0:1], s[0:1], 24
	s_delay_alu instid0(VALU_DEP_1) | instskip(NEXT) | instid1(VALU_DEP_1)
	v_dual_add_nc_u32 v7, v5, v7 :: v_dual_sub_nc_u32 v9, v3, v9
	v_lshrrev_b32_e32 v3, s11, v7
	s_wait_kmcnt 0x0
	s_delay_alu instid0(VALU_DEP_2) | instskip(NEXT) | instid1(VALU_DEP_2)
	v_mad_u32 v0, v9, s16, v0
	v_mul_lo_u32 v7, v3, s15
	v_mad_u32 v8, v9, s18, v8
	v_mad_u32 v9, v9, s17, v10
	s_delay_alu instid0(VALU_DEP_3) | instskip(NEXT) | instid1(VALU_DEP_1)
	v_sub_nc_u32_e32 v5, v5, v7
	v_mad_u32 v0, v5, s19, v0
	s_delay_alu instid0(VALU_DEP_4) | instskip(NEXT) | instid1(VALU_DEP_4)
	v_mad_u32 v8, v5, s13, v8
	v_mad_u32 v10, v5, s12, v9
	s_cbranch_scc1 .LBB15_1614
; %bb.1615:
	s_bitcmp1_b32 s5, 0
	s_cselect_b32 s5, -1, 0
	s_delay_alu instid0(SALU_CYCLE_1)
	s_and_b32 vcc_lo, exec_lo, s5
	s_cbranch_vccnz .LBB15_1618
; %bb.1616:
	s_clause 0x1
	s_load_b96 s[12:14], s[0:1], 0x1c
	s_load_b96 s[16:18], s[0:1], 0xdc
	s_wait_kmcnt 0x0
	v_mul_hi_u32 v5, s13, v3
	s_delay_alu instid0(VALU_DEP_1) | instskip(NEXT) | instid1(VALU_DEP_1)
	v_add_nc_u32_e32 v5, v3, v5
	v_lshrrev_b32_e32 v5, s14, v5
	s_delay_alu instid0(VALU_DEP_1) | instskip(NEXT) | instid1(VALU_DEP_1)
	v_mul_lo_u32 v5, v5, s12
	v_sub_nc_u32_e32 v3, v3, v5
	s_delay_alu instid0(VALU_DEP_1)
	v_mad_u32 v0, v3, s16, v0
	v_mad_u32 v10, v3, s17, v10
	;; [unrolled: 1-line block ×3, first 2 shown]
	s_and_not1_b32 vcc_lo, exec_lo, s4
	s_cbranch_vccz .LBB15_1619
	s_branch .LBB15_1622
.LBB15_1617:
	s_mov_b32 s4, -1
                                        ; implicit-def: $vgpr8
                                        ; implicit-def: $vgpr10
                                        ; implicit-def: $vgpr0
.LBB15_1618:
	s_delay_alu instid0(SALU_CYCLE_1)
	s_and_not1_b32 vcc_lo, exec_lo, s4
	s_cbranch_vccnz .LBB15_1622
.LBB15_1619:
	s_clause 0x1
	s_load_b96 s[4:6], s[2:3], 0x4
	s_load_b96 s[12:14], s[2:3], 0xc4
	s_cmp_lt_u32 s26, 2
	s_wait_kmcnt 0x0
	v_mul_hi_u32 v0, s5, v1
	s_delay_alu instid0(VALU_DEP_1) | instskip(NEXT) | instid1(VALU_DEP_1)
	v_add_nc_u32_e32 v0, v1, v0
	v_lshrrev_b32_e32 v3, s6, v0
	s_delay_alu instid0(VALU_DEP_1) | instskip(NEXT) | instid1(VALU_DEP_1)
	v_mul_lo_u32 v0, v3, s4
	v_sub_nc_u32_e32 v1, v1, v0
	s_delay_alu instid0(VALU_DEP_1)
	v_mul_lo_u32 v0, v1, s12
	s_wait_loadcnt 0x0
	v_mul_lo_u32 v8, v1, s14
	v_mul_lo_u32 v10, v1, s13
	s_cbranch_scc1 .LBB15_1622
; %bb.1620:
	s_clause 0x1
	s_load_b96 s[4:6], s[2:3], 0x10
	s_load_b96 s[12:14], s[2:3], 0xd0
	s_wait_kmcnt 0x0
	v_mul_hi_u32 v1, s5, v3
	s_delay_alu instid0(VALU_DEP_1) | instskip(NEXT) | instid1(VALU_DEP_1)
	v_add_nc_u32_e32 v1, v3, v1
	v_lshrrev_b32_e32 v1, s6, v1
	s_delay_alu instid0(VALU_DEP_1) | instskip(NEXT) | instid1(VALU_DEP_1)
	v_mul_lo_u32 v1, v1, s4
	v_sub_nc_u32_e32 v1, v3, v1
	s_delay_alu instid0(VALU_DEP_1)
	v_mad_u32 v0, v1, s12, v0
	v_mad_u32 v10, v1, s13, v10
	;; [unrolled: 1-line block ×3, first 2 shown]
	s_branch .LBB15_1622
.LBB15_1621:
	s_wait_loadcnt 0x0
	v_dual_mov_b32 v8, 0 :: v_dual_mov_b32 v10, 0
	v_mov_b32_e32 v0, 0
	s_and_not1_b32 vcc_lo, exec_lo, s4
	s_cbranch_vccz .LBB15_1619
.LBB15_1622:
	v_mov_b32_e32 v23, 0
	s_load_b128 s[4:7], s[2:3], 0x188
	global_load_u8 v1, v23, s[2:3] offset:418
	s_wait_kmcnt 0x0
	v_add_nc_u64_e32 v[24:25], s[6:7], v[22:23]
	s_wait_loadcnt 0x0
	v_and_b32_e32 v3, 0xffff, v1
	v_readfirstlane_b32 s11, v1
	s_delay_alu instid0(VALU_DEP_2)
	v_cmp_gt_i32_e32 vcc_lo, 11, v3
	s_cbranch_vccnz .LBB15_1629
; %bb.1623:
	s_and_b32 s0, 0xffff, s11
	s_mov_b32 s12, 0
	s_cmp_gt_i32 s0, 25
	s_cbranch_scc0 .LBB15_1631
; %bb.1624:
	s_cmp_gt_i32 s0, 28
	s_cbranch_scc0 .LBB15_1632
; %bb.1625:
	;; [unrolled: 3-line block ×4, first 2 shown]
	s_cmp_eq_u32 s0, 46
	s_mov_b32 s10, 0
	s_cbranch_scc0 .LBB15_1637
; %bb.1628:
	global_load_b32 v1, v[24:25], off
	s_mov_b32 s1, 0
	s_mov_b32 s13, -1
	s_wait_loadcnt 0x0
	v_lshlrev_b32_e32 v1, 16, v1
	s_delay_alu instid0(VALU_DEP_1)
	v_cvt_i32_f32_e32 v22, v1
	s_branch .LBB15_1639
.LBB15_1629:
	s_mov_b32 s13, 0
	s_mov_b32 s10, s8
                                        ; implicit-def: $vgpr22
	s_cbranch_execnz .LBB15_1697
.LBB15_1630:
	s_and_not1_b32 vcc_lo, exec_lo, s13
	s_cbranch_vccz .LBB15_1742
	s_branch .LBB15_2725
.LBB15_1631:
	s_mov_b32 s13, 0
	s_mov_b32 s1, 0
                                        ; implicit-def: $vgpr22
	s_cbranch_execnz .LBB15_1664
	s_branch .LBB15_1693
.LBB15_1632:
	s_mov_b32 s13, 0
	s_mov_b32 s1, 0
                                        ; implicit-def: $vgpr22
	s_cbranch_execz .LBB15_1663
	s_branch .LBB15_1648
.LBB15_1633:
	s_mov_b32 s13, 0
	s_mov_b32 s1, 0
                                        ; implicit-def: $vgpr22
	s_cbranch_execnz .LBB15_1644
	s_branch .LBB15_1647
.LBB15_1634:
	s_mov_b32 s10, -1
	s_mov_b32 s13, 0
	s_mov_b32 s1, 0
	s_branch .LBB15_1638
.LBB15_1635:
	s_and_not1_saveexec_b32 s9, s9
	s_cbranch_execz .LBB15_1490
.LBB15_1636:
	v_add_f32_e64 v3, 0x46000000, |v2|
	s_and_not1_b32 s8, s8, exec_lo
	s_delay_alu instid0(VALU_DEP_1) | instskip(NEXT) | instid1(VALU_DEP_1)
	v_and_b32_e32 v3, 0xff, v3
	v_cmp_ne_u32_e32 vcc_lo, 0, v3
	s_and_b32 s10, vcc_lo, exec_lo
	s_delay_alu instid0(SALU_CYCLE_1)
	s_or_b32 s8, s8, s10
	s_or_b32 exec_lo, exec_lo, s9
	v_mov_b32_e32 v4, 0
	s_and_saveexec_b32 s9, s8
	s_cbranch_execnz .LBB15_1491
	s_branch .LBB15_1492
.LBB15_1637:
	s_mov_b32 s1, -1
	s_mov_b32 s13, 0
.LBB15_1638:
                                        ; implicit-def: $vgpr22
.LBB15_1639:
	s_and_b32 vcc_lo, exec_lo, s10
	s_cbranch_vccz .LBB15_1642
; %bb.1640:
	s_cmp_eq_u32 s0, 44
	s_cbranch_scc0 .LBB15_1643
; %bb.1641:
	global_load_u8 v1, v[24:25], off
	s_mov_b32 s1, 0
	s_mov_b32 s13, -1
	s_wait_loadcnt 0x0
	v_lshlrev_b32_e32 v3, 23, v1
	v_cmp_ne_u32_e32 vcc_lo, 0, v1
	s_delay_alu instid0(VALU_DEP_2) | instskip(NEXT) | instid1(VALU_DEP_1)
	v_cvt_i32_f32_e32 v3, v3
	v_cndmask_b32_e32 v22, 0, v3, vcc_lo
.LBB15_1642:
	s_branch .LBB15_1647
.LBB15_1643:
	s_mov_b32 s1, -1
                                        ; implicit-def: $vgpr22
	s_branch .LBB15_1647
.LBB15_1644:
	s_cmp_eq_u32 s0, 29
	s_cbranch_scc0 .LBB15_1646
; %bb.1645:
	global_load_b64 v[22:23], v[24:25], off
	s_mov_b32 s1, 0
	s_mov_b32 s13, -1
	s_branch .LBB15_1647
.LBB15_1646:
	s_mov_b32 s1, -1
                                        ; implicit-def: $vgpr22
.LBB15_1647:
	s_branch .LBB15_1663
.LBB15_1648:
	s_cmp_lt_i32 s0, 27
	s_cbranch_scc1 .LBB15_1651
; %bb.1649:
	s_cmp_gt_i32 s0, 27
	s_cbranch_scc0 .LBB15_1652
; %bb.1650:
	s_wait_loadcnt 0x0
	global_load_b32 v22, v[24:25], off
	s_mov_b32 s10, 0
	s_branch .LBB15_1653
.LBB15_1651:
	s_mov_b32 s10, -1
                                        ; implicit-def: $vgpr22
	s_branch .LBB15_1656
.LBB15_1652:
	s_mov_b32 s10, -1
                                        ; implicit-def: $vgpr22
.LBB15_1653:
	s_delay_alu instid0(SALU_CYCLE_1)
	s_and_not1_b32 vcc_lo, exec_lo, s10
	s_cbranch_vccnz .LBB15_1655
; %bb.1654:
	s_wait_loadcnt 0x0
	global_load_u16 v22, v[24:25], off
.LBB15_1655:
	s_mov_b32 s10, 0
.LBB15_1656:
	s_delay_alu instid0(SALU_CYCLE_1)
	s_and_not1_b32 vcc_lo, exec_lo, s10
	s_cbranch_vccnz .LBB15_1662
; %bb.1657:
	global_load_u8 v1, v[24:25], off
	s_mov_b32 s13, 0
	s_mov_b32 s10, exec_lo
	s_wait_loadcnt 0x0
	v_cmpx_lt_i16_e32 0x7f, v1
	s_xor_b32 s10, exec_lo, s10
	s_cbranch_execz .LBB15_1673
; %bb.1658:
	v_cmp_ne_u16_e32 vcc_lo, 0x80, v1
	s_and_b32 s13, vcc_lo, exec_lo
	s_and_not1_saveexec_b32 s10, s10
	s_cbranch_execnz .LBB15_1674
.LBB15_1659:
	s_or_b32 exec_lo, exec_lo, s10
	v_mov_b32_e32 v22, 0
	s_and_saveexec_b32 s10, s13
	s_cbranch_execz .LBB15_1661
.LBB15_1660:
	v_and_b32_e32 v3, 0xffff, v1
	s_delay_alu instid0(VALU_DEP_1) | instskip(SKIP_1) | instid1(VALU_DEP_2)
	v_dual_lshlrev_b32 v1, 24, v1 :: v_dual_bitop2_b32 v5, 7, v3 bitop3:0x40
	v_bfe_u32 v11, v3, 3, 4
	v_and_b32_e32 v1, 0x80000000, v1
	s_delay_alu instid0(VALU_DEP_3) | instskip(NEXT) | instid1(VALU_DEP_3)
	v_clz_i32_u32_e32 v7, v5
	v_cmp_eq_u32_e32 vcc_lo, 0, v11
	s_delay_alu instid0(VALU_DEP_2) | instskip(NEXT) | instid1(VALU_DEP_1)
	v_min_u32_e32 v7, 32, v7
	v_subrev_nc_u32_e32 v9, 28, v7
	v_sub_nc_u32_e32 v7, 29, v7
	s_delay_alu instid0(VALU_DEP_2) | instskip(NEXT) | instid1(VALU_DEP_2)
	v_lshlrev_b32_e32 v3, v9, v3
	v_cndmask_b32_e32 v7, v11, v7, vcc_lo
	s_delay_alu instid0(VALU_DEP_2) | instskip(NEXT) | instid1(VALU_DEP_1)
	v_and_b32_e32 v3, 7, v3
	v_cndmask_b32_e32 v3, v5, v3, vcc_lo
	s_delay_alu instid0(VALU_DEP_3) | instskip(NEXT) | instid1(VALU_DEP_2)
	v_lshl_add_u32 v5, v7, 23, 0x3b800000
	v_lshlrev_b32_e32 v3, 20, v3
	s_delay_alu instid0(VALU_DEP_1) | instskip(NEXT) | instid1(VALU_DEP_1)
	v_or3_b32 v1, v1, v5, v3
	v_cvt_i32_f32_e32 v22, v1
.LBB15_1661:
	s_or_b32 exec_lo, exec_lo, s10
.LBB15_1662:
	s_mov_b32 s13, -1
.LBB15_1663:
	s_branch .LBB15_1693
.LBB15_1664:
	s_cmp_gt_i32 s0, 22
	s_cbranch_scc0 .LBB15_1672
; %bb.1665:
	s_cmp_lt_i32 s0, 24
	s_cbranch_scc1 .LBB15_1675
; %bb.1666:
	s_cmp_gt_i32 s0, 24
	s_cbranch_scc0 .LBB15_1676
; %bb.1667:
	global_load_u8 v1, v[24:25], off
	s_mov_b32 s10, exec_lo
	s_wait_loadcnt 0x0
	v_cmpx_lt_i16_e32 0x7f, v1
	s_xor_b32 s10, exec_lo, s10
	s_cbranch_execz .LBB15_1687
; %bb.1668:
	v_cmp_ne_u16_e32 vcc_lo, 0x80, v1
	s_and_b32 s12, vcc_lo, exec_lo
	s_and_not1_saveexec_b32 s10, s10
	s_cbranch_execnz .LBB15_1688
.LBB15_1669:
	s_or_b32 exec_lo, exec_lo, s10
	v_mov_b32_e32 v22, 0
	s_and_saveexec_b32 s10, s12
	s_cbranch_execz .LBB15_1671
.LBB15_1670:
	v_and_b32_e32 v3, 0xffff, v1
	s_delay_alu instid0(VALU_DEP_1) | instskip(SKIP_1) | instid1(VALU_DEP_2)
	v_dual_lshlrev_b32 v1, 24, v1 :: v_dual_bitop2_b32 v5, 3, v3 bitop3:0x40
	v_bfe_u32 v11, v3, 2, 5
	v_and_b32_e32 v1, 0x80000000, v1
	s_delay_alu instid0(VALU_DEP_3) | instskip(NEXT) | instid1(VALU_DEP_3)
	v_clz_i32_u32_e32 v7, v5
	v_cmp_eq_u32_e32 vcc_lo, 0, v11
	s_delay_alu instid0(VALU_DEP_2) | instskip(NEXT) | instid1(VALU_DEP_1)
	v_min_u32_e32 v7, 32, v7
	v_subrev_nc_u32_e32 v9, 29, v7
	v_sub_nc_u32_e32 v7, 30, v7
	s_delay_alu instid0(VALU_DEP_2) | instskip(NEXT) | instid1(VALU_DEP_2)
	v_lshlrev_b32_e32 v3, v9, v3
	v_cndmask_b32_e32 v7, v11, v7, vcc_lo
	s_delay_alu instid0(VALU_DEP_2) | instskip(NEXT) | instid1(VALU_DEP_1)
	v_and_b32_e32 v3, 3, v3
	v_cndmask_b32_e32 v3, v5, v3, vcc_lo
	s_delay_alu instid0(VALU_DEP_3) | instskip(NEXT) | instid1(VALU_DEP_2)
	v_lshl_add_u32 v5, v7, 23, 0x37800000
	v_lshlrev_b32_e32 v3, 21, v3
	s_delay_alu instid0(VALU_DEP_1) | instskip(NEXT) | instid1(VALU_DEP_1)
	v_or3_b32 v1, v1, v5, v3
	v_cvt_i32_f32_e32 v22, v1
.LBB15_1671:
	s_or_b32 exec_lo, exec_lo, s10
	s_mov_b32 s10, 0
	s_branch .LBB15_1677
.LBB15_1672:
                                        ; implicit-def: $vgpr22
	s_mov_b32 s12, 0
	s_branch .LBB15_1683
.LBB15_1673:
	s_and_not1_saveexec_b32 s10, s10
	s_cbranch_execz .LBB15_1659
.LBB15_1674:
	v_cmp_ne_u16_e32 vcc_lo, 0, v1
	s_and_not1_b32 s13, s13, exec_lo
	s_and_b32 s14, vcc_lo, exec_lo
	s_delay_alu instid0(SALU_CYCLE_1)
	s_or_b32 s13, s13, s14
	s_or_b32 exec_lo, exec_lo, s10
	v_mov_b32_e32 v22, 0
	s_and_saveexec_b32 s10, s13
	s_cbranch_execnz .LBB15_1660
	s_branch .LBB15_1661
.LBB15_1675:
	s_mov_b32 s10, -1
                                        ; implicit-def: $vgpr22
	s_branch .LBB15_1680
.LBB15_1676:
	s_mov_b32 s10, -1
                                        ; implicit-def: $vgpr22
.LBB15_1677:
	s_delay_alu instid0(SALU_CYCLE_1)
	s_and_b32 vcc_lo, exec_lo, s10
	s_cbranch_vccz .LBB15_1679
; %bb.1678:
	global_load_u8 v1, v[24:25], off
	s_wait_loadcnt 0x0
	v_lshlrev_b32_e32 v1, 24, v1
	s_delay_alu instid0(VALU_DEP_1) | instskip(NEXT) | instid1(VALU_DEP_1)
	v_and_b32_e32 v3, 0x7f000000, v1
	v_clz_i32_u32_e32 v5, v3
	v_add_nc_u32_e32 v9, 0x1000000, v3
	v_cmp_ne_u32_e32 vcc_lo, 0, v3
	s_delay_alu instid0(VALU_DEP_3) | instskip(NEXT) | instid1(VALU_DEP_1)
	v_min_u32_e32 v5, 32, v5
	v_sub_nc_u32_e64 v5, v5, 4 clamp
	s_delay_alu instid0(VALU_DEP_1) | instskip(NEXT) | instid1(VALU_DEP_1)
	v_dual_lshlrev_b32 v7, v5, v3 :: v_dual_lshlrev_b32 v5, 23, v5
	v_lshrrev_b32_e32 v7, 4, v7
	s_delay_alu instid0(VALU_DEP_1) | instskip(SKIP_1) | instid1(VALU_DEP_2)
	v_sub_nc_u32_e32 v5, v7, v5
	v_ashrrev_i32_e32 v7, 8, v9
	v_add_nc_u32_e32 v5, 0x3c000000, v5
	s_delay_alu instid0(VALU_DEP_1) | instskip(NEXT) | instid1(VALU_DEP_1)
	v_and_or_b32 v5, 0x7f800000, v7, v5
	v_cndmask_b32_e32 v3, 0, v5, vcc_lo
	s_delay_alu instid0(VALU_DEP_1) | instskip(NEXT) | instid1(VALU_DEP_1)
	v_and_or_b32 v1, 0x80000000, v1, v3
	v_cvt_i32_f32_e32 v22, v1
.LBB15_1679:
	s_mov_b32 s10, 0
.LBB15_1680:
	s_delay_alu instid0(SALU_CYCLE_1)
	s_and_not1_b32 vcc_lo, exec_lo, s10
	s_cbranch_vccnz .LBB15_1682
; %bb.1681:
	global_load_u8 v1, v[24:25], off
	s_wait_loadcnt 0x0
	v_lshlrev_b32_e32 v3, 25, v1
	v_lshlrev_b16 v1, 8, v1
	s_delay_alu instid0(VALU_DEP_1) | instskip(SKIP_1) | instid1(VALU_DEP_2)
	v_and_or_b32 v7, 0x7f00, v1, 0.5
	v_bfe_i32 v1, v1, 0, 16
	v_add_f32_e32 v7, -0.5, v7
	v_lshrrev_b32_e32 v5, 4, v3
	v_cmp_gt_u32_e32 vcc_lo, 0x8000000, v3
	s_delay_alu instid0(VALU_DEP_2) | instskip(NEXT) | instid1(VALU_DEP_1)
	v_or_b32_e32 v5, 0x70000000, v5
	v_mul_f32_e32 v5, 0x7800000, v5
	s_delay_alu instid0(VALU_DEP_1) | instskip(NEXT) | instid1(VALU_DEP_1)
	v_cndmask_b32_e32 v3, v5, v7, vcc_lo
	v_and_or_b32 v1, 0x80000000, v1, v3
	s_delay_alu instid0(VALU_DEP_1)
	v_cvt_i32_f32_e32 v22, v1
.LBB15_1682:
	s_mov_b32 s13, -1
	s_mov_b32 s12, 0
	s_cbranch_execnz .LBB15_1693
.LBB15_1683:
	s_cmp_gt_i32 s0, 14
	s_cbranch_scc0 .LBB15_1686
; %bb.1684:
	s_cmp_eq_u32 s0, 15
	s_cbranch_scc0 .LBB15_1689
; %bb.1685:
	global_load_u16 v1, v[24:25], off
	s_mov_b32 s1, 0
	s_mov_b32 s13, -1
	s_wait_loadcnt 0x0
	v_lshlrev_b32_e32 v1, 16, v1
	s_delay_alu instid0(VALU_DEP_1)
	v_cvt_i32_f32_e32 v22, v1
	s_branch .LBB15_1690
.LBB15_1686:
	s_mov_b32 s10, -1
                                        ; implicit-def: $vgpr22
	s_branch .LBB15_1691
.LBB15_1687:
	s_and_not1_saveexec_b32 s10, s10
	s_cbranch_execz .LBB15_1669
.LBB15_1688:
	v_cmp_ne_u16_e32 vcc_lo, 0, v1
	s_and_not1_b32 s12, s12, exec_lo
	s_and_b32 s13, vcc_lo, exec_lo
	s_delay_alu instid0(SALU_CYCLE_1)
	s_or_b32 s12, s12, s13
	s_or_b32 exec_lo, exec_lo, s10
	v_mov_b32_e32 v22, 0
	s_and_saveexec_b32 s10, s12
	s_cbranch_execnz .LBB15_1670
	s_branch .LBB15_1671
.LBB15_1689:
	s_mov_b32 s1, -1
                                        ; implicit-def: $vgpr22
.LBB15_1690:
	s_mov_b32 s10, 0
.LBB15_1691:
	s_delay_alu instid0(SALU_CYCLE_1)
	s_and_b32 vcc_lo, exec_lo, s10
	s_cbranch_vccz .LBB15_1693
; %bb.1692:
	s_cmp_lg_u32 s0, 11
	s_mov_b32 s12, -1
	s_cselect_b32 s1, -1, 0
.LBB15_1693:
	s_delay_alu instid0(SALU_CYCLE_1)
	s_and_b32 vcc_lo, exec_lo, s1
	s_mov_b32 s10, s8
	s_cbranch_vccnz .LBB15_1754
; %bb.1694:
	s_and_not1_b32 vcc_lo, exec_lo, s12
	s_cbranch_vccnz .LBB15_1696
.LBB15_1695:
	global_load_u8 v1, v[24:25], off
	s_mov_b32 s13, -1
	s_wait_loadcnt 0x0
	v_cmp_ne_u16_e32 vcc_lo, 0, v1
	v_cndmask_b32_e64 v22, 0, 1, vcc_lo
.LBB15_1696:
	s_branch .LBB15_1630
.LBB15_1697:
	s_and_b32 s0, 0xffff, s11
	s_delay_alu instid0(SALU_CYCLE_1)
	s_cmp_lt_i32 s0, 5
	s_cbranch_scc1 .LBB15_1702
; %bb.1698:
	s_cmp_lt_i32 s0, 8
	s_cbranch_scc1 .LBB15_1703
; %bb.1699:
	;; [unrolled: 3-line block ×3, first 2 shown]
	s_cmp_gt_i32 s0, 9
	s_cbranch_scc0 .LBB15_1705
; %bb.1701:
	s_wait_loadcnt 0x0
	global_load_b64 v[22:23], v[24:25], off
	s_mov_b32 s1, 0
	s_wait_loadcnt 0x0
	v_cvt_i32_f64_e32 v22, v[22:23]
	s_branch .LBB15_1706
.LBB15_1702:
                                        ; implicit-def: $vgpr22
	s_branch .LBB15_1723
.LBB15_1703:
                                        ; implicit-def: $vgpr22
	s_branch .LBB15_1712
.LBB15_1704:
	s_mov_b32 s1, -1
                                        ; implicit-def: $vgpr22
	s_branch .LBB15_1709
.LBB15_1705:
	s_mov_b32 s1, -1
                                        ; implicit-def: $vgpr22
.LBB15_1706:
	s_delay_alu instid0(SALU_CYCLE_1)
	s_and_not1_b32 vcc_lo, exec_lo, s1
	s_cbranch_vccnz .LBB15_1708
; %bb.1707:
	global_load_b32 v1, v[24:25], off
	s_wait_loadcnt 0x0
	v_cvt_i32_f32_e32 v22, v1
.LBB15_1708:
	s_mov_b32 s1, 0
.LBB15_1709:
	s_delay_alu instid0(SALU_CYCLE_1)
	s_and_not1_b32 vcc_lo, exec_lo, s1
	s_cbranch_vccnz .LBB15_1711
; %bb.1710:
	global_load_b32 v1, v[24:25], off
	s_wait_loadcnt 0x0
	v_cvt_i16_f16_e32 v22, v1
.LBB15_1711:
	s_cbranch_execnz .LBB15_1722
.LBB15_1712:
	s_cmp_lt_i32 s0, 6
	s_cbranch_scc1 .LBB15_1715
; %bb.1713:
	s_cmp_gt_i32 s0, 6
	s_cbranch_scc0 .LBB15_1716
; %bb.1714:
	s_wait_loadcnt 0x0
	global_load_b64 v[22:23], v[24:25], off
	s_mov_b32 s1, 0
	s_wait_loadcnt 0x0
	v_cvt_i32_f64_e32 v22, v[22:23]
	s_branch .LBB15_1717
.LBB15_1715:
	s_mov_b32 s1, -1
                                        ; implicit-def: $vgpr22
	s_branch .LBB15_1720
.LBB15_1716:
	s_mov_b32 s1, -1
                                        ; implicit-def: $vgpr22
.LBB15_1717:
	s_delay_alu instid0(SALU_CYCLE_1)
	s_and_not1_b32 vcc_lo, exec_lo, s1
	s_cbranch_vccnz .LBB15_1719
; %bb.1718:
	global_load_b32 v1, v[24:25], off
	s_wait_loadcnt 0x0
	v_cvt_i32_f32_e32 v22, v1
.LBB15_1719:
	s_mov_b32 s1, 0
.LBB15_1720:
	s_delay_alu instid0(SALU_CYCLE_1)
	s_and_not1_b32 vcc_lo, exec_lo, s1
	s_cbranch_vccnz .LBB15_1722
; %bb.1721:
	global_load_u16 v1, v[24:25], off
	s_wait_loadcnt 0x0
	v_cvt_i16_f16_e32 v22, v1
.LBB15_1722:
	s_cbranch_execnz .LBB15_1741
.LBB15_1723:
	s_cmp_lt_i32 s0, 2
	s_cbranch_scc1 .LBB15_1727
; %bb.1724:
	s_cmp_lt_i32 s0, 3
	s_cbranch_scc1 .LBB15_1728
; %bb.1725:
	s_cmp_gt_i32 s0, 3
	s_cbranch_scc0 .LBB15_1729
; %bb.1726:
	s_wait_loadcnt 0x0
	global_load_b64 v[22:23], v[24:25], off
	s_mov_b32 s1, 0
	s_branch .LBB15_1730
.LBB15_1727:
                                        ; implicit-def: $vgpr22
	s_branch .LBB15_1736
.LBB15_1728:
	s_mov_b32 s1, -1
                                        ; implicit-def: $vgpr22
	s_branch .LBB15_1733
.LBB15_1729:
	s_mov_b32 s1, -1
                                        ; implicit-def: $vgpr22
.LBB15_1730:
	s_delay_alu instid0(SALU_CYCLE_1)
	s_and_not1_b32 vcc_lo, exec_lo, s1
	s_cbranch_vccnz .LBB15_1732
; %bb.1731:
	s_wait_loadcnt 0x0
	global_load_b32 v22, v[24:25], off
.LBB15_1732:
	s_mov_b32 s1, 0
.LBB15_1733:
	s_delay_alu instid0(SALU_CYCLE_1)
	s_and_not1_b32 vcc_lo, exec_lo, s1
	s_cbranch_vccnz .LBB15_1735
; %bb.1734:
	s_wait_loadcnt 0x0
	global_load_u16 v22, v[24:25], off
.LBB15_1735:
	s_cbranch_execnz .LBB15_1741
.LBB15_1736:
	s_cmp_gt_i32 s0, 0
	s_mov_b32 s0, 0
	s_cbranch_scc0 .LBB15_1738
; %bb.1737:
	s_wait_loadcnt 0x0
	global_load_u8 v22, v[24:25], off
	s_branch .LBB15_1739
.LBB15_1738:
	s_mov_b32 s0, -1
                                        ; implicit-def: $vgpr22
.LBB15_1739:
	s_delay_alu instid0(SALU_CYCLE_1)
	s_and_not1_b32 vcc_lo, exec_lo, s0
	s_cbranch_vccnz .LBB15_1741
; %bb.1740:
	s_wait_loadcnt 0x0
	global_load_u8 v22, v[24:25], off
.LBB15_1741:
.LBB15_1742:
	v_mov_b32_e32 v21, 0
	s_load_b64 s[0:1], s[2:3], 0x198
	global_load_u8 v1, v21, s[2:3] offset:419
	s_wait_kmcnt 0x0
	v_add_nc_u64_e32 v[20:21], s[0:1], v[20:21]
	s_wait_loadcnt 0x0
	v_and_b32_e32 v3, 0xffff, v1
	v_readfirstlane_b32 s12, v1
	s_delay_alu instid0(VALU_DEP_2)
	v_cmp_gt_i32_e32 vcc_lo, 11, v3
	s_cbranch_vccnz .LBB15_1749
; %bb.1743:
	s_and_b32 s13, 0xffff, s12
	s_mov_b32 s15, 0
	s_cmp_gt_i32 s13, 25
	s_cbranch_scc0 .LBB15_1751
; %bb.1744:
	s_cmp_gt_i32 s13, 28
	s_cbranch_scc0 .LBB15_1752
; %bb.1745:
	;; [unrolled: 3-line block ×4, first 2 shown]
	s_cmp_eq_u32 s13, 46
	s_mov_b32 s17, 0
	s_cbranch_scc0 .LBB15_1758
; %bb.1748:
	global_load_b32 v1, v[20:21], off
	s_mov_b32 s14, 0
	s_mov_b32 s16, -1
	s_wait_loadcnt 0x0
	v_lshlrev_b32_e32 v1, 16, v1
	s_delay_alu instid0(VALU_DEP_1)
	v_cvt_i32_f32_e32 v24, v1
	s_branch .LBB15_1760
.LBB15_1749:
	s_mov_b32 s16, 0
                                        ; implicit-def: $vgpr24
	s_cbranch_execnz .LBB15_1821
.LBB15_1750:
	s_and_not1_b32 vcc_lo, exec_lo, s16
	s_cbranch_vccnz .LBB15_2725
	s_branch .LBB15_1868
.LBB15_1751:
	s_mov_b32 s16, 0
	s_mov_b32 s14, 0
                                        ; implicit-def: $vgpr24
	s_cbranch_execnz .LBB15_1787
	s_branch .LBB15_1817
.LBB15_1752:
	s_mov_b32 s17, -1
	s_mov_b32 s16, 0
	s_mov_b32 s14, 0
                                        ; implicit-def: $vgpr24
	s_branch .LBB15_1770
.LBB15_1753:
	s_mov_b32 s17, -1
	s_mov_b32 s16, 0
	s_mov_b32 s14, 0
                                        ; implicit-def: $vgpr24
	s_branch .LBB15_1765
.LBB15_1754:
	s_or_b32 s10, s8, exec_lo
	s_trap 2
	s_cbranch_execz .LBB15_1695
	s_branch .LBB15_1696
.LBB15_1755:
	s_mov_b32 s17, -1
	s_mov_b32 s16, 0
	s_mov_b32 s14, 0
	s_branch .LBB15_1759
.LBB15_1756:
	s_and_not1_saveexec_b32 s10, s10
	s_cbranch_execz .LBB15_1502
.LBB15_1757:
	v_add_f32_e64 v3, 0x42800000, |v2|
	s_and_not1_b32 s9, s9, exec_lo
	s_delay_alu instid0(VALU_DEP_1) | instskip(NEXT) | instid1(VALU_DEP_1)
	v_and_b32_e32 v3, 0xff, v3
	v_cmp_ne_u32_e32 vcc_lo, 0, v3
	s_and_b32 s11, vcc_lo, exec_lo
	s_delay_alu instid0(SALU_CYCLE_1)
	s_or_b32 s9, s9, s11
	s_or_b32 exec_lo, exec_lo, s10
	v_mov_b32_e32 v4, 0
	s_and_saveexec_b32 s10, s9
	s_cbranch_execnz .LBB15_1503
	s_branch .LBB15_1504
.LBB15_1758:
	s_mov_b32 s14, -1
	s_mov_b32 s16, 0
.LBB15_1759:
                                        ; implicit-def: $vgpr24
.LBB15_1760:
	s_and_b32 vcc_lo, exec_lo, s17
	s_cbranch_vccz .LBB15_1764
; %bb.1761:
	s_cmp_eq_u32 s13, 44
	s_cbranch_scc0 .LBB15_1763
; %bb.1762:
	global_load_u8 v1, v[20:21], off
	s_mov_b32 s14, 0
	s_mov_b32 s16, -1
	s_wait_loadcnt 0x0
	v_lshlrev_b32_e32 v3, 23, v1
	v_cmp_ne_u32_e32 vcc_lo, 0, v1
	s_delay_alu instid0(VALU_DEP_2) | instskip(NEXT) | instid1(VALU_DEP_1)
	v_cvt_i32_f32_e32 v3, v3
	v_cndmask_b32_e32 v24, 0, v3, vcc_lo
	s_branch .LBB15_1764
.LBB15_1763:
	s_mov_b32 s14, -1
                                        ; implicit-def: $vgpr24
.LBB15_1764:
	s_mov_b32 s17, 0
.LBB15_1765:
	s_delay_alu instid0(SALU_CYCLE_1)
	s_and_b32 vcc_lo, exec_lo, s17
	s_cbranch_vccz .LBB15_1769
; %bb.1766:
	s_cmp_eq_u32 s13, 29
	s_cbranch_scc0 .LBB15_1768
; %bb.1767:
	global_load_b64 v[24:25], v[20:21], off
	s_mov_b32 s14, 0
	s_mov_b32 s16, -1
	s_branch .LBB15_1769
.LBB15_1768:
	s_mov_b32 s14, -1
                                        ; implicit-def: $vgpr24
.LBB15_1769:
	s_mov_b32 s17, 0
.LBB15_1770:
	s_delay_alu instid0(SALU_CYCLE_1)
	s_and_b32 vcc_lo, exec_lo, s17
	s_cbranch_vccz .LBB15_1786
; %bb.1771:
	s_cmp_lt_i32 s13, 27
	s_cbranch_scc1 .LBB15_1774
; %bb.1772:
	s_cmp_gt_i32 s13, 27
	s_cbranch_scc0 .LBB15_1775
; %bb.1773:
	s_wait_loadcnt 0x0
	global_load_b32 v24, v[20:21], off
	s_mov_b32 s16, 0
	s_branch .LBB15_1776
.LBB15_1774:
	s_mov_b32 s16, -1
                                        ; implicit-def: $vgpr24
	s_branch .LBB15_1779
.LBB15_1775:
	s_mov_b32 s16, -1
                                        ; implicit-def: $vgpr24
.LBB15_1776:
	s_delay_alu instid0(SALU_CYCLE_1)
	s_and_not1_b32 vcc_lo, exec_lo, s16
	s_cbranch_vccnz .LBB15_1778
; %bb.1777:
	s_wait_loadcnt 0x0
	global_load_u16 v24, v[20:21], off
.LBB15_1778:
	s_mov_b32 s16, 0
.LBB15_1779:
	s_delay_alu instid0(SALU_CYCLE_1)
	s_and_not1_b32 vcc_lo, exec_lo, s16
	s_cbranch_vccnz .LBB15_1785
; %bb.1780:
	global_load_u8 v1, v[20:21], off
	s_mov_b32 s17, 0
	s_mov_b32 s16, exec_lo
	s_wait_loadcnt 0x0
	v_cmpx_lt_i16_e32 0x7f, v1
	s_xor_b32 s16, exec_lo, s16
	s_cbranch_execz .LBB15_1796
; %bb.1781:
	v_cmp_ne_u16_e32 vcc_lo, 0x80, v1
	s_and_b32 s17, vcc_lo, exec_lo
	s_and_not1_saveexec_b32 s16, s16
	s_cbranch_execnz .LBB15_1797
.LBB15_1782:
	s_or_b32 exec_lo, exec_lo, s16
	v_mov_b32_e32 v24, 0
	s_and_saveexec_b32 s16, s17
	s_cbranch_execz .LBB15_1784
.LBB15_1783:
	v_and_b32_e32 v3, 0xffff, v1
	s_delay_alu instid0(VALU_DEP_1) | instskip(SKIP_1) | instid1(VALU_DEP_2)
	v_dual_lshlrev_b32 v1, 24, v1 :: v_dual_bitop2_b32 v5, 7, v3 bitop3:0x40
	v_bfe_u32 v11, v3, 3, 4
	v_and_b32_e32 v1, 0x80000000, v1
	s_delay_alu instid0(VALU_DEP_3) | instskip(NEXT) | instid1(VALU_DEP_3)
	v_clz_i32_u32_e32 v7, v5
	v_cmp_eq_u32_e32 vcc_lo, 0, v11
	s_delay_alu instid0(VALU_DEP_2) | instskip(NEXT) | instid1(VALU_DEP_1)
	v_min_u32_e32 v7, 32, v7
	v_subrev_nc_u32_e32 v9, 28, v7
	v_sub_nc_u32_e32 v7, 29, v7
	s_delay_alu instid0(VALU_DEP_2) | instskip(NEXT) | instid1(VALU_DEP_2)
	v_lshlrev_b32_e32 v3, v9, v3
	v_cndmask_b32_e32 v7, v11, v7, vcc_lo
	s_delay_alu instid0(VALU_DEP_2) | instskip(NEXT) | instid1(VALU_DEP_1)
	v_and_b32_e32 v3, 7, v3
	v_cndmask_b32_e32 v3, v5, v3, vcc_lo
	s_delay_alu instid0(VALU_DEP_3) | instskip(NEXT) | instid1(VALU_DEP_2)
	v_lshl_add_u32 v5, v7, 23, 0x3b800000
	v_lshlrev_b32_e32 v3, 20, v3
	s_delay_alu instid0(VALU_DEP_1) | instskip(NEXT) | instid1(VALU_DEP_1)
	v_or3_b32 v1, v1, v5, v3
	v_cvt_i32_f32_e32 v24, v1
.LBB15_1784:
	s_or_b32 exec_lo, exec_lo, s16
.LBB15_1785:
	s_mov_b32 s16, -1
.LBB15_1786:
	s_branch .LBB15_1817
.LBB15_1787:
	s_cmp_gt_i32 s13, 22
	s_cbranch_scc0 .LBB15_1795
; %bb.1788:
	s_cmp_lt_i32 s13, 24
	s_cbranch_scc1 .LBB15_1798
; %bb.1789:
	s_cmp_gt_i32 s13, 24
	s_cbranch_scc0 .LBB15_1799
; %bb.1790:
	global_load_u8 v1, v[20:21], off
	s_mov_b32 s16, 0
	s_mov_b32 s15, exec_lo
	s_wait_loadcnt 0x0
	v_cmpx_lt_i16_e32 0x7f, v1
	s_xor_b32 s15, exec_lo, s15
	s_cbranch_execz .LBB15_1811
; %bb.1791:
	v_cmp_ne_u16_e32 vcc_lo, 0x80, v1
	s_and_b32 s16, vcc_lo, exec_lo
	s_and_not1_saveexec_b32 s15, s15
	s_cbranch_execnz .LBB15_1812
.LBB15_1792:
	s_or_b32 exec_lo, exec_lo, s15
	v_mov_b32_e32 v24, 0
	s_and_saveexec_b32 s15, s16
	s_cbranch_execz .LBB15_1794
.LBB15_1793:
	v_and_b32_e32 v3, 0xffff, v1
	s_delay_alu instid0(VALU_DEP_1) | instskip(SKIP_1) | instid1(VALU_DEP_2)
	v_dual_lshlrev_b32 v1, 24, v1 :: v_dual_bitop2_b32 v5, 3, v3 bitop3:0x40
	v_bfe_u32 v11, v3, 2, 5
	v_and_b32_e32 v1, 0x80000000, v1
	s_delay_alu instid0(VALU_DEP_3) | instskip(NEXT) | instid1(VALU_DEP_3)
	v_clz_i32_u32_e32 v7, v5
	v_cmp_eq_u32_e32 vcc_lo, 0, v11
	s_delay_alu instid0(VALU_DEP_2) | instskip(NEXT) | instid1(VALU_DEP_1)
	v_min_u32_e32 v7, 32, v7
	v_subrev_nc_u32_e32 v9, 29, v7
	v_sub_nc_u32_e32 v7, 30, v7
	s_delay_alu instid0(VALU_DEP_2) | instskip(NEXT) | instid1(VALU_DEP_2)
	v_lshlrev_b32_e32 v3, v9, v3
	v_cndmask_b32_e32 v7, v11, v7, vcc_lo
	s_delay_alu instid0(VALU_DEP_2) | instskip(NEXT) | instid1(VALU_DEP_1)
	v_and_b32_e32 v3, 3, v3
	v_cndmask_b32_e32 v3, v5, v3, vcc_lo
	s_delay_alu instid0(VALU_DEP_3) | instskip(NEXT) | instid1(VALU_DEP_2)
	v_lshl_add_u32 v5, v7, 23, 0x37800000
	v_lshlrev_b32_e32 v3, 21, v3
	s_delay_alu instid0(VALU_DEP_1) | instskip(NEXT) | instid1(VALU_DEP_1)
	v_or3_b32 v1, v1, v5, v3
	v_cvt_i32_f32_e32 v24, v1
.LBB15_1794:
	s_or_b32 exec_lo, exec_lo, s15
	s_mov_b32 s15, 0
	s_branch .LBB15_1800
.LBB15_1795:
	s_mov_b32 s15, -1
                                        ; implicit-def: $vgpr24
	s_branch .LBB15_1806
.LBB15_1796:
	s_and_not1_saveexec_b32 s16, s16
	s_cbranch_execz .LBB15_1782
.LBB15_1797:
	v_cmp_ne_u16_e32 vcc_lo, 0, v1
	s_and_not1_b32 s17, s17, exec_lo
	s_and_b32 s18, vcc_lo, exec_lo
	s_delay_alu instid0(SALU_CYCLE_1)
	s_or_b32 s17, s17, s18
	s_or_b32 exec_lo, exec_lo, s16
	v_mov_b32_e32 v24, 0
	s_and_saveexec_b32 s16, s17
	s_cbranch_execnz .LBB15_1783
	s_branch .LBB15_1784
.LBB15_1798:
	s_mov_b32 s15, -1
                                        ; implicit-def: $vgpr24
	s_branch .LBB15_1803
.LBB15_1799:
	s_mov_b32 s15, -1
                                        ; implicit-def: $vgpr24
.LBB15_1800:
	s_delay_alu instid0(SALU_CYCLE_1)
	s_and_b32 vcc_lo, exec_lo, s15
	s_cbranch_vccz .LBB15_1802
; %bb.1801:
	global_load_u8 v1, v[20:21], off
	s_wait_loadcnt 0x0
	v_lshlrev_b32_e32 v1, 24, v1
	s_delay_alu instid0(VALU_DEP_1) | instskip(NEXT) | instid1(VALU_DEP_1)
	v_and_b32_e32 v3, 0x7f000000, v1
	v_clz_i32_u32_e32 v5, v3
	v_add_nc_u32_e32 v9, 0x1000000, v3
	v_cmp_ne_u32_e32 vcc_lo, 0, v3
	s_delay_alu instid0(VALU_DEP_3) | instskip(NEXT) | instid1(VALU_DEP_1)
	v_min_u32_e32 v5, 32, v5
	v_sub_nc_u32_e64 v5, v5, 4 clamp
	s_delay_alu instid0(VALU_DEP_1) | instskip(NEXT) | instid1(VALU_DEP_1)
	v_dual_lshlrev_b32 v7, v5, v3 :: v_dual_lshlrev_b32 v5, 23, v5
	v_lshrrev_b32_e32 v7, 4, v7
	s_delay_alu instid0(VALU_DEP_1) | instskip(SKIP_1) | instid1(VALU_DEP_2)
	v_sub_nc_u32_e32 v5, v7, v5
	v_ashrrev_i32_e32 v7, 8, v9
	v_add_nc_u32_e32 v5, 0x3c000000, v5
	s_delay_alu instid0(VALU_DEP_1) | instskip(NEXT) | instid1(VALU_DEP_1)
	v_and_or_b32 v5, 0x7f800000, v7, v5
	v_cndmask_b32_e32 v3, 0, v5, vcc_lo
	s_delay_alu instid0(VALU_DEP_1) | instskip(NEXT) | instid1(VALU_DEP_1)
	v_and_or_b32 v1, 0x80000000, v1, v3
	v_cvt_i32_f32_e32 v24, v1
.LBB15_1802:
	s_mov_b32 s15, 0
.LBB15_1803:
	s_delay_alu instid0(SALU_CYCLE_1)
	s_and_not1_b32 vcc_lo, exec_lo, s15
	s_cbranch_vccnz .LBB15_1805
; %bb.1804:
	global_load_u8 v1, v[20:21], off
	s_wait_loadcnt 0x0
	v_lshlrev_b32_e32 v3, 25, v1
	v_lshlrev_b16 v1, 8, v1
	s_delay_alu instid0(VALU_DEP_1) | instskip(SKIP_1) | instid1(VALU_DEP_2)
	v_and_or_b32 v7, 0x7f00, v1, 0.5
	v_bfe_i32 v1, v1, 0, 16
	v_add_f32_e32 v7, -0.5, v7
	v_lshrrev_b32_e32 v5, 4, v3
	v_cmp_gt_u32_e32 vcc_lo, 0x8000000, v3
	s_delay_alu instid0(VALU_DEP_2) | instskip(NEXT) | instid1(VALU_DEP_1)
	v_or_b32_e32 v5, 0x70000000, v5
	v_mul_f32_e32 v5, 0x7800000, v5
	s_delay_alu instid0(VALU_DEP_1) | instskip(NEXT) | instid1(VALU_DEP_1)
	v_cndmask_b32_e32 v3, v5, v7, vcc_lo
	v_and_or_b32 v1, 0x80000000, v1, v3
	s_delay_alu instid0(VALU_DEP_1)
	v_cvt_i32_f32_e32 v24, v1
.LBB15_1805:
	s_mov_b32 s15, 0
	s_mov_b32 s16, -1
.LBB15_1806:
	s_and_not1_b32 vcc_lo, exec_lo, s15
	s_mov_b32 s15, 0
	s_cbranch_vccnz .LBB15_1817
; %bb.1807:
	s_cmp_gt_i32 s13, 14
	s_cbranch_scc0 .LBB15_1810
; %bb.1808:
	s_cmp_eq_u32 s13, 15
	s_cbranch_scc0 .LBB15_1813
; %bb.1809:
	global_load_u16 v1, v[20:21], off
	s_mov_b32 s14, 0
	s_mov_b32 s16, -1
	s_wait_loadcnt 0x0
	v_lshlrev_b32_e32 v1, 16, v1
	s_delay_alu instid0(VALU_DEP_1)
	v_cvt_i32_f32_e32 v24, v1
	s_branch .LBB15_1815
.LBB15_1810:
	s_mov_b32 s15, -1
	s_branch .LBB15_1814
.LBB15_1811:
	s_and_not1_saveexec_b32 s15, s15
	s_cbranch_execz .LBB15_1792
.LBB15_1812:
	v_cmp_ne_u16_e32 vcc_lo, 0, v1
	s_and_not1_b32 s16, s16, exec_lo
	s_and_b32 s17, vcc_lo, exec_lo
	s_delay_alu instid0(SALU_CYCLE_1)
	s_or_b32 s16, s16, s17
	s_or_b32 exec_lo, exec_lo, s15
	v_mov_b32_e32 v24, 0
	s_and_saveexec_b32 s15, s16
	s_cbranch_execnz .LBB15_1793
	s_branch .LBB15_1794
.LBB15_1813:
	s_mov_b32 s14, -1
.LBB15_1814:
                                        ; implicit-def: $vgpr24
.LBB15_1815:
	s_and_b32 vcc_lo, exec_lo, s15
	s_mov_b32 s15, 0
	s_cbranch_vccz .LBB15_1817
; %bb.1816:
	s_cmp_lg_u32 s13, 11
	s_mov_b32 s15, -1
	s_cselect_b32 s14, -1, 0
.LBB15_1817:
	s_delay_alu instid0(SALU_CYCLE_1)
	s_and_b32 vcc_lo, exec_lo, s14
	s_cbranch_vccnz .LBB15_1884
; %bb.1818:
	s_and_not1_b32 vcc_lo, exec_lo, s15
	s_cbranch_vccnz .LBB15_1820
.LBB15_1819:
	global_load_u8 v1, v[20:21], off
	s_mov_b32 s16, -1
	s_wait_loadcnt 0x0
	v_cmp_ne_u16_e32 vcc_lo, 0, v1
	v_cndmask_b32_e64 v24, 0, 1, vcc_lo
.LBB15_1820:
	s_branch .LBB15_1750
.LBB15_1821:
	s_and_b32 s13, 0xffff, s12
	s_delay_alu instid0(SALU_CYCLE_1)
	s_cmp_lt_i32 s13, 5
	s_cbranch_scc1 .LBB15_1826
; %bb.1822:
	s_cmp_lt_i32 s13, 8
	s_cbranch_scc1 .LBB15_1827
; %bb.1823:
	;; [unrolled: 3-line block ×3, first 2 shown]
	s_cmp_gt_i32 s13, 9
	s_cbranch_scc0 .LBB15_1829
; %bb.1825:
	s_wait_loadcnt 0x0
	global_load_b64 v[24:25], v[20:21], off
	s_mov_b32 s14, 0
	s_wait_loadcnt 0x0
	v_cvt_i32_f64_e32 v24, v[24:25]
	s_branch .LBB15_1830
.LBB15_1826:
                                        ; implicit-def: $vgpr24
	s_branch .LBB15_1848
.LBB15_1827:
	s_mov_b32 s14, -1
                                        ; implicit-def: $vgpr24
	s_branch .LBB15_1836
.LBB15_1828:
	s_mov_b32 s14, -1
                                        ; implicit-def: $vgpr24
	s_branch .LBB15_1833
.LBB15_1829:
	s_mov_b32 s14, -1
                                        ; implicit-def: $vgpr24
.LBB15_1830:
	s_delay_alu instid0(SALU_CYCLE_1)
	s_and_not1_b32 vcc_lo, exec_lo, s14
	s_cbranch_vccnz .LBB15_1832
; %bb.1831:
	global_load_b32 v1, v[20:21], off
	s_wait_loadcnt 0x0
	v_cvt_i32_f32_e32 v24, v1
.LBB15_1832:
	s_mov_b32 s14, 0
.LBB15_1833:
	s_delay_alu instid0(SALU_CYCLE_1)
	s_and_not1_b32 vcc_lo, exec_lo, s14
	s_cbranch_vccnz .LBB15_1835
; %bb.1834:
	global_load_b32 v1, v[20:21], off
	s_wait_loadcnt 0x0
	v_cvt_i16_f16_e32 v24, v1
.LBB15_1835:
	s_mov_b32 s14, 0
.LBB15_1836:
	s_delay_alu instid0(SALU_CYCLE_1)
	s_and_not1_b32 vcc_lo, exec_lo, s14
	s_cbranch_vccnz .LBB15_1847
; %bb.1837:
	s_cmp_lt_i32 s13, 6
	s_cbranch_scc1 .LBB15_1840
; %bb.1838:
	s_cmp_gt_i32 s13, 6
	s_cbranch_scc0 .LBB15_1841
; %bb.1839:
	s_wait_loadcnt 0x0
	global_load_b64 v[24:25], v[20:21], off
	s_mov_b32 s14, 0
	s_wait_loadcnt 0x0
	v_cvt_i32_f64_e32 v24, v[24:25]
	s_branch .LBB15_1842
.LBB15_1840:
	s_mov_b32 s14, -1
                                        ; implicit-def: $vgpr24
	s_branch .LBB15_1845
.LBB15_1841:
	s_mov_b32 s14, -1
                                        ; implicit-def: $vgpr24
.LBB15_1842:
	s_delay_alu instid0(SALU_CYCLE_1)
	s_and_not1_b32 vcc_lo, exec_lo, s14
	s_cbranch_vccnz .LBB15_1844
; %bb.1843:
	global_load_b32 v1, v[20:21], off
	s_wait_loadcnt 0x0
	v_cvt_i32_f32_e32 v24, v1
.LBB15_1844:
	s_mov_b32 s14, 0
.LBB15_1845:
	s_delay_alu instid0(SALU_CYCLE_1)
	s_and_not1_b32 vcc_lo, exec_lo, s14
	s_cbranch_vccnz .LBB15_1847
; %bb.1846:
	global_load_u16 v1, v[20:21], off
	s_wait_loadcnt 0x0
	v_cvt_i16_f16_e32 v24, v1
.LBB15_1847:
	s_cbranch_execnz .LBB15_1867
.LBB15_1848:
	s_cmp_lt_i32 s13, 2
	s_cbranch_scc1 .LBB15_1852
; %bb.1849:
	s_cmp_lt_i32 s13, 3
	s_cbranch_scc1 .LBB15_1853
; %bb.1850:
	s_cmp_gt_i32 s13, 3
	s_cbranch_scc0 .LBB15_1854
; %bb.1851:
	s_wait_loadcnt 0x0
	global_load_b64 v[24:25], v[20:21], off
	s_mov_b32 s14, 0
	s_branch .LBB15_1855
.LBB15_1852:
	s_mov_b32 s14, -1
                                        ; implicit-def: $vgpr24
	s_branch .LBB15_1861
.LBB15_1853:
	s_mov_b32 s14, -1
                                        ; implicit-def: $vgpr24
	s_branch .LBB15_1858
.LBB15_1854:
	s_mov_b32 s14, -1
                                        ; implicit-def: $vgpr24
.LBB15_1855:
	s_delay_alu instid0(SALU_CYCLE_1)
	s_and_not1_b32 vcc_lo, exec_lo, s14
	s_cbranch_vccnz .LBB15_1857
; %bb.1856:
	s_wait_loadcnt 0x0
	global_load_b32 v24, v[20:21], off
.LBB15_1857:
	s_mov_b32 s14, 0
.LBB15_1858:
	s_delay_alu instid0(SALU_CYCLE_1)
	s_and_not1_b32 vcc_lo, exec_lo, s14
	s_cbranch_vccnz .LBB15_1860
; %bb.1859:
	s_wait_loadcnt 0x0
	global_load_u16 v24, v[20:21], off
.LBB15_1860:
	s_mov_b32 s14, 0
.LBB15_1861:
	s_delay_alu instid0(SALU_CYCLE_1)
	s_and_not1_b32 vcc_lo, exec_lo, s14
	s_cbranch_vccnz .LBB15_1867
; %bb.1862:
	s_cmp_gt_i32 s13, 0
	s_mov_b32 s13, 0
	s_cbranch_scc0 .LBB15_1864
; %bb.1863:
	s_wait_loadcnt 0x0
	global_load_u8 v24, v[20:21], off
	s_branch .LBB15_1865
.LBB15_1864:
	s_mov_b32 s13, -1
                                        ; implicit-def: $vgpr24
.LBB15_1865:
	s_delay_alu instid0(SALU_CYCLE_1)
	s_and_not1_b32 vcc_lo, exec_lo, s13
	s_cbranch_vccnz .LBB15_1867
; %bb.1866:
	s_wait_loadcnt 0x0
	global_load_u8 v24, v[20:21], off
.LBB15_1867:
.LBB15_1868:
	s_wait_loadcnt 0x0
	s_delay_alu instid0(VALU_DEP_1) | instskip(SKIP_3) | instid1(VALU_DEP_2)
	v_bfe_i32 v1, v24, 0, 8
	v_and_b32_e32 v5, 0xff, v22
	s_mov_b32 s14, 0
	s_mov_b32 s13, exec_lo
	v_sub_nc_u16 v3, 0, v1
	s_delay_alu instid0(VALU_DEP_1)
	v_max_i16 v1, v1, v3
	s_wait_xcnt 0x0
	v_cmpx_ne_u16_e32 0, v5
	s_cbranch_execz .LBB15_1872
; %bb.1869:
	v_bfe_i32 v3, v22, 0, 8
	s_delay_alu instid0(VALU_DEP_1) | instskip(NEXT) | instid1(VALU_DEP_1)
	v_sub_nc_u16 v5, 0, v3
	v_max_i16 v5, v3, v5
	v_and_b32_e32 v3, 0xff, v1
	s_delay_alu instid0(VALU_DEP_2)
	v_and_b32_e32 v5, 0xffff, v5
.LBB15_1870:                            ; =>This Inner Loop Header: Depth=1
	s_delay_alu instid0(VALU_DEP_1) | instskip(NEXT) | instid1(VALU_DEP_3)
	v_mov_b32_e32 v1, v5
	v_bfe_i32 v9, v3, 0, 8
	s_delay_alu instid0(VALU_DEP_2) | instskip(NEXT) | instid1(VALU_DEP_2)
	v_bfe_i32 v5, v1, 0, 8
	v_cvt_f32_i32_e32 v13, v9
	s_delay_alu instid0(VALU_DEP_2) | instskip(SKIP_1) | instid1(VALU_DEP_2)
	v_cvt_f32_i32_e32 v7, v5
	v_xor_b32_e32 v5, v9, v5
	v_rcp_iflag_f32_e32 v11, v7
	v_nop
	s_delay_alu instid0(TRANS32_DEP_1) | instskip(NEXT) | instid1(VALU_DEP_1)
	v_mul_f32_e32 v9, v13, v11
	v_trunc_f32_e32 v9, v9
	s_delay_alu instid0(VALU_DEP_1) | instskip(SKIP_1) | instid1(VALU_DEP_2)
	v_dual_fma_f32 v11, -v9, v7, v13 :: v_dual_ashrrev_i32 v5, 30, v5
	v_cvt_i32_f32_e32 v9, v9
	v_cmp_ge_f32_e64 vcc_lo, |v11|, |v7|
	s_delay_alu instid0(VALU_DEP_3) | instskip(NEXT) | instid1(VALU_DEP_1)
	v_or_b32_e32 v5, 1, v5
	v_cndmask_b32_e32 v5, 0, v5, vcc_lo
	s_delay_alu instid0(VALU_DEP_1) | instskip(NEXT) | instid1(VALU_DEP_1)
	v_add_nc_u32_e32 v5, v9, v5
	v_mul_lo_u32 v5, v5, v1
	s_delay_alu instid0(VALU_DEP_1) | instskip(NEXT) | instid1(VALU_DEP_1)
	v_sub_nc_u32_e32 v3, v3, v5
	v_bfe_i32 v5, v3, 0, 8
	v_mov_b32_e32 v3, v1
	s_delay_alu instid0(VALU_DEP_2) | instskip(SKIP_2) | instid1(SALU_CYCLE_1)
	v_cmp_eq_u16_e32 vcc_lo, 0, v5
	v_and_b32_e32 v5, 0xffff, v5
	s_or_b32 s14, vcc_lo, s14
	s_and_not1_b32 exec_lo, exec_lo, s14
	s_cbranch_execnz .LBB15_1870
; %bb.1871:
	s_or_b32 exec_lo, exec_lo, s14
.LBB15_1872:
	s_delay_alu instid0(SALU_CYCLE_1) | instskip(SKIP_2) | instid1(SALU_CYCLE_1)
	s_or_b32 exec_lo, exec_lo, s13
	v_mov_b32_e32 v19, 0
	s_and_b32 s11, 0xffff, s11
	s_cmp_lt_i32 s11, 11
	s_delay_alu instid0(VALU_DEP_1)
	v_add_nc_u64_e32 v[20:21], s[6:7], v[18:19]
	s_cbranch_scc1 .LBB15_1879
; %bb.1873:
	s_cmp_gt_i32 s11, 25
	s_mov_b32 s14, 0
	s_cbranch_scc0 .LBB15_1881
; %bb.1874:
	s_cmp_gt_i32 s11, 28
	s_cbranch_scc0 .LBB15_1882
; %bb.1875:
	s_cmp_gt_i32 s11, 43
	;; [unrolled: 3-line block ×3, first 2 shown]
	s_cbranch_scc0 .LBB15_1885
; %bb.1877:
	s_cmp_eq_u32 s11, 46
	s_mov_b32 s16, 0
	s_cbranch_scc0 .LBB15_1886
; %bb.1878:
	global_load_b32 v3, v[20:21], off
	s_mov_b32 s13, 0
	s_mov_b32 s15, -1
	s_wait_loadcnt 0x0
	v_lshlrev_b32_e32 v3, 16, v3
	s_delay_alu instid0(VALU_DEP_1)
	v_cvt_i32_f32_e32 v18, v3
	s_branch .LBB15_1888
.LBB15_1879:
	s_mov_b32 s15, 0
                                        ; implicit-def: $vgpr18
	s_cbranch_execnz .LBB15_1950
.LBB15_1880:
	s_and_not1_b32 vcc_lo, exec_lo, s15
	s_cbranch_vccnz .LBB15_2725
	s_branch .LBB15_1998
.LBB15_1881:
	s_mov_b32 s16, -1
	s_mov_b32 s15, 0
	s_mov_b32 s13, 0
                                        ; implicit-def: $vgpr18
	s_branch .LBB15_1915
.LBB15_1882:
	s_mov_b32 s16, -1
	s_mov_b32 s15, 0
	s_mov_b32 s13, 0
                                        ; implicit-def: $vgpr18
	s_branch .LBB15_1898
.LBB15_1883:
	s_mov_b32 s16, -1
	s_mov_b32 s15, 0
	s_mov_b32 s13, 0
                                        ; implicit-def: $vgpr18
	s_branch .LBB15_1893
.LBB15_1884:
	s_or_b32 s10, s10, exec_lo
	s_trap 2
	s_cbranch_execz .LBB15_1819
	s_branch .LBB15_1820
.LBB15_1885:
	s_mov_b32 s16, -1
	s_mov_b32 s15, 0
	s_mov_b32 s13, 0
	s_branch .LBB15_1887
.LBB15_1886:
	s_mov_b32 s13, -1
	s_mov_b32 s15, 0
.LBB15_1887:
                                        ; implicit-def: $vgpr18
.LBB15_1888:
	s_and_b32 vcc_lo, exec_lo, s16
	s_cbranch_vccz .LBB15_1892
; %bb.1889:
	s_cmp_eq_u32 s11, 44
	s_cbranch_scc0 .LBB15_1891
; %bb.1890:
	global_load_u8 v3, v[20:21], off
	s_mov_b32 s13, 0
	s_mov_b32 s15, -1
	s_wait_loadcnt 0x0
	v_lshlrev_b32_e32 v5, 23, v3
	v_cmp_ne_u32_e32 vcc_lo, 0, v3
	s_delay_alu instid0(VALU_DEP_2) | instskip(NEXT) | instid1(VALU_DEP_1)
	v_cvt_i32_f32_e32 v5, v5
	v_cndmask_b32_e32 v18, 0, v5, vcc_lo
	s_branch .LBB15_1892
.LBB15_1891:
	s_mov_b32 s13, -1
                                        ; implicit-def: $vgpr18
.LBB15_1892:
	s_mov_b32 s16, 0
.LBB15_1893:
	s_delay_alu instid0(SALU_CYCLE_1)
	s_and_b32 vcc_lo, exec_lo, s16
	s_cbranch_vccz .LBB15_1897
; %bb.1894:
	s_cmp_eq_u32 s11, 29
	s_cbranch_scc0 .LBB15_1896
; %bb.1895:
	global_load_b64 v[18:19], v[20:21], off
	s_mov_b32 s13, 0
	s_mov_b32 s15, -1
	s_branch .LBB15_1897
.LBB15_1896:
	s_mov_b32 s13, -1
                                        ; implicit-def: $vgpr18
.LBB15_1897:
	s_mov_b32 s16, 0
.LBB15_1898:
	s_delay_alu instid0(SALU_CYCLE_1)
	s_and_b32 vcc_lo, exec_lo, s16
	s_cbranch_vccz .LBB15_1914
; %bb.1899:
	s_cmp_lt_i32 s11, 27
	s_cbranch_scc1 .LBB15_1902
; %bb.1900:
	s_cmp_gt_i32 s11, 27
	s_cbranch_scc0 .LBB15_1903
; %bb.1901:
	s_wait_loadcnt 0x0
	global_load_b32 v18, v[20:21], off
	s_mov_b32 s15, 0
	s_branch .LBB15_1904
.LBB15_1902:
	s_mov_b32 s15, -1
                                        ; implicit-def: $vgpr18
	s_branch .LBB15_1907
.LBB15_1903:
	s_mov_b32 s15, -1
                                        ; implicit-def: $vgpr18
.LBB15_1904:
	s_delay_alu instid0(SALU_CYCLE_1)
	s_and_not1_b32 vcc_lo, exec_lo, s15
	s_cbranch_vccnz .LBB15_1906
; %bb.1905:
	s_wait_loadcnt 0x0
	global_load_u16 v18, v[20:21], off
.LBB15_1906:
	s_mov_b32 s15, 0
.LBB15_1907:
	s_delay_alu instid0(SALU_CYCLE_1)
	s_and_not1_b32 vcc_lo, exec_lo, s15
	s_cbranch_vccnz .LBB15_1913
; %bb.1908:
	global_load_u8 v3, v[20:21], off
	s_mov_b32 s16, 0
	s_mov_b32 s15, exec_lo
	s_wait_loadcnt 0x0
	v_cmpx_lt_i16_e32 0x7f, v3
	s_xor_b32 s15, exec_lo, s15
	s_cbranch_execz .LBB15_1925
; %bb.1909:
	v_cmp_ne_u16_e32 vcc_lo, 0x80, v3
	s_and_b32 s16, vcc_lo, exec_lo
	s_and_not1_saveexec_b32 s15, s15
	s_cbranch_execnz .LBB15_1926
.LBB15_1910:
	s_or_b32 exec_lo, exec_lo, s15
	v_mov_b32_e32 v18, 0
	s_and_saveexec_b32 s15, s16
	s_cbranch_execz .LBB15_1912
.LBB15_1911:
	v_and_b32_e32 v5, 0xffff, v3
	s_delay_alu instid0(VALU_DEP_1) | instskip(SKIP_1) | instid1(VALU_DEP_2)
	v_dual_lshlrev_b32 v3, 24, v3 :: v_dual_bitop2_b32 v7, 7, v5 bitop3:0x40
	v_bfe_u32 v13, v5, 3, 4
	v_and_b32_e32 v3, 0x80000000, v3
	s_delay_alu instid0(VALU_DEP_3) | instskip(NEXT) | instid1(VALU_DEP_3)
	v_clz_i32_u32_e32 v9, v7
	v_cmp_eq_u32_e32 vcc_lo, 0, v13
	s_delay_alu instid0(VALU_DEP_2) | instskip(NEXT) | instid1(VALU_DEP_1)
	v_min_u32_e32 v9, 32, v9
	v_subrev_nc_u32_e32 v11, 28, v9
	v_sub_nc_u32_e32 v9, 29, v9
	s_delay_alu instid0(VALU_DEP_2) | instskip(NEXT) | instid1(VALU_DEP_2)
	v_lshlrev_b32_e32 v5, v11, v5
	v_cndmask_b32_e32 v9, v13, v9, vcc_lo
	s_delay_alu instid0(VALU_DEP_2) | instskip(NEXT) | instid1(VALU_DEP_1)
	v_and_b32_e32 v5, 7, v5
	v_cndmask_b32_e32 v5, v7, v5, vcc_lo
	s_delay_alu instid0(VALU_DEP_3) | instskip(NEXT) | instid1(VALU_DEP_2)
	v_lshl_add_u32 v7, v9, 23, 0x3b800000
	v_lshlrev_b32_e32 v5, 20, v5
	s_delay_alu instid0(VALU_DEP_1) | instskip(NEXT) | instid1(VALU_DEP_1)
	v_or3_b32 v3, v3, v7, v5
	v_cvt_i32_f32_e32 v18, v3
.LBB15_1912:
	s_or_b32 exec_lo, exec_lo, s15
.LBB15_1913:
	s_mov_b32 s15, -1
.LBB15_1914:
	s_mov_b32 s16, 0
.LBB15_1915:
	s_delay_alu instid0(SALU_CYCLE_1)
	s_and_b32 vcc_lo, exec_lo, s16
	s_cbranch_vccz .LBB15_1946
; %bb.1916:
	s_cmp_gt_i32 s11, 22
	s_cbranch_scc0 .LBB15_1924
; %bb.1917:
	s_cmp_lt_i32 s11, 24
	s_cbranch_scc1 .LBB15_1927
; %bb.1918:
	s_cmp_gt_i32 s11, 24
	s_cbranch_scc0 .LBB15_1928
; %bb.1919:
	global_load_u8 v3, v[20:21], off
	s_mov_b32 s15, 0
	s_mov_b32 s14, exec_lo
	s_wait_loadcnt 0x0
	v_cmpx_lt_i16_e32 0x7f, v3
	s_xor_b32 s14, exec_lo, s14
	s_cbranch_execz .LBB15_1940
; %bb.1920:
	v_cmp_ne_u16_e32 vcc_lo, 0x80, v3
	s_and_b32 s15, vcc_lo, exec_lo
	s_and_not1_saveexec_b32 s14, s14
	s_cbranch_execnz .LBB15_1941
.LBB15_1921:
	s_or_b32 exec_lo, exec_lo, s14
	v_mov_b32_e32 v18, 0
	s_and_saveexec_b32 s14, s15
	s_cbranch_execz .LBB15_1923
.LBB15_1922:
	v_and_b32_e32 v5, 0xffff, v3
	s_delay_alu instid0(VALU_DEP_1) | instskip(SKIP_1) | instid1(VALU_DEP_2)
	v_dual_lshlrev_b32 v3, 24, v3 :: v_dual_bitop2_b32 v7, 3, v5 bitop3:0x40
	v_bfe_u32 v13, v5, 2, 5
	v_and_b32_e32 v3, 0x80000000, v3
	s_delay_alu instid0(VALU_DEP_3) | instskip(NEXT) | instid1(VALU_DEP_3)
	v_clz_i32_u32_e32 v9, v7
	v_cmp_eq_u32_e32 vcc_lo, 0, v13
	s_delay_alu instid0(VALU_DEP_2) | instskip(NEXT) | instid1(VALU_DEP_1)
	v_min_u32_e32 v9, 32, v9
	v_subrev_nc_u32_e32 v11, 29, v9
	v_sub_nc_u32_e32 v9, 30, v9
	s_delay_alu instid0(VALU_DEP_2) | instskip(NEXT) | instid1(VALU_DEP_2)
	v_lshlrev_b32_e32 v5, v11, v5
	v_cndmask_b32_e32 v9, v13, v9, vcc_lo
	s_delay_alu instid0(VALU_DEP_2) | instskip(NEXT) | instid1(VALU_DEP_1)
	v_and_b32_e32 v5, 3, v5
	v_cndmask_b32_e32 v5, v7, v5, vcc_lo
	s_delay_alu instid0(VALU_DEP_3) | instskip(NEXT) | instid1(VALU_DEP_2)
	v_lshl_add_u32 v7, v9, 23, 0x37800000
	v_lshlrev_b32_e32 v5, 21, v5
	s_delay_alu instid0(VALU_DEP_1) | instskip(NEXT) | instid1(VALU_DEP_1)
	v_or3_b32 v3, v3, v7, v5
	v_cvt_i32_f32_e32 v18, v3
.LBB15_1923:
	s_or_b32 exec_lo, exec_lo, s14
	s_mov_b32 s14, 0
	s_branch .LBB15_1929
.LBB15_1924:
	s_mov_b32 s14, -1
                                        ; implicit-def: $vgpr18
	s_branch .LBB15_1935
.LBB15_1925:
	s_and_not1_saveexec_b32 s15, s15
	s_cbranch_execz .LBB15_1910
.LBB15_1926:
	v_cmp_ne_u16_e32 vcc_lo, 0, v3
	s_and_not1_b32 s16, s16, exec_lo
	s_and_b32 s17, vcc_lo, exec_lo
	s_delay_alu instid0(SALU_CYCLE_1)
	s_or_b32 s16, s16, s17
	s_or_b32 exec_lo, exec_lo, s15
	v_mov_b32_e32 v18, 0
	s_and_saveexec_b32 s15, s16
	s_cbranch_execnz .LBB15_1911
	s_branch .LBB15_1912
.LBB15_1927:
	s_mov_b32 s14, -1
                                        ; implicit-def: $vgpr18
	s_branch .LBB15_1932
.LBB15_1928:
	s_mov_b32 s14, -1
                                        ; implicit-def: $vgpr18
.LBB15_1929:
	s_delay_alu instid0(SALU_CYCLE_1)
	s_and_b32 vcc_lo, exec_lo, s14
	s_cbranch_vccz .LBB15_1931
; %bb.1930:
	global_load_u8 v3, v[20:21], off
	s_wait_loadcnt 0x0
	v_lshlrev_b32_e32 v3, 24, v3
	s_delay_alu instid0(VALU_DEP_1) | instskip(NEXT) | instid1(VALU_DEP_1)
	v_and_b32_e32 v5, 0x7f000000, v3
	v_clz_i32_u32_e32 v7, v5
	v_add_nc_u32_e32 v11, 0x1000000, v5
	v_cmp_ne_u32_e32 vcc_lo, 0, v5
	s_delay_alu instid0(VALU_DEP_3) | instskip(NEXT) | instid1(VALU_DEP_1)
	v_min_u32_e32 v7, 32, v7
	v_sub_nc_u32_e64 v7, v7, 4 clamp
	s_delay_alu instid0(VALU_DEP_1) | instskip(NEXT) | instid1(VALU_DEP_1)
	v_dual_lshlrev_b32 v9, v7, v5 :: v_dual_lshlrev_b32 v7, 23, v7
	v_lshrrev_b32_e32 v9, 4, v9
	s_delay_alu instid0(VALU_DEP_1) | instskip(SKIP_1) | instid1(VALU_DEP_2)
	v_sub_nc_u32_e32 v7, v9, v7
	v_ashrrev_i32_e32 v9, 8, v11
	v_add_nc_u32_e32 v7, 0x3c000000, v7
	s_delay_alu instid0(VALU_DEP_1) | instskip(NEXT) | instid1(VALU_DEP_1)
	v_and_or_b32 v7, 0x7f800000, v9, v7
	v_cndmask_b32_e32 v5, 0, v7, vcc_lo
	s_delay_alu instid0(VALU_DEP_1) | instskip(NEXT) | instid1(VALU_DEP_1)
	v_and_or_b32 v3, 0x80000000, v3, v5
	v_cvt_i32_f32_e32 v18, v3
.LBB15_1931:
	s_mov_b32 s14, 0
.LBB15_1932:
	s_delay_alu instid0(SALU_CYCLE_1)
	s_and_not1_b32 vcc_lo, exec_lo, s14
	s_cbranch_vccnz .LBB15_1934
; %bb.1933:
	global_load_u8 v3, v[20:21], off
	s_wait_loadcnt 0x0
	v_lshlrev_b32_e32 v5, 25, v3
	v_lshlrev_b16 v3, 8, v3
	s_delay_alu instid0(VALU_DEP_1) | instskip(SKIP_1) | instid1(VALU_DEP_2)
	v_and_or_b32 v9, 0x7f00, v3, 0.5
	v_bfe_i32 v3, v3, 0, 16
	v_add_f32_e32 v9, -0.5, v9
	v_lshrrev_b32_e32 v7, 4, v5
	v_cmp_gt_u32_e32 vcc_lo, 0x8000000, v5
	s_delay_alu instid0(VALU_DEP_2) | instskip(NEXT) | instid1(VALU_DEP_1)
	v_or_b32_e32 v7, 0x70000000, v7
	v_mul_f32_e32 v7, 0x7800000, v7
	s_delay_alu instid0(VALU_DEP_1) | instskip(NEXT) | instid1(VALU_DEP_1)
	v_cndmask_b32_e32 v5, v7, v9, vcc_lo
	v_and_or_b32 v3, 0x80000000, v3, v5
	s_delay_alu instid0(VALU_DEP_1)
	v_cvt_i32_f32_e32 v18, v3
.LBB15_1934:
	s_mov_b32 s14, 0
	s_mov_b32 s15, -1
.LBB15_1935:
	s_and_not1_b32 vcc_lo, exec_lo, s14
	s_mov_b32 s14, 0
	s_cbranch_vccnz .LBB15_1946
; %bb.1936:
	s_cmp_gt_i32 s11, 14
	s_cbranch_scc0 .LBB15_1939
; %bb.1937:
	s_cmp_eq_u32 s11, 15
	s_cbranch_scc0 .LBB15_1942
; %bb.1938:
	global_load_u16 v3, v[20:21], off
	s_mov_b32 s13, 0
	s_mov_b32 s15, -1
	s_wait_loadcnt 0x0
	v_lshlrev_b32_e32 v3, 16, v3
	s_delay_alu instid0(VALU_DEP_1)
	v_cvt_i32_f32_e32 v18, v3
	s_branch .LBB15_1944
.LBB15_1939:
	s_mov_b32 s14, -1
	s_branch .LBB15_1943
.LBB15_1940:
	s_and_not1_saveexec_b32 s14, s14
	s_cbranch_execz .LBB15_1921
.LBB15_1941:
	v_cmp_ne_u16_e32 vcc_lo, 0, v3
	s_and_not1_b32 s15, s15, exec_lo
	s_and_b32 s16, vcc_lo, exec_lo
	s_delay_alu instid0(SALU_CYCLE_1)
	s_or_b32 s15, s15, s16
	s_or_b32 exec_lo, exec_lo, s14
	v_mov_b32_e32 v18, 0
	s_and_saveexec_b32 s14, s15
	s_cbranch_execnz .LBB15_1922
	s_branch .LBB15_1923
.LBB15_1942:
	s_mov_b32 s13, -1
.LBB15_1943:
                                        ; implicit-def: $vgpr18
.LBB15_1944:
	s_and_b32 vcc_lo, exec_lo, s14
	s_mov_b32 s14, 0
	s_cbranch_vccz .LBB15_1946
; %bb.1945:
	s_cmp_lg_u32 s11, 11
	s_mov_b32 s14, -1
	s_cselect_b32 s13, -1, 0
.LBB15_1946:
	s_delay_alu instid0(SALU_CYCLE_1)
	s_and_b32 vcc_lo, exec_lo, s13
	s_cbranch_vccnz .LBB15_2009
; %bb.1947:
	s_and_not1_b32 vcc_lo, exec_lo, s14
	s_cbranch_vccnz .LBB15_1949
.LBB15_1948:
	global_load_u8 v3, v[20:21], off
	s_mov_b32 s15, -1
	s_wait_loadcnt 0x0
	v_cmp_ne_u16_e32 vcc_lo, 0, v3
	v_cndmask_b32_e64 v18, 0, 1, vcc_lo
.LBB15_1949:
	s_branch .LBB15_1880
.LBB15_1950:
	s_cmp_lt_i32 s11, 5
	s_cbranch_scc1 .LBB15_1955
; %bb.1951:
	s_cmp_lt_i32 s11, 8
	s_cbranch_scc1 .LBB15_1956
; %bb.1952:
	;; [unrolled: 3-line block ×3, first 2 shown]
	s_cmp_gt_i32 s11, 9
	s_cbranch_scc0 .LBB15_1958
; %bb.1954:
	s_wait_loadcnt 0x0
	global_load_b64 v[18:19], v[20:21], off
	s_mov_b32 s13, 0
	s_wait_loadcnt 0x0
	v_cvt_i32_f64_e32 v18, v[18:19]
	s_branch .LBB15_1959
.LBB15_1955:
	s_mov_b32 s13, -1
                                        ; implicit-def: $vgpr18
	s_branch .LBB15_1977
.LBB15_1956:
	s_mov_b32 s13, -1
                                        ; implicit-def: $vgpr18
	s_branch .LBB15_1965
.LBB15_1957:
	s_mov_b32 s13, -1
                                        ; implicit-def: $vgpr18
	s_branch .LBB15_1962
.LBB15_1958:
	s_mov_b32 s13, -1
                                        ; implicit-def: $vgpr18
.LBB15_1959:
	s_delay_alu instid0(SALU_CYCLE_1)
	s_and_not1_b32 vcc_lo, exec_lo, s13
	s_cbranch_vccnz .LBB15_1961
; %bb.1960:
	global_load_b32 v3, v[20:21], off
	s_wait_loadcnt 0x0
	v_cvt_i32_f32_e32 v18, v3
.LBB15_1961:
	s_mov_b32 s13, 0
.LBB15_1962:
	s_delay_alu instid0(SALU_CYCLE_1)
	s_and_not1_b32 vcc_lo, exec_lo, s13
	s_cbranch_vccnz .LBB15_1964
; %bb.1963:
	global_load_b32 v3, v[20:21], off
	s_wait_loadcnt 0x0
	v_cvt_i16_f16_e32 v18, v3
.LBB15_1964:
	s_mov_b32 s13, 0
.LBB15_1965:
	s_delay_alu instid0(SALU_CYCLE_1)
	s_and_not1_b32 vcc_lo, exec_lo, s13
	s_cbranch_vccnz .LBB15_1976
; %bb.1966:
	s_cmp_lt_i32 s11, 6
	s_cbranch_scc1 .LBB15_1969
; %bb.1967:
	s_cmp_gt_i32 s11, 6
	s_cbranch_scc0 .LBB15_1970
; %bb.1968:
	s_wait_loadcnt 0x0
	global_load_b64 v[18:19], v[20:21], off
	s_mov_b32 s13, 0
	s_wait_loadcnt 0x0
	v_cvt_i32_f64_e32 v18, v[18:19]
	s_branch .LBB15_1971
.LBB15_1969:
	s_mov_b32 s13, -1
                                        ; implicit-def: $vgpr18
	s_branch .LBB15_1974
.LBB15_1970:
	s_mov_b32 s13, -1
                                        ; implicit-def: $vgpr18
.LBB15_1971:
	s_delay_alu instid0(SALU_CYCLE_1)
	s_and_not1_b32 vcc_lo, exec_lo, s13
	s_cbranch_vccnz .LBB15_1973
; %bb.1972:
	global_load_b32 v3, v[20:21], off
	s_wait_loadcnt 0x0
	v_cvt_i32_f32_e32 v18, v3
.LBB15_1973:
	s_mov_b32 s13, 0
.LBB15_1974:
	s_delay_alu instid0(SALU_CYCLE_1)
	s_and_not1_b32 vcc_lo, exec_lo, s13
	s_cbranch_vccnz .LBB15_1976
; %bb.1975:
	global_load_u16 v3, v[20:21], off
	s_wait_loadcnt 0x0
	v_cvt_i16_f16_e32 v18, v3
.LBB15_1976:
	s_mov_b32 s13, 0
.LBB15_1977:
	s_delay_alu instid0(SALU_CYCLE_1)
	s_and_not1_b32 vcc_lo, exec_lo, s13
	s_cbranch_vccnz .LBB15_1997
; %bb.1978:
	s_cmp_lt_i32 s11, 2
	s_cbranch_scc1 .LBB15_1982
; %bb.1979:
	s_cmp_lt_i32 s11, 3
	s_cbranch_scc1 .LBB15_1983
; %bb.1980:
	s_cmp_gt_i32 s11, 3
	s_cbranch_scc0 .LBB15_1984
; %bb.1981:
	s_wait_loadcnt 0x0
	global_load_b64 v[18:19], v[20:21], off
	s_mov_b32 s13, 0
	s_branch .LBB15_1985
.LBB15_1982:
	s_mov_b32 s13, -1
                                        ; implicit-def: $vgpr18
	s_branch .LBB15_1991
.LBB15_1983:
	s_mov_b32 s13, -1
                                        ; implicit-def: $vgpr18
	s_branch .LBB15_1988
.LBB15_1984:
	s_mov_b32 s13, -1
                                        ; implicit-def: $vgpr18
.LBB15_1985:
	s_delay_alu instid0(SALU_CYCLE_1)
	s_and_not1_b32 vcc_lo, exec_lo, s13
	s_cbranch_vccnz .LBB15_1987
; %bb.1986:
	s_wait_loadcnt 0x0
	global_load_b32 v18, v[20:21], off
.LBB15_1987:
	s_mov_b32 s13, 0
.LBB15_1988:
	s_delay_alu instid0(SALU_CYCLE_1)
	s_and_not1_b32 vcc_lo, exec_lo, s13
	s_cbranch_vccnz .LBB15_1990
; %bb.1989:
	s_wait_loadcnt 0x0
	global_load_u16 v18, v[20:21], off
.LBB15_1990:
	s_mov_b32 s13, 0
.LBB15_1991:
	s_delay_alu instid0(SALU_CYCLE_1)
	s_and_not1_b32 vcc_lo, exec_lo, s13
	s_cbranch_vccnz .LBB15_1997
; %bb.1992:
	s_cmp_gt_i32 s11, 0
	s_mov_b32 s13, 0
	s_cbranch_scc0 .LBB15_1994
; %bb.1993:
	s_wait_loadcnt 0x0
	global_load_u8 v18, v[20:21], off
	s_branch .LBB15_1995
.LBB15_1994:
	s_mov_b32 s13, -1
                                        ; implicit-def: $vgpr18
.LBB15_1995:
	s_delay_alu instid0(SALU_CYCLE_1)
	s_and_not1_b32 vcc_lo, exec_lo, s13
	s_cbranch_vccnz .LBB15_1997
; %bb.1996:
	s_wait_loadcnt 0x0
	global_load_u8 v18, v[20:21], off
.LBB15_1997:
.LBB15_1998:
	v_mov_b32_e32 v17, 0
	s_and_b32 s12, 0xffff, s12
	s_delay_alu instid0(SALU_CYCLE_1) | instskip(NEXT) | instid1(VALU_DEP_1)
	s_cmp_lt_i32 s12, 11
	v_add_nc_u64_e32 v[16:17], s[0:1], v[16:17]
	s_cbranch_scc1 .LBB15_2005
; %bb.1999:
	s_cmp_gt_i32 s12, 25
	s_mov_b32 s14, 0
	s_cbranch_scc0 .LBB15_2006
; %bb.2000:
	s_cmp_gt_i32 s12, 28
	s_cbranch_scc0 .LBB15_2007
; %bb.2001:
	s_cmp_gt_i32 s12, 43
	;; [unrolled: 3-line block ×3, first 2 shown]
	s_cbranch_scc0 .LBB15_2010
; %bb.2003:
	s_cmp_eq_u32 s12, 46
	s_mov_b32 s16, 0
	s_cbranch_scc0 .LBB15_2011
; %bb.2004:
	global_load_b32 v3, v[16:17], off
	s_mov_b32 s13, 0
	s_mov_b32 s15, -1
	s_wait_loadcnt 0x0
	v_lshlrev_b32_e32 v3, 16, v3
	s_wait_xcnt 0x1
	s_delay_alu instid0(VALU_DEP_1)
	v_cvt_i32_f32_e32 v20, v3
	s_branch .LBB15_2013
.LBB15_2005:
	s_mov_b32 s13, -1
	s_mov_b32 s15, 0
                                        ; implicit-def: $vgpr20
	s_branch .LBB15_2075
.LBB15_2006:
	s_mov_b32 s16, -1
	s_mov_b32 s15, 0
	s_mov_b32 s13, 0
                                        ; implicit-def: $vgpr20
	s_branch .LBB15_2040
.LBB15_2007:
	s_mov_b32 s16, -1
	s_mov_b32 s15, 0
	s_mov_b32 s13, 0
                                        ; implicit-def: $vgpr20
	s_branch .LBB15_2023
.LBB15_2008:
	s_mov_b32 s16, -1
	s_mov_b32 s15, 0
	s_mov_b32 s13, 0
                                        ; implicit-def: $vgpr20
	s_branch .LBB15_2018
.LBB15_2009:
	s_or_b32 s10, s10, exec_lo
	s_trap 2
	s_cbranch_execz .LBB15_1948
	s_branch .LBB15_1949
.LBB15_2010:
	s_mov_b32 s16, -1
	s_mov_b32 s15, 0
	s_mov_b32 s13, 0
	s_branch .LBB15_2012
.LBB15_2011:
	s_mov_b32 s13, -1
	s_mov_b32 s15, 0
.LBB15_2012:
                                        ; implicit-def: $vgpr20
.LBB15_2013:
	s_and_b32 vcc_lo, exec_lo, s16
	s_cbranch_vccz .LBB15_2017
; %bb.2014:
	s_cmp_eq_u32 s12, 44
	s_cbranch_scc0 .LBB15_2016
; %bb.2015:
	global_load_u8 v3, v[16:17], off
	s_mov_b32 s13, 0
	s_mov_b32 s15, -1
	s_wait_loadcnt 0x0
	v_lshlrev_b32_e32 v5, 23, v3
	v_cmp_ne_u32_e32 vcc_lo, 0, v3
	s_delay_alu instid0(VALU_DEP_2) | instskip(SKIP_1) | instid1(VALU_DEP_1)
	v_cvt_i32_f32_e32 v5, v5
	s_wait_xcnt 0x1
	v_cndmask_b32_e32 v20, 0, v5, vcc_lo
	s_branch .LBB15_2017
.LBB15_2016:
	s_mov_b32 s13, -1
                                        ; implicit-def: $vgpr20
.LBB15_2017:
	s_mov_b32 s16, 0
.LBB15_2018:
	s_delay_alu instid0(SALU_CYCLE_1)
	s_and_b32 vcc_lo, exec_lo, s16
	s_cbranch_vccz .LBB15_2022
; %bb.2019:
	s_cmp_eq_u32 s12, 29
	s_cbranch_scc0 .LBB15_2021
; %bb.2020:
	global_load_b64 v[20:21], v[16:17], off
	s_mov_b32 s13, 0
	s_mov_b32 s15, -1
	s_branch .LBB15_2022
.LBB15_2021:
	s_mov_b32 s13, -1
                                        ; implicit-def: $vgpr20
.LBB15_2022:
	s_mov_b32 s16, 0
.LBB15_2023:
	s_delay_alu instid0(SALU_CYCLE_1)
	s_and_b32 vcc_lo, exec_lo, s16
	s_cbranch_vccz .LBB15_2039
; %bb.2024:
	s_cmp_lt_i32 s12, 27
	s_cbranch_scc1 .LBB15_2027
; %bb.2025:
	s_cmp_gt_i32 s12, 27
	s_cbranch_scc0 .LBB15_2028
; %bb.2026:
	s_wait_loadcnt 0x0
	global_load_b32 v20, v[16:17], off
	s_mov_b32 s15, 0
	s_branch .LBB15_2029
.LBB15_2027:
	s_mov_b32 s15, -1
                                        ; implicit-def: $vgpr20
	s_branch .LBB15_2032
.LBB15_2028:
	s_mov_b32 s15, -1
                                        ; implicit-def: $vgpr20
.LBB15_2029:
	s_delay_alu instid0(SALU_CYCLE_1)
	s_and_not1_b32 vcc_lo, exec_lo, s15
	s_cbranch_vccnz .LBB15_2031
; %bb.2030:
	s_wait_loadcnt 0x0
	global_load_u16 v20, v[16:17], off
.LBB15_2031:
	s_mov_b32 s15, 0
.LBB15_2032:
	s_delay_alu instid0(SALU_CYCLE_1)
	s_and_not1_b32 vcc_lo, exec_lo, s15
	s_cbranch_vccnz .LBB15_2038
; %bb.2033:
	global_load_u8 v3, v[16:17], off
	s_mov_b32 s16, 0
	s_mov_b32 s15, exec_lo
	s_wait_loadcnt 0x0
	v_cmpx_lt_i16_e32 0x7f, v3
	s_xor_b32 s15, exec_lo, s15
	s_cbranch_execz .LBB15_2050
; %bb.2034:
	v_cmp_ne_u16_e32 vcc_lo, 0x80, v3
	s_and_b32 s16, vcc_lo, exec_lo
	s_and_not1_saveexec_b32 s15, s15
	s_cbranch_execnz .LBB15_2051
.LBB15_2035:
	s_or_b32 exec_lo, exec_lo, s15
	v_mov_b32_e32 v20, 0
	s_and_saveexec_b32 s15, s16
	s_cbranch_execz .LBB15_2037
.LBB15_2036:
	v_and_b32_e32 v5, 0xffff, v3
	s_delay_alu instid0(VALU_DEP_1) | instskip(SKIP_1) | instid1(VALU_DEP_2)
	v_dual_lshlrev_b32 v3, 24, v3 :: v_dual_bitop2_b32 v7, 7, v5 bitop3:0x40
	v_bfe_u32 v13, v5, 3, 4
	v_and_b32_e32 v3, 0x80000000, v3
	s_delay_alu instid0(VALU_DEP_3) | instskip(NEXT) | instid1(VALU_DEP_3)
	v_clz_i32_u32_e32 v9, v7
	v_cmp_eq_u32_e32 vcc_lo, 0, v13
	s_delay_alu instid0(VALU_DEP_2) | instskip(NEXT) | instid1(VALU_DEP_1)
	v_min_u32_e32 v9, 32, v9
	v_subrev_nc_u32_e32 v11, 28, v9
	v_sub_nc_u32_e32 v9, 29, v9
	s_delay_alu instid0(VALU_DEP_2) | instskip(NEXT) | instid1(VALU_DEP_2)
	v_lshlrev_b32_e32 v5, v11, v5
	v_cndmask_b32_e32 v9, v13, v9, vcc_lo
	s_delay_alu instid0(VALU_DEP_2) | instskip(NEXT) | instid1(VALU_DEP_1)
	v_and_b32_e32 v5, 7, v5
	v_cndmask_b32_e32 v5, v7, v5, vcc_lo
	s_delay_alu instid0(VALU_DEP_3) | instskip(NEXT) | instid1(VALU_DEP_2)
	v_lshl_add_u32 v7, v9, 23, 0x3b800000
	v_lshlrev_b32_e32 v5, 20, v5
	s_delay_alu instid0(VALU_DEP_1) | instskip(NEXT) | instid1(VALU_DEP_1)
	v_or3_b32 v3, v3, v7, v5
	v_cvt_i32_f32_e32 v20, v3
.LBB15_2037:
	s_or_b32 exec_lo, exec_lo, s15
.LBB15_2038:
	s_mov_b32 s15, -1
.LBB15_2039:
	s_mov_b32 s16, 0
.LBB15_2040:
	s_delay_alu instid0(SALU_CYCLE_1)
	s_and_b32 vcc_lo, exec_lo, s16
	s_cbranch_vccz .LBB15_2071
; %bb.2041:
	s_cmp_gt_i32 s12, 22
	s_cbranch_scc0 .LBB15_2049
; %bb.2042:
	s_cmp_lt_i32 s12, 24
	s_cbranch_scc1 .LBB15_2052
; %bb.2043:
	s_cmp_gt_i32 s12, 24
	s_cbranch_scc0 .LBB15_2053
; %bb.2044:
	global_load_u8 v3, v[16:17], off
	s_mov_b32 s15, 0
	s_mov_b32 s14, exec_lo
	s_wait_loadcnt 0x0
	v_cmpx_lt_i16_e32 0x7f, v3
	s_xor_b32 s14, exec_lo, s14
	s_cbranch_execz .LBB15_2065
; %bb.2045:
	v_cmp_ne_u16_e32 vcc_lo, 0x80, v3
	s_and_b32 s15, vcc_lo, exec_lo
	s_and_not1_saveexec_b32 s14, s14
	s_cbranch_execnz .LBB15_2066
.LBB15_2046:
	s_or_b32 exec_lo, exec_lo, s14
	v_mov_b32_e32 v20, 0
	s_and_saveexec_b32 s14, s15
	s_cbranch_execz .LBB15_2048
.LBB15_2047:
	v_and_b32_e32 v5, 0xffff, v3
	s_delay_alu instid0(VALU_DEP_1) | instskip(SKIP_1) | instid1(VALU_DEP_2)
	v_dual_lshlrev_b32 v3, 24, v3 :: v_dual_bitop2_b32 v7, 3, v5 bitop3:0x40
	v_bfe_u32 v13, v5, 2, 5
	v_and_b32_e32 v3, 0x80000000, v3
	s_delay_alu instid0(VALU_DEP_3) | instskip(NEXT) | instid1(VALU_DEP_3)
	v_clz_i32_u32_e32 v9, v7
	v_cmp_eq_u32_e32 vcc_lo, 0, v13
	s_delay_alu instid0(VALU_DEP_2) | instskip(NEXT) | instid1(VALU_DEP_1)
	v_min_u32_e32 v9, 32, v9
	v_subrev_nc_u32_e32 v11, 29, v9
	v_sub_nc_u32_e32 v9, 30, v9
	s_delay_alu instid0(VALU_DEP_2) | instskip(NEXT) | instid1(VALU_DEP_2)
	v_lshlrev_b32_e32 v5, v11, v5
	v_cndmask_b32_e32 v9, v13, v9, vcc_lo
	s_delay_alu instid0(VALU_DEP_2) | instskip(NEXT) | instid1(VALU_DEP_1)
	v_and_b32_e32 v5, 3, v5
	v_cndmask_b32_e32 v5, v7, v5, vcc_lo
	s_delay_alu instid0(VALU_DEP_3) | instskip(NEXT) | instid1(VALU_DEP_2)
	v_lshl_add_u32 v7, v9, 23, 0x37800000
	v_lshlrev_b32_e32 v5, 21, v5
	s_delay_alu instid0(VALU_DEP_1) | instskip(NEXT) | instid1(VALU_DEP_1)
	v_or3_b32 v3, v3, v7, v5
	v_cvt_i32_f32_e32 v20, v3
.LBB15_2048:
	s_or_b32 exec_lo, exec_lo, s14
	s_mov_b32 s14, 0
	s_branch .LBB15_2054
.LBB15_2049:
	s_mov_b32 s14, -1
                                        ; implicit-def: $vgpr20
	s_branch .LBB15_2060
.LBB15_2050:
	s_and_not1_saveexec_b32 s15, s15
	s_cbranch_execz .LBB15_2035
.LBB15_2051:
	v_cmp_ne_u16_e32 vcc_lo, 0, v3
	s_and_not1_b32 s16, s16, exec_lo
	s_and_b32 s17, vcc_lo, exec_lo
	s_delay_alu instid0(SALU_CYCLE_1)
	s_or_b32 s16, s16, s17
	s_or_b32 exec_lo, exec_lo, s15
	v_mov_b32_e32 v20, 0
	s_and_saveexec_b32 s15, s16
	s_cbranch_execnz .LBB15_2036
	s_branch .LBB15_2037
.LBB15_2052:
	s_mov_b32 s14, -1
                                        ; implicit-def: $vgpr20
	s_branch .LBB15_2057
.LBB15_2053:
	s_mov_b32 s14, -1
                                        ; implicit-def: $vgpr20
.LBB15_2054:
	s_delay_alu instid0(SALU_CYCLE_1)
	s_and_b32 vcc_lo, exec_lo, s14
	s_cbranch_vccz .LBB15_2056
; %bb.2055:
	global_load_u8 v3, v[16:17], off
	s_wait_loadcnt 0x0
	v_lshlrev_b32_e32 v3, 24, v3
	s_delay_alu instid0(VALU_DEP_1) | instskip(NEXT) | instid1(VALU_DEP_1)
	v_and_b32_e32 v5, 0x7f000000, v3
	v_clz_i32_u32_e32 v7, v5
	v_add_nc_u32_e32 v11, 0x1000000, v5
	v_cmp_ne_u32_e32 vcc_lo, 0, v5
	s_delay_alu instid0(VALU_DEP_3) | instskip(NEXT) | instid1(VALU_DEP_1)
	v_min_u32_e32 v7, 32, v7
	v_sub_nc_u32_e64 v7, v7, 4 clamp
	s_delay_alu instid0(VALU_DEP_1) | instskip(NEXT) | instid1(VALU_DEP_1)
	v_dual_lshlrev_b32 v9, v7, v5 :: v_dual_lshlrev_b32 v7, 23, v7
	v_lshrrev_b32_e32 v9, 4, v9
	s_delay_alu instid0(VALU_DEP_1) | instskip(SKIP_1) | instid1(VALU_DEP_2)
	v_sub_nc_u32_e32 v7, v9, v7
	v_ashrrev_i32_e32 v9, 8, v11
	v_add_nc_u32_e32 v7, 0x3c000000, v7
	s_delay_alu instid0(VALU_DEP_1) | instskip(NEXT) | instid1(VALU_DEP_1)
	v_and_or_b32 v7, 0x7f800000, v9, v7
	v_cndmask_b32_e32 v5, 0, v7, vcc_lo
	s_delay_alu instid0(VALU_DEP_1) | instskip(SKIP_1) | instid1(VALU_DEP_1)
	v_and_or_b32 v3, 0x80000000, v3, v5
	s_wait_xcnt 0x1
	v_cvt_i32_f32_e32 v20, v3
.LBB15_2056:
	s_mov_b32 s14, 0
.LBB15_2057:
	s_delay_alu instid0(SALU_CYCLE_1)
	s_and_not1_b32 vcc_lo, exec_lo, s14
	s_cbranch_vccnz .LBB15_2059
; %bb.2058:
	global_load_u8 v3, v[16:17], off
	s_wait_loadcnt 0x0
	v_lshlrev_b32_e32 v5, 25, v3
	v_lshlrev_b16 v3, 8, v3
	s_delay_alu instid0(VALU_DEP_1) | instskip(SKIP_1) | instid1(VALU_DEP_2)
	v_and_or_b32 v9, 0x7f00, v3, 0.5
	v_bfe_i32 v3, v3, 0, 16
	v_add_f32_e32 v9, -0.5, v9
	v_lshrrev_b32_e32 v7, 4, v5
	v_cmp_gt_u32_e32 vcc_lo, 0x8000000, v5
	s_delay_alu instid0(VALU_DEP_2) | instskip(NEXT) | instid1(VALU_DEP_1)
	v_or_b32_e32 v7, 0x70000000, v7
	v_mul_f32_e32 v7, 0x7800000, v7
	s_delay_alu instid0(VALU_DEP_1) | instskip(NEXT) | instid1(VALU_DEP_1)
	v_cndmask_b32_e32 v5, v7, v9, vcc_lo
	v_and_or_b32 v3, 0x80000000, v3, v5
	s_wait_xcnt 0x1
	s_delay_alu instid0(VALU_DEP_1)
	v_cvt_i32_f32_e32 v20, v3
.LBB15_2059:
	s_mov_b32 s14, 0
	s_mov_b32 s15, -1
.LBB15_2060:
	s_and_not1_b32 vcc_lo, exec_lo, s14
	s_mov_b32 s14, 0
	s_cbranch_vccnz .LBB15_2071
; %bb.2061:
	s_cmp_gt_i32 s12, 14
	s_cbranch_scc0 .LBB15_2064
; %bb.2062:
	s_cmp_eq_u32 s12, 15
	s_cbranch_scc0 .LBB15_2067
; %bb.2063:
	global_load_u16 v3, v[16:17], off
	s_mov_b32 s13, 0
	s_mov_b32 s15, -1
	s_wait_loadcnt 0x0
	v_lshlrev_b32_e32 v3, 16, v3
	s_wait_xcnt 0x1
	s_delay_alu instid0(VALU_DEP_1)
	v_cvt_i32_f32_e32 v20, v3
	s_branch .LBB15_2069
.LBB15_2064:
	s_mov_b32 s14, -1
	s_branch .LBB15_2068
.LBB15_2065:
	s_and_not1_saveexec_b32 s14, s14
	s_cbranch_execz .LBB15_2046
.LBB15_2066:
	v_cmp_ne_u16_e32 vcc_lo, 0, v3
	s_and_not1_b32 s15, s15, exec_lo
	s_and_b32 s16, vcc_lo, exec_lo
	s_delay_alu instid0(SALU_CYCLE_1)
	s_or_b32 s15, s15, s16
	s_or_b32 exec_lo, exec_lo, s14
	v_mov_b32_e32 v20, 0
	s_and_saveexec_b32 s14, s15
	s_cbranch_execnz .LBB15_2047
	s_branch .LBB15_2048
.LBB15_2067:
	s_mov_b32 s13, -1
.LBB15_2068:
                                        ; implicit-def: $vgpr20
.LBB15_2069:
	s_and_b32 vcc_lo, exec_lo, s14
	s_mov_b32 s14, 0
	s_cbranch_vccz .LBB15_2071
; %bb.2070:
	s_cmp_lg_u32 s12, 11
	s_mov_b32 s14, -1
	s_cselect_b32 s13, -1, 0
.LBB15_2071:
	s_delay_alu instid0(SALU_CYCLE_1)
	s_and_b32 vcc_lo, exec_lo, s13
	s_cbranch_vccnz .LBB15_2140
; %bb.2072:
	s_and_not1_b32 vcc_lo, exec_lo, s14
	s_cbranch_vccnz .LBB15_2074
.LBB15_2073:
	global_load_u8 v3, v[16:17], off
	s_mov_b32 s15, -1
	s_wait_loadcnt 0x0
	v_cmp_ne_u16_e32 vcc_lo, 0, v3
	s_wait_xcnt 0x1
	v_cndmask_b32_e64 v20, 0, 1, vcc_lo
.LBB15_2074:
	s_mov_b32 s13, 0
.LBB15_2075:
	s_delay_alu instid0(SALU_CYCLE_1)
	s_and_b32 vcc_lo, exec_lo, s13
	s_cbranch_vccz .LBB15_2124
; %bb.2076:
	s_cmp_lt_i32 s12, 5
	s_cbranch_scc1 .LBB15_2081
; %bb.2077:
	s_cmp_lt_i32 s12, 8
	s_cbranch_scc1 .LBB15_2082
	;; [unrolled: 3-line block ×3, first 2 shown]
; %bb.2079:
	s_cmp_gt_i32 s12, 9
	s_cbranch_scc0 .LBB15_2084
; %bb.2080:
	s_wait_loadcnt 0x0
	global_load_b64 v[20:21], v[16:17], off
	s_mov_b32 s13, 0
	s_wait_loadcnt 0x0
	v_cvt_i32_f64_e32 v20, v[20:21]
	s_branch .LBB15_2085
.LBB15_2081:
	s_mov_b32 s13, -1
                                        ; implicit-def: $vgpr20
	s_branch .LBB15_2103
.LBB15_2082:
	s_mov_b32 s13, -1
                                        ; implicit-def: $vgpr20
	s_branch .LBB15_2091
.LBB15_2083:
	s_mov_b32 s13, -1
                                        ; implicit-def: $vgpr20
	s_branch .LBB15_2088
.LBB15_2084:
	s_mov_b32 s13, -1
                                        ; implicit-def: $vgpr20
.LBB15_2085:
	s_delay_alu instid0(SALU_CYCLE_1)
	s_and_not1_b32 vcc_lo, exec_lo, s13
	s_cbranch_vccnz .LBB15_2087
; %bb.2086:
	global_load_b32 v3, v[16:17], off
	s_wait_loadcnt 0x0
	s_wait_xcnt 0x1
	v_cvt_i32_f32_e32 v20, v3
.LBB15_2087:
	s_mov_b32 s13, 0
.LBB15_2088:
	s_delay_alu instid0(SALU_CYCLE_1)
	s_and_not1_b32 vcc_lo, exec_lo, s13
	s_cbranch_vccnz .LBB15_2090
; %bb.2089:
	global_load_b32 v3, v[16:17], off
	s_wait_loadcnt 0x0
	s_wait_xcnt 0x1
	v_cvt_i16_f16_e32 v20, v3
.LBB15_2090:
	s_mov_b32 s13, 0
.LBB15_2091:
	s_delay_alu instid0(SALU_CYCLE_1)
	s_and_not1_b32 vcc_lo, exec_lo, s13
	s_cbranch_vccnz .LBB15_2102
; %bb.2092:
	s_cmp_lt_i32 s12, 6
	s_cbranch_scc1 .LBB15_2095
; %bb.2093:
	s_cmp_gt_i32 s12, 6
	s_cbranch_scc0 .LBB15_2096
; %bb.2094:
	s_wait_loadcnt 0x0
	global_load_b64 v[20:21], v[16:17], off
	s_mov_b32 s13, 0
	s_wait_loadcnt 0x0
	v_cvt_i32_f64_e32 v20, v[20:21]
	s_branch .LBB15_2097
.LBB15_2095:
	s_mov_b32 s13, -1
                                        ; implicit-def: $vgpr20
	s_branch .LBB15_2100
.LBB15_2096:
	s_mov_b32 s13, -1
                                        ; implicit-def: $vgpr20
.LBB15_2097:
	s_delay_alu instid0(SALU_CYCLE_1)
	s_and_not1_b32 vcc_lo, exec_lo, s13
	s_cbranch_vccnz .LBB15_2099
; %bb.2098:
	global_load_b32 v3, v[16:17], off
	s_wait_loadcnt 0x0
	s_wait_xcnt 0x1
	v_cvt_i32_f32_e32 v20, v3
.LBB15_2099:
	s_mov_b32 s13, 0
.LBB15_2100:
	s_delay_alu instid0(SALU_CYCLE_1)
	s_and_not1_b32 vcc_lo, exec_lo, s13
	s_cbranch_vccnz .LBB15_2102
; %bb.2101:
	global_load_u16 v3, v[16:17], off
	s_wait_loadcnt 0x0
	s_wait_xcnt 0x1
	v_cvt_i16_f16_e32 v20, v3
.LBB15_2102:
	s_mov_b32 s13, 0
.LBB15_2103:
	s_delay_alu instid0(SALU_CYCLE_1)
	s_and_not1_b32 vcc_lo, exec_lo, s13
	s_cbranch_vccnz .LBB15_2123
; %bb.2104:
	s_cmp_lt_i32 s12, 2
	s_cbranch_scc1 .LBB15_2108
; %bb.2105:
	s_cmp_lt_i32 s12, 3
	s_cbranch_scc1 .LBB15_2109
; %bb.2106:
	s_cmp_gt_i32 s12, 3
	s_cbranch_scc0 .LBB15_2110
; %bb.2107:
	s_wait_loadcnt 0x0
	global_load_b64 v[20:21], v[16:17], off
	s_mov_b32 s13, 0
	s_branch .LBB15_2111
.LBB15_2108:
	s_mov_b32 s13, -1
                                        ; implicit-def: $vgpr20
	s_branch .LBB15_2117
.LBB15_2109:
	s_mov_b32 s13, -1
                                        ; implicit-def: $vgpr20
	s_branch .LBB15_2114
.LBB15_2110:
	s_mov_b32 s13, -1
                                        ; implicit-def: $vgpr20
.LBB15_2111:
	s_delay_alu instid0(SALU_CYCLE_1)
	s_and_not1_b32 vcc_lo, exec_lo, s13
	s_cbranch_vccnz .LBB15_2113
; %bb.2112:
	s_wait_loadcnt 0x0
	global_load_b32 v20, v[16:17], off
.LBB15_2113:
	s_mov_b32 s13, 0
.LBB15_2114:
	s_delay_alu instid0(SALU_CYCLE_1)
	s_and_not1_b32 vcc_lo, exec_lo, s13
	s_cbranch_vccnz .LBB15_2116
; %bb.2115:
	s_wait_loadcnt 0x0
	global_load_u16 v20, v[16:17], off
.LBB15_2116:
	s_mov_b32 s13, 0
.LBB15_2117:
	s_delay_alu instid0(SALU_CYCLE_1)
	s_and_not1_b32 vcc_lo, exec_lo, s13
	s_cbranch_vccnz .LBB15_2123
; %bb.2118:
	s_cmp_gt_i32 s12, 0
	s_mov_b32 s13, 0
	s_cbranch_scc0 .LBB15_2120
; %bb.2119:
	s_wait_loadcnt 0x0
	global_load_u8 v20, v[16:17], off
	s_branch .LBB15_2121
.LBB15_2120:
	s_mov_b32 s13, -1
                                        ; implicit-def: $vgpr20
.LBB15_2121:
	s_delay_alu instid0(SALU_CYCLE_1)
	s_and_not1_b32 vcc_lo, exec_lo, s13
	s_cbranch_vccnz .LBB15_2123
; %bb.2122:
	s_wait_loadcnt 0x0
	global_load_u8 v20, v[16:17], off
.LBB15_2123:
	s_mov_b32 s15, -1
.LBB15_2124:
	s_delay_alu instid0(SALU_CYCLE_1)
	s_and_not1_b32 vcc_lo, exec_lo, s15
	s_cbranch_vccnz .LBB15_2725
; %bb.2125:
	s_wait_loadcnt 0x0
	s_delay_alu instid0(VALU_DEP_1) | instskip(NEXT) | instid1(VALU_DEP_4)
	v_bfe_i32 v3, v20, 0, 8
	v_and_b32_e32 v7, 0xff, v18
	s_mov_b32 s14, 0
	s_mov_b32 s13, exec_lo
	s_delay_alu instid0(VALU_DEP_2) | instskip(NEXT) | instid1(VALU_DEP_1)
	v_sub_nc_u16 v5, 0, v3
	v_max_i16 v3, v3, v5
	s_wait_xcnt 0x0
	v_cmpx_ne_u16_e32 0, v7
	s_cbranch_execz .LBB15_2129
; %bb.2126:
	v_bfe_i32 v5, v18, 0, 8
	s_delay_alu instid0(VALU_DEP_1) | instskip(NEXT) | instid1(VALU_DEP_1)
	v_sub_nc_u16 v7, 0, v5
	v_max_i16 v7, v5, v7
	v_and_b32_e32 v5, 0xff, v3
	s_delay_alu instid0(VALU_DEP_2)
	v_and_b32_e32 v7, 0xffff, v7
.LBB15_2127:                            ; =>This Inner Loop Header: Depth=1
	s_delay_alu instid0(VALU_DEP_1) | instskip(NEXT) | instid1(VALU_DEP_3)
	v_mov_b32_e32 v3, v7
	v_bfe_i32 v11, v5, 0, 8
	s_delay_alu instid0(VALU_DEP_2) | instskip(NEXT) | instid1(VALU_DEP_2)
	v_bfe_i32 v7, v3, 0, 8
	v_cvt_f32_i32_e32 v15, v11
	s_delay_alu instid0(VALU_DEP_2) | instskip(SKIP_1) | instid1(VALU_DEP_2)
	v_cvt_f32_i32_e32 v9, v7
	v_xor_b32_e32 v7, v11, v7
	v_rcp_iflag_f32_e32 v13, v9
	v_nop
	s_delay_alu instid0(TRANS32_DEP_1) | instskip(NEXT) | instid1(VALU_DEP_1)
	v_mul_f32_e32 v11, v15, v13
	v_trunc_f32_e32 v11, v11
	s_delay_alu instid0(VALU_DEP_1) | instskip(SKIP_1) | instid1(VALU_DEP_2)
	v_dual_fma_f32 v13, -v11, v9, v15 :: v_dual_ashrrev_i32 v7, 30, v7
	v_cvt_i32_f32_e32 v11, v11
	v_cmp_ge_f32_e64 vcc_lo, |v13|, |v9|
	s_delay_alu instid0(VALU_DEP_3) | instskip(NEXT) | instid1(VALU_DEP_1)
	v_or_b32_e32 v7, 1, v7
	v_cndmask_b32_e32 v7, 0, v7, vcc_lo
	s_delay_alu instid0(VALU_DEP_1) | instskip(NEXT) | instid1(VALU_DEP_1)
	v_add_nc_u32_e32 v7, v11, v7
	v_mul_lo_u32 v7, v7, v3
	s_delay_alu instid0(VALU_DEP_1) | instskip(NEXT) | instid1(VALU_DEP_1)
	v_sub_nc_u32_e32 v5, v5, v7
	v_bfe_i32 v7, v5, 0, 8
	v_mov_b32_e32 v5, v3
	s_delay_alu instid0(VALU_DEP_2) | instskip(SKIP_2) | instid1(SALU_CYCLE_1)
	v_cmp_eq_u16_e32 vcc_lo, 0, v7
	v_and_b32_e32 v7, 0xffff, v7
	s_or_b32 s14, vcc_lo, s14
	s_and_not1_b32 exec_lo, exec_lo, s14
	s_cbranch_execnz .LBB15_2127
; %bb.2128:
	s_or_b32 exec_lo, exec_lo, s14
.LBB15_2129:
	s_delay_alu instid0(SALU_CYCLE_1) | instskip(SKIP_2) | instid1(VALU_DEP_1)
	s_or_b32 exec_lo, exec_lo, s13
	v_mov_b32_e32 v15, 0
	s_cmp_lt_i32 s11, 11
	v_add_nc_u64_e32 v[16:17], s[6:7], v[14:15]
	s_cbranch_scc1 .LBB15_2136
; %bb.2130:
	s_cmp_gt_i32 s11, 25
	s_mov_b32 s14, 0
	s_cbranch_scc0 .LBB15_2137
; %bb.2131:
	s_cmp_gt_i32 s11, 28
	s_cbranch_scc0 .LBB15_2138
; %bb.2132:
	s_cmp_gt_i32 s11, 43
	;; [unrolled: 3-line block ×3, first 2 shown]
	s_cbranch_scc0 .LBB15_2141
; %bb.2134:
	s_cmp_eq_u32 s11, 46
	s_mov_b32 s16, 0
	s_cbranch_scc0 .LBB15_2142
; %bb.2135:
	global_load_b32 v5, v[16:17], off
	s_mov_b32 s13, 0
	s_mov_b32 s15, -1
	s_wait_loadcnt 0x0
	v_lshlrev_b32_e32 v5, 16, v5
	s_delay_alu instid0(VALU_DEP_1)
	v_cvt_i32_f32_e32 v14, v5
	s_branch .LBB15_2144
.LBB15_2136:
	s_mov_b32 s13, -1
	s_mov_b32 s15, 0
                                        ; implicit-def: $vgpr14
	s_branch .LBB15_2206
.LBB15_2137:
	s_mov_b32 s16, -1
	s_mov_b32 s15, 0
	s_mov_b32 s13, 0
                                        ; implicit-def: $vgpr14
	s_branch .LBB15_2171
.LBB15_2138:
	s_mov_b32 s16, -1
	s_mov_b32 s15, 0
	s_mov_b32 s13, 0
                                        ; implicit-def: $vgpr14
	s_branch .LBB15_2154
.LBB15_2139:
	s_mov_b32 s16, -1
	s_mov_b32 s15, 0
	s_mov_b32 s13, 0
                                        ; implicit-def: $vgpr14
	s_branch .LBB15_2149
.LBB15_2140:
	s_or_b32 s10, s10, exec_lo
	s_trap 2
	s_cbranch_execz .LBB15_2073
	s_branch .LBB15_2074
.LBB15_2141:
	s_mov_b32 s16, -1
	s_mov_b32 s15, 0
	s_mov_b32 s13, 0
	s_branch .LBB15_2143
.LBB15_2142:
	s_mov_b32 s13, -1
	s_mov_b32 s15, 0
.LBB15_2143:
                                        ; implicit-def: $vgpr14
.LBB15_2144:
	s_and_b32 vcc_lo, exec_lo, s16
	s_cbranch_vccz .LBB15_2148
; %bb.2145:
	s_cmp_eq_u32 s11, 44
	s_cbranch_scc0 .LBB15_2147
; %bb.2146:
	global_load_u8 v5, v[16:17], off
	s_mov_b32 s13, 0
	s_mov_b32 s15, -1
	s_wait_loadcnt 0x0
	v_lshlrev_b32_e32 v7, 23, v5
	v_cmp_ne_u32_e32 vcc_lo, 0, v5
	s_delay_alu instid0(VALU_DEP_2) | instskip(NEXT) | instid1(VALU_DEP_1)
	v_cvt_i32_f32_e32 v7, v7
	v_cndmask_b32_e32 v14, 0, v7, vcc_lo
	s_branch .LBB15_2148
.LBB15_2147:
	s_mov_b32 s13, -1
                                        ; implicit-def: $vgpr14
.LBB15_2148:
	s_mov_b32 s16, 0
.LBB15_2149:
	s_delay_alu instid0(SALU_CYCLE_1)
	s_and_b32 vcc_lo, exec_lo, s16
	s_cbranch_vccz .LBB15_2153
; %bb.2150:
	s_cmp_eq_u32 s11, 29
	s_cbranch_scc0 .LBB15_2152
; %bb.2151:
	global_load_b64 v[14:15], v[16:17], off
	s_mov_b32 s13, 0
	s_mov_b32 s15, -1
	s_branch .LBB15_2153
.LBB15_2152:
	s_mov_b32 s13, -1
                                        ; implicit-def: $vgpr14
.LBB15_2153:
	s_mov_b32 s16, 0
.LBB15_2154:
	s_delay_alu instid0(SALU_CYCLE_1)
	s_and_b32 vcc_lo, exec_lo, s16
	s_cbranch_vccz .LBB15_2170
; %bb.2155:
	s_cmp_lt_i32 s11, 27
	s_cbranch_scc1 .LBB15_2158
; %bb.2156:
	s_cmp_gt_i32 s11, 27
	s_cbranch_scc0 .LBB15_2159
; %bb.2157:
	s_wait_loadcnt 0x0
	global_load_b32 v14, v[16:17], off
	s_mov_b32 s15, 0
	s_branch .LBB15_2160
.LBB15_2158:
	s_mov_b32 s15, -1
                                        ; implicit-def: $vgpr14
	s_branch .LBB15_2163
.LBB15_2159:
	s_mov_b32 s15, -1
                                        ; implicit-def: $vgpr14
.LBB15_2160:
	s_delay_alu instid0(SALU_CYCLE_1)
	s_and_not1_b32 vcc_lo, exec_lo, s15
	s_cbranch_vccnz .LBB15_2162
; %bb.2161:
	s_wait_loadcnt 0x0
	global_load_u16 v14, v[16:17], off
.LBB15_2162:
	s_mov_b32 s15, 0
.LBB15_2163:
	s_delay_alu instid0(SALU_CYCLE_1)
	s_and_not1_b32 vcc_lo, exec_lo, s15
	s_cbranch_vccnz .LBB15_2169
; %bb.2164:
	global_load_u8 v5, v[16:17], off
	s_mov_b32 s16, 0
	s_mov_b32 s15, exec_lo
	s_wait_loadcnt 0x0
	v_cmpx_lt_i16_e32 0x7f, v5
	s_xor_b32 s15, exec_lo, s15
	s_cbranch_execz .LBB15_2181
; %bb.2165:
	v_cmp_ne_u16_e32 vcc_lo, 0x80, v5
	s_and_b32 s16, vcc_lo, exec_lo
	s_and_not1_saveexec_b32 s15, s15
	s_cbranch_execnz .LBB15_2182
.LBB15_2166:
	s_or_b32 exec_lo, exec_lo, s15
	v_mov_b32_e32 v14, 0
	s_and_saveexec_b32 s15, s16
	s_cbranch_execz .LBB15_2168
.LBB15_2167:
	v_and_b32_e32 v7, 0xffff, v5
	s_delay_alu instid0(VALU_DEP_1) | instskip(SKIP_1) | instid1(VALU_DEP_2)
	v_dual_lshlrev_b32 v5, 24, v5 :: v_dual_bitop2_b32 v9, 7, v7 bitop3:0x40
	v_bfe_u32 v14, v7, 3, 4
	v_and_b32_e32 v5, 0x80000000, v5
	s_delay_alu instid0(VALU_DEP_3) | instskip(NEXT) | instid1(VALU_DEP_3)
	v_clz_i32_u32_e32 v11, v9
	v_cmp_eq_u32_e32 vcc_lo, 0, v14
	s_delay_alu instid0(VALU_DEP_2) | instskip(NEXT) | instid1(VALU_DEP_1)
	v_min_u32_e32 v11, 32, v11
	v_subrev_nc_u32_e32 v13, 28, v11
	v_sub_nc_u32_e32 v11, 29, v11
	s_delay_alu instid0(VALU_DEP_2) | instskip(NEXT) | instid1(VALU_DEP_2)
	v_lshlrev_b32_e32 v7, v13, v7
	v_cndmask_b32_e32 v11, v14, v11, vcc_lo
	s_delay_alu instid0(VALU_DEP_2) | instskip(NEXT) | instid1(VALU_DEP_1)
	v_and_b32_e32 v7, 7, v7
	v_cndmask_b32_e32 v7, v9, v7, vcc_lo
	s_delay_alu instid0(VALU_DEP_3) | instskip(NEXT) | instid1(VALU_DEP_2)
	v_lshl_add_u32 v9, v11, 23, 0x3b800000
	v_lshlrev_b32_e32 v7, 20, v7
	s_delay_alu instid0(VALU_DEP_1) | instskip(NEXT) | instid1(VALU_DEP_1)
	v_or3_b32 v5, v5, v9, v7
	v_cvt_i32_f32_e32 v14, v5
.LBB15_2168:
	s_or_b32 exec_lo, exec_lo, s15
.LBB15_2169:
	s_mov_b32 s15, -1
.LBB15_2170:
	s_mov_b32 s16, 0
.LBB15_2171:
	s_delay_alu instid0(SALU_CYCLE_1)
	s_and_b32 vcc_lo, exec_lo, s16
	s_cbranch_vccz .LBB15_2202
; %bb.2172:
	s_cmp_gt_i32 s11, 22
	s_cbranch_scc0 .LBB15_2180
; %bb.2173:
	s_cmp_lt_i32 s11, 24
	s_cbranch_scc1 .LBB15_2183
; %bb.2174:
	s_cmp_gt_i32 s11, 24
	s_cbranch_scc0 .LBB15_2184
; %bb.2175:
	global_load_u8 v5, v[16:17], off
	s_mov_b32 s15, 0
	s_mov_b32 s14, exec_lo
	s_wait_loadcnt 0x0
	v_cmpx_lt_i16_e32 0x7f, v5
	s_xor_b32 s14, exec_lo, s14
	s_cbranch_execz .LBB15_2196
; %bb.2176:
	v_cmp_ne_u16_e32 vcc_lo, 0x80, v5
	s_and_b32 s15, vcc_lo, exec_lo
	s_and_not1_saveexec_b32 s14, s14
	s_cbranch_execnz .LBB15_2197
.LBB15_2177:
	s_or_b32 exec_lo, exec_lo, s14
	v_mov_b32_e32 v14, 0
	s_and_saveexec_b32 s14, s15
	s_cbranch_execz .LBB15_2179
.LBB15_2178:
	v_and_b32_e32 v7, 0xffff, v5
	s_delay_alu instid0(VALU_DEP_1) | instskip(SKIP_1) | instid1(VALU_DEP_2)
	v_dual_lshlrev_b32 v5, 24, v5 :: v_dual_bitop2_b32 v9, 3, v7 bitop3:0x40
	v_bfe_u32 v14, v7, 2, 5
	v_and_b32_e32 v5, 0x80000000, v5
	s_delay_alu instid0(VALU_DEP_3) | instskip(NEXT) | instid1(VALU_DEP_3)
	v_clz_i32_u32_e32 v11, v9
	v_cmp_eq_u32_e32 vcc_lo, 0, v14
	s_delay_alu instid0(VALU_DEP_2) | instskip(NEXT) | instid1(VALU_DEP_1)
	v_min_u32_e32 v11, 32, v11
	v_subrev_nc_u32_e32 v13, 29, v11
	v_sub_nc_u32_e32 v11, 30, v11
	s_delay_alu instid0(VALU_DEP_2) | instskip(NEXT) | instid1(VALU_DEP_2)
	v_lshlrev_b32_e32 v7, v13, v7
	v_cndmask_b32_e32 v11, v14, v11, vcc_lo
	s_delay_alu instid0(VALU_DEP_2) | instskip(NEXT) | instid1(VALU_DEP_1)
	v_and_b32_e32 v7, 3, v7
	v_cndmask_b32_e32 v7, v9, v7, vcc_lo
	s_delay_alu instid0(VALU_DEP_3) | instskip(NEXT) | instid1(VALU_DEP_2)
	v_lshl_add_u32 v9, v11, 23, 0x37800000
	v_lshlrev_b32_e32 v7, 21, v7
	s_delay_alu instid0(VALU_DEP_1) | instskip(NEXT) | instid1(VALU_DEP_1)
	v_or3_b32 v5, v5, v9, v7
	v_cvt_i32_f32_e32 v14, v5
.LBB15_2179:
	s_or_b32 exec_lo, exec_lo, s14
	s_mov_b32 s14, 0
	s_branch .LBB15_2185
.LBB15_2180:
	s_mov_b32 s14, -1
                                        ; implicit-def: $vgpr14
	s_branch .LBB15_2191
.LBB15_2181:
	s_and_not1_saveexec_b32 s15, s15
	s_cbranch_execz .LBB15_2166
.LBB15_2182:
	v_cmp_ne_u16_e32 vcc_lo, 0, v5
	s_and_not1_b32 s16, s16, exec_lo
	s_and_b32 s17, vcc_lo, exec_lo
	s_delay_alu instid0(SALU_CYCLE_1)
	s_or_b32 s16, s16, s17
	s_or_b32 exec_lo, exec_lo, s15
	v_mov_b32_e32 v14, 0
	s_and_saveexec_b32 s15, s16
	s_cbranch_execnz .LBB15_2167
	s_branch .LBB15_2168
.LBB15_2183:
	s_mov_b32 s14, -1
                                        ; implicit-def: $vgpr14
	s_branch .LBB15_2188
.LBB15_2184:
	s_mov_b32 s14, -1
                                        ; implicit-def: $vgpr14
.LBB15_2185:
	s_delay_alu instid0(SALU_CYCLE_1)
	s_and_b32 vcc_lo, exec_lo, s14
	s_cbranch_vccz .LBB15_2187
; %bb.2186:
	global_load_u8 v5, v[16:17], off
	s_wait_loadcnt 0x0
	v_lshlrev_b32_e32 v5, 24, v5
	s_delay_alu instid0(VALU_DEP_1) | instskip(NEXT) | instid1(VALU_DEP_1)
	v_and_b32_e32 v7, 0x7f000000, v5
	v_clz_i32_u32_e32 v9, v7
	v_add_nc_u32_e32 v13, 0x1000000, v7
	v_cmp_ne_u32_e32 vcc_lo, 0, v7
	s_delay_alu instid0(VALU_DEP_3) | instskip(NEXT) | instid1(VALU_DEP_1)
	v_min_u32_e32 v9, 32, v9
	v_sub_nc_u32_e64 v9, v9, 4 clamp
	s_delay_alu instid0(VALU_DEP_1) | instskip(NEXT) | instid1(VALU_DEP_1)
	v_dual_lshlrev_b32 v11, v9, v7 :: v_dual_lshlrev_b32 v9, 23, v9
	v_lshrrev_b32_e32 v11, 4, v11
	s_delay_alu instid0(VALU_DEP_1) | instskip(SKIP_1) | instid1(VALU_DEP_2)
	v_sub_nc_u32_e32 v9, v11, v9
	v_ashrrev_i32_e32 v11, 8, v13
	v_add_nc_u32_e32 v9, 0x3c000000, v9
	s_delay_alu instid0(VALU_DEP_1) | instskip(NEXT) | instid1(VALU_DEP_1)
	v_and_or_b32 v9, 0x7f800000, v11, v9
	v_cndmask_b32_e32 v7, 0, v9, vcc_lo
	s_delay_alu instid0(VALU_DEP_1) | instskip(NEXT) | instid1(VALU_DEP_1)
	v_and_or_b32 v5, 0x80000000, v5, v7
	v_cvt_i32_f32_e32 v14, v5
.LBB15_2187:
	s_mov_b32 s14, 0
.LBB15_2188:
	s_delay_alu instid0(SALU_CYCLE_1)
	s_and_not1_b32 vcc_lo, exec_lo, s14
	s_cbranch_vccnz .LBB15_2190
; %bb.2189:
	global_load_u8 v5, v[16:17], off
	s_wait_loadcnt 0x0
	v_lshlrev_b32_e32 v7, 25, v5
	v_lshlrev_b16 v5, 8, v5
	s_delay_alu instid0(VALU_DEP_1) | instskip(SKIP_1) | instid1(VALU_DEP_2)
	v_and_or_b32 v11, 0x7f00, v5, 0.5
	v_bfe_i32 v5, v5, 0, 16
	v_add_f32_e32 v11, -0.5, v11
	v_lshrrev_b32_e32 v9, 4, v7
	v_cmp_gt_u32_e32 vcc_lo, 0x8000000, v7
	s_delay_alu instid0(VALU_DEP_2) | instskip(NEXT) | instid1(VALU_DEP_1)
	v_or_b32_e32 v9, 0x70000000, v9
	v_mul_f32_e32 v9, 0x7800000, v9
	s_delay_alu instid0(VALU_DEP_1) | instskip(NEXT) | instid1(VALU_DEP_1)
	v_cndmask_b32_e32 v7, v9, v11, vcc_lo
	v_and_or_b32 v5, 0x80000000, v5, v7
	s_delay_alu instid0(VALU_DEP_1)
	v_cvt_i32_f32_e32 v14, v5
.LBB15_2190:
	s_mov_b32 s14, 0
	s_mov_b32 s15, -1
.LBB15_2191:
	s_and_not1_b32 vcc_lo, exec_lo, s14
	s_mov_b32 s14, 0
	s_cbranch_vccnz .LBB15_2202
; %bb.2192:
	s_cmp_gt_i32 s11, 14
	s_cbranch_scc0 .LBB15_2195
; %bb.2193:
	s_cmp_eq_u32 s11, 15
	s_cbranch_scc0 .LBB15_2198
; %bb.2194:
	global_load_u16 v5, v[16:17], off
	s_mov_b32 s13, 0
	s_mov_b32 s15, -1
	s_wait_loadcnt 0x0
	v_lshlrev_b32_e32 v5, 16, v5
	s_delay_alu instid0(VALU_DEP_1)
	v_cvt_i32_f32_e32 v14, v5
	s_branch .LBB15_2200
.LBB15_2195:
	s_mov_b32 s14, -1
	s_branch .LBB15_2199
.LBB15_2196:
	s_and_not1_saveexec_b32 s14, s14
	s_cbranch_execz .LBB15_2177
.LBB15_2197:
	v_cmp_ne_u16_e32 vcc_lo, 0, v5
	s_and_not1_b32 s15, s15, exec_lo
	s_and_b32 s16, vcc_lo, exec_lo
	s_delay_alu instid0(SALU_CYCLE_1)
	s_or_b32 s15, s15, s16
	s_or_b32 exec_lo, exec_lo, s14
	v_mov_b32_e32 v14, 0
	s_and_saveexec_b32 s14, s15
	s_cbranch_execnz .LBB15_2178
	s_branch .LBB15_2179
.LBB15_2198:
	s_mov_b32 s13, -1
.LBB15_2199:
                                        ; implicit-def: $vgpr14
.LBB15_2200:
	s_and_b32 vcc_lo, exec_lo, s14
	s_mov_b32 s14, 0
	s_cbranch_vccz .LBB15_2202
; %bb.2201:
	s_cmp_lg_u32 s11, 11
	s_mov_b32 s14, -1
	s_cselect_b32 s13, -1, 0
.LBB15_2202:
	s_delay_alu instid0(SALU_CYCLE_1)
	s_and_b32 vcc_lo, exec_lo, s13
	s_cbranch_vccnz .LBB15_2267
; %bb.2203:
	s_and_not1_b32 vcc_lo, exec_lo, s14
	s_cbranch_vccnz .LBB15_2205
.LBB15_2204:
	global_load_u8 v5, v[16:17], off
	s_mov_b32 s15, -1
	s_wait_loadcnt 0x0
	v_cmp_ne_u16_e32 vcc_lo, 0, v5
	v_cndmask_b32_e64 v14, 0, 1, vcc_lo
.LBB15_2205:
	s_mov_b32 s13, 0
.LBB15_2206:
	s_delay_alu instid0(SALU_CYCLE_1)
	s_and_b32 vcc_lo, exec_lo, s13
	s_cbranch_vccz .LBB15_2255
; %bb.2207:
	s_cmp_lt_i32 s11, 5
	s_cbranch_scc1 .LBB15_2212
; %bb.2208:
	s_cmp_lt_i32 s11, 8
	s_cbranch_scc1 .LBB15_2213
	;; [unrolled: 3-line block ×3, first 2 shown]
; %bb.2210:
	s_cmp_gt_i32 s11, 9
	s_cbranch_scc0 .LBB15_2215
; %bb.2211:
	s_wait_loadcnt 0x0
	global_load_b64 v[14:15], v[16:17], off
	s_mov_b32 s13, 0
	s_wait_loadcnt 0x0
	v_cvt_i32_f64_e32 v14, v[14:15]
	s_branch .LBB15_2216
.LBB15_2212:
	s_mov_b32 s13, -1
                                        ; implicit-def: $vgpr14
	s_branch .LBB15_2234
.LBB15_2213:
	s_mov_b32 s13, -1
                                        ; implicit-def: $vgpr14
	s_branch .LBB15_2222
.LBB15_2214:
	s_mov_b32 s13, -1
                                        ; implicit-def: $vgpr14
	s_branch .LBB15_2219
.LBB15_2215:
	s_mov_b32 s13, -1
                                        ; implicit-def: $vgpr14
.LBB15_2216:
	s_delay_alu instid0(SALU_CYCLE_1)
	s_and_not1_b32 vcc_lo, exec_lo, s13
	s_cbranch_vccnz .LBB15_2218
; %bb.2217:
	global_load_b32 v5, v[16:17], off
	s_wait_loadcnt 0x0
	v_cvt_i32_f32_e32 v14, v5
.LBB15_2218:
	s_mov_b32 s13, 0
.LBB15_2219:
	s_delay_alu instid0(SALU_CYCLE_1)
	s_and_not1_b32 vcc_lo, exec_lo, s13
	s_cbranch_vccnz .LBB15_2221
; %bb.2220:
	global_load_b32 v5, v[16:17], off
	s_wait_loadcnt 0x0
	v_cvt_i16_f16_e32 v14, v5
.LBB15_2221:
	s_mov_b32 s13, 0
.LBB15_2222:
	s_delay_alu instid0(SALU_CYCLE_1)
	s_and_not1_b32 vcc_lo, exec_lo, s13
	s_cbranch_vccnz .LBB15_2233
; %bb.2223:
	s_cmp_lt_i32 s11, 6
	s_cbranch_scc1 .LBB15_2226
; %bb.2224:
	s_cmp_gt_i32 s11, 6
	s_cbranch_scc0 .LBB15_2227
; %bb.2225:
	s_wait_loadcnt 0x0
	global_load_b64 v[14:15], v[16:17], off
	s_mov_b32 s13, 0
	s_wait_loadcnt 0x0
	v_cvt_i32_f64_e32 v14, v[14:15]
	s_branch .LBB15_2228
.LBB15_2226:
	s_mov_b32 s13, -1
                                        ; implicit-def: $vgpr14
	s_branch .LBB15_2231
.LBB15_2227:
	s_mov_b32 s13, -1
                                        ; implicit-def: $vgpr14
.LBB15_2228:
	s_delay_alu instid0(SALU_CYCLE_1)
	s_and_not1_b32 vcc_lo, exec_lo, s13
	s_cbranch_vccnz .LBB15_2230
; %bb.2229:
	global_load_b32 v5, v[16:17], off
	s_wait_loadcnt 0x0
	v_cvt_i32_f32_e32 v14, v5
.LBB15_2230:
	s_mov_b32 s13, 0
.LBB15_2231:
	s_delay_alu instid0(SALU_CYCLE_1)
	s_and_not1_b32 vcc_lo, exec_lo, s13
	s_cbranch_vccnz .LBB15_2233
; %bb.2232:
	global_load_u16 v5, v[16:17], off
	s_wait_loadcnt 0x0
	v_cvt_i16_f16_e32 v14, v5
.LBB15_2233:
	s_mov_b32 s13, 0
.LBB15_2234:
	s_delay_alu instid0(SALU_CYCLE_1)
	s_and_not1_b32 vcc_lo, exec_lo, s13
	s_cbranch_vccnz .LBB15_2254
; %bb.2235:
	s_cmp_lt_i32 s11, 2
	s_cbranch_scc1 .LBB15_2239
; %bb.2236:
	s_cmp_lt_i32 s11, 3
	s_cbranch_scc1 .LBB15_2240
; %bb.2237:
	s_cmp_gt_i32 s11, 3
	s_cbranch_scc0 .LBB15_2241
; %bb.2238:
	s_wait_loadcnt 0x0
	global_load_b64 v[14:15], v[16:17], off
	s_mov_b32 s13, 0
	s_branch .LBB15_2242
.LBB15_2239:
	s_mov_b32 s13, -1
                                        ; implicit-def: $vgpr14
	s_branch .LBB15_2248
.LBB15_2240:
	s_mov_b32 s13, -1
                                        ; implicit-def: $vgpr14
	s_branch .LBB15_2245
.LBB15_2241:
	s_mov_b32 s13, -1
                                        ; implicit-def: $vgpr14
.LBB15_2242:
	s_delay_alu instid0(SALU_CYCLE_1)
	s_and_not1_b32 vcc_lo, exec_lo, s13
	s_cbranch_vccnz .LBB15_2244
; %bb.2243:
	s_wait_loadcnt 0x0
	global_load_b32 v14, v[16:17], off
.LBB15_2244:
	s_mov_b32 s13, 0
.LBB15_2245:
	s_delay_alu instid0(SALU_CYCLE_1)
	s_and_not1_b32 vcc_lo, exec_lo, s13
	s_cbranch_vccnz .LBB15_2247
; %bb.2246:
	s_wait_loadcnt 0x0
	global_load_u16 v14, v[16:17], off
.LBB15_2247:
	s_mov_b32 s13, 0
.LBB15_2248:
	s_delay_alu instid0(SALU_CYCLE_1)
	s_and_not1_b32 vcc_lo, exec_lo, s13
	s_cbranch_vccnz .LBB15_2254
; %bb.2249:
	s_cmp_gt_i32 s11, 0
	s_mov_b32 s13, 0
	s_cbranch_scc0 .LBB15_2251
; %bb.2250:
	s_wait_loadcnt 0x0
	global_load_u8 v14, v[16:17], off
	s_branch .LBB15_2252
.LBB15_2251:
	s_mov_b32 s13, -1
                                        ; implicit-def: $vgpr14
.LBB15_2252:
	s_delay_alu instid0(SALU_CYCLE_1)
	s_and_not1_b32 vcc_lo, exec_lo, s13
	s_cbranch_vccnz .LBB15_2254
; %bb.2253:
	s_wait_loadcnt 0x0
	global_load_u8 v14, v[16:17], off
.LBB15_2254:
	s_mov_b32 s15, -1
.LBB15_2255:
	s_delay_alu instid0(SALU_CYCLE_1)
	s_and_not1_b32 vcc_lo, exec_lo, s15
	s_cbranch_vccnz .LBB15_2725
; %bb.2256:
	v_mov_b32_e32 v13, 0
	s_cmp_lt_i32 s12, 11
	s_delay_alu instid0(VALU_DEP_1)
	v_add_nc_u64_e32 v[12:13], s[0:1], v[12:13]
	s_cbranch_scc1 .LBB15_2263
; %bb.2257:
	s_cmp_gt_i32 s12, 25
	s_mov_b32 s14, 0
	s_cbranch_scc0 .LBB15_2264
; %bb.2258:
	s_cmp_gt_i32 s12, 28
	s_cbranch_scc0 .LBB15_2265
; %bb.2259:
	s_cmp_gt_i32 s12, 43
	;; [unrolled: 3-line block ×3, first 2 shown]
	s_cbranch_scc0 .LBB15_2268
; %bb.2261:
	s_cmp_eq_u32 s12, 46
	s_mov_b32 s16, 0
	s_cbranch_scc0 .LBB15_2271
; %bb.2262:
	global_load_b32 v5, v[12:13], off
	s_mov_b32 s13, 0
	s_mov_b32 s15, -1
	s_wait_loadcnt 0x0
	v_lshlrev_b32_e32 v5, 16, v5
	s_wait_xcnt 0x1
	s_delay_alu instid0(VALU_DEP_1)
	v_cvt_i32_f32_e32 v16, v5
	s_branch .LBB15_2273
.LBB15_2263:
	s_mov_b32 s13, -1
	s_mov_b32 s15, 0
                                        ; implicit-def: $vgpr16
	s_branch .LBB15_2335
.LBB15_2264:
	s_mov_b32 s16, -1
	s_mov_b32 s15, 0
	s_mov_b32 s13, 0
                                        ; implicit-def: $vgpr16
	s_branch .LBB15_2300
.LBB15_2265:
	s_mov_b32 s16, -1
	s_mov_b32 s15, 0
	s_mov_b32 s13, 0
                                        ; implicit-def: $vgpr16
	s_branch .LBB15_2283
.LBB15_2266:
	s_mov_b32 s16, -1
	s_mov_b32 s15, 0
	s_mov_b32 s13, 0
                                        ; implicit-def: $vgpr16
	s_branch .LBB15_2278
.LBB15_2267:
	s_or_b32 s10, s10, exec_lo
	s_trap 2
	s_cbranch_execz .LBB15_2204
	s_branch .LBB15_2205
.LBB15_2268:
	s_mov_b32 s16, -1
	s_mov_b32 s15, 0
	s_mov_b32 s13, 0
	s_branch .LBB15_2272
.LBB15_2269:
	s_and_not1_saveexec_b32 s51, s51
	s_cbranch_execz .LBB15_1109
.LBB15_2270:
	v_add_f32_e64 v5, 0x42800000, |v4|
	s_and_not1_b32 s50, s50, exec_lo
	s_delay_alu instid0(VALU_DEP_1) | instskip(NEXT) | instid1(VALU_DEP_1)
	v_and_b32_e32 v5, 0xff, v5
	v_cmp_ne_u32_e32 vcc_lo, 0, v5
	s_and_b32 s52, vcc_lo, exec_lo
	s_delay_alu instid0(SALU_CYCLE_1)
	s_or_b32 s50, s50, s52
	s_or_b32 exec_lo, exec_lo, s51
	v_mov_b32_e32 v6, 0
	s_and_saveexec_b32 s51, s50
	s_cbranch_execnz .LBB15_1110
	s_branch .LBB15_1111
.LBB15_2271:
	s_mov_b32 s13, -1
	s_mov_b32 s15, 0
.LBB15_2272:
                                        ; implicit-def: $vgpr16
.LBB15_2273:
	s_and_b32 vcc_lo, exec_lo, s16
	s_cbranch_vccz .LBB15_2277
; %bb.2274:
	s_cmp_eq_u32 s12, 44
	s_cbranch_scc0 .LBB15_2276
; %bb.2275:
	global_load_u8 v5, v[12:13], off
	s_mov_b32 s13, 0
	s_mov_b32 s15, -1
	s_wait_loadcnt 0x0
	v_lshlrev_b32_e32 v7, 23, v5
	v_cmp_ne_u32_e32 vcc_lo, 0, v5
	s_delay_alu instid0(VALU_DEP_2) | instskip(SKIP_1) | instid1(VALU_DEP_1)
	v_cvt_i32_f32_e32 v7, v7
	s_wait_xcnt 0x1
	v_cndmask_b32_e32 v16, 0, v7, vcc_lo
	s_branch .LBB15_2277
.LBB15_2276:
	s_mov_b32 s13, -1
                                        ; implicit-def: $vgpr16
.LBB15_2277:
	s_mov_b32 s16, 0
.LBB15_2278:
	s_delay_alu instid0(SALU_CYCLE_1)
	s_and_b32 vcc_lo, exec_lo, s16
	s_cbranch_vccz .LBB15_2282
; %bb.2279:
	s_cmp_eq_u32 s12, 29
	s_cbranch_scc0 .LBB15_2281
; %bb.2280:
	global_load_b64 v[16:17], v[12:13], off
	s_mov_b32 s13, 0
	s_mov_b32 s15, -1
	s_branch .LBB15_2282
.LBB15_2281:
	s_mov_b32 s13, -1
                                        ; implicit-def: $vgpr16
.LBB15_2282:
	s_mov_b32 s16, 0
.LBB15_2283:
	s_delay_alu instid0(SALU_CYCLE_1)
	s_and_b32 vcc_lo, exec_lo, s16
	s_cbranch_vccz .LBB15_2299
; %bb.2284:
	s_cmp_lt_i32 s12, 27
	s_cbranch_scc1 .LBB15_2287
; %bb.2285:
	s_cmp_gt_i32 s12, 27
	s_cbranch_scc0 .LBB15_2288
; %bb.2286:
	s_wait_loadcnt 0x0
	global_load_b32 v16, v[12:13], off
	s_mov_b32 s15, 0
	s_branch .LBB15_2289
.LBB15_2287:
	s_mov_b32 s15, -1
                                        ; implicit-def: $vgpr16
	s_branch .LBB15_2292
.LBB15_2288:
	s_mov_b32 s15, -1
                                        ; implicit-def: $vgpr16
.LBB15_2289:
	s_delay_alu instid0(SALU_CYCLE_1)
	s_and_not1_b32 vcc_lo, exec_lo, s15
	s_cbranch_vccnz .LBB15_2291
; %bb.2290:
	s_wait_loadcnt 0x0
	global_load_u16 v16, v[12:13], off
.LBB15_2291:
	s_mov_b32 s15, 0
.LBB15_2292:
	s_delay_alu instid0(SALU_CYCLE_1)
	s_and_not1_b32 vcc_lo, exec_lo, s15
	s_cbranch_vccnz .LBB15_2298
; %bb.2293:
	global_load_u8 v5, v[12:13], off
	s_mov_b32 s16, 0
	s_mov_b32 s15, exec_lo
	s_wait_loadcnt 0x0
	v_cmpx_lt_i16_e32 0x7f, v5
	s_xor_b32 s15, exec_lo, s15
	s_cbranch_execz .LBB15_2310
; %bb.2294:
	v_cmp_ne_u16_e32 vcc_lo, 0x80, v5
	s_and_b32 s16, vcc_lo, exec_lo
	s_and_not1_saveexec_b32 s15, s15
	s_cbranch_execnz .LBB15_2311
.LBB15_2295:
	s_or_b32 exec_lo, exec_lo, s15
	v_mov_b32_e32 v16, 0
	s_and_saveexec_b32 s15, s16
	s_cbranch_execz .LBB15_2297
.LBB15_2296:
	v_and_b32_e32 v7, 0xffff, v5
	s_delay_alu instid0(VALU_DEP_1) | instskip(SKIP_1) | instid1(VALU_DEP_2)
	v_dual_lshlrev_b32 v5, 24, v5 :: v_dual_bitop2_b32 v9, 7, v7 bitop3:0x40
	v_bfe_u32 v16, v7, 3, 4
	v_and_b32_e32 v5, 0x80000000, v5
	s_delay_alu instid0(VALU_DEP_3) | instskip(NEXT) | instid1(VALU_DEP_3)
	v_clz_i32_u32_e32 v11, v9
	v_cmp_eq_u32_e32 vcc_lo, 0, v16
	s_delay_alu instid0(VALU_DEP_2) | instskip(NEXT) | instid1(VALU_DEP_1)
	v_min_u32_e32 v11, 32, v11
	v_subrev_nc_u32_e32 v15, 28, v11
	v_sub_nc_u32_e32 v11, 29, v11
	s_delay_alu instid0(VALU_DEP_2) | instskip(NEXT) | instid1(VALU_DEP_2)
	v_lshlrev_b32_e32 v7, v15, v7
	v_cndmask_b32_e32 v11, v16, v11, vcc_lo
	s_delay_alu instid0(VALU_DEP_2) | instskip(NEXT) | instid1(VALU_DEP_1)
	v_and_b32_e32 v7, 7, v7
	v_cndmask_b32_e32 v7, v9, v7, vcc_lo
	s_delay_alu instid0(VALU_DEP_3) | instskip(NEXT) | instid1(VALU_DEP_2)
	v_lshl_add_u32 v9, v11, 23, 0x3b800000
	v_lshlrev_b32_e32 v7, 20, v7
	s_delay_alu instid0(VALU_DEP_1) | instskip(NEXT) | instid1(VALU_DEP_1)
	v_or3_b32 v5, v5, v9, v7
	v_cvt_i32_f32_e32 v16, v5
.LBB15_2297:
	s_or_b32 exec_lo, exec_lo, s15
.LBB15_2298:
	s_mov_b32 s15, -1
.LBB15_2299:
	s_mov_b32 s16, 0
.LBB15_2300:
	s_delay_alu instid0(SALU_CYCLE_1)
	s_and_b32 vcc_lo, exec_lo, s16
	s_cbranch_vccz .LBB15_2331
; %bb.2301:
	s_cmp_gt_i32 s12, 22
	s_cbranch_scc0 .LBB15_2309
; %bb.2302:
	s_cmp_lt_i32 s12, 24
	s_cbranch_scc1 .LBB15_2312
; %bb.2303:
	s_cmp_gt_i32 s12, 24
	s_cbranch_scc0 .LBB15_2313
; %bb.2304:
	global_load_u8 v5, v[12:13], off
	s_mov_b32 s15, 0
	s_mov_b32 s14, exec_lo
	s_wait_loadcnt 0x0
	v_cmpx_lt_i16_e32 0x7f, v5
	s_xor_b32 s14, exec_lo, s14
	s_cbranch_execz .LBB15_2325
; %bb.2305:
	v_cmp_ne_u16_e32 vcc_lo, 0x80, v5
	s_and_b32 s15, vcc_lo, exec_lo
	s_and_not1_saveexec_b32 s14, s14
	s_cbranch_execnz .LBB15_2326
.LBB15_2306:
	s_or_b32 exec_lo, exec_lo, s14
	v_mov_b32_e32 v16, 0
	s_and_saveexec_b32 s14, s15
	s_cbranch_execz .LBB15_2308
.LBB15_2307:
	v_and_b32_e32 v7, 0xffff, v5
	s_delay_alu instid0(VALU_DEP_1) | instskip(SKIP_1) | instid1(VALU_DEP_2)
	v_dual_lshlrev_b32 v5, 24, v5 :: v_dual_bitop2_b32 v9, 3, v7 bitop3:0x40
	v_bfe_u32 v16, v7, 2, 5
	v_and_b32_e32 v5, 0x80000000, v5
	s_delay_alu instid0(VALU_DEP_3) | instskip(NEXT) | instid1(VALU_DEP_3)
	v_clz_i32_u32_e32 v11, v9
	v_cmp_eq_u32_e32 vcc_lo, 0, v16
	s_delay_alu instid0(VALU_DEP_2) | instskip(NEXT) | instid1(VALU_DEP_1)
	v_min_u32_e32 v11, 32, v11
	v_subrev_nc_u32_e32 v15, 29, v11
	v_sub_nc_u32_e32 v11, 30, v11
	s_delay_alu instid0(VALU_DEP_2) | instskip(NEXT) | instid1(VALU_DEP_2)
	v_lshlrev_b32_e32 v7, v15, v7
	v_cndmask_b32_e32 v11, v16, v11, vcc_lo
	s_delay_alu instid0(VALU_DEP_2) | instskip(NEXT) | instid1(VALU_DEP_1)
	v_and_b32_e32 v7, 3, v7
	v_cndmask_b32_e32 v7, v9, v7, vcc_lo
	s_delay_alu instid0(VALU_DEP_3) | instskip(NEXT) | instid1(VALU_DEP_2)
	v_lshl_add_u32 v9, v11, 23, 0x37800000
	v_lshlrev_b32_e32 v7, 21, v7
	s_delay_alu instid0(VALU_DEP_1) | instskip(NEXT) | instid1(VALU_DEP_1)
	v_or3_b32 v5, v5, v9, v7
	v_cvt_i32_f32_e32 v16, v5
.LBB15_2308:
	s_or_b32 exec_lo, exec_lo, s14
	s_mov_b32 s14, 0
	s_branch .LBB15_2314
.LBB15_2309:
	s_mov_b32 s14, -1
                                        ; implicit-def: $vgpr16
	s_branch .LBB15_2320
.LBB15_2310:
	s_and_not1_saveexec_b32 s15, s15
	s_cbranch_execz .LBB15_2295
.LBB15_2311:
	v_cmp_ne_u16_e32 vcc_lo, 0, v5
	s_and_not1_b32 s16, s16, exec_lo
	s_and_b32 s17, vcc_lo, exec_lo
	s_delay_alu instid0(SALU_CYCLE_1)
	s_or_b32 s16, s16, s17
	s_or_b32 exec_lo, exec_lo, s15
	v_mov_b32_e32 v16, 0
	s_and_saveexec_b32 s15, s16
	s_cbranch_execnz .LBB15_2296
	s_branch .LBB15_2297
.LBB15_2312:
	s_mov_b32 s14, -1
                                        ; implicit-def: $vgpr16
	s_branch .LBB15_2317
.LBB15_2313:
	s_mov_b32 s14, -1
                                        ; implicit-def: $vgpr16
.LBB15_2314:
	s_delay_alu instid0(SALU_CYCLE_1)
	s_and_b32 vcc_lo, exec_lo, s14
	s_cbranch_vccz .LBB15_2316
; %bb.2315:
	global_load_u8 v5, v[12:13], off
	s_wait_loadcnt 0x0
	v_lshlrev_b32_e32 v5, 24, v5
	s_delay_alu instid0(VALU_DEP_1) | instskip(NEXT) | instid1(VALU_DEP_1)
	v_and_b32_e32 v7, 0x7f000000, v5
	v_clz_i32_u32_e32 v9, v7
	v_add_nc_u32_e32 v15, 0x1000000, v7
	v_cmp_ne_u32_e32 vcc_lo, 0, v7
	s_delay_alu instid0(VALU_DEP_3) | instskip(NEXT) | instid1(VALU_DEP_1)
	v_min_u32_e32 v9, 32, v9
	v_sub_nc_u32_e64 v9, v9, 4 clamp
	s_delay_alu instid0(VALU_DEP_1) | instskip(NEXT) | instid1(VALU_DEP_1)
	v_dual_lshlrev_b32 v11, v9, v7 :: v_dual_lshlrev_b32 v9, 23, v9
	v_lshrrev_b32_e32 v11, 4, v11
	s_delay_alu instid0(VALU_DEP_1) | instskip(NEXT) | instid1(VALU_DEP_1)
	v_dual_sub_nc_u32 v9, v11, v9 :: v_dual_ashrrev_i32 v11, 8, v15
	v_add_nc_u32_e32 v9, 0x3c000000, v9
	s_delay_alu instid0(VALU_DEP_1) | instskip(NEXT) | instid1(VALU_DEP_1)
	v_and_or_b32 v9, 0x7f800000, v11, v9
	v_cndmask_b32_e32 v7, 0, v9, vcc_lo
	s_delay_alu instid0(VALU_DEP_1) | instskip(SKIP_1) | instid1(VALU_DEP_1)
	v_and_or_b32 v5, 0x80000000, v5, v7
	s_wait_xcnt 0x1
	v_cvt_i32_f32_e32 v16, v5
.LBB15_2316:
	s_mov_b32 s14, 0
.LBB15_2317:
	s_delay_alu instid0(SALU_CYCLE_1)
	s_and_not1_b32 vcc_lo, exec_lo, s14
	s_cbranch_vccnz .LBB15_2319
; %bb.2318:
	global_load_u8 v5, v[12:13], off
	s_wait_loadcnt 0x0
	v_lshlrev_b32_e32 v7, 25, v5
	v_lshlrev_b16 v5, 8, v5
	s_delay_alu instid0(VALU_DEP_1) | instskip(SKIP_1) | instid1(VALU_DEP_2)
	v_and_or_b32 v11, 0x7f00, v5, 0.5
	v_bfe_i32 v5, v5, 0, 16
	v_add_f32_e32 v11, -0.5, v11
	v_lshrrev_b32_e32 v9, 4, v7
	v_cmp_gt_u32_e32 vcc_lo, 0x8000000, v7
	s_delay_alu instid0(VALU_DEP_2) | instskip(NEXT) | instid1(VALU_DEP_1)
	v_or_b32_e32 v9, 0x70000000, v9
	v_mul_f32_e32 v9, 0x7800000, v9
	s_delay_alu instid0(VALU_DEP_1) | instskip(NEXT) | instid1(VALU_DEP_1)
	v_cndmask_b32_e32 v7, v9, v11, vcc_lo
	v_and_or_b32 v5, 0x80000000, v5, v7
	s_wait_xcnt 0x1
	s_delay_alu instid0(VALU_DEP_1)
	v_cvt_i32_f32_e32 v16, v5
.LBB15_2319:
	s_mov_b32 s14, 0
	s_mov_b32 s15, -1
.LBB15_2320:
	s_and_not1_b32 vcc_lo, exec_lo, s14
	s_mov_b32 s14, 0
	s_cbranch_vccnz .LBB15_2331
; %bb.2321:
	s_cmp_gt_i32 s12, 14
	s_cbranch_scc0 .LBB15_2324
; %bb.2322:
	s_cmp_eq_u32 s12, 15
	s_cbranch_scc0 .LBB15_2327
; %bb.2323:
	global_load_u16 v5, v[12:13], off
	s_mov_b32 s13, 0
	s_mov_b32 s15, -1
	s_wait_loadcnt 0x0
	v_lshlrev_b32_e32 v5, 16, v5
	s_wait_xcnt 0x1
	s_delay_alu instid0(VALU_DEP_1)
	v_cvt_i32_f32_e32 v16, v5
	s_branch .LBB15_2329
.LBB15_2324:
	s_mov_b32 s14, -1
	s_branch .LBB15_2328
.LBB15_2325:
	s_and_not1_saveexec_b32 s14, s14
	s_cbranch_execz .LBB15_2306
.LBB15_2326:
	v_cmp_ne_u16_e32 vcc_lo, 0, v5
	s_and_not1_b32 s15, s15, exec_lo
	s_and_b32 s16, vcc_lo, exec_lo
	s_delay_alu instid0(SALU_CYCLE_1)
	s_or_b32 s15, s15, s16
	s_or_b32 exec_lo, exec_lo, s14
	v_mov_b32_e32 v16, 0
	s_and_saveexec_b32 s14, s15
	s_cbranch_execnz .LBB15_2307
	s_branch .LBB15_2308
.LBB15_2327:
	s_mov_b32 s13, -1
.LBB15_2328:
                                        ; implicit-def: $vgpr16
.LBB15_2329:
	s_and_b32 vcc_lo, exec_lo, s14
	s_mov_b32 s14, 0
	s_cbranch_vccz .LBB15_2331
; %bb.2330:
	s_cmp_lg_u32 s12, 11
	s_mov_b32 s14, -1
	s_cselect_b32 s13, -1, 0
.LBB15_2331:
	s_delay_alu instid0(SALU_CYCLE_1)
	s_and_b32 vcc_lo, exec_lo, s13
	s_cbranch_vccnz .LBB15_2400
; %bb.2332:
	s_and_not1_b32 vcc_lo, exec_lo, s14
	s_cbranch_vccnz .LBB15_2334
.LBB15_2333:
	global_load_u8 v5, v[12:13], off
	s_mov_b32 s15, -1
	s_wait_loadcnt 0x0
	v_cmp_ne_u16_e32 vcc_lo, 0, v5
	s_wait_xcnt 0x1
	v_cndmask_b32_e64 v16, 0, 1, vcc_lo
.LBB15_2334:
	s_mov_b32 s13, 0
.LBB15_2335:
	s_delay_alu instid0(SALU_CYCLE_1)
	s_and_b32 vcc_lo, exec_lo, s13
	s_cbranch_vccz .LBB15_2384
; %bb.2336:
	s_cmp_lt_i32 s12, 5
	s_cbranch_scc1 .LBB15_2341
; %bb.2337:
	s_cmp_lt_i32 s12, 8
	s_cbranch_scc1 .LBB15_2342
	;; [unrolled: 3-line block ×3, first 2 shown]
; %bb.2339:
	s_cmp_gt_i32 s12, 9
	s_cbranch_scc0 .LBB15_2344
; %bb.2340:
	s_wait_loadcnt 0x0
	global_load_b64 v[16:17], v[12:13], off
	s_mov_b32 s13, 0
	s_wait_loadcnt 0x0
	v_cvt_i32_f64_e32 v16, v[16:17]
	s_branch .LBB15_2345
.LBB15_2341:
	s_mov_b32 s13, -1
                                        ; implicit-def: $vgpr16
	s_branch .LBB15_2363
.LBB15_2342:
	s_mov_b32 s13, -1
                                        ; implicit-def: $vgpr16
	s_branch .LBB15_2351
.LBB15_2343:
	s_mov_b32 s13, -1
                                        ; implicit-def: $vgpr16
	s_branch .LBB15_2348
.LBB15_2344:
	s_mov_b32 s13, -1
                                        ; implicit-def: $vgpr16
.LBB15_2345:
	s_delay_alu instid0(SALU_CYCLE_1)
	s_and_not1_b32 vcc_lo, exec_lo, s13
	s_cbranch_vccnz .LBB15_2347
; %bb.2346:
	global_load_b32 v5, v[12:13], off
	s_wait_loadcnt 0x0
	s_wait_xcnt 0x1
	v_cvt_i32_f32_e32 v16, v5
.LBB15_2347:
	s_mov_b32 s13, 0
.LBB15_2348:
	s_delay_alu instid0(SALU_CYCLE_1)
	s_and_not1_b32 vcc_lo, exec_lo, s13
	s_cbranch_vccnz .LBB15_2350
; %bb.2349:
	global_load_b32 v5, v[12:13], off
	s_wait_loadcnt 0x0
	s_wait_xcnt 0x1
	v_cvt_i16_f16_e32 v16, v5
.LBB15_2350:
	s_mov_b32 s13, 0
.LBB15_2351:
	s_delay_alu instid0(SALU_CYCLE_1)
	s_and_not1_b32 vcc_lo, exec_lo, s13
	s_cbranch_vccnz .LBB15_2362
; %bb.2352:
	s_cmp_lt_i32 s12, 6
	s_cbranch_scc1 .LBB15_2355
; %bb.2353:
	s_cmp_gt_i32 s12, 6
	s_cbranch_scc0 .LBB15_2356
; %bb.2354:
	s_wait_loadcnt 0x0
	global_load_b64 v[16:17], v[12:13], off
	s_mov_b32 s13, 0
	s_wait_loadcnt 0x0
	v_cvt_i32_f64_e32 v16, v[16:17]
	s_branch .LBB15_2357
.LBB15_2355:
	s_mov_b32 s13, -1
                                        ; implicit-def: $vgpr16
	s_branch .LBB15_2360
.LBB15_2356:
	s_mov_b32 s13, -1
                                        ; implicit-def: $vgpr16
.LBB15_2357:
	s_delay_alu instid0(SALU_CYCLE_1)
	s_and_not1_b32 vcc_lo, exec_lo, s13
	s_cbranch_vccnz .LBB15_2359
; %bb.2358:
	global_load_b32 v5, v[12:13], off
	s_wait_loadcnt 0x0
	s_wait_xcnt 0x1
	v_cvt_i32_f32_e32 v16, v5
.LBB15_2359:
	s_mov_b32 s13, 0
.LBB15_2360:
	s_delay_alu instid0(SALU_CYCLE_1)
	s_and_not1_b32 vcc_lo, exec_lo, s13
	s_cbranch_vccnz .LBB15_2362
; %bb.2361:
	global_load_u16 v5, v[12:13], off
	s_wait_loadcnt 0x0
	s_wait_xcnt 0x1
	v_cvt_i16_f16_e32 v16, v5
.LBB15_2362:
	s_mov_b32 s13, 0
.LBB15_2363:
	s_delay_alu instid0(SALU_CYCLE_1)
	s_and_not1_b32 vcc_lo, exec_lo, s13
	s_cbranch_vccnz .LBB15_2383
; %bb.2364:
	s_cmp_lt_i32 s12, 2
	s_cbranch_scc1 .LBB15_2368
; %bb.2365:
	s_cmp_lt_i32 s12, 3
	s_cbranch_scc1 .LBB15_2369
; %bb.2366:
	s_cmp_gt_i32 s12, 3
	s_cbranch_scc0 .LBB15_2370
; %bb.2367:
	s_wait_loadcnt 0x0
	global_load_b64 v[16:17], v[12:13], off
	s_mov_b32 s13, 0
	s_branch .LBB15_2371
.LBB15_2368:
	s_mov_b32 s13, -1
                                        ; implicit-def: $vgpr16
	s_branch .LBB15_2377
.LBB15_2369:
	s_mov_b32 s13, -1
                                        ; implicit-def: $vgpr16
	s_branch .LBB15_2374
.LBB15_2370:
	s_mov_b32 s13, -1
                                        ; implicit-def: $vgpr16
.LBB15_2371:
	s_delay_alu instid0(SALU_CYCLE_1)
	s_and_not1_b32 vcc_lo, exec_lo, s13
	s_cbranch_vccnz .LBB15_2373
; %bb.2372:
	s_wait_loadcnt 0x0
	global_load_b32 v16, v[12:13], off
.LBB15_2373:
	s_mov_b32 s13, 0
.LBB15_2374:
	s_delay_alu instid0(SALU_CYCLE_1)
	s_and_not1_b32 vcc_lo, exec_lo, s13
	s_cbranch_vccnz .LBB15_2376
; %bb.2375:
	s_wait_loadcnt 0x0
	global_load_u16 v16, v[12:13], off
.LBB15_2376:
	s_mov_b32 s13, 0
.LBB15_2377:
	s_delay_alu instid0(SALU_CYCLE_1)
	s_and_not1_b32 vcc_lo, exec_lo, s13
	s_cbranch_vccnz .LBB15_2383
; %bb.2378:
	s_cmp_gt_i32 s12, 0
	s_mov_b32 s13, 0
	s_cbranch_scc0 .LBB15_2380
; %bb.2379:
	s_wait_loadcnt 0x0
	global_load_u8 v16, v[12:13], off
	s_branch .LBB15_2381
.LBB15_2380:
	s_mov_b32 s13, -1
                                        ; implicit-def: $vgpr16
.LBB15_2381:
	s_delay_alu instid0(SALU_CYCLE_1)
	s_and_not1_b32 vcc_lo, exec_lo, s13
	s_cbranch_vccnz .LBB15_2383
; %bb.2382:
	s_wait_loadcnt 0x0
	global_load_u8 v16, v[12:13], off
.LBB15_2383:
	s_mov_b32 s15, -1
.LBB15_2384:
	s_delay_alu instid0(SALU_CYCLE_1)
	s_and_not1_b32 vcc_lo, exec_lo, s15
	s_cbranch_vccnz .LBB15_2725
; %bb.2385:
	s_wait_loadcnt 0x0
	s_delay_alu instid0(VALU_DEP_1) | instskip(NEXT) | instid1(VALU_DEP_4)
	v_bfe_i32 v5, v16, 0, 8
	v_and_b32_e32 v9, 0xff, v14
	s_mov_b32 s14, 0
	s_mov_b32 s13, exec_lo
	s_delay_alu instid0(VALU_DEP_2) | instskip(NEXT) | instid1(VALU_DEP_1)
	v_sub_nc_u16 v7, 0, v5
	v_max_i16 v15, v5, v7
	s_wait_xcnt 0x0
	v_cmpx_ne_u16_e32 0, v9
	s_cbranch_execz .LBB15_2389
; %bb.2386:
	v_bfe_i32 v5, v14, 0, 8
	s_delay_alu instid0(VALU_DEP_1) | instskip(NEXT) | instid1(VALU_DEP_1)
	v_sub_nc_u16 v7, 0, v5
	v_max_i16 v7, v5, v7
	v_and_b32_e32 v5, 0xff, v15
	s_delay_alu instid0(VALU_DEP_2)
	v_and_b32_e32 v7, 0xffff, v7
.LBB15_2387:                            ; =>This Inner Loop Header: Depth=1
	s_delay_alu instid0(VALU_DEP_2) | instskip(NEXT) | instid1(VALU_DEP_1)
	v_bfe_i32 v11, v5, 0, 8
	v_cvt_f32_i32_e32 v13, v11
	s_delay_alu instid0(VALU_DEP_3) | instskip(NEXT) | instid1(VALU_DEP_1)
	v_mov_b32_e32 v15, v7
	v_bfe_i32 v7, v15, 0, 8
	s_delay_alu instid0(VALU_DEP_1) | instskip(SKIP_1) | instid1(VALU_DEP_2)
	v_cvt_f32_i32_e32 v9, v7
	v_xor_b32_e32 v7, v11, v7
	v_rcp_iflag_f32_e32 v12, v9
	v_nop
	s_delay_alu instid0(TRANS32_DEP_1) | instskip(NEXT) | instid1(VALU_DEP_1)
	v_mul_f32_e32 v11, v13, v12
	v_trunc_f32_e32 v11, v11
	s_delay_alu instid0(VALU_DEP_1) | instskip(SKIP_1) | instid1(VALU_DEP_2)
	v_dual_fma_f32 v12, -v11, v9, v13 :: v_dual_ashrrev_i32 v7, 30, v7
	v_cvt_i32_f32_e32 v11, v11
	v_cmp_ge_f32_e64 vcc_lo, |v12|, |v9|
	s_delay_alu instid0(VALU_DEP_3) | instskip(NEXT) | instid1(VALU_DEP_1)
	v_or_b32_e32 v7, 1, v7
	v_cndmask_b32_e32 v7, 0, v7, vcc_lo
	s_delay_alu instid0(VALU_DEP_1) | instskip(NEXT) | instid1(VALU_DEP_1)
	v_add_nc_u32_e32 v7, v11, v7
	v_mul_lo_u32 v7, v7, v15
	s_delay_alu instid0(VALU_DEP_1) | instskip(NEXT) | instid1(VALU_DEP_1)
	v_sub_nc_u32_e32 v5, v5, v7
	v_bfe_i32 v7, v5, 0, 8
	v_mov_b32_e32 v5, v15
	s_delay_alu instid0(VALU_DEP_2) | instskip(SKIP_2) | instid1(SALU_CYCLE_1)
	v_cmp_eq_u16_e32 vcc_lo, 0, v7
	v_and_b32_e32 v7, 0xffff, v7
	s_or_b32 s14, vcc_lo, s14
	s_and_not1_b32 exec_lo, exec_lo, s14
	s_cbranch_execnz .LBB15_2387
; %bb.2388:
	s_or_b32 exec_lo, exec_lo, s14
.LBB15_2389:
	s_delay_alu instid0(SALU_CYCLE_1) | instskip(SKIP_2) | instid1(VALU_DEP_1)
	s_or_b32 exec_lo, exec_lo, s13
	v_mov_b32_e32 v11, 0
	s_cmp_lt_i32 s11, 11
	v_add_nc_u64_e32 v[12:13], s[6:7], v[10:11]
	s_cbranch_scc1 .LBB15_2396
; %bb.2390:
	s_cmp_gt_i32 s11, 25
	s_mov_b32 s7, 0
	s_cbranch_scc0 .LBB15_2397
; %bb.2391:
	s_cmp_gt_i32 s11, 28
	s_cbranch_scc0 .LBB15_2398
; %bb.2392:
	s_cmp_gt_i32 s11, 43
	;; [unrolled: 3-line block ×3, first 2 shown]
	s_cbranch_scc0 .LBB15_2401
; %bb.2394:
	s_cmp_eq_u32 s11, 46
	s_mov_b32 s14, 0
	s_cbranch_scc0 .LBB15_2402
; %bb.2395:
	global_load_b32 v5, v[12:13], off
	s_mov_b32 s6, 0
	s_mov_b32 s13, -1
	s_wait_loadcnt 0x0
	v_lshlrev_b32_e32 v5, 16, v5
	s_delay_alu instid0(VALU_DEP_1)
	v_cvt_i32_f32_e32 v10, v5
	s_branch .LBB15_2404
.LBB15_2396:
	s_mov_b32 s6, -1
	s_mov_b32 s13, 0
                                        ; implicit-def: $vgpr10
	s_branch .LBB15_2466
.LBB15_2397:
	s_mov_b32 s14, -1
	s_mov_b32 s13, 0
	s_mov_b32 s6, 0
                                        ; implicit-def: $vgpr10
	s_branch .LBB15_2431
.LBB15_2398:
	s_mov_b32 s14, -1
	s_mov_b32 s13, 0
	s_mov_b32 s6, 0
                                        ; implicit-def: $vgpr10
	s_branch .LBB15_2414
.LBB15_2399:
	s_mov_b32 s14, -1
	s_mov_b32 s13, 0
	s_mov_b32 s6, 0
                                        ; implicit-def: $vgpr10
	s_branch .LBB15_2409
.LBB15_2400:
	s_or_b32 s10, s10, exec_lo
	s_trap 2
	s_cbranch_execz .LBB15_2333
	s_branch .LBB15_2334
.LBB15_2401:
	s_mov_b32 s14, -1
	s_mov_b32 s13, 0
	s_mov_b32 s6, 0
	s_branch .LBB15_2403
.LBB15_2402:
	s_mov_b32 s6, -1
	s_mov_b32 s13, 0
.LBB15_2403:
                                        ; implicit-def: $vgpr10
.LBB15_2404:
	s_and_b32 vcc_lo, exec_lo, s14
	s_cbranch_vccz .LBB15_2408
; %bb.2405:
	s_cmp_eq_u32 s11, 44
	s_cbranch_scc0 .LBB15_2407
; %bb.2406:
	global_load_u8 v5, v[12:13], off
	s_mov_b32 s6, 0
	s_mov_b32 s13, -1
	s_wait_loadcnt 0x0
	v_lshlrev_b32_e32 v7, 23, v5
	v_cmp_ne_u32_e32 vcc_lo, 0, v5
	s_delay_alu instid0(VALU_DEP_2) | instskip(NEXT) | instid1(VALU_DEP_1)
	v_cvt_i32_f32_e32 v7, v7
	v_cndmask_b32_e32 v10, 0, v7, vcc_lo
	s_branch .LBB15_2408
.LBB15_2407:
	s_mov_b32 s6, -1
                                        ; implicit-def: $vgpr10
.LBB15_2408:
	s_mov_b32 s14, 0
.LBB15_2409:
	s_delay_alu instid0(SALU_CYCLE_1)
	s_and_b32 vcc_lo, exec_lo, s14
	s_cbranch_vccz .LBB15_2413
; %bb.2410:
	s_cmp_eq_u32 s11, 29
	s_cbranch_scc0 .LBB15_2412
; %bb.2411:
	global_load_b64 v[10:11], v[12:13], off
	s_mov_b32 s6, 0
	s_mov_b32 s13, -1
	s_branch .LBB15_2413
.LBB15_2412:
	s_mov_b32 s6, -1
                                        ; implicit-def: $vgpr10
.LBB15_2413:
	s_mov_b32 s14, 0
.LBB15_2414:
	s_delay_alu instid0(SALU_CYCLE_1)
	s_and_b32 vcc_lo, exec_lo, s14
	s_cbranch_vccz .LBB15_2430
; %bb.2415:
	s_cmp_lt_i32 s11, 27
	s_cbranch_scc1 .LBB15_2418
; %bb.2416:
	s_cmp_gt_i32 s11, 27
	s_cbranch_scc0 .LBB15_2419
; %bb.2417:
	s_wait_loadcnt 0x0
	global_load_b32 v10, v[12:13], off
	s_mov_b32 s13, 0
	s_branch .LBB15_2420
.LBB15_2418:
	s_mov_b32 s13, -1
                                        ; implicit-def: $vgpr10
	s_branch .LBB15_2423
.LBB15_2419:
	s_mov_b32 s13, -1
                                        ; implicit-def: $vgpr10
.LBB15_2420:
	s_delay_alu instid0(SALU_CYCLE_1)
	s_and_not1_b32 vcc_lo, exec_lo, s13
	s_cbranch_vccnz .LBB15_2422
; %bb.2421:
	s_wait_loadcnt 0x0
	global_load_u16 v10, v[12:13], off
.LBB15_2422:
	s_mov_b32 s13, 0
.LBB15_2423:
	s_delay_alu instid0(SALU_CYCLE_1)
	s_and_not1_b32 vcc_lo, exec_lo, s13
	s_cbranch_vccnz .LBB15_2429
; %bb.2424:
	global_load_u8 v5, v[12:13], off
	s_mov_b32 s14, 0
	s_mov_b32 s13, exec_lo
	s_wait_loadcnt 0x0
	v_cmpx_lt_i16_e32 0x7f, v5
	s_xor_b32 s13, exec_lo, s13
	s_cbranch_execz .LBB15_2441
; %bb.2425:
	v_cmp_ne_u16_e32 vcc_lo, 0x80, v5
	s_and_b32 s14, vcc_lo, exec_lo
	s_and_not1_saveexec_b32 s13, s13
	s_cbranch_execnz .LBB15_2442
.LBB15_2426:
	s_or_b32 exec_lo, exec_lo, s13
	v_mov_b32_e32 v10, 0
	s_and_saveexec_b32 s13, s14
	s_cbranch_execz .LBB15_2428
.LBB15_2427:
	v_and_b32_e32 v7, 0xffff, v5
	s_delay_alu instid0(VALU_DEP_1) | instskip(SKIP_1) | instid1(VALU_DEP_2)
	v_and_b32_e32 v9, 7, v7
	v_bfe_u32 v14, v7, 3, 4
	v_clz_i32_u32_e32 v10, v9
	s_delay_alu instid0(VALU_DEP_2) | instskip(NEXT) | instid1(VALU_DEP_2)
	v_cmp_eq_u32_e32 vcc_lo, 0, v14
	v_min_u32_e32 v10, 32, v10
	s_delay_alu instid0(VALU_DEP_1) | instskip(NEXT) | instid1(VALU_DEP_1)
	v_subrev_nc_u32_e32 v11, 28, v10
	v_dual_lshlrev_b32 v7, v11, v7 :: v_dual_sub_nc_u32 v10, 29, v10
	s_delay_alu instid0(VALU_DEP_1) | instskip(NEXT) | instid1(VALU_DEP_1)
	v_dual_lshlrev_b32 v5, 24, v5 :: v_dual_bitop2_b32 v7, 7, v7 bitop3:0x40
	v_dual_cndmask_b32 v10, v14, v10 :: v_dual_cndmask_b32 v7, v9, v7
	s_delay_alu instid0(VALU_DEP_2) | instskip(NEXT) | instid1(VALU_DEP_2)
	v_and_b32_e32 v5, 0x80000000, v5
	v_lshl_add_u32 v9, v10, 23, 0x3b800000
	s_delay_alu instid0(VALU_DEP_3) | instskip(NEXT) | instid1(VALU_DEP_1)
	v_lshlrev_b32_e32 v7, 20, v7
	v_or3_b32 v5, v5, v9, v7
	s_delay_alu instid0(VALU_DEP_1)
	v_cvt_i32_f32_e32 v10, v5
.LBB15_2428:
	s_or_b32 exec_lo, exec_lo, s13
.LBB15_2429:
	s_mov_b32 s13, -1
.LBB15_2430:
	s_mov_b32 s14, 0
.LBB15_2431:
	s_delay_alu instid0(SALU_CYCLE_1)
	s_and_b32 vcc_lo, exec_lo, s14
	s_cbranch_vccz .LBB15_2462
; %bb.2432:
	s_cmp_gt_i32 s11, 22
	s_cbranch_scc0 .LBB15_2440
; %bb.2433:
	s_cmp_lt_i32 s11, 24
	s_cbranch_scc1 .LBB15_2443
; %bb.2434:
	s_cmp_gt_i32 s11, 24
	s_cbranch_scc0 .LBB15_2444
; %bb.2435:
	global_load_u8 v5, v[12:13], off
	s_mov_b32 s13, 0
	s_mov_b32 s7, exec_lo
	s_wait_loadcnt 0x0
	v_cmpx_lt_i16_e32 0x7f, v5
	s_xor_b32 s7, exec_lo, s7
	s_cbranch_execz .LBB15_2456
; %bb.2436:
	v_cmp_ne_u16_e32 vcc_lo, 0x80, v5
	s_and_b32 s13, vcc_lo, exec_lo
	s_and_not1_saveexec_b32 s7, s7
	s_cbranch_execnz .LBB15_2457
.LBB15_2437:
	s_or_b32 exec_lo, exec_lo, s7
	v_mov_b32_e32 v10, 0
	s_and_saveexec_b32 s7, s13
	s_cbranch_execz .LBB15_2439
.LBB15_2438:
	v_and_b32_e32 v7, 0xffff, v5
	s_delay_alu instid0(VALU_DEP_1) | instskip(SKIP_1) | instid1(VALU_DEP_2)
	v_and_b32_e32 v9, 3, v7
	v_bfe_u32 v14, v7, 2, 5
	v_clz_i32_u32_e32 v10, v9
	s_delay_alu instid0(VALU_DEP_2) | instskip(NEXT) | instid1(VALU_DEP_2)
	v_cmp_eq_u32_e32 vcc_lo, 0, v14
	v_min_u32_e32 v10, 32, v10
	s_delay_alu instid0(VALU_DEP_1) | instskip(NEXT) | instid1(VALU_DEP_1)
	v_subrev_nc_u32_e32 v11, 29, v10
	v_dual_lshlrev_b32 v7, v11, v7 :: v_dual_sub_nc_u32 v10, 30, v10
	s_delay_alu instid0(VALU_DEP_1) | instskip(NEXT) | instid1(VALU_DEP_1)
	v_dual_lshlrev_b32 v5, 24, v5 :: v_dual_bitop2_b32 v7, 3, v7 bitop3:0x40
	v_dual_cndmask_b32 v10, v14, v10 :: v_dual_cndmask_b32 v7, v9, v7
	s_delay_alu instid0(VALU_DEP_2) | instskip(NEXT) | instid1(VALU_DEP_2)
	v_and_b32_e32 v5, 0x80000000, v5
	v_lshl_add_u32 v9, v10, 23, 0x37800000
	s_delay_alu instid0(VALU_DEP_3) | instskip(NEXT) | instid1(VALU_DEP_1)
	v_lshlrev_b32_e32 v7, 21, v7
	v_or3_b32 v5, v5, v9, v7
	s_delay_alu instid0(VALU_DEP_1)
	v_cvt_i32_f32_e32 v10, v5
.LBB15_2439:
	s_or_b32 exec_lo, exec_lo, s7
	s_mov_b32 s7, 0
	s_branch .LBB15_2445
.LBB15_2440:
	s_mov_b32 s7, -1
                                        ; implicit-def: $vgpr10
	s_branch .LBB15_2451
.LBB15_2441:
	s_and_not1_saveexec_b32 s13, s13
	s_cbranch_execz .LBB15_2426
.LBB15_2442:
	v_cmp_ne_u16_e32 vcc_lo, 0, v5
	s_and_not1_b32 s14, s14, exec_lo
	s_and_b32 s15, vcc_lo, exec_lo
	s_delay_alu instid0(SALU_CYCLE_1)
	s_or_b32 s14, s14, s15
	s_or_b32 exec_lo, exec_lo, s13
	v_mov_b32_e32 v10, 0
	s_and_saveexec_b32 s13, s14
	s_cbranch_execnz .LBB15_2427
	s_branch .LBB15_2428
.LBB15_2443:
	s_mov_b32 s7, -1
                                        ; implicit-def: $vgpr10
	s_branch .LBB15_2448
.LBB15_2444:
	s_mov_b32 s7, -1
                                        ; implicit-def: $vgpr10
.LBB15_2445:
	s_delay_alu instid0(SALU_CYCLE_1)
	s_and_b32 vcc_lo, exec_lo, s7
	s_cbranch_vccz .LBB15_2447
; %bb.2446:
	global_load_u8 v5, v[12:13], off
	s_wait_loadcnt 0x0
	v_lshlrev_b32_e32 v5, 24, v5
	s_delay_alu instid0(VALU_DEP_1) | instskip(NEXT) | instid1(VALU_DEP_1)
	v_and_b32_e32 v7, 0x7f000000, v5
	v_clz_i32_u32_e32 v9, v7
	v_add_nc_u32_e32 v11, 0x1000000, v7
	v_cmp_ne_u32_e32 vcc_lo, 0, v7
	s_delay_alu instid0(VALU_DEP_3) | instskip(NEXT) | instid1(VALU_DEP_1)
	v_min_u32_e32 v9, 32, v9
	v_sub_nc_u32_e64 v9, v9, 4 clamp
	s_delay_alu instid0(VALU_DEP_1) | instskip(NEXT) | instid1(VALU_DEP_1)
	v_dual_lshlrev_b32 v10, v9, v7 :: v_dual_lshlrev_b32 v9, 23, v9
	v_lshrrev_b32_e32 v10, 4, v10
	s_delay_alu instid0(VALU_DEP_1) | instskip(NEXT) | instid1(VALU_DEP_1)
	v_dual_sub_nc_u32 v9, v10, v9 :: v_dual_ashrrev_i32 v10, 8, v11
	v_add_nc_u32_e32 v9, 0x3c000000, v9
	s_delay_alu instid0(VALU_DEP_1) | instskip(NEXT) | instid1(VALU_DEP_1)
	v_and_or_b32 v9, 0x7f800000, v10, v9
	v_cndmask_b32_e32 v7, 0, v9, vcc_lo
	s_delay_alu instid0(VALU_DEP_1) | instskip(NEXT) | instid1(VALU_DEP_1)
	v_and_or_b32 v5, 0x80000000, v5, v7
	v_cvt_i32_f32_e32 v10, v5
.LBB15_2447:
	s_mov_b32 s7, 0
.LBB15_2448:
	s_delay_alu instid0(SALU_CYCLE_1)
	s_and_not1_b32 vcc_lo, exec_lo, s7
	s_cbranch_vccnz .LBB15_2450
; %bb.2449:
	global_load_u8 v5, v[12:13], off
	s_wait_loadcnt 0x0
	v_lshlrev_b32_e32 v7, 25, v5
	v_lshlrev_b16 v5, 8, v5
	s_delay_alu instid0(VALU_DEP_1) | instskip(SKIP_1) | instid1(VALU_DEP_2)
	v_and_or_b32 v10, 0x7f00, v5, 0.5
	v_bfe_i32 v5, v5, 0, 16
	v_dual_add_f32 v10, -0.5, v10 :: v_dual_lshrrev_b32 v9, 4, v7
	v_cmp_gt_u32_e32 vcc_lo, 0x8000000, v7
	s_delay_alu instid0(VALU_DEP_2) | instskip(NEXT) | instid1(VALU_DEP_1)
	v_or_b32_e32 v9, 0x70000000, v9
	v_mul_f32_e32 v9, 0x7800000, v9
	s_delay_alu instid0(VALU_DEP_1) | instskip(NEXT) | instid1(VALU_DEP_1)
	v_cndmask_b32_e32 v7, v9, v10, vcc_lo
	v_and_or_b32 v5, 0x80000000, v5, v7
	s_delay_alu instid0(VALU_DEP_1)
	v_cvt_i32_f32_e32 v10, v5
.LBB15_2450:
	s_mov_b32 s7, 0
	s_mov_b32 s13, -1
.LBB15_2451:
	s_and_not1_b32 vcc_lo, exec_lo, s7
	s_mov_b32 s7, 0
	s_cbranch_vccnz .LBB15_2462
; %bb.2452:
	s_cmp_gt_i32 s11, 14
	s_cbranch_scc0 .LBB15_2455
; %bb.2453:
	s_cmp_eq_u32 s11, 15
	s_cbranch_scc0 .LBB15_2458
; %bb.2454:
	global_load_u16 v5, v[12:13], off
	s_mov_b32 s6, 0
	s_mov_b32 s13, -1
	s_wait_loadcnt 0x0
	v_lshlrev_b32_e32 v5, 16, v5
	s_delay_alu instid0(VALU_DEP_1)
	v_cvt_i32_f32_e32 v10, v5
	s_branch .LBB15_2460
.LBB15_2455:
	s_mov_b32 s7, -1
	s_branch .LBB15_2459
.LBB15_2456:
	s_and_not1_saveexec_b32 s7, s7
	s_cbranch_execz .LBB15_2437
.LBB15_2457:
	v_cmp_ne_u16_e32 vcc_lo, 0, v5
	s_and_not1_b32 s13, s13, exec_lo
	s_and_b32 s14, vcc_lo, exec_lo
	s_delay_alu instid0(SALU_CYCLE_1)
	s_or_b32 s13, s13, s14
	s_or_b32 exec_lo, exec_lo, s7
	v_mov_b32_e32 v10, 0
	s_and_saveexec_b32 s7, s13
	s_cbranch_execnz .LBB15_2438
	s_branch .LBB15_2439
.LBB15_2458:
	s_mov_b32 s6, -1
.LBB15_2459:
                                        ; implicit-def: $vgpr10
.LBB15_2460:
	s_and_b32 vcc_lo, exec_lo, s7
	s_mov_b32 s7, 0
	s_cbranch_vccz .LBB15_2462
; %bb.2461:
	s_cmp_lg_u32 s11, 11
	s_mov_b32 s7, -1
	s_cselect_b32 s6, -1, 0
.LBB15_2462:
	s_delay_alu instid0(SALU_CYCLE_1)
	s_and_b32 vcc_lo, exec_lo, s6
	s_cbranch_vccnz .LBB15_2527
; %bb.2463:
	s_and_not1_b32 vcc_lo, exec_lo, s7
	s_cbranch_vccnz .LBB15_2465
.LBB15_2464:
	global_load_u8 v5, v[12:13], off
	s_mov_b32 s13, -1
	s_wait_loadcnt 0x0
	v_cmp_ne_u16_e32 vcc_lo, 0, v5
	v_cndmask_b32_e64 v10, 0, 1, vcc_lo
.LBB15_2465:
	s_mov_b32 s6, 0
.LBB15_2466:
	s_delay_alu instid0(SALU_CYCLE_1)
	s_and_b32 vcc_lo, exec_lo, s6
	s_cbranch_vccz .LBB15_2515
; %bb.2467:
	s_cmp_lt_i32 s11, 5
	s_cbranch_scc1 .LBB15_2472
; %bb.2468:
	s_cmp_lt_i32 s11, 8
	s_cbranch_scc1 .LBB15_2473
	;; [unrolled: 3-line block ×3, first 2 shown]
; %bb.2470:
	s_cmp_gt_i32 s11, 9
	s_cbranch_scc0 .LBB15_2475
; %bb.2471:
	s_wait_loadcnt 0x0
	global_load_b64 v[10:11], v[12:13], off
	s_mov_b32 s6, 0
	s_wait_loadcnt 0x0
	v_cvt_i32_f64_e32 v10, v[10:11]
	s_branch .LBB15_2476
.LBB15_2472:
	s_mov_b32 s6, -1
                                        ; implicit-def: $vgpr10
	s_branch .LBB15_2494
.LBB15_2473:
	s_mov_b32 s6, -1
                                        ; implicit-def: $vgpr10
	s_branch .LBB15_2482
.LBB15_2474:
	s_mov_b32 s6, -1
                                        ; implicit-def: $vgpr10
	s_branch .LBB15_2479
.LBB15_2475:
	s_mov_b32 s6, -1
                                        ; implicit-def: $vgpr10
.LBB15_2476:
	s_delay_alu instid0(SALU_CYCLE_1)
	s_and_not1_b32 vcc_lo, exec_lo, s6
	s_cbranch_vccnz .LBB15_2478
; %bb.2477:
	global_load_b32 v5, v[12:13], off
	s_wait_loadcnt 0x0
	v_cvt_i32_f32_e32 v10, v5
.LBB15_2478:
	s_mov_b32 s6, 0
.LBB15_2479:
	s_delay_alu instid0(SALU_CYCLE_1)
	s_and_not1_b32 vcc_lo, exec_lo, s6
	s_cbranch_vccnz .LBB15_2481
; %bb.2480:
	global_load_b32 v5, v[12:13], off
	s_wait_loadcnt 0x0
	v_cvt_i16_f16_e32 v10, v5
.LBB15_2481:
	s_mov_b32 s6, 0
.LBB15_2482:
	s_delay_alu instid0(SALU_CYCLE_1)
	s_and_not1_b32 vcc_lo, exec_lo, s6
	s_cbranch_vccnz .LBB15_2493
; %bb.2483:
	s_cmp_lt_i32 s11, 6
	s_cbranch_scc1 .LBB15_2486
; %bb.2484:
	s_cmp_gt_i32 s11, 6
	s_cbranch_scc0 .LBB15_2487
; %bb.2485:
	s_wait_loadcnt 0x0
	global_load_b64 v[10:11], v[12:13], off
	s_mov_b32 s6, 0
	s_wait_loadcnt 0x0
	v_cvt_i32_f64_e32 v10, v[10:11]
	s_branch .LBB15_2488
.LBB15_2486:
	s_mov_b32 s6, -1
                                        ; implicit-def: $vgpr10
	s_branch .LBB15_2491
.LBB15_2487:
	s_mov_b32 s6, -1
                                        ; implicit-def: $vgpr10
.LBB15_2488:
	s_delay_alu instid0(SALU_CYCLE_1)
	s_and_not1_b32 vcc_lo, exec_lo, s6
	s_cbranch_vccnz .LBB15_2490
; %bb.2489:
	global_load_b32 v5, v[12:13], off
	s_wait_loadcnt 0x0
	v_cvt_i32_f32_e32 v10, v5
.LBB15_2490:
	s_mov_b32 s6, 0
.LBB15_2491:
	s_delay_alu instid0(SALU_CYCLE_1)
	s_and_not1_b32 vcc_lo, exec_lo, s6
	s_cbranch_vccnz .LBB15_2493
; %bb.2492:
	global_load_u16 v5, v[12:13], off
	s_wait_loadcnt 0x0
	v_cvt_i16_f16_e32 v10, v5
.LBB15_2493:
	s_mov_b32 s6, 0
.LBB15_2494:
	s_delay_alu instid0(SALU_CYCLE_1)
	s_and_not1_b32 vcc_lo, exec_lo, s6
	s_cbranch_vccnz .LBB15_2514
; %bb.2495:
	s_cmp_lt_i32 s11, 2
	s_cbranch_scc1 .LBB15_2499
; %bb.2496:
	s_cmp_lt_i32 s11, 3
	s_cbranch_scc1 .LBB15_2500
; %bb.2497:
	s_cmp_gt_i32 s11, 3
	s_cbranch_scc0 .LBB15_2501
; %bb.2498:
	s_wait_loadcnt 0x0
	global_load_b64 v[10:11], v[12:13], off
	s_mov_b32 s6, 0
	s_branch .LBB15_2502
.LBB15_2499:
	s_mov_b32 s6, -1
                                        ; implicit-def: $vgpr10
	s_branch .LBB15_2508
.LBB15_2500:
	s_mov_b32 s6, -1
                                        ; implicit-def: $vgpr10
	s_branch .LBB15_2505
.LBB15_2501:
	s_mov_b32 s6, -1
                                        ; implicit-def: $vgpr10
.LBB15_2502:
	s_delay_alu instid0(SALU_CYCLE_1)
	s_and_not1_b32 vcc_lo, exec_lo, s6
	s_cbranch_vccnz .LBB15_2504
; %bb.2503:
	s_wait_loadcnt 0x0
	global_load_b32 v10, v[12:13], off
.LBB15_2504:
	s_mov_b32 s6, 0
.LBB15_2505:
	s_delay_alu instid0(SALU_CYCLE_1)
	s_and_not1_b32 vcc_lo, exec_lo, s6
	s_cbranch_vccnz .LBB15_2507
; %bb.2506:
	s_wait_loadcnt 0x0
	global_load_u16 v10, v[12:13], off
.LBB15_2507:
	s_mov_b32 s6, 0
.LBB15_2508:
	s_delay_alu instid0(SALU_CYCLE_1)
	s_and_not1_b32 vcc_lo, exec_lo, s6
	s_cbranch_vccnz .LBB15_2514
; %bb.2509:
	s_cmp_gt_i32 s11, 0
	s_mov_b32 s6, 0
	s_cbranch_scc0 .LBB15_2511
; %bb.2510:
	s_wait_loadcnt 0x0
	global_load_u8 v10, v[12:13], off
	s_branch .LBB15_2512
.LBB15_2511:
	s_mov_b32 s6, -1
                                        ; implicit-def: $vgpr10
.LBB15_2512:
	s_delay_alu instid0(SALU_CYCLE_1)
	s_and_not1_b32 vcc_lo, exec_lo, s6
	s_cbranch_vccnz .LBB15_2514
; %bb.2513:
	s_wait_loadcnt 0x0
	global_load_u8 v10, v[12:13], off
.LBB15_2514:
	s_mov_b32 s13, -1
.LBB15_2515:
	s_delay_alu instid0(SALU_CYCLE_1)
	s_and_not1_b32 vcc_lo, exec_lo, s13
	s_cbranch_vccnz .LBB15_2725
; %bb.2516:
	v_mov_b32_e32 v9, 0
	s_cmp_lt_i32 s12, 11
	s_delay_alu instid0(VALU_DEP_1)
	v_add_nc_u64_e32 v[8:9], s[0:1], v[8:9]
	s_cbranch_scc1 .LBB15_2523
; %bb.2517:
	s_cmp_gt_i32 s12, 25
	s_mov_b32 s1, 0
	s_cbranch_scc0 .LBB15_2524
; %bb.2518:
	s_cmp_gt_i32 s12, 28
	s_cbranch_scc0 .LBB15_2525
; %bb.2519:
	s_cmp_gt_i32 s12, 43
	;; [unrolled: 3-line block ×3, first 2 shown]
	s_cbranch_scc0 .LBB15_2528
; %bb.2521:
	s_cmp_eq_u32 s12, 46
	s_mov_b32 s7, 0
	s_cbranch_scc0 .LBB15_2529
; %bb.2522:
	global_load_b32 v5, v[8:9], off
	s_mov_b32 s0, 0
	s_mov_b32 s6, -1
	s_wait_loadcnt 0x0
	v_lshlrev_b32_e32 v5, 16, v5
	s_wait_xcnt 0x1
	s_delay_alu instid0(VALU_DEP_1)
	v_cvt_i32_f32_e32 v12, v5
	s_branch .LBB15_2531
.LBB15_2523:
	s_mov_b32 s0, -1
	s_mov_b32 s6, 0
                                        ; implicit-def: $vgpr12
	s_branch .LBB15_2593
.LBB15_2524:
	s_mov_b32 s7, -1
	s_mov_b32 s6, 0
	s_mov_b32 s0, 0
                                        ; implicit-def: $vgpr12
	s_branch .LBB15_2558
.LBB15_2525:
	s_mov_b32 s7, -1
	s_mov_b32 s6, 0
	s_mov_b32 s0, 0
                                        ; implicit-def: $vgpr12
	s_branch .LBB15_2541
.LBB15_2526:
	s_mov_b32 s7, -1
	s_mov_b32 s6, 0
	s_mov_b32 s0, 0
                                        ; implicit-def: $vgpr12
	s_branch .LBB15_2536
.LBB15_2527:
	s_or_b32 s10, s10, exec_lo
	s_trap 2
	s_cbranch_execz .LBB15_2464
	s_branch .LBB15_2465
.LBB15_2528:
	s_mov_b32 s7, -1
	s_mov_b32 s6, 0
	s_mov_b32 s0, 0
	s_branch .LBB15_2530
.LBB15_2529:
	s_mov_b32 s0, -1
	s_mov_b32 s6, 0
.LBB15_2530:
                                        ; implicit-def: $vgpr12
.LBB15_2531:
	s_and_b32 vcc_lo, exec_lo, s7
	s_cbranch_vccz .LBB15_2535
; %bb.2532:
	s_cmp_eq_u32 s12, 44
	s_cbranch_scc0 .LBB15_2534
; %bb.2533:
	global_load_u8 v5, v[8:9], off
	s_mov_b32 s0, 0
	s_mov_b32 s6, -1
	s_wait_loadcnt 0x0
	v_lshlrev_b32_e32 v7, 23, v5
	v_cmp_ne_u32_e32 vcc_lo, 0, v5
	s_delay_alu instid0(VALU_DEP_2) | instskip(SKIP_1) | instid1(VALU_DEP_1)
	v_cvt_i32_f32_e32 v7, v7
	s_wait_xcnt 0x1
	v_cndmask_b32_e32 v12, 0, v7, vcc_lo
	s_branch .LBB15_2535
.LBB15_2534:
	s_mov_b32 s0, -1
                                        ; implicit-def: $vgpr12
.LBB15_2535:
	s_mov_b32 s7, 0
.LBB15_2536:
	s_delay_alu instid0(SALU_CYCLE_1)
	s_and_b32 vcc_lo, exec_lo, s7
	s_cbranch_vccz .LBB15_2540
; %bb.2537:
	s_cmp_eq_u32 s12, 29
	s_cbranch_scc0 .LBB15_2539
; %bb.2538:
	global_load_b64 v[12:13], v[8:9], off
	s_mov_b32 s0, 0
	s_mov_b32 s6, -1
	s_branch .LBB15_2540
.LBB15_2539:
	s_mov_b32 s0, -1
                                        ; implicit-def: $vgpr12
.LBB15_2540:
	s_mov_b32 s7, 0
.LBB15_2541:
	s_delay_alu instid0(SALU_CYCLE_1)
	s_and_b32 vcc_lo, exec_lo, s7
	s_cbranch_vccz .LBB15_2557
; %bb.2542:
	s_cmp_lt_i32 s12, 27
	s_cbranch_scc1 .LBB15_2545
; %bb.2543:
	s_cmp_gt_i32 s12, 27
	s_cbranch_scc0 .LBB15_2546
; %bb.2544:
	s_wait_loadcnt 0x0
	global_load_b32 v12, v[8:9], off
	s_mov_b32 s6, 0
	s_branch .LBB15_2547
.LBB15_2545:
	s_mov_b32 s6, -1
                                        ; implicit-def: $vgpr12
	s_branch .LBB15_2550
.LBB15_2546:
	s_mov_b32 s6, -1
                                        ; implicit-def: $vgpr12
.LBB15_2547:
	s_delay_alu instid0(SALU_CYCLE_1)
	s_and_not1_b32 vcc_lo, exec_lo, s6
	s_cbranch_vccnz .LBB15_2549
; %bb.2548:
	s_wait_loadcnt 0x0
	global_load_u16 v12, v[8:9], off
.LBB15_2549:
	s_mov_b32 s6, 0
.LBB15_2550:
	s_delay_alu instid0(SALU_CYCLE_1)
	s_and_not1_b32 vcc_lo, exec_lo, s6
	s_cbranch_vccnz .LBB15_2556
; %bb.2551:
	global_load_u8 v5, v[8:9], off
	s_mov_b32 s7, 0
	s_mov_b32 s6, exec_lo
	s_wait_loadcnt 0x0
	v_cmpx_lt_i16_e32 0x7f, v5
	s_xor_b32 s6, exec_lo, s6
	s_cbranch_execz .LBB15_2568
; %bb.2552:
	v_cmp_ne_u16_e32 vcc_lo, 0x80, v5
	s_and_b32 s7, vcc_lo, exec_lo
	s_and_not1_saveexec_b32 s6, s6
	s_cbranch_execnz .LBB15_2569
.LBB15_2553:
	s_or_b32 exec_lo, exec_lo, s6
	v_mov_b32_e32 v12, 0
	s_and_saveexec_b32 s6, s7
	s_cbranch_execz .LBB15_2555
.LBB15_2554:
	v_and_b32_e32 v7, 0xffff, v5
	s_delay_alu instid0(VALU_DEP_1) | instskip(SKIP_1) | instid1(VALU_DEP_2)
	v_and_b32_e32 v11, 7, v7
	v_bfe_u32 v14, v7, 3, 4
	v_clz_i32_u32_e32 v12, v11
	s_delay_alu instid0(VALU_DEP_2) | instskip(NEXT) | instid1(VALU_DEP_2)
	v_cmp_eq_u32_e32 vcc_lo, 0, v14
	v_min_u32_e32 v12, 32, v12
	s_delay_alu instid0(VALU_DEP_1) | instskip(NEXT) | instid1(VALU_DEP_1)
	v_subrev_nc_u32_e32 v13, 28, v12
	v_dual_lshlrev_b32 v7, v13, v7 :: v_dual_sub_nc_u32 v12, 29, v12
	s_delay_alu instid0(VALU_DEP_1) | instskip(NEXT) | instid1(VALU_DEP_1)
	v_dual_lshlrev_b32 v5, 24, v5 :: v_dual_bitop2_b32 v7, 7, v7 bitop3:0x40
	v_dual_cndmask_b32 v12, v14, v12 :: v_dual_cndmask_b32 v7, v11, v7
	s_delay_alu instid0(VALU_DEP_2) | instskip(NEXT) | instid1(VALU_DEP_2)
	v_and_b32_e32 v5, 0x80000000, v5
	v_lshl_add_u32 v11, v12, 23, 0x3b800000
	s_delay_alu instid0(VALU_DEP_3) | instskip(NEXT) | instid1(VALU_DEP_1)
	v_lshlrev_b32_e32 v7, 20, v7
	v_or3_b32 v5, v5, v11, v7
	s_delay_alu instid0(VALU_DEP_1)
	v_cvt_i32_f32_e32 v12, v5
.LBB15_2555:
	s_or_b32 exec_lo, exec_lo, s6
.LBB15_2556:
	s_mov_b32 s6, -1
.LBB15_2557:
	s_mov_b32 s7, 0
.LBB15_2558:
	s_delay_alu instid0(SALU_CYCLE_1)
	s_and_b32 vcc_lo, exec_lo, s7
	s_cbranch_vccz .LBB15_2589
; %bb.2559:
	s_cmp_gt_i32 s12, 22
	s_cbranch_scc0 .LBB15_2567
; %bb.2560:
	s_cmp_lt_i32 s12, 24
	s_cbranch_scc1 .LBB15_2570
; %bb.2561:
	s_cmp_gt_i32 s12, 24
	s_cbranch_scc0 .LBB15_2571
; %bb.2562:
	global_load_u8 v5, v[8:9], off
	s_mov_b32 s6, 0
	s_mov_b32 s1, exec_lo
	s_wait_loadcnt 0x0
	v_cmpx_lt_i16_e32 0x7f, v5
	s_xor_b32 s1, exec_lo, s1
	s_cbranch_execz .LBB15_2583
; %bb.2563:
	v_cmp_ne_u16_e32 vcc_lo, 0x80, v5
	s_and_b32 s6, vcc_lo, exec_lo
	s_and_not1_saveexec_b32 s1, s1
	s_cbranch_execnz .LBB15_2584
.LBB15_2564:
	s_or_b32 exec_lo, exec_lo, s1
	v_mov_b32_e32 v12, 0
	s_and_saveexec_b32 s1, s6
	s_cbranch_execz .LBB15_2566
.LBB15_2565:
	v_and_b32_e32 v7, 0xffff, v5
	s_delay_alu instid0(VALU_DEP_1) | instskip(SKIP_1) | instid1(VALU_DEP_2)
	v_and_b32_e32 v11, 3, v7
	v_bfe_u32 v14, v7, 2, 5
	v_clz_i32_u32_e32 v12, v11
	s_delay_alu instid0(VALU_DEP_2) | instskip(NEXT) | instid1(VALU_DEP_2)
	v_cmp_eq_u32_e32 vcc_lo, 0, v14
	v_min_u32_e32 v12, 32, v12
	s_delay_alu instid0(VALU_DEP_1) | instskip(NEXT) | instid1(VALU_DEP_1)
	v_subrev_nc_u32_e32 v13, 29, v12
	v_dual_lshlrev_b32 v7, v13, v7 :: v_dual_sub_nc_u32 v12, 30, v12
	s_delay_alu instid0(VALU_DEP_1) | instskip(NEXT) | instid1(VALU_DEP_1)
	v_dual_lshlrev_b32 v5, 24, v5 :: v_dual_bitop2_b32 v7, 3, v7 bitop3:0x40
	v_dual_cndmask_b32 v12, v14, v12 :: v_dual_cndmask_b32 v7, v11, v7
	s_delay_alu instid0(VALU_DEP_2) | instskip(NEXT) | instid1(VALU_DEP_2)
	v_and_b32_e32 v5, 0x80000000, v5
	v_lshl_add_u32 v11, v12, 23, 0x37800000
	s_delay_alu instid0(VALU_DEP_3) | instskip(NEXT) | instid1(VALU_DEP_1)
	v_lshlrev_b32_e32 v7, 21, v7
	v_or3_b32 v5, v5, v11, v7
	s_delay_alu instid0(VALU_DEP_1)
	v_cvt_i32_f32_e32 v12, v5
.LBB15_2566:
	s_or_b32 exec_lo, exec_lo, s1
	s_mov_b32 s1, 0
	s_branch .LBB15_2572
.LBB15_2567:
	s_mov_b32 s1, -1
                                        ; implicit-def: $vgpr12
	s_branch .LBB15_2578
.LBB15_2568:
	s_and_not1_saveexec_b32 s6, s6
	s_cbranch_execz .LBB15_2553
.LBB15_2569:
	v_cmp_ne_u16_e32 vcc_lo, 0, v5
	s_and_not1_b32 s7, s7, exec_lo
	s_and_b32 s11, vcc_lo, exec_lo
	s_delay_alu instid0(SALU_CYCLE_1)
	s_or_b32 s7, s7, s11
	s_or_b32 exec_lo, exec_lo, s6
	v_mov_b32_e32 v12, 0
	s_and_saveexec_b32 s6, s7
	s_cbranch_execnz .LBB15_2554
	s_branch .LBB15_2555
.LBB15_2570:
	s_mov_b32 s1, -1
                                        ; implicit-def: $vgpr12
	s_branch .LBB15_2575
.LBB15_2571:
	s_mov_b32 s1, -1
                                        ; implicit-def: $vgpr12
.LBB15_2572:
	s_delay_alu instid0(SALU_CYCLE_1)
	s_and_b32 vcc_lo, exec_lo, s1
	s_cbranch_vccz .LBB15_2574
; %bb.2573:
	global_load_u8 v5, v[8:9], off
	s_wait_loadcnt 0x0
	v_lshlrev_b32_e32 v5, 24, v5
	s_delay_alu instid0(VALU_DEP_1) | instskip(NEXT) | instid1(VALU_DEP_1)
	v_and_b32_e32 v7, 0x7f000000, v5
	v_clz_i32_u32_e32 v11, v7
	s_wait_xcnt 0x1
	v_add_nc_u32_e32 v13, 0x1000000, v7
	v_cmp_ne_u32_e32 vcc_lo, 0, v7
	s_delay_alu instid0(VALU_DEP_3) | instskip(NEXT) | instid1(VALU_DEP_1)
	v_min_u32_e32 v11, 32, v11
	v_sub_nc_u32_e64 v11, v11, 4 clamp
	s_delay_alu instid0(VALU_DEP_1) | instskip(NEXT) | instid1(VALU_DEP_1)
	v_lshlrev_b32_e32 v12, v11, v7
	v_dual_lshlrev_b32 v11, 23, v11 :: v_dual_lshrrev_b32 v12, 4, v12
	s_delay_alu instid0(VALU_DEP_1) | instskip(NEXT) | instid1(VALU_DEP_1)
	v_dual_sub_nc_u32 v11, v12, v11 :: v_dual_ashrrev_i32 v12, 8, v13
	v_add_nc_u32_e32 v11, 0x3c000000, v11
	s_delay_alu instid0(VALU_DEP_1) | instskip(NEXT) | instid1(VALU_DEP_1)
	v_and_or_b32 v11, 0x7f800000, v12, v11
	v_cndmask_b32_e32 v7, 0, v11, vcc_lo
	s_delay_alu instid0(VALU_DEP_1) | instskip(NEXT) | instid1(VALU_DEP_1)
	v_and_or_b32 v5, 0x80000000, v5, v7
	v_cvt_i32_f32_e32 v12, v5
.LBB15_2574:
	s_mov_b32 s1, 0
.LBB15_2575:
	s_delay_alu instid0(SALU_CYCLE_1)
	s_and_not1_b32 vcc_lo, exec_lo, s1
	s_cbranch_vccnz .LBB15_2577
; %bb.2576:
	global_load_u8 v5, v[8:9], off
	s_wait_loadcnt 0x0
	v_lshlrev_b32_e32 v7, 25, v5
	v_lshlrev_b16 v5, 8, v5
	s_wait_xcnt 0x1
	s_delay_alu instid0(VALU_DEP_1) | instskip(SKIP_1) | instid1(VALU_DEP_2)
	v_and_or_b32 v12, 0x7f00, v5, 0.5
	v_bfe_i32 v5, v5, 0, 16
	v_dual_add_f32 v12, -0.5, v12 :: v_dual_lshrrev_b32 v11, 4, v7
	v_cmp_gt_u32_e32 vcc_lo, 0x8000000, v7
	s_delay_alu instid0(VALU_DEP_2) | instskip(NEXT) | instid1(VALU_DEP_1)
	v_or_b32_e32 v11, 0x70000000, v11
	v_mul_f32_e32 v11, 0x7800000, v11
	s_delay_alu instid0(VALU_DEP_1) | instskip(NEXT) | instid1(VALU_DEP_1)
	v_cndmask_b32_e32 v7, v11, v12, vcc_lo
	v_and_or_b32 v5, 0x80000000, v5, v7
	s_delay_alu instid0(VALU_DEP_1)
	v_cvt_i32_f32_e32 v12, v5
.LBB15_2577:
	s_mov_b32 s1, 0
	s_mov_b32 s6, -1
.LBB15_2578:
	s_and_not1_b32 vcc_lo, exec_lo, s1
	s_mov_b32 s1, 0
	s_cbranch_vccnz .LBB15_2589
; %bb.2579:
	s_cmp_gt_i32 s12, 14
	s_cbranch_scc0 .LBB15_2582
; %bb.2580:
	s_cmp_eq_u32 s12, 15
	s_cbranch_scc0 .LBB15_2585
; %bb.2581:
	global_load_u16 v5, v[8:9], off
	s_mov_b32 s0, 0
	s_mov_b32 s6, -1
	s_wait_loadcnt 0x0
	v_lshlrev_b32_e32 v5, 16, v5
	s_wait_xcnt 0x1
	s_delay_alu instid0(VALU_DEP_1)
	v_cvt_i32_f32_e32 v12, v5
	s_branch .LBB15_2587
.LBB15_2582:
	s_mov_b32 s1, -1
	s_branch .LBB15_2586
.LBB15_2583:
	s_and_not1_saveexec_b32 s1, s1
	s_cbranch_execz .LBB15_2564
.LBB15_2584:
	v_cmp_ne_u16_e32 vcc_lo, 0, v5
	s_and_not1_b32 s6, s6, exec_lo
	s_and_b32 s7, vcc_lo, exec_lo
	s_delay_alu instid0(SALU_CYCLE_1)
	s_or_b32 s6, s6, s7
	s_or_b32 exec_lo, exec_lo, s1
	v_mov_b32_e32 v12, 0
	s_and_saveexec_b32 s1, s6
	s_cbranch_execnz .LBB15_2565
	s_branch .LBB15_2566
.LBB15_2585:
	s_mov_b32 s0, -1
.LBB15_2586:
                                        ; implicit-def: $vgpr12
.LBB15_2587:
	s_and_b32 vcc_lo, exec_lo, s1
	s_mov_b32 s1, 0
	s_cbranch_vccz .LBB15_2589
; %bb.2588:
	s_cmp_lg_u32 s12, 11
	s_mov_b32 s1, -1
	s_cselect_b32 s0, -1, 0
.LBB15_2589:
	s_delay_alu instid0(SALU_CYCLE_1)
	s_and_b32 vcc_lo, exec_lo, s0
	s_cbranch_vccnz .LBB15_3127
; %bb.2590:
	s_and_not1_b32 vcc_lo, exec_lo, s1
	s_cbranch_vccnz .LBB15_2592
.LBB15_2591:
	global_load_u8 v5, v[8:9], off
	s_mov_b32 s6, -1
	s_wait_loadcnt 0x0
	v_cmp_ne_u16_e32 vcc_lo, 0, v5
	s_wait_xcnt 0x1
	v_cndmask_b32_e64 v12, 0, 1, vcc_lo
.LBB15_2592:
	s_mov_b32 s0, 0
.LBB15_2593:
	s_delay_alu instid0(SALU_CYCLE_1)
	s_and_b32 vcc_lo, exec_lo, s0
	s_cbranch_vccz .LBB15_2642
; %bb.2594:
	s_cmp_lt_i32 s12, 5
	s_cbranch_scc1 .LBB15_2599
; %bb.2595:
	s_cmp_lt_i32 s12, 8
	s_cbranch_scc1 .LBB15_2600
	;; [unrolled: 3-line block ×3, first 2 shown]
; %bb.2597:
	s_cmp_gt_i32 s12, 9
	s_cbranch_scc0 .LBB15_2602
; %bb.2598:
	s_wait_loadcnt 0x0
	global_load_b64 v[12:13], v[8:9], off
	s_mov_b32 s0, 0
	s_wait_loadcnt 0x0
	v_cvt_i32_f64_e32 v12, v[12:13]
	s_branch .LBB15_2603
.LBB15_2599:
	s_mov_b32 s0, -1
                                        ; implicit-def: $vgpr12
	s_branch .LBB15_2621
.LBB15_2600:
	s_mov_b32 s0, -1
                                        ; implicit-def: $vgpr12
	s_branch .LBB15_2609
.LBB15_2601:
	s_mov_b32 s0, -1
                                        ; implicit-def: $vgpr12
	s_branch .LBB15_2606
.LBB15_2602:
	s_mov_b32 s0, -1
                                        ; implicit-def: $vgpr12
.LBB15_2603:
	s_delay_alu instid0(SALU_CYCLE_1)
	s_and_not1_b32 vcc_lo, exec_lo, s0
	s_cbranch_vccnz .LBB15_2605
; %bb.2604:
	global_load_b32 v5, v[8:9], off
	s_wait_loadcnt 0x0
	s_wait_xcnt 0x1
	v_cvt_i32_f32_e32 v12, v5
.LBB15_2605:
	s_mov_b32 s0, 0
.LBB15_2606:
	s_delay_alu instid0(SALU_CYCLE_1)
	s_and_not1_b32 vcc_lo, exec_lo, s0
	s_cbranch_vccnz .LBB15_2608
; %bb.2607:
	global_load_b32 v5, v[8:9], off
	s_wait_loadcnt 0x0
	s_wait_xcnt 0x1
	v_cvt_i16_f16_e32 v12, v5
.LBB15_2608:
	s_mov_b32 s0, 0
.LBB15_2609:
	s_delay_alu instid0(SALU_CYCLE_1)
	s_and_not1_b32 vcc_lo, exec_lo, s0
	s_cbranch_vccnz .LBB15_2620
; %bb.2610:
	s_cmp_lt_i32 s12, 6
	s_cbranch_scc1 .LBB15_2613
; %bb.2611:
	s_cmp_gt_i32 s12, 6
	s_cbranch_scc0 .LBB15_2614
; %bb.2612:
	s_wait_loadcnt 0x0
	global_load_b64 v[12:13], v[8:9], off
	s_mov_b32 s0, 0
	s_wait_loadcnt 0x0
	v_cvt_i32_f64_e32 v12, v[12:13]
	s_branch .LBB15_2615
.LBB15_2613:
	s_mov_b32 s0, -1
                                        ; implicit-def: $vgpr12
	s_branch .LBB15_2618
.LBB15_2614:
	s_mov_b32 s0, -1
                                        ; implicit-def: $vgpr12
.LBB15_2615:
	s_delay_alu instid0(SALU_CYCLE_1)
	s_and_not1_b32 vcc_lo, exec_lo, s0
	s_cbranch_vccnz .LBB15_2617
; %bb.2616:
	global_load_b32 v5, v[8:9], off
	s_wait_loadcnt 0x0
	s_wait_xcnt 0x1
	v_cvt_i32_f32_e32 v12, v5
.LBB15_2617:
	s_mov_b32 s0, 0
.LBB15_2618:
	s_delay_alu instid0(SALU_CYCLE_1)
	s_and_not1_b32 vcc_lo, exec_lo, s0
	s_cbranch_vccnz .LBB15_2620
; %bb.2619:
	global_load_u16 v5, v[8:9], off
	s_wait_loadcnt 0x0
	s_wait_xcnt 0x1
	v_cvt_i16_f16_e32 v12, v5
.LBB15_2620:
	s_mov_b32 s0, 0
.LBB15_2621:
	s_delay_alu instid0(SALU_CYCLE_1)
	s_and_not1_b32 vcc_lo, exec_lo, s0
	s_cbranch_vccnz .LBB15_2641
; %bb.2622:
	s_cmp_lt_i32 s12, 2
	s_cbranch_scc1 .LBB15_2626
; %bb.2623:
	s_cmp_lt_i32 s12, 3
	s_cbranch_scc1 .LBB15_2627
; %bb.2624:
	s_cmp_gt_i32 s12, 3
	s_cbranch_scc0 .LBB15_2628
; %bb.2625:
	s_wait_loadcnt 0x0
	global_load_b64 v[12:13], v[8:9], off
	s_mov_b32 s0, 0
	s_branch .LBB15_2629
.LBB15_2626:
	s_mov_b32 s0, -1
                                        ; implicit-def: $vgpr12
	s_branch .LBB15_2635
.LBB15_2627:
	s_mov_b32 s0, -1
                                        ; implicit-def: $vgpr12
	s_branch .LBB15_2632
.LBB15_2628:
	s_mov_b32 s0, -1
                                        ; implicit-def: $vgpr12
.LBB15_2629:
	s_delay_alu instid0(SALU_CYCLE_1)
	s_and_not1_b32 vcc_lo, exec_lo, s0
	s_cbranch_vccnz .LBB15_2631
; %bb.2630:
	s_wait_loadcnt 0x0
	global_load_b32 v12, v[8:9], off
.LBB15_2631:
	s_mov_b32 s0, 0
.LBB15_2632:
	s_delay_alu instid0(SALU_CYCLE_1)
	s_and_not1_b32 vcc_lo, exec_lo, s0
	s_cbranch_vccnz .LBB15_2634
; %bb.2633:
	s_wait_loadcnt 0x0
	global_load_u16 v12, v[8:9], off
.LBB15_2634:
	s_mov_b32 s0, 0
.LBB15_2635:
	s_delay_alu instid0(SALU_CYCLE_1)
	s_and_not1_b32 vcc_lo, exec_lo, s0
	s_cbranch_vccnz .LBB15_2641
; %bb.2636:
	s_cmp_gt_i32 s12, 0
	s_mov_b32 s0, 0
	s_cbranch_scc0 .LBB15_2638
; %bb.2637:
	s_wait_loadcnt 0x0
	global_load_u8 v12, v[8:9], off
	s_branch .LBB15_2639
.LBB15_2638:
	s_mov_b32 s0, -1
                                        ; implicit-def: $vgpr12
.LBB15_2639:
	s_delay_alu instid0(SALU_CYCLE_1)
	s_and_not1_b32 vcc_lo, exec_lo, s0
	s_cbranch_vccnz .LBB15_2641
; %bb.2640:
	s_wait_loadcnt 0x0
	global_load_u8 v12, v[8:9], off
.LBB15_2641:
	s_mov_b32 s6, -1
.LBB15_2642:
	s_delay_alu instid0(SALU_CYCLE_1)
	s_and_not1_b32 vcc_lo, exec_lo, s6
	s_cbranch_vccnz .LBB15_2725
; %bb.2643:
	s_wait_loadcnt 0x0
	s_delay_alu instid0(VALU_DEP_1) | instskip(SKIP_1) | instid1(VALU_DEP_4)
	v_bfe_i32 v5, v12, 0, 8
	s_wait_xcnt 0x0
	v_and_b32_e32 v9, 0xff, v10
	s_mov_b32 s1, 0
	s_mov_b32 s0, exec_lo
	v_sub_nc_u16 v7, 0, v5
	s_delay_alu instid0(VALU_DEP_1)
	v_max_i16 v8, v5, v7
	v_cmpx_ne_u16_e32 0, v9
	s_cbranch_execz .LBB15_2647
; %bb.2644:
	v_bfe_i32 v5, v10, 0, 8
	s_delay_alu instid0(VALU_DEP_1) | instskip(NEXT) | instid1(VALU_DEP_1)
	v_sub_nc_u16 v7, 0, v5
	v_max_i16 v7, v5, v7
	v_and_b32_e32 v5, 0xff, v8
	s_delay_alu instid0(VALU_DEP_2)
	v_and_b32_e32 v7, 0xffff, v7
.LBB15_2645:                            ; =>This Inner Loop Header: Depth=1
	s_delay_alu instid0(VALU_DEP_2) | instskip(NEXT) | instid1(VALU_DEP_2)
	v_bfe_i32 v10, v5, 0, 8
	v_mov_b32_e32 v8, v7
	s_delay_alu instid0(VALU_DEP_2) | instskip(NEXT) | instid1(VALU_DEP_2)
	v_cvt_f32_i32_e32 v12, v10
	v_bfe_i32 v7, v8, 0, 8
	s_delay_alu instid0(VALU_DEP_1) | instskip(SKIP_1) | instid1(VALU_DEP_2)
	v_cvt_f32_i32_e32 v9, v7
	v_xor_b32_e32 v7, v10, v7
	v_rcp_iflag_f32_e32 v11, v9
	v_nop
	s_delay_alu instid0(TRANS32_DEP_1) | instskip(NEXT) | instid1(VALU_DEP_1)
	v_mul_f32_e32 v10, v12, v11
	v_trunc_f32_e32 v10, v10
	s_delay_alu instid0(VALU_DEP_1) | instskip(NEXT) | instid1(VALU_DEP_1)
	v_dual_ashrrev_i32 v7, 30, v7 :: v_dual_fma_f32 v11, -v10, v9, v12
	v_or_b32_e32 v7, 1, v7
	v_cvt_i32_f32_e32 v10, v10
	s_delay_alu instid0(VALU_DEP_3) | instskip(NEXT) | instid1(VALU_DEP_3)
	v_cmp_ge_f32_e64 vcc_lo, |v11|, |v9|
	v_cndmask_b32_e32 v7, 0, v7, vcc_lo
	s_delay_alu instid0(VALU_DEP_1) | instskip(NEXT) | instid1(VALU_DEP_1)
	v_add_nc_u32_e32 v7, v10, v7
	v_mul_lo_u32 v7, v7, v8
	s_delay_alu instid0(VALU_DEP_1) | instskip(NEXT) | instid1(VALU_DEP_1)
	v_sub_nc_u32_e32 v5, v5, v7
	v_bfe_i32 v7, v5, 0, 8
	v_mov_b32_e32 v5, v8
	s_delay_alu instid0(VALU_DEP_2) | instskip(SKIP_2) | instid1(SALU_CYCLE_1)
	v_cmp_eq_u16_e32 vcc_lo, 0, v7
	v_and_b32_e32 v7, 0xffff, v7
	s_or_b32 s1, vcc_lo, s1
	s_and_not1_b32 exec_lo, exec_lo, s1
	s_cbranch_execnz .LBB15_2645
; %bb.2646:
	s_or_b32 exec_lo, exec_lo, s1
.LBB15_2647:
	s_delay_alu instid0(SALU_CYCLE_1)
	s_or_b32 exec_lo, exec_lo, s0
	v_mov_b32_e32 v7, 0
	global_load_u8 v5, v7, s[2:3] offset:417
	s_wait_xcnt 0x0
	v_add_nc_u64_e32 v[6:7], s[4:5], v[6:7]
	s_wait_loadcnt 0x0
	v_and_b32_e32 v9, 0xffff, v5
	v_readfirstlane_b32 s1, v5
	s_delay_alu instid0(VALU_DEP_2)
	v_cmp_gt_i32_e32 vcc_lo, 11, v9
	s_cbranch_vccnz .LBB15_2770
; %bb.2648:
	s_and_b32 s2, 0xffff, s1
	s_mov_b32 s7, -1
	s_mov_b32 s3, 0
	s_cmp_gt_i32 s2, 25
	s_mov_b32 s6, 0
	s_mov_b32 s0, 0
	s_cbranch_scc0 .LBB15_2681
; %bb.2649:
	s_cmp_gt_i32 s2, 28
	s_cbranch_scc0 .LBB15_2664
; %bb.2650:
	s_cmp_gt_i32 s2, 43
	;; [unrolled: 3-line block ×3, first 2 shown]
	s_cbranch_scc0 .LBB15_2654
; %bb.2652:
	s_mov_b32 s0, -1
	s_mov_b32 s7, 0
	s_cmp_eq_u32 s2, 46
	s_cbranch_scc0 .LBB15_2654
; %bb.2653:
	v_bfe_i32 v5, v1, 0, 8
	s_mov_b32 s0, 0
	s_mov_b32 s6, -1
	s_delay_alu instid0(VALU_DEP_1) | instskip(NEXT) | instid1(VALU_DEP_1)
	v_bfe_i32 v5, v5, 0, 16
	v_cvt_f32_i32_e32 v5, v5
	s_delay_alu instid0(VALU_DEP_1) | instskip(NEXT) | instid1(VALU_DEP_1)
	v_bfe_u32 v9, v5, 16, 1
	v_add3_u32 v5, v5, v9, 0x7fff
	s_delay_alu instid0(VALU_DEP_1)
	v_lshrrev_b32_e32 v5, 16, v5
	global_store_b32 v[6:7], v5, off
.LBB15_2654:
	s_and_b32 vcc_lo, exec_lo, s7
	s_cbranch_vccz .LBB15_2659
; %bb.2655:
	s_cmp_eq_u32 s2, 44
	s_mov_b32 s0, -1
	s_cbranch_scc0 .LBB15_2659
; %bb.2656:
	s_wait_xcnt 0x0
	v_bfe_i32 v5, v1, 0, 8
	v_mov_b32_e32 v9, 0xff
	s_mov_b32 s6, exec_lo
	s_delay_alu instid0(VALU_DEP_2) | instskip(NEXT) | instid1(VALU_DEP_1)
	v_bfe_i32 v5, v5, 0, 16
	v_cvt_f32_i32_e32 v5, v5
	s_delay_alu instid0(VALU_DEP_1) | instskip(NEXT) | instid1(VALU_DEP_1)
	v_bfe_u32 v10, v5, 23, 8
	v_cmpx_ne_u32_e32 0xff, v10
	s_cbranch_execz .LBB15_2658
; %bb.2657:
	v_and_b32_e32 v9, 0x400000, v5
	v_and_or_b32 v10, 0x3fffff, v5, v10
	v_lshrrev_b32_e32 v5, 23, v5
	s_delay_alu instid0(VALU_DEP_3) | instskip(NEXT) | instid1(VALU_DEP_3)
	v_cmp_ne_u32_e32 vcc_lo, 0, v9
	v_cmp_ne_u32_e64 s0, 0, v10
	s_and_b32 s0, vcc_lo, s0
	s_delay_alu instid0(SALU_CYCLE_1) | instskip(NEXT) | instid1(VALU_DEP_1)
	v_cndmask_b32_e64 v9, 0, 1, s0
	v_add_nc_u32_e32 v9, v5, v9
.LBB15_2658:
	s_or_b32 exec_lo, exec_lo, s6
	s_mov_b32 s0, 0
	s_mov_b32 s6, -1
	global_store_b8 v[6:7], v9, off
.LBB15_2659:
	s_mov_b32 s7, 0
.LBB15_2660:
	s_delay_alu instid0(SALU_CYCLE_1)
	s_and_b32 vcc_lo, exec_lo, s7
	s_cbranch_vccz .LBB15_2663
; %bb.2661:
	s_cmp_eq_u32 s2, 29
	s_mov_b32 s0, -1
	s_cbranch_scc0 .LBB15_2663
; %bb.2662:
	v_bfe_i32 v10, v1, 0, 8
	s_mov_b32 s0, 0
	s_mov_b32 s6, -1
	s_delay_alu instid0(VALU_DEP_1)
	v_ashrrev_i32_e32 v11, 31, v10
	global_store_b64 v[6:7], v[10:11], off
.LBB15_2663:
	s_mov_b32 s7, 0
.LBB15_2664:
	s_delay_alu instid0(SALU_CYCLE_1)
	s_and_b32 vcc_lo, exec_lo, s7
	s_cbranch_vccz .LBB15_2680
; %bb.2665:
	s_cmp_lt_i32 s2, 27
	s_mov_b32 s6, -1
	s_cbranch_scc1 .LBB15_2671
; %bb.2666:
	s_cmp_gt_i32 s2, 27
	s_cbranch_scc0 .LBB15_2668
; %bb.2667:
	s_wait_xcnt 0x0
	v_bfe_i32 v5, v1, 0, 8
	s_mov_b32 s6, 0
	global_store_b32 v[6:7], v5, off
.LBB15_2668:
	s_and_not1_b32 vcc_lo, exec_lo, s6
	s_cbranch_vccnz .LBB15_2670
; %bb.2669:
	s_wait_xcnt 0x0
	v_bfe_i32 v5, v1, 0, 8
	global_store_b16 v[6:7], v5, off
.LBB15_2670:
	s_mov_b32 s6, 0
.LBB15_2671:
	s_delay_alu instid0(SALU_CYCLE_1)
	s_and_not1_b32 vcc_lo, exec_lo, s6
	s_cbranch_vccnz .LBB15_2679
; %bb.2672:
	s_wait_xcnt 0x0
	v_bfe_i32 v5, v1, 0, 8
	v_mov_b32_e32 v10, 0x80
	s_mov_b32 s6, exec_lo
	s_delay_alu instid0(VALU_DEP_2) | instskip(NEXT) | instid1(VALU_DEP_1)
	v_bfe_i32 v5, v5, 0, 16
	v_cvt_f32_i32_e32 v5, v5
	s_delay_alu instid0(VALU_DEP_1) | instskip(NEXT) | instid1(VALU_DEP_1)
	v_and_b32_e32 v9, 0x7fffffff, v5
	v_cmpx_gt_u32_e32 0x43800000, v9
	s_cbranch_execz .LBB15_2678
; %bb.2673:
	v_cmp_lt_u32_e32 vcc_lo, 0x3bffffff, v9
	s_mov_b32 s7, 0
                                        ; implicit-def: $vgpr9
	s_and_saveexec_b32 s11, vcc_lo
	s_delay_alu instid0(SALU_CYCLE_1)
	s_xor_b32 s11, exec_lo, s11
	s_cbranch_execz .LBB15_3128
; %bb.2674:
	v_bfe_u32 v9, v5, 20, 1
	s_mov_b32 s7, exec_lo
	s_delay_alu instid0(VALU_DEP_1) | instskip(NEXT) | instid1(VALU_DEP_1)
	v_add3_u32 v9, v5, v9, 0x487ffff
	v_lshrrev_b32_e32 v9, 20, v9
	s_and_not1_saveexec_b32 s11, s11
	s_cbranch_execnz .LBB15_3129
.LBB15_2675:
	s_or_b32 exec_lo, exec_lo, s11
	v_mov_b32_e32 v10, 0
	s_and_saveexec_b32 s11, s7
.LBB15_2676:
	v_lshrrev_b32_e32 v5, 24, v5
	s_delay_alu instid0(VALU_DEP_1)
	v_and_or_b32 v10, 0x80, v5, v9
.LBB15_2677:
	s_or_b32 exec_lo, exec_lo, s11
.LBB15_2678:
	s_delay_alu instid0(SALU_CYCLE_1)
	s_or_b32 exec_lo, exec_lo, s6
	global_store_b8 v[6:7], v10, off
.LBB15_2679:
	s_mov_b32 s6, -1
.LBB15_2680:
	s_mov_b32 s7, 0
.LBB15_2681:
	s_delay_alu instid0(SALU_CYCLE_1)
	s_and_b32 vcc_lo, exec_lo, s7
	s_cbranch_vccz .LBB15_2721
; %bb.2682:
	s_cmp_gt_i32 s2, 22
	s_mov_b32 s3, -1
	s_cbranch_scc0 .LBB15_2714
; %bb.2683:
	s_cmp_lt_i32 s2, 24
	s_cbranch_scc1 .LBB15_2703
; %bb.2684:
	s_cmp_gt_i32 s2, 24
	s_cbranch_scc0 .LBB15_2692
; %bb.2685:
	s_wait_xcnt 0x0
	v_bfe_i32 v5, v1, 0, 8
	v_mov_b32_e32 v10, 0x80
	s_mov_b32 s3, exec_lo
	s_delay_alu instid0(VALU_DEP_2) | instskip(NEXT) | instid1(VALU_DEP_1)
	v_bfe_i32 v5, v5, 0, 16
	v_cvt_f32_i32_e32 v5, v5
	s_delay_alu instid0(VALU_DEP_1) | instskip(NEXT) | instid1(VALU_DEP_1)
	v_and_b32_e32 v9, 0x7fffffff, v5
	v_cmpx_gt_u32_e32 0x47800000, v9
	s_cbranch_execz .LBB15_2691
; %bb.2686:
	v_cmp_lt_u32_e32 vcc_lo, 0x37ffffff, v9
	s_mov_b32 s6, 0
                                        ; implicit-def: $vgpr9
	s_and_saveexec_b32 s7, vcc_lo
	s_delay_alu instid0(SALU_CYCLE_1)
	s_xor_b32 s7, exec_lo, s7
	s_cbranch_execz .LBB15_3131
; %bb.2687:
	v_bfe_u32 v9, v5, 21, 1
	s_mov_b32 s6, exec_lo
	s_delay_alu instid0(VALU_DEP_1) | instskip(NEXT) | instid1(VALU_DEP_1)
	v_add3_u32 v9, v5, v9, 0x88fffff
	v_lshrrev_b32_e32 v9, 21, v9
	s_and_not1_saveexec_b32 s7, s7
	s_cbranch_execnz .LBB15_3132
.LBB15_2688:
	s_or_b32 exec_lo, exec_lo, s7
	v_mov_b32_e32 v10, 0
	s_and_saveexec_b32 s7, s6
.LBB15_2689:
	v_lshrrev_b32_e32 v5, 24, v5
	s_delay_alu instid0(VALU_DEP_1)
	v_and_or_b32 v10, 0x80, v5, v9
.LBB15_2690:
	s_or_b32 exec_lo, exec_lo, s7
.LBB15_2691:
	s_delay_alu instid0(SALU_CYCLE_1)
	s_or_b32 exec_lo, exec_lo, s3
	s_mov_b32 s3, 0
	global_store_b8 v[6:7], v10, off
.LBB15_2692:
	s_and_b32 vcc_lo, exec_lo, s3
	s_cbranch_vccz .LBB15_2702
; %bb.2693:
	s_wait_xcnt 0x0
	v_bfe_i32 v5, v1, 0, 8
	s_mov_b32 s3, exec_lo
                                        ; implicit-def: $vgpr9
	s_delay_alu instid0(VALU_DEP_1) | instskip(NEXT) | instid1(VALU_DEP_1)
	v_bfe_i32 v5, v5, 0, 16
	v_cvt_f32_i32_e32 v5, v5
	s_delay_alu instid0(VALU_DEP_1) | instskip(NEXT) | instid1(VALU_DEP_1)
	v_and_b32_e32 v10, 0x7fffffff, v5
	v_cmpx_gt_u32_e32 0x43f00000, v10
	s_xor_b32 s3, exec_lo, s3
	s_cbranch_execz .LBB15_2699
; %bb.2694:
	s_mov_b32 s6, exec_lo
                                        ; implicit-def: $vgpr9
	v_cmpx_lt_u32_e32 0x3c7fffff, v10
	s_xor_b32 s6, exec_lo, s6
; %bb.2695:
	v_bfe_u32 v9, v5, 20, 1
	s_delay_alu instid0(VALU_DEP_1) | instskip(NEXT) | instid1(VALU_DEP_1)
	v_add3_u32 v9, v5, v9, 0x407ffff
	v_and_b32_e32 v10, 0xff00000, v9
	v_lshrrev_b32_e32 v9, 20, v9
	s_delay_alu instid0(VALU_DEP_2) | instskip(NEXT) | instid1(VALU_DEP_2)
	v_cmp_ne_u32_e32 vcc_lo, 0x7f00000, v10
	v_cndmask_b32_e32 v9, 0x7e, v9, vcc_lo
; %bb.2696:
	s_and_not1_saveexec_b32 s6, s6
; %bb.2697:
	v_add_f32_e64 v9, 0x46800000, |v5|
; %bb.2698:
	s_or_b32 exec_lo, exec_lo, s6
                                        ; implicit-def: $vgpr10
.LBB15_2699:
	s_and_not1_saveexec_b32 s3, s3
; %bb.2700:
	v_mov_b32_e32 v9, 0x7f
	v_cmp_lt_u32_e32 vcc_lo, 0x7f800000, v10
	s_delay_alu instid0(VALU_DEP_2)
	v_cndmask_b32_e32 v9, 0x7e, v9, vcc_lo
; %bb.2701:
	s_or_b32 exec_lo, exec_lo, s3
	v_lshrrev_b32_e32 v5, 24, v5
	s_delay_alu instid0(VALU_DEP_1)
	v_and_or_b32 v5, 0x80, v5, v9
	global_store_b8 v[6:7], v5, off
.LBB15_2702:
	s_mov_b32 s3, 0
.LBB15_2703:
	s_delay_alu instid0(SALU_CYCLE_1)
	s_and_not1_b32 vcc_lo, exec_lo, s3
	s_cbranch_vccnz .LBB15_2713
; %bb.2704:
	s_wait_xcnt 0x0
	v_bfe_i32 v5, v1, 0, 8
	s_mov_b32 s3, exec_lo
                                        ; implicit-def: $vgpr9
	s_delay_alu instid0(VALU_DEP_1) | instskip(NEXT) | instid1(VALU_DEP_1)
	v_bfe_i32 v5, v5, 0, 16
	v_cvt_f32_i32_e32 v5, v5
	s_delay_alu instid0(VALU_DEP_1) | instskip(NEXT) | instid1(VALU_DEP_1)
	v_and_b32_e32 v10, 0x7fffffff, v5
	v_cmpx_gt_u32_e32 0x47800000, v10
	s_xor_b32 s3, exec_lo, s3
	s_cbranch_execz .LBB15_2710
; %bb.2705:
	s_mov_b32 s6, exec_lo
                                        ; implicit-def: $vgpr9
	v_cmpx_lt_u32_e32 0x387fffff, v10
	s_xor_b32 s6, exec_lo, s6
; %bb.2706:
	v_bfe_u32 v9, v5, 21, 1
	s_delay_alu instid0(VALU_DEP_1) | instskip(NEXT) | instid1(VALU_DEP_1)
	v_add3_u32 v9, v5, v9, 0x80fffff
	v_lshrrev_b32_e32 v9, 21, v9
; %bb.2707:
	s_and_not1_saveexec_b32 s6, s6
; %bb.2708:
	v_add_f32_e64 v9, 0x43000000, |v5|
; %bb.2709:
	s_or_b32 exec_lo, exec_lo, s6
                                        ; implicit-def: $vgpr10
.LBB15_2710:
	s_and_not1_saveexec_b32 s3, s3
; %bb.2711:
	v_mov_b32_e32 v9, 0x7f
	v_cmp_lt_u32_e32 vcc_lo, 0x7f800000, v10
	s_delay_alu instid0(VALU_DEP_2)
	v_cndmask_b32_e32 v9, 0x7c, v9, vcc_lo
; %bb.2712:
	s_or_b32 exec_lo, exec_lo, s3
	v_lshrrev_b32_e32 v5, 24, v5
	s_delay_alu instid0(VALU_DEP_1)
	v_and_or_b32 v5, 0x80, v5, v9
	global_store_b8 v[6:7], v5, off
.LBB15_2713:
	s_mov_b32 s3, 0
	s_mov_b32 s6, -1
.LBB15_2714:
	s_and_not1_b32 vcc_lo, exec_lo, s3
	s_mov_b32 s3, 0
	s_cbranch_vccnz .LBB15_2721
; %bb.2715:
	s_cmp_gt_i32 s2, 14
	s_mov_b32 s3, -1
	s_cbranch_scc0 .LBB15_2719
; %bb.2716:
	s_cmp_eq_u32 s2, 15
	s_mov_b32 s0, -1
	s_cbranch_scc0 .LBB15_2718
; %bb.2717:
	s_wait_xcnt 0x0
	v_bfe_i32 v5, v1, 0, 8
	s_mov_b32 s0, 0
	s_mov_b32 s6, -1
	s_delay_alu instid0(VALU_DEP_1) | instskip(NEXT) | instid1(VALU_DEP_1)
	v_bfe_i32 v5, v5, 0, 16
	v_cvt_f32_i32_e32 v5, v5
	s_delay_alu instid0(VALU_DEP_1) | instskip(NEXT) | instid1(VALU_DEP_1)
	v_bfe_u32 v9, v5, 16, 1
	v_add3_u32 v5, v5, v9, 0x7fff
	global_store_d16_hi_b16 v[6:7], v5, off
.LBB15_2718:
	s_mov_b32 s3, 0
.LBB15_2719:
	s_delay_alu instid0(SALU_CYCLE_1)
	s_and_b32 vcc_lo, exec_lo, s3
	s_mov_b32 s3, 0
	s_cbranch_vccz .LBB15_2721
; %bb.2720:
	s_cmp_lg_u32 s2, 11
	s_mov_b32 s3, -1
	s_cselect_b32 s0, -1, 0
.LBB15_2721:
	s_delay_alu instid0(SALU_CYCLE_1)
	s_and_b32 vcc_lo, exec_lo, s0
	s_cbranch_vccnz .LBB15_3130
; %bb.2722:
	s_and_not1_b32 vcc_lo, exec_lo, s3
	s_cbranch_vccnz .LBB15_2724
.LBB15_2723:
	s_wait_xcnt 0x0
	v_and_b32_e32 v5, 0xff, v1
	s_mov_b32 s6, -1
	s_delay_alu instid0(VALU_DEP_1)
	v_cmp_ne_u16_e32 vcc_lo, 0, v5
	v_cndmask_b32_e64 v5, 0, 1, vcc_lo
	global_store_b8 v[6:7], v5, off
.LBB15_2724:
	s_mov_b32 s0, 0
	s_branch .LBB15_2771
.LBB15_2725:
	s_mov_b32 s0, 0
	s_wait_xcnt 0x0
	s_mov_b32 s3, 0
                                        ; implicit-def: $vgpr2_vgpr3
                                        ; implicit-def: $sgpr1
                                        ; implicit-def: $vgpr8
.LBB15_2726:
	s_and_not1_b32 s2, s8, exec_lo
	s_and_b32 s4, s10, exec_lo
	s_and_b32 s0, s0, exec_lo
	;; [unrolled: 1-line block ×3, first 2 shown]
	s_or_b32 s8, s2, s4
.LBB15_2727:
	s_wait_xcnt 0x0
	s_or_b32 exec_lo, exec_lo, s9
	s_and_saveexec_b32 s2, s8
	s_cbranch_execz .LBB15_2730
; %bb.2728:
	; divergent unreachable
	s_or_b32 exec_lo, exec_lo, s2
	s_and_saveexec_b32 s2, s28
	s_delay_alu instid0(SALU_CYCLE_1)
	s_xor_b32 s2, exec_lo, s2
	s_cbranch_execnz .LBB15_2731
.LBB15_2729:
	s_or_b32 exec_lo, exec_lo, s2
	s_and_saveexec_b32 s2, s0
	s_cbranch_execnz .LBB15_2732
	s_branch .LBB15_2769
.LBB15_2730:
	s_or_b32 exec_lo, exec_lo, s2
	s_and_saveexec_b32 s2, s28
	s_delay_alu instid0(SALU_CYCLE_1)
	s_xor_b32 s2, exec_lo, s2
	s_cbranch_execz .LBB15_2729
.LBB15_2731:
	s_wait_loadcnt 0x0
	v_and_b32_e32 v0, 0xff, v8
	s_delay_alu instid0(VALU_DEP_1)
	v_cmp_ne_u16_e32 vcc_lo, 0, v0
	v_cndmask_b32_e64 v0, 0, 1, vcc_lo
	global_store_b8 v[2:3], v0, off
	s_wait_xcnt 0x0
	s_or_b32 exec_lo, exec_lo, s2
	s_and_saveexec_b32 s2, s0
	s_cbranch_execz .LBB15_2769
.LBB15_2732:
	s_sext_i32_i16 s2, s1
	s_mov_b32 s0, -1
	s_cmp_lt_i32 s2, 5
	s_cbranch_scc1 .LBB15_2753
; %bb.2733:
	s_cmp_lt_i32 s2, 8
	s_cbranch_scc1 .LBB15_2743
; %bb.2734:
	;; [unrolled: 3-line block ×3, first 2 shown]
	s_wait_loadcnt 0x0
	v_bfe_i32 v0, v8, 0, 8
	s_cmp_gt_i32 s2, 9
	s_delay_alu instid0(VALU_DEP_1)
	v_bfe_i32 v0, v0, 0, 16
	s_cbranch_scc0 .LBB15_2737
; %bb.2736:
	s_delay_alu instid0(VALU_DEP_1) | instskip(SKIP_2) | instid1(VALU_DEP_1)
	v_cvt_f64_i32_e32 v[4:5], v0
	v_mov_b32_e32 v6, 0
	s_mov_b32 s0, 0
	v_mov_b32_e32 v7, v6
	global_store_b128 v[2:3], v[4:7], off
.LBB15_2737:
	s_and_not1_b32 vcc_lo, exec_lo, s0
	s_cbranch_vccnz .LBB15_2739
; %bb.2738:
	s_delay_alu instid0(VALU_DEP_1)
	v_cvt_f32_i32_e32 v0, v0
	v_mov_b32_e32 v1, 0
	global_store_b64 v[2:3], v[0:1], off
.LBB15_2739:
	s_mov_b32 s0, 0
.LBB15_2740:
	s_delay_alu instid0(SALU_CYCLE_1)
	s_and_not1_b32 vcc_lo, exec_lo, s0
	s_cbranch_vccnz .LBB15_2742
; %bb.2741:
	s_wait_loadcnt 0x0
	v_bfe_i32 v0, v8, 0, 8
	s_delay_alu instid0(VALU_DEP_1) | instskip(NEXT) | instid1(VALU_DEP_1)
	v_cvt_f16_i16_e32 v0, v0
	v_and_b32_e32 v0, 0xffff, v0
	global_store_b32 v[2:3], v0, off
.LBB15_2742:
	s_mov_b32 s0, 0
.LBB15_2743:
	s_delay_alu instid0(SALU_CYCLE_1)
	s_and_not1_b32 vcc_lo, exec_lo, s0
	s_cbranch_vccnz .LBB15_2752
; %bb.2744:
	s_sext_i32_i16 s2, s1
	s_mov_b32 s0, -1
	s_cmp_lt_i32 s2, 6
	s_cbranch_scc1 .LBB15_2750
; %bb.2745:
	s_wait_loadcnt 0x0
	v_bfe_i32 v0, v8, 0, 8
	s_cmp_gt_i32 s2, 6
	s_delay_alu instid0(VALU_DEP_1)
	v_bfe_i32 v0, v0, 0, 16
	s_cbranch_scc0 .LBB15_2747
; %bb.2746:
	s_delay_alu instid0(VALU_DEP_1)
	v_cvt_f64_i32_e32 v[4:5], v0
	s_mov_b32 s0, 0
	global_store_b64 v[2:3], v[4:5], off
.LBB15_2747:
	s_and_not1_b32 vcc_lo, exec_lo, s0
	s_cbranch_vccnz .LBB15_2749
; %bb.2748:
	s_delay_alu instid0(VALU_DEP_1)
	v_cvt_f32_i32_e32 v0, v0
	global_store_b32 v[2:3], v0, off
.LBB15_2749:
	s_mov_b32 s0, 0
.LBB15_2750:
	s_delay_alu instid0(SALU_CYCLE_1)
	s_and_not1_b32 vcc_lo, exec_lo, s0
	s_cbranch_vccnz .LBB15_2752
; %bb.2751:
	s_wait_loadcnt 0x0
	v_bfe_i32 v0, v8, 0, 8
	s_delay_alu instid0(VALU_DEP_1)
	v_cvt_f16_i16_e32 v0, v0
	global_store_b16 v[2:3], v0, off
.LBB15_2752:
	s_mov_b32 s0, 0
.LBB15_2753:
	s_delay_alu instid0(SALU_CYCLE_1)
	s_and_not1_b32 vcc_lo, exec_lo, s0
	s_cbranch_vccnz .LBB15_2769
; %bb.2754:
	s_sext_i32_i16 s2, s1
	s_mov_b32 s0, -1
	s_cmp_lt_i32 s2, 2
	s_cbranch_scc1 .LBB15_2764
; %bb.2755:
	s_cmp_lt_i32 s2, 3
	s_cbranch_scc1 .LBB15_2761
; %bb.2756:
	s_wait_loadcnt 0x0
	v_bfe_i32 v0, v8, 0, 8
	s_cmp_gt_i32 s2, 3
	s_cbranch_scc0 .LBB15_2758
; %bb.2757:
	s_delay_alu instid0(VALU_DEP_1)
	v_ashrrev_i32_e32 v1, 31, v0
	s_mov_b32 s0, 0
	global_store_b64 v[2:3], v[0:1], off
.LBB15_2758:
	s_and_not1_b32 vcc_lo, exec_lo, s0
	s_cbranch_vccnz .LBB15_2760
; %bb.2759:
	global_store_b32 v[2:3], v0, off
.LBB15_2760:
	s_mov_b32 s0, 0
.LBB15_2761:
	s_delay_alu instid0(SALU_CYCLE_1)
	s_and_not1_b32 vcc_lo, exec_lo, s0
	s_cbranch_vccnz .LBB15_2763
; %bb.2762:
	s_wait_loadcnt 0x0
	v_bfe_i32 v0, v8, 0, 8
	global_store_b16 v[2:3], v0, off
.LBB15_2763:
	s_mov_b32 s0, 0
.LBB15_2764:
	s_delay_alu instid0(SALU_CYCLE_1)
	s_and_not1_b32 vcc_lo, exec_lo, s0
	s_cbranch_vccnz .LBB15_2769
; %bb.2765:
	s_sext_i32_i16 s0, s1
	s_delay_alu instid0(SALU_CYCLE_1)
	s_cmp_gt_i32 s0, 0
	s_mov_b32 s0, -1
	s_cbranch_scc0 .LBB15_2767
; %bb.2766:
	s_mov_b32 s0, 0
	s_wait_loadcnt 0x0
	global_store_b8 v[2:3], v8, off
.LBB15_2767:
	s_and_not1_b32 vcc_lo, exec_lo, s0
	s_cbranch_vccnz .LBB15_2769
; %bb.2768:
	s_wait_loadcnt 0x0
	global_store_b8 v[2:3], v8, off
	s_endpgm
.LBB15_2769:
	s_endpgm
.LBB15_2770:
	s_mov_b32 s0, -1
	s_mov_b32 s6, 0
.LBB15_2771:
	s_and_b32 vcc_lo, exec_lo, s0
	s_cbranch_vccz .LBB15_2810
; %bb.2772:
	s_and_b32 s0, 0xffff, s1
	s_mov_b32 s2, -1
	s_cmp_lt_i32 s0, 5
	s_cbranch_scc1 .LBB15_2793
; %bb.2773:
	s_cmp_lt_i32 s0, 8
	s_cbranch_scc1 .LBB15_2783
; %bb.2774:
	;; [unrolled: 3-line block ×3, first 2 shown]
	s_cmp_gt_i32 s0, 9
	s_cbranch_scc0 .LBB15_2777
; %bb.2776:
	s_wait_xcnt 0x0
	v_bfe_i32 v5, v1, 0, 8
	v_mov_b32_e32 v12, 0
	s_mov_b32 s2, 0
	s_delay_alu instid0(VALU_DEP_2) | instskip(NEXT) | instid1(VALU_DEP_2)
	v_bfe_i32 v5, v5, 0, 16
	v_mov_b32_e32 v13, v12
	s_delay_alu instid0(VALU_DEP_2)
	v_cvt_f64_i32_e32 v[10:11], v5
	global_store_b128 v[6:7], v[10:13], off
.LBB15_2777:
	s_and_not1_b32 vcc_lo, exec_lo, s2
	s_cbranch_vccnz .LBB15_2779
; %bb.2778:
	s_wait_xcnt 0x0
	v_bfe_i32 v5, v1, 0, 8
	v_mov_b32_e32 v11, 0
	s_delay_alu instid0(VALU_DEP_2) | instskip(NEXT) | instid1(VALU_DEP_1)
	v_bfe_i32 v5, v5, 0, 16
	v_cvt_f32_i32_e32 v10, v5
	global_store_b64 v[6:7], v[10:11], off
.LBB15_2779:
	s_mov_b32 s2, 0
.LBB15_2780:
	s_delay_alu instid0(SALU_CYCLE_1)
	s_and_not1_b32 vcc_lo, exec_lo, s2
	s_cbranch_vccnz .LBB15_2782
; %bb.2781:
	s_wait_xcnt 0x0
	v_bfe_i32 v5, v1, 0, 8
	s_delay_alu instid0(VALU_DEP_1) | instskip(NEXT) | instid1(VALU_DEP_1)
	v_cvt_f16_i16_e32 v5, v5
	v_and_b32_e32 v5, 0xffff, v5
	global_store_b32 v[6:7], v5, off
.LBB15_2782:
	s_mov_b32 s2, 0
.LBB15_2783:
	s_delay_alu instid0(SALU_CYCLE_1)
	s_and_not1_b32 vcc_lo, exec_lo, s2
	s_cbranch_vccnz .LBB15_2792
; %bb.2784:
	s_cmp_lt_i32 s0, 6
	s_mov_b32 s2, -1
	s_cbranch_scc1 .LBB15_2790
; %bb.2785:
	s_cmp_gt_i32 s0, 6
	s_cbranch_scc0 .LBB15_2787
; %bb.2786:
	s_wait_xcnt 0x0
	v_bfe_i32 v5, v1, 0, 8
	s_mov_b32 s2, 0
	s_delay_alu instid0(VALU_DEP_1) | instskip(NEXT) | instid1(VALU_DEP_1)
	v_bfe_i32 v5, v5, 0, 16
	v_cvt_f64_i32_e32 v[10:11], v5
	global_store_b64 v[6:7], v[10:11], off
.LBB15_2787:
	s_and_not1_b32 vcc_lo, exec_lo, s2
	s_cbranch_vccnz .LBB15_2789
; %bb.2788:
	s_wait_xcnt 0x0
	v_bfe_i32 v5, v1, 0, 8
	s_delay_alu instid0(VALU_DEP_1) | instskip(NEXT) | instid1(VALU_DEP_1)
	v_bfe_i32 v5, v5, 0, 16
	v_cvt_f32_i32_e32 v5, v5
	global_store_b32 v[6:7], v5, off
.LBB15_2789:
	s_mov_b32 s2, 0
.LBB15_2790:
	s_delay_alu instid0(SALU_CYCLE_1)
	s_and_not1_b32 vcc_lo, exec_lo, s2
	s_cbranch_vccnz .LBB15_2792
; %bb.2791:
	s_wait_xcnt 0x0
	v_bfe_i32 v5, v1, 0, 8
	s_delay_alu instid0(VALU_DEP_1)
	v_cvt_f16_i16_e32 v5, v5
	global_store_b16 v[6:7], v5, off
.LBB15_2792:
	s_mov_b32 s2, 0
.LBB15_2793:
	s_delay_alu instid0(SALU_CYCLE_1)
	s_and_not1_b32 vcc_lo, exec_lo, s2
	s_cbranch_vccnz .LBB15_2809
; %bb.2794:
	s_cmp_lt_i32 s0, 2
	s_mov_b32 s2, -1
	s_cbranch_scc1 .LBB15_2804
; %bb.2795:
	s_cmp_lt_i32 s0, 3
	s_cbranch_scc1 .LBB15_2801
; %bb.2796:
	s_cmp_gt_i32 s0, 3
	s_cbranch_scc0 .LBB15_2798
; %bb.2797:
	s_wait_xcnt 0x0
	v_bfe_i32 v10, v1, 0, 8
	s_mov_b32 s2, 0
	s_delay_alu instid0(VALU_DEP_1)
	v_ashrrev_i32_e32 v11, 31, v10
	global_store_b64 v[6:7], v[10:11], off
.LBB15_2798:
	s_and_not1_b32 vcc_lo, exec_lo, s2
	s_cbranch_vccnz .LBB15_2800
; %bb.2799:
	s_wait_xcnt 0x0
	v_bfe_i32 v5, v1, 0, 8
	global_store_b32 v[6:7], v5, off
.LBB15_2800:
	s_mov_b32 s2, 0
.LBB15_2801:
	s_delay_alu instid0(SALU_CYCLE_1)
	s_and_not1_b32 vcc_lo, exec_lo, s2
	s_cbranch_vccnz .LBB15_2803
; %bb.2802:
	s_wait_xcnt 0x0
	v_bfe_i32 v5, v1, 0, 8
	global_store_b16 v[6:7], v5, off
.LBB15_2803:
	s_mov_b32 s2, 0
.LBB15_2804:
	s_delay_alu instid0(SALU_CYCLE_1)
	s_and_not1_b32 vcc_lo, exec_lo, s2
	s_cbranch_vccnz .LBB15_2809
; %bb.2805:
	s_cmp_gt_i32 s0, 0
	s_mov_b32 s0, -1
	s_cbranch_scc0 .LBB15_2807
; %bb.2806:
	s_mov_b32 s0, 0
	global_store_b8 v[6:7], v1, off
.LBB15_2807:
	s_and_not1_b32 vcc_lo, exec_lo, s0
	s_cbranch_vccnz .LBB15_2809
; %bb.2808:
	global_store_b8 v[6:7], v1, off
.LBB15_2809:
	s_mov_b32 s6, -1
.LBB15_2810:
	s_delay_alu instid0(SALU_CYCLE_1)
	s_and_not1_b32 vcc_lo, exec_lo, s6
	s_cbranch_vccnz .LBB15_3125
; %bb.2811:
	s_wait_xcnt 0x0
	v_mov_b32_e32 v5, 0
	s_and_b32 s2, 0xffff, s1
	s_delay_alu instid0(SALU_CYCLE_1) | instskip(NEXT) | instid1(VALU_DEP_1)
	s_cmp_lt_i32 s2, 11
	v_add_nc_u64_e32 v[4:5], s[4:5], v[4:5]
	s_cbranch_scc1 .LBB15_2889
; %bb.2812:
	s_mov_b32 s7, -1
	s_mov_b32 s3, 0
	s_cmp_gt_i32 s2, 25
	s_mov_b32 s6, 0
	s_mov_b32 s0, 0
	s_cbranch_scc0 .LBB15_2845
; %bb.2813:
	s_cmp_gt_i32 s2, 28
	s_cbranch_scc0 .LBB15_2828
; %bb.2814:
	s_cmp_gt_i32 s2, 43
	;; [unrolled: 3-line block ×3, first 2 shown]
	s_cbranch_scc0 .LBB15_2818
; %bb.2816:
	s_mov_b32 s0, -1
	s_mov_b32 s7, 0
	s_cmp_eq_u32 s2, 46
	s_cbranch_scc0 .LBB15_2818
; %bb.2817:
	v_bfe_i32 v1, v3, 0, 8
	s_mov_b32 s0, 0
	s_mov_b32 s6, -1
	s_delay_alu instid0(VALU_DEP_1) | instskip(NEXT) | instid1(VALU_DEP_1)
	v_bfe_i32 v1, v1, 0, 16
	v_cvt_f32_i32_e32 v1, v1
	s_delay_alu instid0(VALU_DEP_1) | instskip(NEXT) | instid1(VALU_DEP_1)
	v_bfe_u32 v6, v1, 16, 1
	v_add3_u32 v1, v1, v6, 0x7fff
	s_delay_alu instid0(VALU_DEP_1)
	v_lshrrev_b32_e32 v1, 16, v1
	global_store_b32 v[4:5], v1, off
.LBB15_2818:
	s_and_b32 vcc_lo, exec_lo, s7
	s_cbranch_vccz .LBB15_2823
; %bb.2819:
	s_cmp_eq_u32 s2, 44
	s_mov_b32 s0, -1
	s_cbranch_scc0 .LBB15_2823
; %bb.2820:
	s_wait_xcnt 0x0
	v_bfe_i32 v1, v3, 0, 8
	v_mov_b32_e32 v6, 0xff
	s_mov_b32 s6, exec_lo
	s_delay_alu instid0(VALU_DEP_2) | instskip(NEXT) | instid1(VALU_DEP_1)
	v_bfe_i32 v1, v1, 0, 16
	v_cvt_f32_i32_e32 v1, v1
	s_delay_alu instid0(VALU_DEP_1) | instskip(NEXT) | instid1(VALU_DEP_1)
	v_bfe_u32 v7, v1, 23, 8
	v_cmpx_ne_u32_e32 0xff, v7
	s_cbranch_execz .LBB15_2822
; %bb.2821:
	v_and_b32_e32 v6, 0x400000, v1
	v_and_or_b32 v7, 0x3fffff, v1, v7
	v_lshrrev_b32_e32 v1, 23, v1
	s_delay_alu instid0(VALU_DEP_3) | instskip(NEXT) | instid1(VALU_DEP_3)
	v_cmp_ne_u32_e32 vcc_lo, 0, v6
	v_cmp_ne_u32_e64 s0, 0, v7
	s_and_b32 s0, vcc_lo, s0
	s_delay_alu instid0(SALU_CYCLE_1) | instskip(NEXT) | instid1(VALU_DEP_1)
	v_cndmask_b32_e64 v6, 0, 1, s0
	v_add_nc_u32_e32 v6, v1, v6
.LBB15_2822:
	s_or_b32 exec_lo, exec_lo, s6
	s_mov_b32 s0, 0
	s_mov_b32 s6, -1
	global_store_b8 v[4:5], v6, off
.LBB15_2823:
	s_mov_b32 s7, 0
.LBB15_2824:
	s_delay_alu instid0(SALU_CYCLE_1)
	s_and_b32 vcc_lo, exec_lo, s7
	s_cbranch_vccz .LBB15_2827
; %bb.2825:
	s_cmp_eq_u32 s2, 29
	s_mov_b32 s0, -1
	s_cbranch_scc0 .LBB15_2827
; %bb.2826:
	s_wait_xcnt 0x0
	v_bfe_i32 v6, v3, 0, 8
	s_mov_b32 s0, 0
	s_mov_b32 s6, -1
	s_delay_alu instid0(VALU_DEP_1)
	v_ashrrev_i32_e32 v7, 31, v6
	global_store_b64 v[4:5], v[6:7], off
.LBB15_2827:
	s_mov_b32 s7, 0
.LBB15_2828:
	s_delay_alu instid0(SALU_CYCLE_1)
	s_and_b32 vcc_lo, exec_lo, s7
	s_cbranch_vccz .LBB15_2844
; %bb.2829:
	s_cmp_lt_i32 s2, 27
	s_mov_b32 s6, -1
	s_cbranch_scc1 .LBB15_2835
; %bb.2830:
	s_cmp_gt_i32 s2, 27
	s_cbranch_scc0 .LBB15_2832
; %bb.2831:
	s_wait_xcnt 0x0
	v_bfe_i32 v1, v3, 0, 8
	s_mov_b32 s6, 0
	global_store_b32 v[4:5], v1, off
.LBB15_2832:
	s_and_not1_b32 vcc_lo, exec_lo, s6
	s_cbranch_vccnz .LBB15_2834
; %bb.2833:
	s_wait_xcnt 0x0
	v_bfe_i32 v1, v3, 0, 8
	global_store_b16 v[4:5], v1, off
.LBB15_2834:
	s_mov_b32 s6, 0
.LBB15_2835:
	s_delay_alu instid0(SALU_CYCLE_1)
	s_and_not1_b32 vcc_lo, exec_lo, s6
	s_cbranch_vccnz .LBB15_2843
; %bb.2836:
	s_wait_xcnt 0x0
	v_bfe_i32 v1, v3, 0, 8
	v_mov_b32_e32 v7, 0x80
	s_mov_b32 s6, exec_lo
	s_delay_alu instid0(VALU_DEP_2) | instskip(NEXT) | instid1(VALU_DEP_1)
	v_bfe_i32 v1, v1, 0, 16
	v_cvt_f32_i32_e32 v1, v1
	s_delay_alu instid0(VALU_DEP_1) | instskip(NEXT) | instid1(VALU_DEP_1)
	v_and_b32_e32 v6, 0x7fffffff, v1
	v_cmpx_gt_u32_e32 0x43800000, v6
	s_cbranch_execz .LBB15_2842
; %bb.2837:
	v_cmp_lt_u32_e32 vcc_lo, 0x3bffffff, v6
	s_mov_b32 s7, 0
                                        ; implicit-def: $vgpr6
	s_and_saveexec_b32 s11, vcc_lo
	s_delay_alu instid0(SALU_CYCLE_1)
	s_xor_b32 s11, exec_lo, s11
	s_cbranch_execz .LBB15_3133
; %bb.2838:
	v_bfe_u32 v6, v1, 20, 1
	s_mov_b32 s7, exec_lo
	s_delay_alu instid0(VALU_DEP_1) | instskip(NEXT) | instid1(VALU_DEP_1)
	v_add3_u32 v6, v1, v6, 0x487ffff
	v_lshrrev_b32_e32 v6, 20, v6
	s_and_not1_saveexec_b32 s11, s11
	s_cbranch_execnz .LBB15_3134
.LBB15_2839:
	s_or_b32 exec_lo, exec_lo, s11
	v_mov_b32_e32 v7, 0
	s_and_saveexec_b32 s11, s7
.LBB15_2840:
	v_lshrrev_b32_e32 v1, 24, v1
	s_delay_alu instid0(VALU_DEP_1)
	v_and_or_b32 v7, 0x80, v1, v6
.LBB15_2841:
	s_or_b32 exec_lo, exec_lo, s11
.LBB15_2842:
	s_delay_alu instid0(SALU_CYCLE_1)
	s_or_b32 exec_lo, exec_lo, s6
	global_store_b8 v[4:5], v7, off
.LBB15_2843:
	s_mov_b32 s6, -1
.LBB15_2844:
	s_mov_b32 s7, 0
.LBB15_2845:
	s_delay_alu instid0(SALU_CYCLE_1)
	s_and_b32 vcc_lo, exec_lo, s7
	s_cbranch_vccz .LBB15_2885
; %bb.2846:
	s_cmp_gt_i32 s2, 22
	s_mov_b32 s3, -1
	s_cbranch_scc0 .LBB15_2878
; %bb.2847:
	s_cmp_lt_i32 s2, 24
	s_cbranch_scc1 .LBB15_2867
; %bb.2848:
	s_cmp_gt_i32 s2, 24
	s_cbranch_scc0 .LBB15_2856
; %bb.2849:
	s_wait_xcnt 0x0
	v_bfe_i32 v1, v3, 0, 8
	v_mov_b32_e32 v7, 0x80
	s_mov_b32 s3, exec_lo
	s_delay_alu instid0(VALU_DEP_2) | instskip(NEXT) | instid1(VALU_DEP_1)
	v_bfe_i32 v1, v1, 0, 16
	v_cvt_f32_i32_e32 v1, v1
	s_delay_alu instid0(VALU_DEP_1) | instskip(NEXT) | instid1(VALU_DEP_1)
	v_and_b32_e32 v6, 0x7fffffff, v1
	v_cmpx_gt_u32_e32 0x47800000, v6
	s_cbranch_execz .LBB15_2855
; %bb.2850:
	v_cmp_lt_u32_e32 vcc_lo, 0x37ffffff, v6
	s_mov_b32 s6, 0
                                        ; implicit-def: $vgpr6
	s_and_saveexec_b32 s7, vcc_lo
	s_delay_alu instid0(SALU_CYCLE_1)
	s_xor_b32 s7, exec_lo, s7
	s_cbranch_execz .LBB15_3136
; %bb.2851:
	v_bfe_u32 v6, v1, 21, 1
	s_mov_b32 s6, exec_lo
	s_delay_alu instid0(VALU_DEP_1) | instskip(NEXT) | instid1(VALU_DEP_1)
	v_add3_u32 v6, v1, v6, 0x88fffff
	v_lshrrev_b32_e32 v6, 21, v6
	s_and_not1_saveexec_b32 s7, s7
	s_cbranch_execnz .LBB15_3137
.LBB15_2852:
	s_or_b32 exec_lo, exec_lo, s7
	v_mov_b32_e32 v7, 0
	s_and_saveexec_b32 s7, s6
.LBB15_2853:
	v_lshrrev_b32_e32 v1, 24, v1
	s_delay_alu instid0(VALU_DEP_1)
	v_and_or_b32 v7, 0x80, v1, v6
.LBB15_2854:
	s_or_b32 exec_lo, exec_lo, s7
.LBB15_2855:
	s_delay_alu instid0(SALU_CYCLE_1)
	s_or_b32 exec_lo, exec_lo, s3
	s_mov_b32 s3, 0
	global_store_b8 v[4:5], v7, off
.LBB15_2856:
	s_and_b32 vcc_lo, exec_lo, s3
	s_cbranch_vccz .LBB15_2866
; %bb.2857:
	s_wait_xcnt 0x0
	v_bfe_i32 v1, v3, 0, 8
	s_mov_b32 s3, exec_lo
                                        ; implicit-def: $vgpr6
	s_delay_alu instid0(VALU_DEP_1) | instskip(NEXT) | instid1(VALU_DEP_1)
	v_bfe_i32 v1, v1, 0, 16
	v_cvt_f32_i32_e32 v1, v1
	s_delay_alu instid0(VALU_DEP_1) | instskip(NEXT) | instid1(VALU_DEP_1)
	v_and_b32_e32 v7, 0x7fffffff, v1
	v_cmpx_gt_u32_e32 0x43f00000, v7
	s_xor_b32 s3, exec_lo, s3
	s_cbranch_execz .LBB15_2863
; %bb.2858:
	s_mov_b32 s6, exec_lo
                                        ; implicit-def: $vgpr6
	v_cmpx_lt_u32_e32 0x3c7fffff, v7
	s_xor_b32 s6, exec_lo, s6
; %bb.2859:
	v_bfe_u32 v6, v1, 20, 1
	s_delay_alu instid0(VALU_DEP_1) | instskip(NEXT) | instid1(VALU_DEP_1)
	v_add3_u32 v6, v1, v6, 0x407ffff
	v_and_b32_e32 v7, 0xff00000, v6
	v_lshrrev_b32_e32 v6, 20, v6
	s_delay_alu instid0(VALU_DEP_2) | instskip(NEXT) | instid1(VALU_DEP_2)
	v_cmp_ne_u32_e32 vcc_lo, 0x7f00000, v7
	v_cndmask_b32_e32 v6, 0x7e, v6, vcc_lo
; %bb.2860:
	s_and_not1_saveexec_b32 s6, s6
; %bb.2861:
	v_add_f32_e64 v6, 0x46800000, |v1|
; %bb.2862:
	s_or_b32 exec_lo, exec_lo, s6
                                        ; implicit-def: $vgpr7
.LBB15_2863:
	s_and_not1_saveexec_b32 s3, s3
; %bb.2864:
	v_mov_b32_e32 v6, 0x7f
	v_cmp_lt_u32_e32 vcc_lo, 0x7f800000, v7
	s_delay_alu instid0(VALU_DEP_2)
	v_cndmask_b32_e32 v6, 0x7e, v6, vcc_lo
; %bb.2865:
	s_or_b32 exec_lo, exec_lo, s3
	v_lshrrev_b32_e32 v1, 24, v1
	s_delay_alu instid0(VALU_DEP_1)
	v_and_or_b32 v1, 0x80, v1, v6
	global_store_b8 v[4:5], v1, off
.LBB15_2866:
	s_mov_b32 s3, 0
.LBB15_2867:
	s_delay_alu instid0(SALU_CYCLE_1)
	s_and_not1_b32 vcc_lo, exec_lo, s3
	s_cbranch_vccnz .LBB15_2877
; %bb.2868:
	s_wait_xcnt 0x0
	v_bfe_i32 v1, v3, 0, 8
	s_mov_b32 s3, exec_lo
                                        ; implicit-def: $vgpr6
	s_delay_alu instid0(VALU_DEP_1) | instskip(NEXT) | instid1(VALU_DEP_1)
	v_bfe_i32 v1, v1, 0, 16
	v_cvt_f32_i32_e32 v1, v1
	s_delay_alu instid0(VALU_DEP_1) | instskip(NEXT) | instid1(VALU_DEP_1)
	v_and_b32_e32 v7, 0x7fffffff, v1
	v_cmpx_gt_u32_e32 0x47800000, v7
	s_xor_b32 s3, exec_lo, s3
	s_cbranch_execz .LBB15_2874
; %bb.2869:
	s_mov_b32 s6, exec_lo
                                        ; implicit-def: $vgpr6
	v_cmpx_lt_u32_e32 0x387fffff, v7
	s_xor_b32 s6, exec_lo, s6
; %bb.2870:
	v_bfe_u32 v6, v1, 21, 1
	s_delay_alu instid0(VALU_DEP_1) | instskip(NEXT) | instid1(VALU_DEP_1)
	v_add3_u32 v6, v1, v6, 0x80fffff
	v_lshrrev_b32_e32 v6, 21, v6
; %bb.2871:
	s_and_not1_saveexec_b32 s6, s6
; %bb.2872:
	v_add_f32_e64 v6, 0x43000000, |v1|
; %bb.2873:
	s_or_b32 exec_lo, exec_lo, s6
                                        ; implicit-def: $vgpr7
.LBB15_2874:
	s_and_not1_saveexec_b32 s3, s3
; %bb.2875:
	v_mov_b32_e32 v6, 0x7f
	v_cmp_lt_u32_e32 vcc_lo, 0x7f800000, v7
	s_delay_alu instid0(VALU_DEP_2)
	v_cndmask_b32_e32 v6, 0x7c, v6, vcc_lo
; %bb.2876:
	s_or_b32 exec_lo, exec_lo, s3
	v_lshrrev_b32_e32 v1, 24, v1
	s_delay_alu instid0(VALU_DEP_1)
	v_and_or_b32 v1, 0x80, v1, v6
	global_store_b8 v[4:5], v1, off
.LBB15_2877:
	s_mov_b32 s3, 0
	s_mov_b32 s6, -1
.LBB15_2878:
	s_and_not1_b32 vcc_lo, exec_lo, s3
	s_mov_b32 s3, 0
	s_cbranch_vccnz .LBB15_2885
; %bb.2879:
	s_cmp_gt_i32 s2, 14
	s_mov_b32 s3, -1
	s_cbranch_scc0 .LBB15_2883
; %bb.2880:
	s_cmp_eq_u32 s2, 15
	s_mov_b32 s0, -1
	s_cbranch_scc0 .LBB15_2882
; %bb.2881:
	s_wait_xcnt 0x0
	v_bfe_i32 v1, v3, 0, 8
	s_mov_b32 s0, 0
	s_mov_b32 s6, -1
	s_delay_alu instid0(VALU_DEP_1) | instskip(NEXT) | instid1(VALU_DEP_1)
	v_bfe_i32 v1, v1, 0, 16
	v_cvt_f32_i32_e32 v1, v1
	s_delay_alu instid0(VALU_DEP_1) | instskip(NEXT) | instid1(VALU_DEP_1)
	v_bfe_u32 v6, v1, 16, 1
	v_add3_u32 v1, v1, v6, 0x7fff
	global_store_d16_hi_b16 v[4:5], v1, off
.LBB15_2882:
	s_mov_b32 s3, 0
.LBB15_2883:
	s_delay_alu instid0(SALU_CYCLE_1)
	s_and_b32 vcc_lo, exec_lo, s3
	s_mov_b32 s3, 0
	s_cbranch_vccz .LBB15_2885
; %bb.2884:
	s_cmp_lg_u32 s2, 11
	s_mov_b32 s3, -1
	s_cselect_b32 s0, -1, 0
.LBB15_2885:
	s_delay_alu instid0(SALU_CYCLE_1)
	s_and_b32 vcc_lo, exec_lo, s0
	s_cbranch_vccnz .LBB15_3135
; %bb.2886:
	s_and_not1_b32 vcc_lo, exec_lo, s3
	s_cbranch_vccnz .LBB15_2888
.LBB15_2887:
	s_wait_xcnt 0x0
	v_and_b32_e32 v1, 0xff, v3
	s_mov_b32 s6, -1
	s_delay_alu instid0(VALU_DEP_1)
	v_cmp_ne_u16_e32 vcc_lo, 0, v1
	v_cndmask_b32_e64 v1, 0, 1, vcc_lo
	global_store_b8 v[4:5], v1, off
.LBB15_2888:
	s_mov_b32 s0, 0
	s_branch .LBB15_2890
.LBB15_2889:
	s_mov_b32 s0, -1
	s_mov_b32 s6, 0
.LBB15_2890:
	s_and_b32 vcc_lo, exec_lo, s0
	s_cbranch_vccz .LBB15_2929
; %bb.2891:
	s_cmp_lt_i32 s2, 5
	s_mov_b32 s0, -1
	s_cbranch_scc1 .LBB15_2912
; %bb.2892:
	s_cmp_lt_i32 s2, 8
	s_cbranch_scc1 .LBB15_2902
; %bb.2893:
	s_cmp_lt_i32 s2, 9
	s_cbranch_scc1 .LBB15_2899
; %bb.2894:
	s_cmp_gt_i32 s2, 9
	s_cbranch_scc0 .LBB15_2896
; %bb.2895:
	s_wait_xcnt 0x0
	v_bfe_i32 v1, v3, 0, 8
	v_mov_b32_e32 v12, 0
	s_mov_b32 s0, 0
	s_delay_alu instid0(VALU_DEP_2) | instskip(NEXT) | instid1(VALU_DEP_2)
	v_bfe_i32 v1, v1, 0, 16
	v_mov_b32_e32 v13, v12
	s_delay_alu instid0(VALU_DEP_2)
	v_cvt_f64_i32_e32 v[10:11], v1
	global_store_b128 v[4:5], v[10:13], off
.LBB15_2896:
	s_and_not1_b32 vcc_lo, exec_lo, s0
	s_cbranch_vccnz .LBB15_2898
; %bb.2897:
	s_wait_xcnt 0x0
	v_bfe_i32 v1, v3, 0, 8
	v_mov_b32_e32 v7, 0
	s_delay_alu instid0(VALU_DEP_2) | instskip(NEXT) | instid1(VALU_DEP_1)
	v_bfe_i32 v1, v1, 0, 16
	v_cvt_f32_i32_e32 v6, v1
	global_store_b64 v[4:5], v[6:7], off
.LBB15_2898:
	s_mov_b32 s0, 0
.LBB15_2899:
	s_delay_alu instid0(SALU_CYCLE_1)
	s_and_not1_b32 vcc_lo, exec_lo, s0
	s_cbranch_vccnz .LBB15_2901
; %bb.2900:
	s_wait_xcnt 0x0
	v_bfe_i32 v1, v3, 0, 8
	s_delay_alu instid0(VALU_DEP_1) | instskip(NEXT) | instid1(VALU_DEP_1)
	v_cvt_f16_i16_e32 v1, v1
	v_and_b32_e32 v1, 0xffff, v1
	global_store_b32 v[4:5], v1, off
.LBB15_2901:
	s_mov_b32 s0, 0
.LBB15_2902:
	s_delay_alu instid0(SALU_CYCLE_1)
	s_and_not1_b32 vcc_lo, exec_lo, s0
	s_cbranch_vccnz .LBB15_2911
; %bb.2903:
	s_cmp_lt_i32 s2, 6
	s_mov_b32 s0, -1
	s_cbranch_scc1 .LBB15_2909
; %bb.2904:
	s_cmp_gt_i32 s2, 6
	s_cbranch_scc0 .LBB15_2906
; %bb.2905:
	s_wait_xcnt 0x0
	v_bfe_i32 v1, v3, 0, 8
	s_mov_b32 s0, 0
	s_delay_alu instid0(VALU_DEP_1) | instskip(NEXT) | instid1(VALU_DEP_1)
	v_bfe_i32 v1, v1, 0, 16
	v_cvt_f64_i32_e32 v[6:7], v1
	global_store_b64 v[4:5], v[6:7], off
.LBB15_2906:
	s_and_not1_b32 vcc_lo, exec_lo, s0
	s_cbranch_vccnz .LBB15_2908
; %bb.2907:
	s_wait_xcnt 0x0
	v_bfe_i32 v1, v3, 0, 8
	s_delay_alu instid0(VALU_DEP_1) | instskip(NEXT) | instid1(VALU_DEP_1)
	v_bfe_i32 v1, v1, 0, 16
	v_cvt_f32_i32_e32 v1, v1
	global_store_b32 v[4:5], v1, off
.LBB15_2908:
	s_mov_b32 s0, 0
.LBB15_2909:
	s_delay_alu instid0(SALU_CYCLE_1)
	s_and_not1_b32 vcc_lo, exec_lo, s0
	s_cbranch_vccnz .LBB15_2911
; %bb.2910:
	s_wait_xcnt 0x0
	v_bfe_i32 v1, v3, 0, 8
	s_delay_alu instid0(VALU_DEP_1)
	v_cvt_f16_i16_e32 v1, v1
	global_store_b16 v[4:5], v1, off
.LBB15_2911:
	s_mov_b32 s0, 0
.LBB15_2912:
	s_delay_alu instid0(SALU_CYCLE_1)
	s_and_not1_b32 vcc_lo, exec_lo, s0
	s_cbranch_vccnz .LBB15_2928
; %bb.2913:
	s_cmp_lt_i32 s2, 2
	s_mov_b32 s0, -1
	s_cbranch_scc1 .LBB15_2923
; %bb.2914:
	s_cmp_lt_i32 s2, 3
	s_cbranch_scc1 .LBB15_2920
; %bb.2915:
	s_cmp_gt_i32 s2, 3
	s_cbranch_scc0 .LBB15_2917
; %bb.2916:
	s_wait_xcnt 0x0
	v_bfe_i32 v6, v3, 0, 8
	s_mov_b32 s0, 0
	s_delay_alu instid0(VALU_DEP_1)
	v_ashrrev_i32_e32 v7, 31, v6
	global_store_b64 v[4:5], v[6:7], off
.LBB15_2917:
	s_and_not1_b32 vcc_lo, exec_lo, s0
	s_cbranch_vccnz .LBB15_2919
; %bb.2918:
	s_wait_xcnt 0x0
	v_bfe_i32 v1, v3, 0, 8
	global_store_b32 v[4:5], v1, off
.LBB15_2919:
	s_mov_b32 s0, 0
.LBB15_2920:
	s_delay_alu instid0(SALU_CYCLE_1)
	s_and_not1_b32 vcc_lo, exec_lo, s0
	s_cbranch_vccnz .LBB15_2922
; %bb.2921:
	s_wait_xcnt 0x0
	v_bfe_i32 v1, v3, 0, 8
	global_store_b16 v[4:5], v1, off
.LBB15_2922:
	s_mov_b32 s0, 0
.LBB15_2923:
	s_delay_alu instid0(SALU_CYCLE_1)
	s_and_not1_b32 vcc_lo, exec_lo, s0
	s_cbranch_vccnz .LBB15_2928
; %bb.2924:
	s_cmp_gt_i32 s2, 0
	s_mov_b32 s0, -1
	s_cbranch_scc0 .LBB15_2926
; %bb.2925:
	s_mov_b32 s0, 0
	global_store_b8 v[4:5], v3, off
.LBB15_2926:
	s_and_not1_b32 vcc_lo, exec_lo, s0
	s_cbranch_vccnz .LBB15_2928
; %bb.2927:
	global_store_b8 v[4:5], v3, off
.LBB15_2928:
	s_mov_b32 s6, -1
.LBB15_2929:
	s_delay_alu instid0(SALU_CYCLE_1)
	s_and_not1_b32 vcc_lo, exec_lo, s6
	s_cbranch_vccnz .LBB15_3125
; %bb.2930:
	s_wait_xcnt 0x0
	v_mov_b32_e32 v3, 0
	s_cmp_lt_i32 s2, 11
	s_delay_alu instid0(VALU_DEP_1)
	v_add_nc_u64_e32 v[2:3], s[4:5], v[2:3]
	s_cbranch_scc1 .LBB15_3008
; %bb.2931:
	s_mov_b32 s7, -1
	s_mov_b32 s3, 0
	s_cmp_gt_i32 s2, 25
	s_mov_b32 s6, 0
	s_mov_b32 s0, 0
	s_cbranch_scc0 .LBB15_2964
; %bb.2932:
	s_cmp_gt_i32 s2, 28
	s_cbranch_scc0 .LBB15_2947
; %bb.2933:
	s_cmp_gt_i32 s2, 43
	;; [unrolled: 3-line block ×3, first 2 shown]
	s_cbranch_scc0 .LBB15_2937
; %bb.2935:
	s_mov_b32 s0, -1
	s_mov_b32 s7, 0
	s_cmp_eq_u32 s2, 46
	s_cbranch_scc0 .LBB15_2937
; %bb.2936:
	v_bfe_i32 v1, v15, 0, 8
	s_mov_b32 s0, 0
	s_mov_b32 s6, -1
	s_delay_alu instid0(VALU_DEP_1) | instskip(NEXT) | instid1(VALU_DEP_1)
	v_bfe_i32 v1, v1, 0, 16
	v_cvt_f32_i32_e32 v1, v1
	s_delay_alu instid0(VALU_DEP_1) | instskip(NEXT) | instid1(VALU_DEP_1)
	v_bfe_u32 v4, v1, 16, 1
	v_add3_u32 v1, v1, v4, 0x7fff
	s_delay_alu instid0(VALU_DEP_1)
	v_lshrrev_b32_e32 v1, 16, v1
	global_store_b32 v[2:3], v1, off
.LBB15_2937:
	s_and_b32 vcc_lo, exec_lo, s7
	s_cbranch_vccz .LBB15_2942
; %bb.2938:
	s_cmp_eq_u32 s2, 44
	s_mov_b32 s0, -1
	s_cbranch_scc0 .LBB15_2942
; %bb.2939:
	s_wait_xcnt 0x0
	v_bfe_i32 v1, v15, 0, 8
	v_mov_b32_e32 v4, 0xff
	s_mov_b32 s6, exec_lo
	s_delay_alu instid0(VALU_DEP_2) | instskip(NEXT) | instid1(VALU_DEP_1)
	v_bfe_i32 v1, v1, 0, 16
	v_cvt_f32_i32_e32 v1, v1
	s_delay_alu instid0(VALU_DEP_1) | instskip(NEXT) | instid1(VALU_DEP_1)
	v_bfe_u32 v5, v1, 23, 8
	v_cmpx_ne_u32_e32 0xff, v5
	s_cbranch_execz .LBB15_2941
; %bb.2940:
	v_and_b32_e32 v4, 0x400000, v1
	v_and_or_b32 v5, 0x3fffff, v1, v5
	v_lshrrev_b32_e32 v1, 23, v1
	s_delay_alu instid0(VALU_DEP_3) | instskip(NEXT) | instid1(VALU_DEP_3)
	v_cmp_ne_u32_e32 vcc_lo, 0, v4
	v_cmp_ne_u32_e64 s0, 0, v5
	s_and_b32 s0, vcc_lo, s0
	s_delay_alu instid0(SALU_CYCLE_1) | instskip(NEXT) | instid1(VALU_DEP_1)
	v_cndmask_b32_e64 v4, 0, 1, s0
	v_add_nc_u32_e32 v4, v1, v4
.LBB15_2941:
	s_or_b32 exec_lo, exec_lo, s6
	s_mov_b32 s0, 0
	s_mov_b32 s6, -1
	global_store_b8 v[2:3], v4, off
.LBB15_2942:
	s_mov_b32 s7, 0
.LBB15_2943:
	s_delay_alu instid0(SALU_CYCLE_1)
	s_and_b32 vcc_lo, exec_lo, s7
	s_cbranch_vccz .LBB15_2946
; %bb.2944:
	s_cmp_eq_u32 s2, 29
	s_mov_b32 s0, -1
	s_cbranch_scc0 .LBB15_2946
; %bb.2945:
	s_wait_xcnt 0x0
	v_bfe_i32 v4, v15, 0, 8
	s_mov_b32 s0, 0
	s_mov_b32 s6, -1
	s_delay_alu instid0(VALU_DEP_1)
	v_ashrrev_i32_e32 v5, 31, v4
	global_store_b64 v[2:3], v[4:5], off
.LBB15_2946:
	s_mov_b32 s7, 0
.LBB15_2947:
	s_delay_alu instid0(SALU_CYCLE_1)
	s_and_b32 vcc_lo, exec_lo, s7
	s_cbranch_vccz .LBB15_2963
; %bb.2948:
	s_cmp_lt_i32 s2, 27
	s_mov_b32 s6, -1
	s_cbranch_scc1 .LBB15_2954
; %bb.2949:
	s_cmp_gt_i32 s2, 27
	s_cbranch_scc0 .LBB15_2951
; %bb.2950:
	s_wait_xcnt 0x0
	v_bfe_i32 v1, v15, 0, 8
	s_mov_b32 s6, 0
	global_store_b32 v[2:3], v1, off
.LBB15_2951:
	s_and_not1_b32 vcc_lo, exec_lo, s6
	s_cbranch_vccnz .LBB15_2953
; %bb.2952:
	s_wait_xcnt 0x0
	v_bfe_i32 v1, v15, 0, 8
	global_store_b16 v[2:3], v1, off
.LBB15_2953:
	s_mov_b32 s6, 0
.LBB15_2954:
	s_delay_alu instid0(SALU_CYCLE_1)
	s_and_not1_b32 vcc_lo, exec_lo, s6
	s_cbranch_vccnz .LBB15_2962
; %bb.2955:
	s_wait_xcnt 0x0
	v_bfe_i32 v1, v15, 0, 8
	v_mov_b32_e32 v5, 0x80
	s_mov_b32 s6, exec_lo
	s_delay_alu instid0(VALU_DEP_2) | instskip(NEXT) | instid1(VALU_DEP_1)
	v_bfe_i32 v1, v1, 0, 16
	v_cvt_f32_i32_e32 v1, v1
	s_delay_alu instid0(VALU_DEP_1) | instskip(NEXT) | instid1(VALU_DEP_1)
	v_and_b32_e32 v4, 0x7fffffff, v1
	v_cmpx_gt_u32_e32 0x43800000, v4
	s_cbranch_execz .LBB15_2961
; %bb.2956:
	v_cmp_lt_u32_e32 vcc_lo, 0x3bffffff, v4
	s_mov_b32 s7, 0
                                        ; implicit-def: $vgpr4
	s_and_saveexec_b32 s11, vcc_lo
	s_delay_alu instid0(SALU_CYCLE_1)
	s_xor_b32 s11, exec_lo, s11
	s_cbranch_execz .LBB15_3138
; %bb.2957:
	v_bfe_u32 v4, v1, 20, 1
	s_mov_b32 s7, exec_lo
	s_delay_alu instid0(VALU_DEP_1) | instskip(NEXT) | instid1(VALU_DEP_1)
	v_add3_u32 v4, v1, v4, 0x487ffff
	v_lshrrev_b32_e32 v4, 20, v4
	s_and_not1_saveexec_b32 s11, s11
	s_cbranch_execnz .LBB15_3139
.LBB15_2958:
	s_or_b32 exec_lo, exec_lo, s11
	v_mov_b32_e32 v5, 0
	s_and_saveexec_b32 s11, s7
.LBB15_2959:
	v_lshrrev_b32_e32 v1, 24, v1
	s_delay_alu instid0(VALU_DEP_1)
	v_and_or_b32 v5, 0x80, v1, v4
.LBB15_2960:
	s_or_b32 exec_lo, exec_lo, s11
.LBB15_2961:
	s_delay_alu instid0(SALU_CYCLE_1)
	s_or_b32 exec_lo, exec_lo, s6
	global_store_b8 v[2:3], v5, off
.LBB15_2962:
	s_mov_b32 s6, -1
.LBB15_2963:
	s_mov_b32 s7, 0
.LBB15_2964:
	s_delay_alu instid0(SALU_CYCLE_1)
	s_and_b32 vcc_lo, exec_lo, s7
	s_cbranch_vccz .LBB15_3004
; %bb.2965:
	s_cmp_gt_i32 s2, 22
	s_mov_b32 s3, -1
	s_cbranch_scc0 .LBB15_2997
; %bb.2966:
	s_cmp_lt_i32 s2, 24
	s_cbranch_scc1 .LBB15_2986
; %bb.2967:
	s_cmp_gt_i32 s2, 24
	s_cbranch_scc0 .LBB15_2975
; %bb.2968:
	s_wait_xcnt 0x0
	v_bfe_i32 v1, v15, 0, 8
	v_mov_b32_e32 v5, 0x80
	s_mov_b32 s3, exec_lo
	s_delay_alu instid0(VALU_DEP_2) | instskip(NEXT) | instid1(VALU_DEP_1)
	v_bfe_i32 v1, v1, 0, 16
	v_cvt_f32_i32_e32 v1, v1
	s_delay_alu instid0(VALU_DEP_1) | instskip(NEXT) | instid1(VALU_DEP_1)
	v_and_b32_e32 v4, 0x7fffffff, v1
	v_cmpx_gt_u32_e32 0x47800000, v4
	s_cbranch_execz .LBB15_2974
; %bb.2969:
	v_cmp_lt_u32_e32 vcc_lo, 0x37ffffff, v4
	s_mov_b32 s6, 0
                                        ; implicit-def: $vgpr4
	s_and_saveexec_b32 s7, vcc_lo
	s_delay_alu instid0(SALU_CYCLE_1)
	s_xor_b32 s7, exec_lo, s7
	s_cbranch_execz .LBB15_3141
; %bb.2970:
	v_bfe_u32 v4, v1, 21, 1
	s_mov_b32 s6, exec_lo
	s_delay_alu instid0(VALU_DEP_1) | instskip(NEXT) | instid1(VALU_DEP_1)
	v_add3_u32 v4, v1, v4, 0x88fffff
	v_lshrrev_b32_e32 v4, 21, v4
	s_and_not1_saveexec_b32 s7, s7
	s_cbranch_execnz .LBB15_3142
.LBB15_2971:
	s_or_b32 exec_lo, exec_lo, s7
	v_mov_b32_e32 v5, 0
	s_and_saveexec_b32 s7, s6
.LBB15_2972:
	v_lshrrev_b32_e32 v1, 24, v1
	s_delay_alu instid0(VALU_DEP_1)
	v_and_or_b32 v5, 0x80, v1, v4
.LBB15_2973:
	s_or_b32 exec_lo, exec_lo, s7
.LBB15_2974:
	s_delay_alu instid0(SALU_CYCLE_1)
	s_or_b32 exec_lo, exec_lo, s3
	s_mov_b32 s3, 0
	global_store_b8 v[2:3], v5, off
.LBB15_2975:
	s_and_b32 vcc_lo, exec_lo, s3
	s_cbranch_vccz .LBB15_2985
; %bb.2976:
	s_wait_xcnt 0x0
	v_bfe_i32 v1, v15, 0, 8
	s_mov_b32 s3, exec_lo
                                        ; implicit-def: $vgpr4
	s_delay_alu instid0(VALU_DEP_1) | instskip(NEXT) | instid1(VALU_DEP_1)
	v_bfe_i32 v1, v1, 0, 16
	v_cvt_f32_i32_e32 v1, v1
	s_delay_alu instid0(VALU_DEP_1) | instskip(NEXT) | instid1(VALU_DEP_1)
	v_and_b32_e32 v5, 0x7fffffff, v1
	v_cmpx_gt_u32_e32 0x43f00000, v5
	s_xor_b32 s3, exec_lo, s3
	s_cbranch_execz .LBB15_2982
; %bb.2977:
	s_mov_b32 s6, exec_lo
                                        ; implicit-def: $vgpr4
	v_cmpx_lt_u32_e32 0x3c7fffff, v5
	s_xor_b32 s6, exec_lo, s6
; %bb.2978:
	v_bfe_u32 v4, v1, 20, 1
	s_delay_alu instid0(VALU_DEP_1) | instskip(NEXT) | instid1(VALU_DEP_1)
	v_add3_u32 v4, v1, v4, 0x407ffff
	v_and_b32_e32 v5, 0xff00000, v4
	v_lshrrev_b32_e32 v4, 20, v4
	s_delay_alu instid0(VALU_DEP_2) | instskip(NEXT) | instid1(VALU_DEP_2)
	v_cmp_ne_u32_e32 vcc_lo, 0x7f00000, v5
	v_cndmask_b32_e32 v4, 0x7e, v4, vcc_lo
; %bb.2979:
	s_and_not1_saveexec_b32 s6, s6
; %bb.2980:
	v_add_f32_e64 v4, 0x46800000, |v1|
; %bb.2981:
	s_or_b32 exec_lo, exec_lo, s6
                                        ; implicit-def: $vgpr5
.LBB15_2982:
	s_and_not1_saveexec_b32 s3, s3
; %bb.2983:
	v_mov_b32_e32 v4, 0x7f
	v_cmp_lt_u32_e32 vcc_lo, 0x7f800000, v5
	s_delay_alu instid0(VALU_DEP_2)
	v_cndmask_b32_e32 v4, 0x7e, v4, vcc_lo
; %bb.2984:
	s_or_b32 exec_lo, exec_lo, s3
	v_lshrrev_b32_e32 v1, 24, v1
	s_delay_alu instid0(VALU_DEP_1)
	v_and_or_b32 v1, 0x80, v1, v4
	global_store_b8 v[2:3], v1, off
.LBB15_2985:
	s_mov_b32 s3, 0
.LBB15_2986:
	s_delay_alu instid0(SALU_CYCLE_1)
	s_and_not1_b32 vcc_lo, exec_lo, s3
	s_cbranch_vccnz .LBB15_2996
; %bb.2987:
	s_wait_xcnt 0x0
	v_bfe_i32 v1, v15, 0, 8
	s_mov_b32 s3, exec_lo
                                        ; implicit-def: $vgpr4
	s_delay_alu instid0(VALU_DEP_1) | instskip(NEXT) | instid1(VALU_DEP_1)
	v_bfe_i32 v1, v1, 0, 16
	v_cvt_f32_i32_e32 v1, v1
	s_delay_alu instid0(VALU_DEP_1) | instskip(NEXT) | instid1(VALU_DEP_1)
	v_and_b32_e32 v5, 0x7fffffff, v1
	v_cmpx_gt_u32_e32 0x47800000, v5
	s_xor_b32 s3, exec_lo, s3
	s_cbranch_execz .LBB15_2993
; %bb.2988:
	s_mov_b32 s6, exec_lo
                                        ; implicit-def: $vgpr4
	v_cmpx_lt_u32_e32 0x387fffff, v5
	s_xor_b32 s6, exec_lo, s6
; %bb.2989:
	v_bfe_u32 v4, v1, 21, 1
	s_delay_alu instid0(VALU_DEP_1) | instskip(NEXT) | instid1(VALU_DEP_1)
	v_add3_u32 v4, v1, v4, 0x80fffff
	v_lshrrev_b32_e32 v4, 21, v4
; %bb.2990:
	s_and_not1_saveexec_b32 s6, s6
; %bb.2991:
	v_add_f32_e64 v4, 0x43000000, |v1|
; %bb.2992:
	s_or_b32 exec_lo, exec_lo, s6
                                        ; implicit-def: $vgpr5
.LBB15_2993:
	s_and_not1_saveexec_b32 s3, s3
; %bb.2994:
	v_mov_b32_e32 v4, 0x7f
	v_cmp_lt_u32_e32 vcc_lo, 0x7f800000, v5
	s_delay_alu instid0(VALU_DEP_2)
	v_cndmask_b32_e32 v4, 0x7c, v4, vcc_lo
; %bb.2995:
	s_or_b32 exec_lo, exec_lo, s3
	v_lshrrev_b32_e32 v1, 24, v1
	s_delay_alu instid0(VALU_DEP_1)
	v_and_or_b32 v1, 0x80, v1, v4
	global_store_b8 v[2:3], v1, off
.LBB15_2996:
	s_mov_b32 s3, 0
	s_mov_b32 s6, -1
.LBB15_2997:
	s_and_not1_b32 vcc_lo, exec_lo, s3
	s_mov_b32 s3, 0
	s_cbranch_vccnz .LBB15_3004
; %bb.2998:
	s_cmp_gt_i32 s2, 14
	s_mov_b32 s3, -1
	s_cbranch_scc0 .LBB15_3002
; %bb.2999:
	s_cmp_eq_u32 s2, 15
	s_mov_b32 s0, -1
	s_cbranch_scc0 .LBB15_3001
; %bb.3000:
	s_wait_xcnt 0x0
	v_bfe_i32 v1, v15, 0, 8
	s_mov_b32 s0, 0
	s_mov_b32 s6, -1
	s_delay_alu instid0(VALU_DEP_1) | instskip(NEXT) | instid1(VALU_DEP_1)
	v_bfe_i32 v1, v1, 0, 16
	v_cvt_f32_i32_e32 v1, v1
	s_delay_alu instid0(VALU_DEP_1) | instskip(NEXT) | instid1(VALU_DEP_1)
	v_bfe_u32 v4, v1, 16, 1
	v_add3_u32 v1, v1, v4, 0x7fff
	global_store_d16_hi_b16 v[2:3], v1, off
.LBB15_3001:
	s_mov_b32 s3, 0
.LBB15_3002:
	s_delay_alu instid0(SALU_CYCLE_1)
	s_and_b32 vcc_lo, exec_lo, s3
	s_mov_b32 s3, 0
	s_cbranch_vccz .LBB15_3004
; %bb.3003:
	s_cmp_lg_u32 s2, 11
	s_mov_b32 s3, -1
	s_cselect_b32 s0, -1, 0
.LBB15_3004:
	s_delay_alu instid0(SALU_CYCLE_1)
	s_and_b32 vcc_lo, exec_lo, s0
	s_cbranch_vccnz .LBB15_3140
; %bb.3005:
	s_and_not1_b32 vcc_lo, exec_lo, s3
	s_cbranch_vccnz .LBB15_3007
.LBB15_3006:
	s_wait_xcnt 0x0
	v_and_b32_e32 v1, 0xff, v15
	s_mov_b32 s6, -1
	s_delay_alu instid0(VALU_DEP_1)
	v_cmp_ne_u16_e32 vcc_lo, 0, v1
	v_cndmask_b32_e64 v1, 0, 1, vcc_lo
	global_store_b8 v[2:3], v1, off
.LBB15_3007:
	s_mov_b32 s0, 0
	s_branch .LBB15_3009
.LBB15_3008:
	s_mov_b32 s0, -1
	s_mov_b32 s6, 0
.LBB15_3009:
	s_and_b32 vcc_lo, exec_lo, s0
	s_cbranch_vccz .LBB15_3048
; %bb.3010:
	s_cmp_lt_i32 s2, 5
	s_mov_b32 s0, -1
	s_cbranch_scc1 .LBB15_3031
; %bb.3011:
	s_cmp_lt_i32 s2, 8
	s_cbranch_scc1 .LBB15_3021
; %bb.3012:
	s_cmp_lt_i32 s2, 9
	s_cbranch_scc1 .LBB15_3018
; %bb.3013:
	s_cmp_gt_i32 s2, 9
	s_cbranch_scc0 .LBB15_3015
; %bb.3014:
	s_wait_xcnt 0x0
	v_bfe_i32 v1, v15, 0, 8
	v_mov_b32_e32 v6, 0
	s_mov_b32 s0, 0
	s_delay_alu instid0(VALU_DEP_2) | instskip(NEXT) | instid1(VALU_DEP_2)
	v_bfe_i32 v1, v1, 0, 16
	v_mov_b32_e32 v7, v6
	s_delay_alu instid0(VALU_DEP_2)
	v_cvt_f64_i32_e32 v[4:5], v1
	global_store_b128 v[2:3], v[4:7], off
.LBB15_3015:
	s_and_not1_b32 vcc_lo, exec_lo, s0
	s_cbranch_vccnz .LBB15_3017
; %bb.3016:
	s_wait_xcnt 0x0
	v_bfe_i32 v1, v15, 0, 8
	v_mov_b32_e32 v5, 0
	s_delay_alu instid0(VALU_DEP_2) | instskip(NEXT) | instid1(VALU_DEP_1)
	v_bfe_i32 v1, v1, 0, 16
	v_cvt_f32_i32_e32 v4, v1
	global_store_b64 v[2:3], v[4:5], off
.LBB15_3017:
	s_mov_b32 s0, 0
.LBB15_3018:
	s_delay_alu instid0(SALU_CYCLE_1)
	s_and_not1_b32 vcc_lo, exec_lo, s0
	s_cbranch_vccnz .LBB15_3020
; %bb.3019:
	s_wait_xcnt 0x0
	v_bfe_i32 v1, v15, 0, 8
	s_delay_alu instid0(VALU_DEP_1) | instskip(NEXT) | instid1(VALU_DEP_1)
	v_cvt_f16_i16_e32 v1, v1
	v_and_b32_e32 v1, 0xffff, v1
	global_store_b32 v[2:3], v1, off
.LBB15_3020:
	s_mov_b32 s0, 0
.LBB15_3021:
	s_delay_alu instid0(SALU_CYCLE_1)
	s_and_not1_b32 vcc_lo, exec_lo, s0
	s_cbranch_vccnz .LBB15_3030
; %bb.3022:
	s_cmp_lt_i32 s2, 6
	s_mov_b32 s0, -1
	s_cbranch_scc1 .LBB15_3028
; %bb.3023:
	s_cmp_gt_i32 s2, 6
	s_cbranch_scc0 .LBB15_3025
; %bb.3024:
	s_wait_xcnt 0x0
	v_bfe_i32 v1, v15, 0, 8
	s_mov_b32 s0, 0
	s_delay_alu instid0(VALU_DEP_1) | instskip(NEXT) | instid1(VALU_DEP_1)
	v_bfe_i32 v1, v1, 0, 16
	v_cvt_f64_i32_e32 v[4:5], v1
	global_store_b64 v[2:3], v[4:5], off
.LBB15_3025:
	s_and_not1_b32 vcc_lo, exec_lo, s0
	s_cbranch_vccnz .LBB15_3027
; %bb.3026:
	s_wait_xcnt 0x0
	v_bfe_i32 v1, v15, 0, 8
	s_delay_alu instid0(VALU_DEP_1) | instskip(NEXT) | instid1(VALU_DEP_1)
	v_bfe_i32 v1, v1, 0, 16
	v_cvt_f32_i32_e32 v1, v1
	global_store_b32 v[2:3], v1, off
.LBB15_3027:
	s_mov_b32 s0, 0
.LBB15_3028:
	s_delay_alu instid0(SALU_CYCLE_1)
	s_and_not1_b32 vcc_lo, exec_lo, s0
	s_cbranch_vccnz .LBB15_3030
; %bb.3029:
	s_wait_xcnt 0x0
	v_bfe_i32 v1, v15, 0, 8
	s_delay_alu instid0(VALU_DEP_1)
	v_cvt_f16_i16_e32 v1, v1
	global_store_b16 v[2:3], v1, off
.LBB15_3030:
	s_mov_b32 s0, 0
.LBB15_3031:
	s_delay_alu instid0(SALU_CYCLE_1)
	s_and_not1_b32 vcc_lo, exec_lo, s0
	s_cbranch_vccnz .LBB15_3047
; %bb.3032:
	s_cmp_lt_i32 s2, 2
	s_mov_b32 s0, -1
	s_cbranch_scc1 .LBB15_3042
; %bb.3033:
	s_cmp_lt_i32 s2, 3
	s_cbranch_scc1 .LBB15_3039
; %bb.3034:
	s_cmp_gt_i32 s2, 3
	s_cbranch_scc0 .LBB15_3036
; %bb.3035:
	s_wait_xcnt 0x0
	v_bfe_i32 v4, v15, 0, 8
	s_mov_b32 s0, 0
	s_delay_alu instid0(VALU_DEP_1)
	v_ashrrev_i32_e32 v5, 31, v4
	global_store_b64 v[2:3], v[4:5], off
.LBB15_3036:
	s_and_not1_b32 vcc_lo, exec_lo, s0
	s_cbranch_vccnz .LBB15_3038
; %bb.3037:
	s_wait_xcnt 0x0
	v_bfe_i32 v1, v15, 0, 8
	global_store_b32 v[2:3], v1, off
.LBB15_3038:
	s_mov_b32 s0, 0
.LBB15_3039:
	s_delay_alu instid0(SALU_CYCLE_1)
	s_and_not1_b32 vcc_lo, exec_lo, s0
	s_cbranch_vccnz .LBB15_3041
; %bb.3040:
	s_wait_xcnt 0x0
	v_bfe_i32 v1, v15, 0, 8
	global_store_b16 v[2:3], v1, off
.LBB15_3041:
	s_mov_b32 s0, 0
.LBB15_3042:
	s_delay_alu instid0(SALU_CYCLE_1)
	s_and_not1_b32 vcc_lo, exec_lo, s0
	s_cbranch_vccnz .LBB15_3047
; %bb.3043:
	s_cmp_gt_i32 s2, 0
	s_mov_b32 s0, -1
	s_cbranch_scc0 .LBB15_3045
; %bb.3044:
	s_mov_b32 s0, 0
	global_store_b8 v[2:3], v15, off
.LBB15_3045:
	s_and_not1_b32 vcc_lo, exec_lo, s0
	s_cbranch_vccnz .LBB15_3047
; %bb.3046:
	global_store_b8 v[2:3], v15, off
.LBB15_3047:
	s_mov_b32 s6, -1
.LBB15_3048:
	s_delay_alu instid0(SALU_CYCLE_1)
	s_and_not1_b32 vcc_lo, exec_lo, s6
	s_cbranch_vccnz .LBB15_3125
; %bb.3049:
	s_wait_xcnt 0x0
	v_mov_b32_e32 v1, 0
	s_cmp_lt_i32 s2, 11
	s_delay_alu instid0(VALU_DEP_1)
	v_add_nc_u64_e32 v[2:3], s[4:5], v[0:1]
	s_cbranch_scc1 .LBB15_3126
; %bb.3050:
	s_mov_b32 s4, -1
	s_mov_b32 s3, 0
	s_cmp_gt_i32 s2, 25
	s_mov_b32 s0, 0
	s_cbranch_scc0 .LBB15_3083
; %bb.3051:
	s_cmp_gt_i32 s2, 28
	s_cbranch_scc0 .LBB15_3067
; %bb.3052:
	s_cmp_gt_i32 s2, 43
	;; [unrolled: 3-line block ×3, first 2 shown]
	s_cbranch_scc0 .LBB15_3057
; %bb.3054:
	s_cmp_eq_u32 s2, 46
	s_mov_b32 s0, -1
	s_cbranch_scc0 .LBB15_3056
; %bb.3055:
	v_bfe_i32 v0, v8, 0, 8
	s_mov_b32 s0, 0
	s_delay_alu instid0(VALU_DEP_1) | instskip(NEXT) | instid1(VALU_DEP_1)
	v_bfe_i32 v0, v0, 0, 16
	v_cvt_f32_i32_e32 v0, v0
	s_delay_alu instid0(VALU_DEP_1) | instskip(NEXT) | instid1(VALU_DEP_1)
	v_bfe_u32 v1, v0, 16, 1
	v_add3_u32 v0, v0, v1, 0x7fff
	s_delay_alu instid0(VALU_DEP_1)
	v_lshrrev_b32_e32 v0, 16, v0
	global_store_b32 v[2:3], v0, off
.LBB15_3056:
	s_mov_b32 s4, 0
.LBB15_3057:
	s_delay_alu instid0(SALU_CYCLE_1)
	s_and_b32 vcc_lo, exec_lo, s4
	s_cbranch_vccz .LBB15_3062
; %bb.3058:
	s_cmp_eq_u32 s2, 44
	s_mov_b32 s0, -1
	s_cbranch_scc0 .LBB15_3062
; %bb.3059:
	s_wait_xcnt 0x0
	v_bfe_i32 v0, v8, 0, 8
	v_mov_b32_e32 v1, 0xff
	s_mov_b32 s4, exec_lo
	s_delay_alu instid0(VALU_DEP_2) | instskip(NEXT) | instid1(VALU_DEP_1)
	v_bfe_i32 v0, v0, 0, 16
	v_cvt_f32_i32_e32 v0, v0
	s_delay_alu instid0(VALU_DEP_1) | instskip(NEXT) | instid1(VALU_DEP_1)
	v_bfe_u32 v4, v0, 23, 8
	v_cmpx_ne_u32_e32 0xff, v4
	s_cbranch_execz .LBB15_3061
; %bb.3060:
	v_and_b32_e32 v1, 0x400000, v0
	v_and_or_b32 v4, 0x3fffff, v0, v4
	v_lshrrev_b32_e32 v0, 23, v0
	s_delay_alu instid0(VALU_DEP_3) | instskip(NEXT) | instid1(VALU_DEP_3)
	v_cmp_ne_u32_e32 vcc_lo, 0, v1
	v_cmp_ne_u32_e64 s0, 0, v4
	s_and_b32 s0, vcc_lo, s0
	s_delay_alu instid0(SALU_CYCLE_1) | instskip(NEXT) | instid1(VALU_DEP_1)
	v_cndmask_b32_e64 v1, 0, 1, s0
	v_add_nc_u32_e32 v1, v0, v1
.LBB15_3061:
	s_or_b32 exec_lo, exec_lo, s4
	s_mov_b32 s0, 0
	global_store_b8 v[2:3], v1, off
.LBB15_3062:
	s_mov_b32 s4, 0
.LBB15_3063:
	s_delay_alu instid0(SALU_CYCLE_1)
	s_and_b32 vcc_lo, exec_lo, s4
	s_cbranch_vccz .LBB15_3066
; %bb.3064:
	s_cmp_eq_u32 s2, 29
	s_mov_b32 s0, -1
	s_cbranch_scc0 .LBB15_3066
; %bb.3065:
	s_wait_xcnt 0x0
	v_bfe_i32 v0, v8, 0, 8
	s_mov_b32 s0, 0
	s_delay_alu instid0(VALU_DEP_1)
	v_ashrrev_i32_e32 v1, 31, v0
	global_store_b64 v[2:3], v[0:1], off
.LBB15_3066:
	s_mov_b32 s4, 0
.LBB15_3067:
	s_delay_alu instid0(SALU_CYCLE_1)
	s_and_b32 vcc_lo, exec_lo, s4
	s_cbranch_vccz .LBB15_3082
; %bb.3068:
	s_cmp_lt_i32 s2, 27
	s_mov_b32 s4, -1
	s_cbranch_scc1 .LBB15_3074
; %bb.3069:
	s_cmp_gt_i32 s2, 27
	s_cbranch_scc0 .LBB15_3071
; %bb.3070:
	s_wait_xcnt 0x0
	v_bfe_i32 v0, v8, 0, 8
	s_mov_b32 s4, 0
	global_store_b32 v[2:3], v0, off
.LBB15_3071:
	s_and_not1_b32 vcc_lo, exec_lo, s4
	s_cbranch_vccnz .LBB15_3073
; %bb.3072:
	s_wait_xcnt 0x0
	v_bfe_i32 v0, v8, 0, 8
	global_store_b16 v[2:3], v0, off
.LBB15_3073:
	s_mov_b32 s4, 0
.LBB15_3074:
	s_delay_alu instid0(SALU_CYCLE_1)
	s_and_not1_b32 vcc_lo, exec_lo, s4
	s_cbranch_vccnz .LBB15_3082
; %bb.3075:
	s_wait_xcnt 0x0
	v_bfe_i32 v0, v8, 0, 8
	v_mov_b32_e32 v4, 0x80
	s_mov_b32 s4, exec_lo
	s_delay_alu instid0(VALU_DEP_2) | instskip(NEXT) | instid1(VALU_DEP_1)
	v_bfe_i32 v0, v0, 0, 16
	v_cvt_f32_i32_e32 v0, v0
	s_delay_alu instid0(VALU_DEP_1) | instskip(NEXT) | instid1(VALU_DEP_1)
	v_and_b32_e32 v1, 0x7fffffff, v0
	v_cmpx_gt_u32_e32 0x43800000, v1
	s_cbranch_execz .LBB15_3081
; %bb.3076:
	v_cmp_lt_u32_e32 vcc_lo, 0x3bffffff, v1
	s_mov_b32 s5, 0
                                        ; implicit-def: $vgpr1
	s_and_saveexec_b32 s6, vcc_lo
	s_delay_alu instid0(SALU_CYCLE_1)
	s_xor_b32 s6, exec_lo, s6
	s_cbranch_execz .LBB15_3143
; %bb.3077:
	v_bfe_u32 v1, v0, 20, 1
	s_mov_b32 s5, exec_lo
	s_delay_alu instid0(VALU_DEP_1) | instskip(NEXT) | instid1(VALU_DEP_1)
	v_add3_u32 v1, v0, v1, 0x487ffff
	v_lshrrev_b32_e32 v1, 20, v1
	s_and_not1_saveexec_b32 s6, s6
	s_cbranch_execnz .LBB15_3144
.LBB15_3078:
	s_or_b32 exec_lo, exec_lo, s6
	v_mov_b32_e32 v4, 0
	s_and_saveexec_b32 s6, s5
.LBB15_3079:
	v_lshrrev_b32_e32 v0, 24, v0
	s_delay_alu instid0(VALU_DEP_1)
	v_and_or_b32 v4, 0x80, v0, v1
.LBB15_3080:
	s_or_b32 exec_lo, exec_lo, s6
.LBB15_3081:
	s_delay_alu instid0(SALU_CYCLE_1)
	s_or_b32 exec_lo, exec_lo, s4
	global_store_b8 v[2:3], v4, off
.LBB15_3082:
	s_mov_b32 s4, 0
.LBB15_3083:
	s_delay_alu instid0(SALU_CYCLE_1)
	s_and_b32 vcc_lo, exec_lo, s4
	s_cbranch_vccz .LBB15_3123
; %bb.3084:
	s_cmp_gt_i32 s2, 22
	s_mov_b32 s3, -1
	s_cbranch_scc0 .LBB15_3116
; %bb.3085:
	s_cmp_lt_i32 s2, 24
	s_cbranch_scc1 .LBB15_3105
; %bb.3086:
	s_cmp_gt_i32 s2, 24
	s_cbranch_scc0 .LBB15_3094
; %bb.3087:
	s_wait_xcnt 0x0
	v_bfe_i32 v0, v8, 0, 8
	v_mov_b32_e32 v4, 0x80
	s_mov_b32 s3, exec_lo
	s_delay_alu instid0(VALU_DEP_2) | instskip(NEXT) | instid1(VALU_DEP_1)
	v_bfe_i32 v0, v0, 0, 16
	v_cvt_f32_i32_e32 v0, v0
	s_delay_alu instid0(VALU_DEP_1) | instskip(NEXT) | instid1(VALU_DEP_1)
	v_and_b32_e32 v1, 0x7fffffff, v0
	v_cmpx_gt_u32_e32 0x47800000, v1
	s_cbranch_execz .LBB15_3093
; %bb.3088:
	v_cmp_lt_u32_e32 vcc_lo, 0x37ffffff, v1
	s_mov_b32 s4, 0
                                        ; implicit-def: $vgpr1
	s_and_saveexec_b32 s5, vcc_lo
	s_delay_alu instid0(SALU_CYCLE_1)
	s_xor_b32 s5, exec_lo, s5
	s_cbranch_execz .LBB15_3146
; %bb.3089:
	v_bfe_u32 v1, v0, 21, 1
	s_mov_b32 s4, exec_lo
	s_delay_alu instid0(VALU_DEP_1) | instskip(NEXT) | instid1(VALU_DEP_1)
	v_add3_u32 v1, v0, v1, 0x88fffff
	v_lshrrev_b32_e32 v1, 21, v1
	s_and_not1_saveexec_b32 s5, s5
	s_cbranch_execnz .LBB15_3147
.LBB15_3090:
	s_or_b32 exec_lo, exec_lo, s5
	v_mov_b32_e32 v4, 0
	s_and_saveexec_b32 s5, s4
.LBB15_3091:
	v_lshrrev_b32_e32 v0, 24, v0
	s_delay_alu instid0(VALU_DEP_1)
	v_and_or_b32 v4, 0x80, v0, v1
.LBB15_3092:
	s_or_b32 exec_lo, exec_lo, s5
.LBB15_3093:
	s_delay_alu instid0(SALU_CYCLE_1)
	s_or_b32 exec_lo, exec_lo, s3
	s_mov_b32 s3, 0
	global_store_b8 v[2:3], v4, off
.LBB15_3094:
	s_and_b32 vcc_lo, exec_lo, s3
	s_cbranch_vccz .LBB15_3104
; %bb.3095:
	s_wait_xcnt 0x0
	v_bfe_i32 v0, v8, 0, 8
	s_mov_b32 s3, exec_lo
                                        ; implicit-def: $vgpr1
	s_delay_alu instid0(VALU_DEP_1) | instskip(NEXT) | instid1(VALU_DEP_1)
	v_bfe_i32 v0, v0, 0, 16
	v_cvt_f32_i32_e32 v0, v0
	s_delay_alu instid0(VALU_DEP_1) | instskip(NEXT) | instid1(VALU_DEP_1)
	v_and_b32_e32 v4, 0x7fffffff, v0
	v_cmpx_gt_u32_e32 0x43f00000, v4
	s_xor_b32 s3, exec_lo, s3
	s_cbranch_execz .LBB15_3101
; %bb.3096:
	s_mov_b32 s4, exec_lo
                                        ; implicit-def: $vgpr1
	v_cmpx_lt_u32_e32 0x3c7fffff, v4
	s_xor_b32 s4, exec_lo, s4
; %bb.3097:
	v_bfe_u32 v1, v0, 20, 1
	s_delay_alu instid0(VALU_DEP_1) | instskip(NEXT) | instid1(VALU_DEP_1)
	v_add3_u32 v1, v0, v1, 0x407ffff
	v_and_b32_e32 v4, 0xff00000, v1
	v_lshrrev_b32_e32 v1, 20, v1
	s_delay_alu instid0(VALU_DEP_2) | instskip(NEXT) | instid1(VALU_DEP_2)
	v_cmp_ne_u32_e32 vcc_lo, 0x7f00000, v4
	v_cndmask_b32_e32 v1, 0x7e, v1, vcc_lo
; %bb.3098:
	s_and_not1_saveexec_b32 s4, s4
; %bb.3099:
	v_add_f32_e64 v1, 0x46800000, |v0|
; %bb.3100:
	s_or_b32 exec_lo, exec_lo, s4
                                        ; implicit-def: $vgpr4
.LBB15_3101:
	s_and_not1_saveexec_b32 s3, s3
; %bb.3102:
	v_mov_b32_e32 v1, 0x7f
	v_cmp_lt_u32_e32 vcc_lo, 0x7f800000, v4
	s_delay_alu instid0(VALU_DEP_2)
	v_cndmask_b32_e32 v1, 0x7e, v1, vcc_lo
; %bb.3103:
	s_or_b32 exec_lo, exec_lo, s3
	v_lshrrev_b32_e32 v0, 24, v0
	s_delay_alu instid0(VALU_DEP_1)
	v_and_or_b32 v0, 0x80, v0, v1
	global_store_b8 v[2:3], v0, off
.LBB15_3104:
	s_mov_b32 s3, 0
.LBB15_3105:
	s_delay_alu instid0(SALU_CYCLE_1)
	s_and_not1_b32 vcc_lo, exec_lo, s3
	s_cbranch_vccnz .LBB15_3115
; %bb.3106:
	s_wait_xcnt 0x0
	v_bfe_i32 v0, v8, 0, 8
	s_mov_b32 s3, exec_lo
                                        ; implicit-def: $vgpr1
	s_delay_alu instid0(VALU_DEP_1) | instskip(NEXT) | instid1(VALU_DEP_1)
	v_bfe_i32 v0, v0, 0, 16
	v_cvt_f32_i32_e32 v0, v0
	s_delay_alu instid0(VALU_DEP_1) | instskip(NEXT) | instid1(VALU_DEP_1)
	v_and_b32_e32 v4, 0x7fffffff, v0
	v_cmpx_gt_u32_e32 0x47800000, v4
	s_xor_b32 s3, exec_lo, s3
	s_cbranch_execz .LBB15_3112
; %bb.3107:
	s_mov_b32 s4, exec_lo
                                        ; implicit-def: $vgpr1
	v_cmpx_lt_u32_e32 0x387fffff, v4
	s_xor_b32 s4, exec_lo, s4
; %bb.3108:
	v_bfe_u32 v1, v0, 21, 1
	s_delay_alu instid0(VALU_DEP_1) | instskip(NEXT) | instid1(VALU_DEP_1)
	v_add3_u32 v1, v0, v1, 0x80fffff
	v_lshrrev_b32_e32 v1, 21, v1
; %bb.3109:
	s_and_not1_saveexec_b32 s4, s4
; %bb.3110:
	v_add_f32_e64 v1, 0x43000000, |v0|
; %bb.3111:
	s_or_b32 exec_lo, exec_lo, s4
                                        ; implicit-def: $vgpr4
.LBB15_3112:
	s_and_not1_saveexec_b32 s3, s3
; %bb.3113:
	v_mov_b32_e32 v1, 0x7f
	v_cmp_lt_u32_e32 vcc_lo, 0x7f800000, v4
	s_delay_alu instid0(VALU_DEP_2)
	v_cndmask_b32_e32 v1, 0x7c, v1, vcc_lo
; %bb.3114:
	s_or_b32 exec_lo, exec_lo, s3
	v_lshrrev_b32_e32 v0, 24, v0
	s_delay_alu instid0(VALU_DEP_1)
	v_and_or_b32 v0, 0x80, v0, v1
	global_store_b8 v[2:3], v0, off
.LBB15_3115:
	s_mov_b32 s3, 0
.LBB15_3116:
	s_delay_alu instid0(SALU_CYCLE_1)
	s_and_not1_b32 vcc_lo, exec_lo, s3
	s_mov_b32 s3, 0
	s_cbranch_vccnz .LBB15_3123
; %bb.3117:
	s_cmp_gt_i32 s2, 14
	s_mov_b32 s3, -1
	s_cbranch_scc0 .LBB15_3121
; %bb.3118:
	s_cmp_eq_u32 s2, 15
	s_mov_b32 s0, -1
	s_cbranch_scc0 .LBB15_3120
; %bb.3119:
	s_wait_xcnt 0x0
	v_bfe_i32 v0, v8, 0, 8
	s_mov_b32 s0, 0
	s_delay_alu instid0(VALU_DEP_1) | instskip(NEXT) | instid1(VALU_DEP_1)
	v_bfe_i32 v0, v0, 0, 16
	v_cvt_f32_i32_e32 v0, v0
	s_delay_alu instid0(VALU_DEP_1) | instskip(NEXT) | instid1(VALU_DEP_1)
	v_bfe_u32 v1, v0, 16, 1
	v_add3_u32 v0, v0, v1, 0x7fff
	global_store_d16_hi_b16 v[2:3], v0, off
.LBB15_3120:
	s_mov_b32 s3, 0
.LBB15_3121:
	s_delay_alu instid0(SALU_CYCLE_1)
	s_and_b32 vcc_lo, exec_lo, s3
	s_mov_b32 s3, 0
	s_cbranch_vccz .LBB15_3123
; %bb.3122:
	s_cmp_lg_u32 s2, 11
	s_mov_b32 s3, -1
	s_cselect_b32 s0, -1, 0
.LBB15_3123:
	s_delay_alu instid0(SALU_CYCLE_1)
	s_and_b32 vcc_lo, exec_lo, s0
	s_cbranch_vccnz .LBB15_3145
.LBB15_3124:
	s_mov_b32 s0, 0
	s_branch .LBB15_2726
.LBB15_3125:
	s_mov_b32 s0, 0
	s_mov_b32 s3, 0
                                        ; implicit-def: $vgpr2_vgpr3
                                        ; implicit-def: $sgpr1
	s_branch .LBB15_2726
.LBB15_3126:
	s_mov_b32 s3, 0
	s_mov_b32 s0, -1
	s_branch .LBB15_2726
.LBB15_3127:
	s_or_b32 s10, s10, exec_lo
	s_trap 2
	s_cbranch_execz .LBB15_2591
	s_branch .LBB15_2592
.LBB15_3128:
	s_and_not1_saveexec_b32 s11, s11
	s_cbranch_execz .LBB15_2675
.LBB15_3129:
	v_add_f32_e64 v9, 0x46000000, |v5|
	s_and_not1_b32 s7, s7, exec_lo
	s_delay_alu instid0(VALU_DEP_1) | instskip(NEXT) | instid1(VALU_DEP_1)
	v_and_b32_e32 v9, 0xff, v9
	v_cmp_ne_u32_e32 vcc_lo, 0, v9
	s_and_b32 s12, vcc_lo, exec_lo
	s_delay_alu instid0(SALU_CYCLE_1)
	s_or_b32 s7, s7, s12
	s_or_b32 exec_lo, exec_lo, s11
	v_mov_b32_e32 v10, 0
	s_and_saveexec_b32 s11, s7
	s_cbranch_execnz .LBB15_2676
	s_branch .LBB15_2677
.LBB15_3130:
	s_or_b32 s10, s10, exec_lo
	s_trap 2
	s_cbranch_execz .LBB15_2723
	s_branch .LBB15_2724
.LBB15_3131:
	s_and_not1_saveexec_b32 s7, s7
	s_cbranch_execz .LBB15_2688
.LBB15_3132:
	v_add_f32_e64 v9, 0x42800000, |v5|
	s_and_not1_b32 s6, s6, exec_lo
	s_delay_alu instid0(VALU_DEP_1) | instskip(NEXT) | instid1(VALU_DEP_1)
	v_and_b32_e32 v9, 0xff, v9
	v_cmp_ne_u32_e32 vcc_lo, 0, v9
	s_and_b32 s11, vcc_lo, exec_lo
	s_delay_alu instid0(SALU_CYCLE_1)
	s_or_b32 s6, s6, s11
	s_or_b32 exec_lo, exec_lo, s7
	v_mov_b32_e32 v10, 0
	s_and_saveexec_b32 s7, s6
	s_cbranch_execnz .LBB15_2689
	s_branch .LBB15_2690
.LBB15_3133:
	s_and_not1_saveexec_b32 s11, s11
	s_cbranch_execz .LBB15_2839
.LBB15_3134:
	v_add_f32_e64 v6, 0x46000000, |v1|
	s_and_not1_b32 s7, s7, exec_lo
	s_delay_alu instid0(VALU_DEP_1) | instskip(NEXT) | instid1(VALU_DEP_1)
	v_and_b32_e32 v6, 0xff, v6
	v_cmp_ne_u32_e32 vcc_lo, 0, v6
	s_and_b32 s12, vcc_lo, exec_lo
	s_delay_alu instid0(SALU_CYCLE_1)
	s_or_b32 s7, s7, s12
	s_or_b32 exec_lo, exec_lo, s11
	v_mov_b32_e32 v7, 0
	s_and_saveexec_b32 s11, s7
	s_cbranch_execnz .LBB15_2840
	s_branch .LBB15_2841
.LBB15_3135:
	s_or_b32 s10, s10, exec_lo
	s_trap 2
	s_cbranch_execz .LBB15_2887
	s_branch .LBB15_2888
.LBB15_3136:
	s_and_not1_saveexec_b32 s7, s7
	s_cbranch_execz .LBB15_2852
.LBB15_3137:
	v_add_f32_e64 v6, 0x42800000, |v1|
	s_and_not1_b32 s6, s6, exec_lo
	s_delay_alu instid0(VALU_DEP_1) | instskip(NEXT) | instid1(VALU_DEP_1)
	v_and_b32_e32 v6, 0xff, v6
	v_cmp_ne_u32_e32 vcc_lo, 0, v6
	s_and_b32 s11, vcc_lo, exec_lo
	s_delay_alu instid0(SALU_CYCLE_1)
	s_or_b32 s6, s6, s11
	s_or_b32 exec_lo, exec_lo, s7
	v_mov_b32_e32 v7, 0
	s_and_saveexec_b32 s7, s6
	s_cbranch_execnz .LBB15_2853
	s_branch .LBB15_2854
.LBB15_3138:
	s_and_not1_saveexec_b32 s11, s11
	s_cbranch_execz .LBB15_2958
.LBB15_3139:
	v_add_f32_e64 v4, 0x46000000, |v1|
	s_and_not1_b32 s7, s7, exec_lo
	s_delay_alu instid0(VALU_DEP_1) | instskip(NEXT) | instid1(VALU_DEP_1)
	v_and_b32_e32 v4, 0xff, v4
	v_cmp_ne_u32_e32 vcc_lo, 0, v4
	s_and_b32 s12, vcc_lo, exec_lo
	s_delay_alu instid0(SALU_CYCLE_1)
	s_or_b32 s7, s7, s12
	s_or_b32 exec_lo, exec_lo, s11
	v_mov_b32_e32 v5, 0
	s_and_saveexec_b32 s11, s7
	s_cbranch_execnz .LBB15_2959
	s_branch .LBB15_2960
.LBB15_3140:
	s_or_b32 s10, s10, exec_lo
	s_trap 2
	s_cbranch_execz .LBB15_3006
	s_branch .LBB15_3007
.LBB15_3141:
	s_and_not1_saveexec_b32 s7, s7
	s_cbranch_execz .LBB15_2971
.LBB15_3142:
	v_add_f32_e64 v4, 0x42800000, |v1|
	s_and_not1_b32 s6, s6, exec_lo
	s_delay_alu instid0(VALU_DEP_1) | instskip(NEXT) | instid1(VALU_DEP_1)
	v_and_b32_e32 v4, 0xff, v4
	v_cmp_ne_u32_e32 vcc_lo, 0, v4
	s_and_b32 s11, vcc_lo, exec_lo
	s_delay_alu instid0(SALU_CYCLE_1)
	s_or_b32 s6, s6, s11
	s_or_b32 exec_lo, exec_lo, s7
	v_mov_b32_e32 v5, 0
	s_and_saveexec_b32 s7, s6
	s_cbranch_execnz .LBB15_2972
	s_branch .LBB15_2973
.LBB15_3143:
	s_and_not1_saveexec_b32 s6, s6
	s_cbranch_execz .LBB15_3078
.LBB15_3144:
	v_add_f32_e64 v1, 0x46000000, |v0|
	s_and_not1_b32 s5, s5, exec_lo
	s_delay_alu instid0(VALU_DEP_1) | instskip(NEXT) | instid1(VALU_DEP_1)
	v_and_b32_e32 v1, 0xff, v1
	v_cmp_ne_u32_e32 vcc_lo, 0, v1
	s_and_b32 s7, vcc_lo, exec_lo
	s_delay_alu instid0(SALU_CYCLE_1)
	s_or_b32 s5, s5, s7
	s_or_b32 exec_lo, exec_lo, s6
	v_mov_b32_e32 v4, 0
	s_and_saveexec_b32 s6, s5
	s_cbranch_execnz .LBB15_3079
	s_branch .LBB15_3080
.LBB15_3145:
	s_mov_b32 s3, 0
	s_or_b32 s10, s10, exec_lo
	s_trap 2
	s_branch .LBB15_3124
.LBB15_3146:
	s_and_not1_saveexec_b32 s5, s5
	s_cbranch_execz .LBB15_3090
.LBB15_3147:
	v_add_f32_e64 v1, 0x42800000, |v0|
	s_and_not1_b32 s4, s4, exec_lo
	s_delay_alu instid0(VALU_DEP_1) | instskip(NEXT) | instid1(VALU_DEP_1)
	v_and_b32_e32 v1, 0xff, v1
	v_cmp_ne_u32_e32 vcc_lo, 0, v1
	s_and_b32 s6, vcc_lo, exec_lo
	s_delay_alu instid0(SALU_CYCLE_1)
	s_or_b32 s4, s4, s6
	s_or_b32 exec_lo, exec_lo, s5
	v_mov_b32_e32 v4, 0
	s_and_saveexec_b32 s5, s4
	s_cbranch_execnz .LBB15_3091
	s_branch .LBB15_3092
	.section	.rodata,"a",@progbits
	.p2align	6, 0x0
	.amdhsa_kernel _ZN2at6native32elementwise_kernel_manual_unrollILi128ELi4EZNS0_15gpu_kernel_implIZZZNS0_15gcd_kernel_cudaERNS_18TensorIteratorBaseEENKUlvE_clEvENKUlvE0_clEvEUlaaE_EEvS4_RKT_EUlibE0_EEviT1_
		.amdhsa_group_segment_fixed_size 0
		.amdhsa_private_segment_fixed_size 0
		.amdhsa_kernarg_size 432
		.amdhsa_user_sgpr_count 2
		.amdhsa_user_sgpr_dispatch_ptr 0
		.amdhsa_user_sgpr_queue_ptr 0
		.amdhsa_user_sgpr_kernarg_segment_ptr 1
		.amdhsa_user_sgpr_dispatch_id 0
		.amdhsa_user_sgpr_kernarg_preload_length 0
		.amdhsa_user_sgpr_kernarg_preload_offset 0
		.amdhsa_user_sgpr_private_segment_size 0
		.amdhsa_wavefront_size32 1
		.amdhsa_uses_dynamic_stack 0
		.amdhsa_enable_private_segment 0
		.amdhsa_system_sgpr_workgroup_id_x 1
		.amdhsa_system_sgpr_workgroup_id_y 0
		.amdhsa_system_sgpr_workgroup_id_z 0
		.amdhsa_system_sgpr_workgroup_info 0
		.amdhsa_system_vgpr_workitem_id 0
		.amdhsa_next_free_vgpr 26
		.amdhsa_next_free_sgpr 60
		.amdhsa_named_barrier_count 0
		.amdhsa_reserve_vcc 1
		.amdhsa_float_round_mode_32 0
		.amdhsa_float_round_mode_16_64 0
		.amdhsa_float_denorm_mode_32 3
		.amdhsa_float_denorm_mode_16_64 3
		.amdhsa_fp16_overflow 0
		.amdhsa_memory_ordered 1
		.amdhsa_forward_progress 1
		.amdhsa_inst_pref_size 255
		.amdhsa_round_robin_scheduling 0
		.amdhsa_exception_fp_ieee_invalid_op 0
		.amdhsa_exception_fp_denorm_src 0
		.amdhsa_exception_fp_ieee_div_zero 0
		.amdhsa_exception_fp_ieee_overflow 0
		.amdhsa_exception_fp_ieee_underflow 0
		.amdhsa_exception_fp_ieee_inexact 0
		.amdhsa_exception_int_div_zero 0
	.end_amdhsa_kernel
	.section	.text._ZN2at6native32elementwise_kernel_manual_unrollILi128ELi4EZNS0_15gpu_kernel_implIZZZNS0_15gcd_kernel_cudaERNS_18TensorIteratorBaseEENKUlvE_clEvENKUlvE0_clEvEUlaaE_EEvS4_RKT_EUlibE0_EEviT1_,"axG",@progbits,_ZN2at6native32elementwise_kernel_manual_unrollILi128ELi4EZNS0_15gpu_kernel_implIZZZNS0_15gcd_kernel_cudaERNS_18TensorIteratorBaseEENKUlvE_clEvENKUlvE0_clEvEUlaaE_EEvS4_RKT_EUlibE0_EEviT1_,comdat
.Lfunc_end15:
	.size	_ZN2at6native32elementwise_kernel_manual_unrollILi128ELi4EZNS0_15gpu_kernel_implIZZZNS0_15gcd_kernel_cudaERNS_18TensorIteratorBaseEENKUlvE_clEvENKUlvE0_clEvEUlaaE_EEvS4_RKT_EUlibE0_EEviT1_, .Lfunc_end15-_ZN2at6native32elementwise_kernel_manual_unrollILi128ELi4EZNS0_15gpu_kernel_implIZZZNS0_15gcd_kernel_cudaERNS_18TensorIteratorBaseEENKUlvE_clEvENKUlvE0_clEvEUlaaE_EEvS4_RKT_EUlibE0_EEviT1_
                                        ; -- End function
	.set _ZN2at6native32elementwise_kernel_manual_unrollILi128ELi4EZNS0_15gpu_kernel_implIZZZNS0_15gcd_kernel_cudaERNS_18TensorIteratorBaseEENKUlvE_clEvENKUlvE0_clEvEUlaaE_EEvS4_RKT_EUlibE0_EEviT1_.num_vgpr, 26
	.set _ZN2at6native32elementwise_kernel_manual_unrollILi128ELi4EZNS0_15gpu_kernel_implIZZZNS0_15gcd_kernel_cudaERNS_18TensorIteratorBaseEENKUlvE_clEvENKUlvE0_clEvEUlaaE_EEvS4_RKT_EUlibE0_EEviT1_.num_agpr, 0
	.set _ZN2at6native32elementwise_kernel_manual_unrollILi128ELi4EZNS0_15gpu_kernel_implIZZZNS0_15gcd_kernel_cudaERNS_18TensorIteratorBaseEENKUlvE_clEvENKUlvE0_clEvEUlaaE_EEvS4_RKT_EUlibE0_EEviT1_.numbered_sgpr, 60
	.set _ZN2at6native32elementwise_kernel_manual_unrollILi128ELi4EZNS0_15gpu_kernel_implIZZZNS0_15gcd_kernel_cudaERNS_18TensorIteratorBaseEENKUlvE_clEvENKUlvE0_clEvEUlaaE_EEvS4_RKT_EUlibE0_EEviT1_.num_named_barrier, 0
	.set _ZN2at6native32elementwise_kernel_manual_unrollILi128ELi4EZNS0_15gpu_kernel_implIZZZNS0_15gcd_kernel_cudaERNS_18TensorIteratorBaseEENKUlvE_clEvENKUlvE0_clEvEUlaaE_EEvS4_RKT_EUlibE0_EEviT1_.private_seg_size, 0
	.set _ZN2at6native32elementwise_kernel_manual_unrollILi128ELi4EZNS0_15gpu_kernel_implIZZZNS0_15gcd_kernel_cudaERNS_18TensorIteratorBaseEENKUlvE_clEvENKUlvE0_clEvEUlaaE_EEvS4_RKT_EUlibE0_EEviT1_.uses_vcc, 1
	.set _ZN2at6native32elementwise_kernel_manual_unrollILi128ELi4EZNS0_15gpu_kernel_implIZZZNS0_15gcd_kernel_cudaERNS_18TensorIteratorBaseEENKUlvE_clEvENKUlvE0_clEvEUlaaE_EEvS4_RKT_EUlibE0_EEviT1_.uses_flat_scratch, 0
	.set _ZN2at6native32elementwise_kernel_manual_unrollILi128ELi4EZNS0_15gpu_kernel_implIZZZNS0_15gcd_kernel_cudaERNS_18TensorIteratorBaseEENKUlvE_clEvENKUlvE0_clEvEUlaaE_EEvS4_RKT_EUlibE0_EEviT1_.has_dyn_sized_stack, 0
	.set _ZN2at6native32elementwise_kernel_manual_unrollILi128ELi4EZNS0_15gpu_kernel_implIZZZNS0_15gcd_kernel_cudaERNS_18TensorIteratorBaseEENKUlvE_clEvENKUlvE0_clEvEUlaaE_EEvS4_RKT_EUlibE0_EEviT1_.has_recursion, 0
	.set _ZN2at6native32elementwise_kernel_manual_unrollILi128ELi4EZNS0_15gpu_kernel_implIZZZNS0_15gcd_kernel_cudaERNS_18TensorIteratorBaseEENKUlvE_clEvENKUlvE0_clEvEUlaaE_EEvS4_RKT_EUlibE0_EEviT1_.has_indirect_call, 0
	.section	.AMDGPU.csdata,"",@progbits
; Kernel info:
; codeLenInByte = 60368
; TotalNumSgprs: 62
; NumVgprs: 26
; ScratchSize: 0
; MemoryBound: 1
; FloatMode: 240
; IeeeMode: 1
; LDSByteSize: 0 bytes/workgroup (compile time only)
; SGPRBlocks: 0
; VGPRBlocks: 1
; NumSGPRsForWavesPerEU: 62
; NumVGPRsForWavesPerEU: 26
; NamedBarCnt: 0
; Occupancy: 16
; WaveLimiterHint : 1
; COMPUTE_PGM_RSRC2:SCRATCH_EN: 0
; COMPUTE_PGM_RSRC2:USER_SGPR: 2
; COMPUTE_PGM_RSRC2:TRAP_HANDLER: 0
; COMPUTE_PGM_RSRC2:TGID_X_EN: 1
; COMPUTE_PGM_RSRC2:TGID_Y_EN: 0
; COMPUTE_PGM_RSRC2:TGID_Z_EN: 0
; COMPUTE_PGM_RSRC2:TIDIG_COMP_CNT: 0
	.section	.text._ZN2at6native29vectorized_elementwise_kernelILi16EZZZNS0_15gcd_kernel_cudaERNS_18TensorIteratorBaseEENKUlvE_clEvENKUlvE1_clEvEUliiE_St5arrayIPcLm3EEEEviT0_T1_,"axG",@progbits,_ZN2at6native29vectorized_elementwise_kernelILi16EZZZNS0_15gcd_kernel_cudaERNS_18TensorIteratorBaseEENKUlvE_clEvENKUlvE1_clEvEUliiE_St5arrayIPcLm3EEEEviT0_T1_,comdat
	.globl	_ZN2at6native29vectorized_elementwise_kernelILi16EZZZNS0_15gcd_kernel_cudaERNS_18TensorIteratorBaseEENKUlvE_clEvENKUlvE1_clEvEUliiE_St5arrayIPcLm3EEEEviT0_T1_ ; -- Begin function _ZN2at6native29vectorized_elementwise_kernelILi16EZZZNS0_15gcd_kernel_cudaERNS_18TensorIteratorBaseEENKUlvE_clEvENKUlvE1_clEvEUliiE_St5arrayIPcLm3EEEEviT0_T1_
	.p2align	8
	.type	_ZN2at6native29vectorized_elementwise_kernelILi16EZZZNS0_15gcd_kernel_cudaERNS_18TensorIteratorBaseEENKUlvE_clEvENKUlvE1_clEvEUliiE_St5arrayIPcLm3EEEEviT0_T1_,@function
_ZN2at6native29vectorized_elementwise_kernelILi16EZZZNS0_15gcd_kernel_cudaERNS_18TensorIteratorBaseEENKUlvE_clEvENKUlvE1_clEvEUliiE_St5arrayIPcLm3EEEEviT0_T1_: ; @_ZN2at6native29vectorized_elementwise_kernelILi16EZZZNS0_15gcd_kernel_cudaERNS_18TensorIteratorBaseEENKUlvE_clEvENKUlvE1_clEvEUliiE_St5arrayIPcLm3EEEEviT0_T1_
; %bb.0:
	s_clause 0x2
	s_load_b32 s3, s[0:1], 0x0
	s_load_b128 s[4:7], s[0:1], 0x8
	s_load_b64 s[8:9], s[0:1], 0x18
	s_wait_xcnt 0x0
	s_bfe_u32 s0, ttmp6, 0x4000c
	s_and_b32 s1, ttmp6, 15
	s_add_co_i32 s0, s0, 1
	s_getreg_b32 s2, hwreg(HW_REG_IB_STS2, 6, 4)
	s_mul_i32 s0, ttmp9, s0
	s_delay_alu instid0(SALU_CYCLE_1) | instskip(SKIP_2) | instid1(SALU_CYCLE_1)
	s_add_co_i32 s1, s1, s0
	s_cmp_eq_u32 s2, 0
	s_cselect_b32 s0, ttmp9, s1
	s_lshl_b32 s2, s0, 10
	s_mov_b32 s0, -1
	s_wait_kmcnt 0x0
	s_sub_co_i32 s10, s3, s2
	s_delay_alu instid0(SALU_CYCLE_1)
	s_cmp_gt_i32 s10, 0x3ff
	s_cbranch_scc0 .LBB16_18
; %bb.1:
	s_ashr_i32 s3, s2, 31
	s_delay_alu instid0(SALU_CYCLE_1)
	s_lshl_b64 s[0:1], s[2:3], 2
	s_mov_b32 s3, exec_lo
	s_add_nc_u64 s[12:13], s[8:9], s[0:1]
	global_load_b128 v[8:11], v0, s[12:13] scale_offset
	s_wait_xcnt 0x0
	s_add_nc_u64 s[12:13], s[6:7], s[0:1]
	global_load_b128 v[4:7], v0, s[12:13] scale_offset
	s_wait_loadcnt 0x1
	v_sub_nc_u32_e32 v1, 0, v8
	s_delay_alu instid0(VALU_DEP_1)
	v_max_i32_e32 v2, v8, v1
	s_wait_loadcnt 0x0
	v_cmpx_ne_u32_e32 0, v4
	s_cbranch_execz .LBB16_5
; %bb.2:
	v_sub_nc_u32_e32 v1, 0, v4
	s_mov_b32 s11, 0
	s_delay_alu instid0(VALU_DEP_1)
	v_max_i32_e32 v3, v4, v1
.LBB16_3:                               ; =>This Inner Loop Header: Depth=1
	s_delay_alu instid0(VALU_DEP_1) | instskip(NEXT) | instid1(VALU_DEP_1)
	v_mov_b32_e32 v1, v3
	v_cvt_f32_u32_e32 v3, v1
	v_sub_nc_u32_e32 v4, 0, v1
	s_delay_alu instid0(VALU_DEP_2) | instskip(SKIP_1) | instid1(TRANS32_DEP_1)
	v_rcp_iflag_f32_e32 v3, v3
	v_nop
	v_mul_f32_e32 v3, 0x4f7ffffe, v3
	s_delay_alu instid0(VALU_DEP_1) | instskip(NEXT) | instid1(VALU_DEP_1)
	v_cvt_u32_f32_e32 v3, v3
	v_mul_lo_u32 v4, v4, v3
	s_delay_alu instid0(VALU_DEP_1) | instskip(NEXT) | instid1(VALU_DEP_1)
	v_mul_hi_u32 v4, v3, v4
	v_add_nc_u32_e32 v3, v3, v4
	s_delay_alu instid0(VALU_DEP_1) | instskip(NEXT) | instid1(VALU_DEP_1)
	v_mul_hi_u32 v3, v2, v3
	v_mul_lo_u32 v3, v3, v1
	s_delay_alu instid0(VALU_DEP_1) | instskip(NEXT) | instid1(VALU_DEP_1)
	v_sub_nc_u32_e32 v2, v2, v3
	v_sub_nc_u32_e32 v3, v2, v1
	v_cmp_ge_u32_e32 vcc_lo, v2, v1
	s_delay_alu instid0(VALU_DEP_2) | instskip(NEXT) | instid1(VALU_DEP_1)
	v_cndmask_b32_e32 v2, v2, v3, vcc_lo
	v_sub_nc_u32_e32 v3, v2, v1
	v_cmp_ge_u32_e32 vcc_lo, v2, v1
	s_delay_alu instid0(VALU_DEP_2) | instskip(NEXT) | instid1(VALU_DEP_1)
	v_dual_cndmask_b32 v3, v2, v3 :: v_dual_mov_b32 v2, v1
	v_cmp_eq_u32_e32 vcc_lo, 0, v3
	s_or_b32 s11, vcc_lo, s11
	s_delay_alu instid0(SALU_CYCLE_1)
	s_and_not1_b32 exec_lo, exec_lo, s11
	s_cbranch_execnz .LBB16_3
; %bb.4:
	s_or_b32 exec_lo, exec_lo, s11
	v_mov_b32_e32 v2, v1
.LBB16_5:
	s_or_b32 exec_lo, exec_lo, s3
	v_sub_nc_u32_e32 v1, 0, v9
	s_mov_b32 s11, 0
	s_mov_b32 s3, exec_lo
	s_delay_alu instid0(VALU_DEP_1)
	v_max_i32_e32 v3, v9, v1
	v_cmpx_ne_u32_e32 0, v5
	s_cbranch_execz .LBB16_9
; %bb.6:
	v_sub_nc_u32_e32 v1, 0, v5
	s_delay_alu instid0(VALU_DEP_1)
	v_max_i32_e32 v4, v5, v1
.LBB16_7:                               ; =>This Inner Loop Header: Depth=1
	s_delay_alu instid0(VALU_DEP_1) | instskip(NEXT) | instid1(VALU_DEP_1)
	v_mov_b32_e32 v1, v4
	v_cvt_f32_u32_e32 v4, v1
	s_delay_alu instid0(VALU_DEP_1) | instskip(SKIP_1) | instid1(TRANS32_DEP_1)
	v_rcp_iflag_f32_e32 v4, v4
	v_nop
	v_dual_mul_f32 v4, 0x4f7ffffe, v4 :: v_dual_sub_nc_u32 v5, 0, v1
	s_delay_alu instid0(VALU_DEP_1) | instskip(NEXT) | instid1(VALU_DEP_1)
	v_cvt_u32_f32_e32 v4, v4
	v_mul_lo_u32 v5, v5, v4
	s_delay_alu instid0(VALU_DEP_1) | instskip(NEXT) | instid1(VALU_DEP_1)
	v_mul_hi_u32 v5, v4, v5
	v_add_nc_u32_e32 v4, v4, v5
	s_delay_alu instid0(VALU_DEP_1) | instskip(NEXT) | instid1(VALU_DEP_1)
	v_mul_hi_u32 v4, v3, v4
	v_mul_lo_u32 v4, v4, v1
	s_delay_alu instid0(VALU_DEP_1) | instskip(NEXT) | instid1(VALU_DEP_1)
	v_sub_nc_u32_e32 v3, v3, v4
	v_sub_nc_u32_e32 v4, v3, v1
	v_cmp_ge_u32_e32 vcc_lo, v3, v1
	s_delay_alu instid0(VALU_DEP_2) | instskip(NEXT) | instid1(VALU_DEP_1)
	v_cndmask_b32_e32 v3, v3, v4, vcc_lo
	v_sub_nc_u32_e32 v4, v3, v1
	v_cmp_ge_u32_e32 vcc_lo, v3, v1
	s_delay_alu instid0(VALU_DEP_2) | instskip(NEXT) | instid1(VALU_DEP_1)
	v_dual_cndmask_b32 v4, v3, v4 :: v_dual_mov_b32 v3, v1
	v_cmp_eq_u32_e32 vcc_lo, 0, v4
	s_or_b32 s11, vcc_lo, s11
	s_delay_alu instid0(SALU_CYCLE_1)
	s_and_not1_b32 exec_lo, exec_lo, s11
	s_cbranch_execnz .LBB16_7
; %bb.8:
	s_or_b32 exec_lo, exec_lo, s11
	v_mov_b32_e32 v3, v1
.LBB16_9:
	s_or_b32 exec_lo, exec_lo, s3
	v_sub_nc_u32_e32 v1, 0, v10
	s_mov_b32 s11, 0
	s_mov_b32 s3, exec_lo
	s_delay_alu instid0(VALU_DEP_1)
	v_max_i32_e32 v4, v10, v1
	v_cmpx_ne_u32_e32 0, v6
	s_cbranch_execz .LBB16_13
; %bb.10:
	v_sub_nc_u32_e32 v1, 0, v6
	s_delay_alu instid0(VALU_DEP_1)
	v_max_i32_e32 v5, v6, v1
.LBB16_11:                              ; =>This Inner Loop Header: Depth=1
	s_delay_alu instid0(VALU_DEP_1) | instskip(NEXT) | instid1(VALU_DEP_1)
	v_mov_b32_e32 v1, v5
	v_cvt_f32_u32_e32 v5, v1
	v_sub_nc_u32_e32 v6, 0, v1
	s_delay_alu instid0(VALU_DEP_2) | instskip(SKIP_1) | instid1(TRANS32_DEP_1)
	v_rcp_iflag_f32_e32 v5, v5
	v_nop
	v_mul_f32_e32 v5, 0x4f7ffffe, v5
	s_delay_alu instid0(VALU_DEP_1) | instskip(NEXT) | instid1(VALU_DEP_1)
	v_cvt_u32_f32_e32 v5, v5
	v_mul_lo_u32 v6, v6, v5
	s_delay_alu instid0(VALU_DEP_1) | instskip(NEXT) | instid1(VALU_DEP_1)
	v_mul_hi_u32 v6, v5, v6
	v_add_nc_u32_e32 v5, v5, v6
	s_delay_alu instid0(VALU_DEP_1) | instskip(NEXT) | instid1(VALU_DEP_1)
	v_mul_hi_u32 v5, v4, v5
	v_mul_lo_u32 v5, v5, v1
	s_delay_alu instid0(VALU_DEP_1) | instskip(NEXT) | instid1(VALU_DEP_1)
	v_sub_nc_u32_e32 v4, v4, v5
	v_sub_nc_u32_e32 v5, v4, v1
	v_cmp_ge_u32_e32 vcc_lo, v4, v1
	s_delay_alu instid0(VALU_DEP_2) | instskip(NEXT) | instid1(VALU_DEP_1)
	v_cndmask_b32_e32 v4, v4, v5, vcc_lo
	v_sub_nc_u32_e32 v5, v4, v1
	v_cmp_ge_u32_e32 vcc_lo, v4, v1
	s_delay_alu instid0(VALU_DEP_2) | instskip(NEXT) | instid1(VALU_DEP_1)
	v_dual_cndmask_b32 v5, v4, v5 :: v_dual_mov_b32 v4, v1
	v_cmp_eq_u32_e32 vcc_lo, 0, v5
	s_or_b32 s11, vcc_lo, s11
	s_delay_alu instid0(SALU_CYCLE_1)
	s_and_not1_b32 exec_lo, exec_lo, s11
	s_cbranch_execnz .LBB16_11
; %bb.12:
	s_or_b32 exec_lo, exec_lo, s11
	v_mov_b32_e32 v4, v1
.LBB16_13:
	s_or_b32 exec_lo, exec_lo, s3
	v_sub_nc_u32_e32 v1, 0, v11
	s_mov_b32 s11, 0
	s_mov_b32 s3, exec_lo
	s_delay_alu instid0(VALU_DEP_1)
	v_max_i32_e32 v5, v11, v1
	v_cmpx_ne_u32_e32 0, v7
	s_cbranch_execz .LBB16_17
; %bb.14:
	v_sub_nc_u32_e32 v1, 0, v7
	s_delay_alu instid0(VALU_DEP_1)
	v_max_i32_e32 v6, v7, v1
.LBB16_15:                              ; =>This Inner Loop Header: Depth=1
	s_delay_alu instid0(VALU_DEP_1) | instskip(NEXT) | instid1(VALU_DEP_1)
	v_mov_b32_e32 v1, v6
	v_cvt_f32_u32_e32 v6, v1
	s_delay_alu instid0(VALU_DEP_1) | instskip(SKIP_1) | instid1(TRANS32_DEP_1)
	v_rcp_iflag_f32_e32 v6, v6
	v_nop
	v_dual_mul_f32 v6, 0x4f7ffffe, v6 :: v_dual_sub_nc_u32 v7, 0, v1
	s_delay_alu instid0(VALU_DEP_1) | instskip(NEXT) | instid1(VALU_DEP_1)
	v_cvt_u32_f32_e32 v6, v6
	v_mul_lo_u32 v7, v7, v6
	s_delay_alu instid0(VALU_DEP_1) | instskip(NEXT) | instid1(VALU_DEP_1)
	v_mul_hi_u32 v7, v6, v7
	v_add_nc_u32_e32 v6, v6, v7
	s_delay_alu instid0(VALU_DEP_1) | instskip(NEXT) | instid1(VALU_DEP_1)
	v_mul_hi_u32 v6, v5, v6
	v_mul_lo_u32 v6, v6, v1
	s_delay_alu instid0(VALU_DEP_1) | instskip(NEXT) | instid1(VALU_DEP_1)
	v_sub_nc_u32_e32 v5, v5, v6
	v_sub_nc_u32_e32 v6, v5, v1
	v_cmp_ge_u32_e32 vcc_lo, v5, v1
	s_delay_alu instid0(VALU_DEP_2) | instskip(NEXT) | instid1(VALU_DEP_1)
	v_cndmask_b32_e32 v5, v5, v6, vcc_lo
	v_sub_nc_u32_e32 v6, v5, v1
	v_cmp_ge_u32_e32 vcc_lo, v5, v1
	s_delay_alu instid0(VALU_DEP_2) | instskip(SKIP_1) | instid1(VALU_DEP_2)
	v_cndmask_b32_e32 v6, v5, v6, vcc_lo
	v_mov_b32_e32 v5, v1
	v_cmp_eq_u32_e32 vcc_lo, 0, v6
	s_or_b32 s11, vcc_lo, s11
	s_delay_alu instid0(SALU_CYCLE_1)
	s_and_not1_b32 exec_lo, exec_lo, s11
	s_cbranch_execnz .LBB16_15
; %bb.16:
	s_or_b32 exec_lo, exec_lo, s11
	v_mov_b32_e32 v5, v1
.LBB16_17:
	s_or_b32 exec_lo, exec_lo, s3
	s_add_nc_u64 s[12:13], s[4:5], s[0:1]
	s_mov_b32 s0, 0
	global_store_b128 v0, v[2:5], s[12:13] scale_offset
.LBB16_18:
	s_and_b32 vcc_lo, exec_lo, s0
	s_cbranch_vccz .LBB16_51
; %bb.19:
	v_cmp_gt_i32_e32 vcc_lo, s10, v0
	s_wait_xcnt 0x0
	v_dual_mov_b32 v2, 0 :: v_dual_bitop2_b32 v10, s2, v0 bitop3:0x54
	v_or_b32_e32 v11, 0x100, v0
	v_dual_mov_b32 v12, 0 :: v_dual_mov_b32 v6, 0
	v_dual_mov_b32 v13, 0 :: v_dual_mov_b32 v5, 0
	;; [unrolled: 1-line block ×4, first 2 shown]
	s_and_saveexec_b32 s1, vcc_lo
	s_cbranch_execz .LBB16_27
; %bb.20:
	s_clause 0x1
	global_load_b32 v16, v10, s[6:7] scale_offset
	global_load_b32 v17, v10, s[8:9] scale_offset
	v_or_b32_e32 v1, 0x100, v0
	v_dual_mov_b32 v15, 0 :: v_dual_mov_b32 v14, 0
	v_dual_mov_b32 v5, 0 :: v_dual_mov_b32 v13, 0
	;; [unrolled: 1-line block ×3, first 2 shown]
	s_mov_b32 s3, exec_lo
	s_wait_xcnt 0x0
	v_cmpx_gt_u32_e64 s10, v1
	s_cbranch_execz .LBB16_26
; %bb.21:
	v_dual_mov_b32 v5, 0 :: v_dual_add_nc_u32 v4, s2, v0
	v_or_b32_e32 v1, 0x200, v0
	v_dual_mov_b32 v13, 0 :: v_dual_mov_b32 v6, 0
	s_clause 0x1
	global_load_b32 v14, v4, s[6:7] offset:1024 scale_offset
	global_load_b32 v15, v4, s[8:9] offset:1024 scale_offset
	v_mov_b32_e32 v12, 0
	s_mov_b32 s11, exec_lo
	s_wait_xcnt 0x0
	v_cmpx_gt_u32_e64 s10, v1
	s_cbranch_execz .LBB16_25
; %bb.22:
	v_lshlrev_b64_e32 v[8:9], 2, v[4:5]
	v_or_b32_e32 v3, 0x300, v0
	v_mov_b32_e32 v12, 0
	s_delay_alu instid0(VALU_DEP_3)
	v_add_nc_u64_e32 v[6:7], s[6:7], v[8:9]
	v_add_nc_u64_e32 v[8:9], s[8:9], v[8:9]
	s_mov_b32 s6, exec_lo
	global_load_b32 v13, v[6:7], off offset:2048
	global_load_b32 v1, v[8:9], off offset:2048
	s_wait_xcnt 0x0
	v_cmpx_gt_u32_e64 s10, v3
	s_cbranch_execz .LBB16_24
; %bb.23:
	global_load_b32 v3, v[8:9], off offset:3072
	global_load_b32 v12, v[6:7], off offset:3072
	s_wait_loadcnt 0x1
	v_sub_nc_u32_e32 v4, 0, v3
	s_delay_alu instid0(VALU_DEP_1)
	v_max_i32_e32 v5, v3, v4
.LBB16_24:
	s_wait_xcnt 0x0
	s_or_b32 exec_lo, exec_lo, s6
	s_wait_loadcnt 0x0
	s_delay_alu instid0(VALU_DEP_1)
	v_dual_mov_b32 v6, v5 :: v_dual_mov_b32 v5, v1
.LBB16_25:
	s_or_b32 exec_lo, exec_lo, s11
.LBB16_26:
	s_delay_alu instid0(SALU_CYCLE_1)
	s_or_b32 exec_lo, exec_lo, s3
.LBB16_27:
	s_delay_alu instid0(SALU_CYCLE_1)
	s_or_b32 exec_lo, exec_lo, s1
	v_dual_mov_b32 v1, v2 :: v_dual_mov_b32 v4, v2
	v_mov_b32_e32 v3, v2
	s_and_saveexec_b32 s1, vcc_lo
	s_cbranch_execz .LBB16_33
; %bb.28:
	s_wait_loadcnt 0x0
	v_sub_nc_u32_e32 v1, 0, v17
	s_mov_b32 s3, exec_lo
	s_delay_alu instid0(VALU_DEP_1)
	v_max_i32_e32 v2, v17, v1
	v_cmpx_ne_u32_e32 0, v16
	s_cbranch_execz .LBB16_32
; %bb.29:
	v_sub_nc_u32_e32 v1, 0, v16
	s_mov_b32 s6, 0
	s_delay_alu instid0(VALU_DEP_1)
	v_max_i32_e32 v3, v16, v1
.LBB16_30:                              ; =>This Inner Loop Header: Depth=1
	s_delay_alu instid0(VALU_DEP_1) | instskip(NEXT) | instid1(VALU_DEP_1)
	v_mov_b32_e32 v1, v3
	v_cvt_f32_u32_e32 v3, v1
	v_sub_nc_u32_e32 v4, 0, v1
	s_delay_alu instid0(VALU_DEP_2) | instskip(SKIP_1) | instid1(TRANS32_DEP_1)
	v_rcp_iflag_f32_e32 v3, v3
	v_nop
	v_mul_f32_e32 v3, 0x4f7ffffe, v3
	s_delay_alu instid0(VALU_DEP_1) | instskip(NEXT) | instid1(VALU_DEP_1)
	v_cvt_u32_f32_e32 v3, v3
	v_mul_lo_u32 v4, v4, v3
	s_delay_alu instid0(VALU_DEP_1) | instskip(NEXT) | instid1(VALU_DEP_1)
	v_mul_hi_u32 v4, v3, v4
	v_add_nc_u32_e32 v3, v3, v4
	s_delay_alu instid0(VALU_DEP_1) | instskip(NEXT) | instid1(VALU_DEP_1)
	v_mul_hi_u32 v3, v2, v3
	v_mul_lo_u32 v3, v3, v1
	s_delay_alu instid0(VALU_DEP_1) | instskip(NEXT) | instid1(VALU_DEP_1)
	v_sub_nc_u32_e32 v2, v2, v3
	v_sub_nc_u32_e32 v3, v2, v1
	v_cmp_ge_u32_e64 s0, v2, v1
	s_delay_alu instid0(VALU_DEP_1) | instskip(NEXT) | instid1(VALU_DEP_1)
	v_cndmask_b32_e64 v2, v2, v3, s0
	v_sub_nc_u32_e32 v3, v2, v1
	v_cmp_ge_u32_e64 s0, v2, v1
	s_delay_alu instid0(VALU_DEP_1) | instskip(NEXT) | instid1(VALU_DEP_1)
	v_dual_cndmask_b32 v3, v2, v3, s0 :: v_dual_mov_b32 v2, v1
	v_cmp_eq_u32_e64 s0, 0, v3
	s_or_b32 s6, s0, s6
	s_delay_alu instid0(SALU_CYCLE_1)
	s_and_not1_b32 exec_lo, exec_lo, s6
	s_cbranch_execnz .LBB16_30
; %bb.31:
	s_or_b32 exec_lo, exec_lo, s6
	v_mov_b32_e32 v2, v1
.LBB16_32:
	s_or_b32 exec_lo, exec_lo, s3
	v_mov_b32_e32 v1, 0
	s_delay_alu instid0(VALU_DEP_1)
	v_dual_mov_b32 v4, v1 :: v_dual_mov_b32 v3, v1
.LBB16_33:
	s_or_b32 exec_lo, exec_lo, s1
	s_delay_alu instid0(SALU_CYCLE_1)
	s_mov_b32 s1, exec_lo
	v_cmpx_gt_i32_e64 s10, v11
	s_cbranch_execz .LBB16_39
; %bb.34:
	s_wait_loadcnt 0x0
	v_sub_nc_u32_e32 v1, 0, v15
	s_mov_b32 s6, 0
	s_mov_b32 s3, exec_lo
	s_delay_alu instid0(VALU_DEP_1)
	v_max_i32_e32 v1, v15, v1
	v_cmpx_ne_u32_e32 0, v14
	s_cbranch_execz .LBB16_38
; %bb.35:
	v_sub_nc_u32_e32 v7, 0, v14
	s_delay_alu instid0(VALU_DEP_1)
	v_max_i32_e32 v8, v14, v7
.LBB16_36:                              ; =>This Inner Loop Header: Depth=1
	s_delay_alu instid0(VALU_DEP_1) | instskip(NEXT) | instid1(VALU_DEP_1)
	v_mov_b32_e32 v7, v8
	v_cvt_f32_u32_e32 v8, v7
	s_delay_alu instid0(VALU_DEP_1) | instskip(SKIP_1) | instid1(TRANS32_DEP_1)
	v_rcp_iflag_f32_e32 v8, v8
	v_nop
	v_dual_mul_f32 v8, 0x4f7ffffe, v8 :: v_dual_sub_nc_u32 v9, 0, v7
	s_delay_alu instid0(VALU_DEP_1) | instskip(NEXT) | instid1(VALU_DEP_1)
	v_cvt_u32_f32_e32 v8, v8
	v_mul_lo_u32 v9, v9, v8
	s_delay_alu instid0(VALU_DEP_1) | instskip(NEXT) | instid1(VALU_DEP_1)
	v_mul_hi_u32 v9, v8, v9
	v_add_nc_u32_e32 v8, v8, v9
	s_delay_alu instid0(VALU_DEP_1) | instskip(NEXT) | instid1(VALU_DEP_1)
	v_mul_hi_u32 v8, v1, v8
	v_mul_lo_u32 v8, v8, v7
	s_delay_alu instid0(VALU_DEP_1) | instskip(NEXT) | instid1(VALU_DEP_1)
	v_sub_nc_u32_e32 v1, v1, v8
	v_sub_nc_u32_e32 v8, v1, v7
	v_cmp_ge_u32_e64 s0, v1, v7
	s_delay_alu instid0(VALU_DEP_1) | instskip(NEXT) | instid1(VALU_DEP_1)
	v_cndmask_b32_e64 v1, v1, v8, s0
	v_sub_nc_u32_e32 v8, v1, v7
	v_cmp_ge_u32_e64 s0, v1, v7
	s_delay_alu instid0(VALU_DEP_1) | instskip(NEXT) | instid1(VALU_DEP_1)
	v_dual_cndmask_b32 v8, v1, v8, s0 :: v_dual_mov_b32 v1, v7
	v_cmp_eq_u32_e64 s0, 0, v8
	s_or_b32 s6, s0, s6
	s_delay_alu instid0(SALU_CYCLE_1)
	s_and_not1_b32 exec_lo, exec_lo, s6
	s_cbranch_execnz .LBB16_36
; %bb.37:
	s_or_b32 exec_lo, exec_lo, s6
	v_mov_b32_e32 v1, v7
.LBB16_38:
	s_or_b32 exec_lo, exec_lo, s3
.LBB16_39:
	s_delay_alu instid0(SALU_CYCLE_1) | instskip(SKIP_2) | instid1(VALU_DEP_1)
	s_or_b32 exec_lo, exec_lo, s1
	v_or_b32_e32 v7, 0x200, v0
	s_mov_b32 s1, exec_lo
	v_cmpx_gt_i32_e64 s10, v7
	s_cbranch_execz .LBB16_45
; %bb.40:
	v_sub_nc_u32_e32 v4, 0, v5
	s_mov_b32 s6, 0
	s_mov_b32 s3, exec_lo
	s_delay_alu instid0(VALU_DEP_1)
	v_max_i32_e32 v4, v5, v4
	v_cmpx_ne_u32_e32 0, v13
	s_cbranch_execz .LBB16_44
; %bb.41:
	v_sub_nc_u32_e32 v5, 0, v13
	s_delay_alu instid0(VALU_DEP_1)
	v_max_i32_e32 v7, v13, v5
.LBB16_42:                              ; =>This Inner Loop Header: Depth=1
	s_delay_alu instid0(VALU_DEP_1) | instskip(NEXT) | instid1(VALU_DEP_1)
	v_mov_b32_e32 v5, v7
	v_cvt_f32_u32_e32 v7, v5
	v_sub_nc_u32_e32 v8, 0, v5
	s_delay_alu instid0(VALU_DEP_2) | instskip(SKIP_1) | instid1(TRANS32_DEP_1)
	v_rcp_iflag_f32_e32 v7, v7
	v_nop
	v_mul_f32_e32 v7, 0x4f7ffffe, v7
	s_delay_alu instid0(VALU_DEP_1) | instskip(NEXT) | instid1(VALU_DEP_1)
	v_cvt_u32_f32_e32 v7, v7
	v_mul_lo_u32 v8, v8, v7
	s_delay_alu instid0(VALU_DEP_1) | instskip(NEXT) | instid1(VALU_DEP_1)
	v_mul_hi_u32 v8, v7, v8
	v_add_nc_u32_e32 v7, v7, v8
	s_delay_alu instid0(VALU_DEP_1) | instskip(NEXT) | instid1(VALU_DEP_1)
	v_mul_hi_u32 v7, v4, v7
	v_mul_lo_u32 v7, v7, v5
	s_delay_alu instid0(VALU_DEP_1) | instskip(NEXT) | instid1(VALU_DEP_1)
	v_sub_nc_u32_e32 v4, v4, v7
	v_sub_nc_u32_e32 v7, v4, v5
	v_cmp_ge_u32_e64 s0, v4, v5
	s_delay_alu instid0(VALU_DEP_1) | instskip(NEXT) | instid1(VALU_DEP_1)
	v_cndmask_b32_e64 v4, v4, v7, s0
	v_sub_nc_u32_e32 v7, v4, v5
	v_cmp_ge_u32_e64 s0, v4, v5
	s_delay_alu instid0(VALU_DEP_1) | instskip(NEXT) | instid1(VALU_DEP_1)
	v_dual_cndmask_b32 v7, v4, v7, s0 :: v_dual_mov_b32 v4, v5
	v_cmp_eq_u32_e64 s0, 0, v7
	s_or_b32 s6, s0, s6
	s_delay_alu instid0(SALU_CYCLE_1)
	s_and_not1_b32 exec_lo, exec_lo, s6
	s_cbranch_execnz .LBB16_42
; %bb.43:
	s_or_b32 exec_lo, exec_lo, s6
	v_mov_b32_e32 v4, v5
.LBB16_44:
	s_or_b32 exec_lo, exec_lo, s3
.LBB16_45:
	s_delay_alu instid0(SALU_CYCLE_1) | instskip(SKIP_2) | instid1(VALU_DEP_1)
	s_or_b32 exec_lo, exec_lo, s1
	v_or_b32_e32 v5, 0x300, v0
	s_mov_b32 s1, exec_lo
	v_cmpx_gt_i32_e64 s10, v5
	s_cbranch_execnz .LBB16_52
; %bb.46:
	s_or_b32 exec_lo, exec_lo, s1
	s_and_saveexec_b32 s0, vcc_lo
	s_delay_alu instid0(SALU_CYCLE_1)
	s_xor_b32 s0, exec_lo, s0
	s_cbranch_execnz .LBB16_57
.LBB16_47:
	s_or_b32 exec_lo, exec_lo, s0
	s_delay_alu instid0(SALU_CYCLE_1)
	s_mov_b32 s0, exec_lo
	v_cmpx_gt_i32_e64 s10, v0
	s_cbranch_execnz .LBB16_58
.LBB16_48:
	s_or_b32 exec_lo, exec_lo, s0
	s_delay_alu instid0(SALU_CYCLE_1)
	s_mov_b32 s0, exec_lo
	v_cmpx_gt_i32_e64 s10, v0
	s_cbranch_execnz .LBB16_59
.LBB16_49:
	s_or_b32 exec_lo, exec_lo, s0
	s_delay_alu instid0(SALU_CYCLE_1)
	s_mov_b32 s0, exec_lo
	v_cmpx_gt_i32_e64 s10, v0
	s_cbranch_execz .LBB16_51
.LBB16_50:
	v_add_nc_u32_e32 v0, s2, v0
	global_store_b32 v0, v3, s[4:5] scale_offset
.LBB16_51:
	s_endpgm
.LBB16_52:
	s_mov_b32 s6, 0
	s_mov_b32 s3, exec_lo
	v_cmpx_ne_u32_e32 0, v12
	s_cbranch_execz .LBB16_56
; %bb.53:
	v_sub_nc_u32_e32 v3, 0, v12
	s_delay_alu instid0(VALU_DEP_1)
	v_max_i32_e32 v5, v12, v3
.LBB16_54:                              ; =>This Inner Loop Header: Depth=1
	s_delay_alu instid0(VALU_DEP_1) | instskip(NEXT) | instid1(VALU_DEP_1)
	v_mov_b32_e32 v3, v5
	v_cvt_f32_u32_e32 v5, v3
	v_sub_nc_u32_e32 v7, 0, v3
	s_delay_alu instid0(VALU_DEP_2) | instskip(SKIP_1) | instid1(TRANS32_DEP_1)
	v_rcp_iflag_f32_e32 v5, v5
	v_nop
	v_mul_f32_e32 v5, 0x4f7ffffe, v5
	s_delay_alu instid0(VALU_DEP_1) | instskip(NEXT) | instid1(VALU_DEP_1)
	v_cvt_u32_f32_e32 v5, v5
	v_mul_lo_u32 v7, v7, v5
	s_delay_alu instid0(VALU_DEP_1) | instskip(NEXT) | instid1(VALU_DEP_1)
	v_mul_hi_u32 v7, v5, v7
	v_add_nc_u32_e32 v5, v5, v7
	s_delay_alu instid0(VALU_DEP_1) | instskip(NEXT) | instid1(VALU_DEP_1)
	v_mul_hi_u32 v5, v6, v5
	v_mul_lo_u32 v5, v5, v3
	s_delay_alu instid0(VALU_DEP_1) | instskip(NEXT) | instid1(VALU_DEP_1)
	v_sub_nc_u32_e32 v5, v6, v5
	v_sub_nc_u32_e32 v6, v5, v3
	v_cmp_ge_u32_e64 s0, v5, v3
	s_delay_alu instid0(VALU_DEP_1) | instskip(NEXT) | instid1(VALU_DEP_1)
	v_cndmask_b32_e64 v5, v5, v6, s0
	v_sub_nc_u32_e32 v6, v5, v3
	v_cmp_ge_u32_e64 s0, v5, v3
	s_delay_alu instid0(VALU_DEP_1) | instskip(NEXT) | instid1(VALU_DEP_1)
	v_dual_cndmask_b32 v5, v5, v6, s0 :: v_dual_mov_b32 v6, v3
	v_cmp_eq_u32_e64 s0, 0, v5
	s_or_b32 s6, s0, s6
	s_delay_alu instid0(SALU_CYCLE_1)
	s_and_not1_b32 exec_lo, exec_lo, s6
	s_cbranch_execnz .LBB16_54
; %bb.55:
	s_or_b32 exec_lo, exec_lo, s6
	v_mov_b32_e32 v6, v3
.LBB16_56:
	s_or_b32 exec_lo, exec_lo, s3
	s_delay_alu instid0(VALU_DEP_1) | instskip(SKIP_2) | instid1(SALU_CYCLE_1)
	v_mov_b32_e32 v3, v6
	s_or_b32 exec_lo, exec_lo, s1
	s_and_saveexec_b32 s0, vcc_lo
	s_xor_b32 s0, exec_lo, s0
	s_cbranch_execz .LBB16_47
.LBB16_57:
	v_mov_b32_e32 v0, v11
	global_store_b32 v10, v2, s[4:5] scale_offset
	s_wait_xcnt 0x0
	s_or_b32 exec_lo, exec_lo, s0
	s_delay_alu instid0(SALU_CYCLE_1)
	s_mov_b32 s0, exec_lo
	v_cmpx_gt_i32_e64 s10, v0
	s_cbranch_execz .LBB16_48
.LBB16_58:
	v_add_nc_u32_e32 v2, s2, v0
	v_add_nc_u32_e32 v0, 0x100, v0
	global_store_b32 v2, v1, s[4:5] scale_offset
	s_wait_xcnt 0x0
	s_or_b32 exec_lo, exec_lo, s0
	s_delay_alu instid0(SALU_CYCLE_1)
	s_mov_b32 s0, exec_lo
	v_cmpx_gt_i32_e64 s10, v0
	s_cbranch_execz .LBB16_49
.LBB16_59:
	v_add_nc_u32_e32 v1, s2, v0
	v_add_nc_u32_e32 v0, 0x100, v0
	global_store_b32 v1, v4, s[4:5] scale_offset
	s_wait_xcnt 0x0
	s_or_b32 exec_lo, exec_lo, s0
	s_delay_alu instid0(SALU_CYCLE_1)
	s_mov_b32 s0, exec_lo
	v_cmpx_gt_i32_e64 s10, v0
	s_cbranch_execnz .LBB16_50
	s_branch .LBB16_51
	.section	.rodata,"a",@progbits
	.p2align	6, 0x0
	.amdhsa_kernel _ZN2at6native29vectorized_elementwise_kernelILi16EZZZNS0_15gcd_kernel_cudaERNS_18TensorIteratorBaseEENKUlvE_clEvENKUlvE1_clEvEUliiE_St5arrayIPcLm3EEEEviT0_T1_
		.amdhsa_group_segment_fixed_size 0
		.amdhsa_private_segment_fixed_size 0
		.amdhsa_kernarg_size 32
		.amdhsa_user_sgpr_count 2
		.amdhsa_user_sgpr_dispatch_ptr 0
		.amdhsa_user_sgpr_queue_ptr 0
		.amdhsa_user_sgpr_kernarg_segment_ptr 1
		.amdhsa_user_sgpr_dispatch_id 0
		.amdhsa_user_sgpr_kernarg_preload_length 0
		.amdhsa_user_sgpr_kernarg_preload_offset 0
		.amdhsa_user_sgpr_private_segment_size 0
		.amdhsa_wavefront_size32 1
		.amdhsa_uses_dynamic_stack 0
		.amdhsa_enable_private_segment 0
		.amdhsa_system_sgpr_workgroup_id_x 1
		.amdhsa_system_sgpr_workgroup_id_y 0
		.amdhsa_system_sgpr_workgroup_id_z 0
		.amdhsa_system_sgpr_workgroup_info 0
		.amdhsa_system_vgpr_workitem_id 0
		.amdhsa_next_free_vgpr 18
		.amdhsa_next_free_sgpr 14
		.amdhsa_named_barrier_count 0
		.amdhsa_reserve_vcc 1
		.amdhsa_float_round_mode_32 0
		.amdhsa_float_round_mode_16_64 0
		.amdhsa_float_denorm_mode_32 3
		.amdhsa_float_denorm_mode_16_64 3
		.amdhsa_fp16_overflow 0
		.amdhsa_memory_ordered 1
		.amdhsa_forward_progress 1
		.amdhsa_inst_pref_size 22
		.amdhsa_round_robin_scheduling 0
		.amdhsa_exception_fp_ieee_invalid_op 0
		.amdhsa_exception_fp_denorm_src 0
		.amdhsa_exception_fp_ieee_div_zero 0
		.amdhsa_exception_fp_ieee_overflow 0
		.amdhsa_exception_fp_ieee_underflow 0
		.amdhsa_exception_fp_ieee_inexact 0
		.amdhsa_exception_int_div_zero 0
	.end_amdhsa_kernel
	.section	.text._ZN2at6native29vectorized_elementwise_kernelILi16EZZZNS0_15gcd_kernel_cudaERNS_18TensorIteratorBaseEENKUlvE_clEvENKUlvE1_clEvEUliiE_St5arrayIPcLm3EEEEviT0_T1_,"axG",@progbits,_ZN2at6native29vectorized_elementwise_kernelILi16EZZZNS0_15gcd_kernel_cudaERNS_18TensorIteratorBaseEENKUlvE_clEvENKUlvE1_clEvEUliiE_St5arrayIPcLm3EEEEviT0_T1_,comdat
.Lfunc_end16:
	.size	_ZN2at6native29vectorized_elementwise_kernelILi16EZZZNS0_15gcd_kernel_cudaERNS_18TensorIteratorBaseEENKUlvE_clEvENKUlvE1_clEvEUliiE_St5arrayIPcLm3EEEEviT0_T1_, .Lfunc_end16-_ZN2at6native29vectorized_elementwise_kernelILi16EZZZNS0_15gcd_kernel_cudaERNS_18TensorIteratorBaseEENKUlvE_clEvENKUlvE1_clEvEUliiE_St5arrayIPcLm3EEEEviT0_T1_
                                        ; -- End function
	.set _ZN2at6native29vectorized_elementwise_kernelILi16EZZZNS0_15gcd_kernel_cudaERNS_18TensorIteratorBaseEENKUlvE_clEvENKUlvE1_clEvEUliiE_St5arrayIPcLm3EEEEviT0_T1_.num_vgpr, 18
	.set _ZN2at6native29vectorized_elementwise_kernelILi16EZZZNS0_15gcd_kernel_cudaERNS_18TensorIteratorBaseEENKUlvE_clEvENKUlvE1_clEvEUliiE_St5arrayIPcLm3EEEEviT0_T1_.num_agpr, 0
	.set _ZN2at6native29vectorized_elementwise_kernelILi16EZZZNS0_15gcd_kernel_cudaERNS_18TensorIteratorBaseEENKUlvE_clEvENKUlvE1_clEvEUliiE_St5arrayIPcLm3EEEEviT0_T1_.numbered_sgpr, 14
	.set _ZN2at6native29vectorized_elementwise_kernelILi16EZZZNS0_15gcd_kernel_cudaERNS_18TensorIteratorBaseEENKUlvE_clEvENKUlvE1_clEvEUliiE_St5arrayIPcLm3EEEEviT0_T1_.num_named_barrier, 0
	.set _ZN2at6native29vectorized_elementwise_kernelILi16EZZZNS0_15gcd_kernel_cudaERNS_18TensorIteratorBaseEENKUlvE_clEvENKUlvE1_clEvEUliiE_St5arrayIPcLm3EEEEviT0_T1_.private_seg_size, 0
	.set _ZN2at6native29vectorized_elementwise_kernelILi16EZZZNS0_15gcd_kernel_cudaERNS_18TensorIteratorBaseEENKUlvE_clEvENKUlvE1_clEvEUliiE_St5arrayIPcLm3EEEEviT0_T1_.uses_vcc, 1
	.set _ZN2at6native29vectorized_elementwise_kernelILi16EZZZNS0_15gcd_kernel_cudaERNS_18TensorIteratorBaseEENKUlvE_clEvENKUlvE1_clEvEUliiE_St5arrayIPcLm3EEEEviT0_T1_.uses_flat_scratch, 0
	.set _ZN2at6native29vectorized_elementwise_kernelILi16EZZZNS0_15gcd_kernel_cudaERNS_18TensorIteratorBaseEENKUlvE_clEvENKUlvE1_clEvEUliiE_St5arrayIPcLm3EEEEviT0_T1_.has_dyn_sized_stack, 0
	.set _ZN2at6native29vectorized_elementwise_kernelILi16EZZZNS0_15gcd_kernel_cudaERNS_18TensorIteratorBaseEENKUlvE_clEvENKUlvE1_clEvEUliiE_St5arrayIPcLm3EEEEviT0_T1_.has_recursion, 0
	.set _ZN2at6native29vectorized_elementwise_kernelILi16EZZZNS0_15gcd_kernel_cudaERNS_18TensorIteratorBaseEENKUlvE_clEvENKUlvE1_clEvEUliiE_St5arrayIPcLm3EEEEviT0_T1_.has_indirect_call, 0
	.section	.AMDGPU.csdata,"",@progbits
; Kernel info:
; codeLenInByte = 2704
; TotalNumSgprs: 16
; NumVgprs: 18
; ScratchSize: 0
; MemoryBound: 0
; FloatMode: 240
; IeeeMode: 1
; LDSByteSize: 0 bytes/workgroup (compile time only)
; SGPRBlocks: 0
; VGPRBlocks: 1
; NumSGPRsForWavesPerEU: 16
; NumVGPRsForWavesPerEU: 18
; NamedBarCnt: 0
; Occupancy: 16
; WaveLimiterHint : 0
; COMPUTE_PGM_RSRC2:SCRATCH_EN: 0
; COMPUTE_PGM_RSRC2:USER_SGPR: 2
; COMPUTE_PGM_RSRC2:TRAP_HANDLER: 0
; COMPUTE_PGM_RSRC2:TGID_X_EN: 1
; COMPUTE_PGM_RSRC2:TGID_Y_EN: 0
; COMPUTE_PGM_RSRC2:TGID_Z_EN: 0
; COMPUTE_PGM_RSRC2:TIDIG_COMP_CNT: 0
	.section	.text._ZN2at6native29vectorized_elementwise_kernelILi8EZZZNS0_15gcd_kernel_cudaERNS_18TensorIteratorBaseEENKUlvE_clEvENKUlvE1_clEvEUliiE_St5arrayIPcLm3EEEEviT0_T1_,"axG",@progbits,_ZN2at6native29vectorized_elementwise_kernelILi8EZZZNS0_15gcd_kernel_cudaERNS_18TensorIteratorBaseEENKUlvE_clEvENKUlvE1_clEvEUliiE_St5arrayIPcLm3EEEEviT0_T1_,comdat
	.globl	_ZN2at6native29vectorized_elementwise_kernelILi8EZZZNS0_15gcd_kernel_cudaERNS_18TensorIteratorBaseEENKUlvE_clEvENKUlvE1_clEvEUliiE_St5arrayIPcLm3EEEEviT0_T1_ ; -- Begin function _ZN2at6native29vectorized_elementwise_kernelILi8EZZZNS0_15gcd_kernel_cudaERNS_18TensorIteratorBaseEENKUlvE_clEvENKUlvE1_clEvEUliiE_St5arrayIPcLm3EEEEviT0_T1_
	.p2align	8
	.type	_ZN2at6native29vectorized_elementwise_kernelILi8EZZZNS0_15gcd_kernel_cudaERNS_18TensorIteratorBaseEENKUlvE_clEvENKUlvE1_clEvEUliiE_St5arrayIPcLm3EEEEviT0_T1_,@function
_ZN2at6native29vectorized_elementwise_kernelILi8EZZZNS0_15gcd_kernel_cudaERNS_18TensorIteratorBaseEENKUlvE_clEvENKUlvE1_clEvEUliiE_St5arrayIPcLm3EEEEviT0_T1_: ; @_ZN2at6native29vectorized_elementwise_kernelILi8EZZZNS0_15gcd_kernel_cudaERNS_18TensorIteratorBaseEENKUlvE_clEvENKUlvE1_clEvEUliiE_St5arrayIPcLm3EEEEviT0_T1_
; %bb.0:
	s_clause 0x2
	s_load_b32 s3, s[0:1], 0x0
	s_load_b128 s[4:7], s[0:1], 0x8
	s_load_b64 s[8:9], s[0:1], 0x18
	s_wait_xcnt 0x0
	s_bfe_u32 s0, ttmp6, 0x4000c
	s_and_b32 s1, ttmp6, 15
	s_add_co_i32 s0, s0, 1
	s_getreg_b32 s2, hwreg(HW_REG_IB_STS2, 6, 4)
	s_mul_i32 s0, ttmp9, s0
	s_delay_alu instid0(SALU_CYCLE_1) | instskip(SKIP_2) | instid1(SALU_CYCLE_1)
	s_add_co_i32 s1, s1, s0
	s_cmp_eq_u32 s2, 0
	s_cselect_b32 s0, ttmp9, s1
	s_lshl_b32 s2, s0, 10
	s_mov_b32 s0, -1
	s_wait_kmcnt 0x0
	s_sub_co_i32 s10, s3, s2
	s_delay_alu instid0(SALU_CYCLE_1)
	s_cmp_gt_i32 s10, 0x3ff
	s_cbranch_scc0 .LBB17_18
; %bb.1:
	s_ashr_i32 s3, s2, 31
	s_delay_alu instid0(SALU_CYCLE_1)
	s_lshl_b64 s[0:1], s[2:3], 2
	s_mov_b32 s3, exec_lo
	s_add_nc_u64 s[12:13], s[8:9], s[0:1]
	global_load_b128 v[8:11], v0, s[12:13] scale_offset
	s_wait_xcnt 0x0
	s_add_nc_u64 s[12:13], s[6:7], s[0:1]
	global_load_b128 v[4:7], v0, s[12:13] scale_offset
	s_wait_loadcnt 0x1
	v_sub_nc_u32_e32 v1, 0, v8
	s_delay_alu instid0(VALU_DEP_1)
	v_max_i32_e32 v2, v8, v1
	s_wait_loadcnt 0x0
	v_cmpx_ne_u32_e32 0, v4
	s_cbranch_execz .LBB17_5
; %bb.2:
	v_sub_nc_u32_e32 v1, 0, v4
	s_mov_b32 s11, 0
	s_delay_alu instid0(VALU_DEP_1)
	v_max_i32_e32 v3, v4, v1
.LBB17_3:                               ; =>This Inner Loop Header: Depth=1
	s_delay_alu instid0(VALU_DEP_1) | instskip(NEXT) | instid1(VALU_DEP_1)
	v_mov_b32_e32 v1, v3
	v_cvt_f32_u32_e32 v3, v1
	v_sub_nc_u32_e32 v4, 0, v1
	s_delay_alu instid0(VALU_DEP_2) | instskip(SKIP_1) | instid1(TRANS32_DEP_1)
	v_rcp_iflag_f32_e32 v3, v3
	v_nop
	v_mul_f32_e32 v3, 0x4f7ffffe, v3
	s_delay_alu instid0(VALU_DEP_1) | instskip(NEXT) | instid1(VALU_DEP_1)
	v_cvt_u32_f32_e32 v3, v3
	v_mul_lo_u32 v4, v4, v3
	s_delay_alu instid0(VALU_DEP_1) | instskip(NEXT) | instid1(VALU_DEP_1)
	v_mul_hi_u32 v4, v3, v4
	v_add_nc_u32_e32 v3, v3, v4
	s_delay_alu instid0(VALU_DEP_1) | instskip(NEXT) | instid1(VALU_DEP_1)
	v_mul_hi_u32 v3, v2, v3
	v_mul_lo_u32 v3, v3, v1
	s_delay_alu instid0(VALU_DEP_1) | instskip(NEXT) | instid1(VALU_DEP_1)
	v_sub_nc_u32_e32 v2, v2, v3
	v_sub_nc_u32_e32 v3, v2, v1
	v_cmp_ge_u32_e32 vcc_lo, v2, v1
	s_delay_alu instid0(VALU_DEP_2) | instskip(NEXT) | instid1(VALU_DEP_1)
	v_cndmask_b32_e32 v2, v2, v3, vcc_lo
	v_sub_nc_u32_e32 v3, v2, v1
	v_cmp_ge_u32_e32 vcc_lo, v2, v1
	s_delay_alu instid0(VALU_DEP_2) | instskip(NEXT) | instid1(VALU_DEP_1)
	v_dual_cndmask_b32 v3, v2, v3 :: v_dual_mov_b32 v2, v1
	v_cmp_eq_u32_e32 vcc_lo, 0, v3
	s_or_b32 s11, vcc_lo, s11
	s_delay_alu instid0(SALU_CYCLE_1)
	s_and_not1_b32 exec_lo, exec_lo, s11
	s_cbranch_execnz .LBB17_3
; %bb.4:
	s_or_b32 exec_lo, exec_lo, s11
	v_mov_b32_e32 v2, v1
.LBB17_5:
	s_or_b32 exec_lo, exec_lo, s3
	v_sub_nc_u32_e32 v1, 0, v9
	s_mov_b32 s11, 0
	s_mov_b32 s3, exec_lo
	s_delay_alu instid0(VALU_DEP_1)
	v_max_i32_e32 v3, v9, v1
	v_cmpx_ne_u32_e32 0, v5
	s_cbranch_execz .LBB17_9
; %bb.6:
	v_sub_nc_u32_e32 v1, 0, v5
	s_delay_alu instid0(VALU_DEP_1)
	v_max_i32_e32 v4, v5, v1
.LBB17_7:                               ; =>This Inner Loop Header: Depth=1
	s_delay_alu instid0(VALU_DEP_1) | instskip(NEXT) | instid1(VALU_DEP_1)
	v_mov_b32_e32 v1, v4
	v_cvt_f32_u32_e32 v4, v1
	s_delay_alu instid0(VALU_DEP_1) | instskip(SKIP_1) | instid1(TRANS32_DEP_1)
	v_rcp_iflag_f32_e32 v4, v4
	v_nop
	v_dual_mul_f32 v4, 0x4f7ffffe, v4 :: v_dual_sub_nc_u32 v5, 0, v1
	s_delay_alu instid0(VALU_DEP_1) | instskip(NEXT) | instid1(VALU_DEP_1)
	v_cvt_u32_f32_e32 v4, v4
	v_mul_lo_u32 v5, v5, v4
	s_delay_alu instid0(VALU_DEP_1) | instskip(NEXT) | instid1(VALU_DEP_1)
	v_mul_hi_u32 v5, v4, v5
	v_add_nc_u32_e32 v4, v4, v5
	s_delay_alu instid0(VALU_DEP_1) | instskip(NEXT) | instid1(VALU_DEP_1)
	v_mul_hi_u32 v4, v3, v4
	v_mul_lo_u32 v4, v4, v1
	s_delay_alu instid0(VALU_DEP_1) | instskip(NEXT) | instid1(VALU_DEP_1)
	v_sub_nc_u32_e32 v3, v3, v4
	v_sub_nc_u32_e32 v4, v3, v1
	v_cmp_ge_u32_e32 vcc_lo, v3, v1
	s_delay_alu instid0(VALU_DEP_2) | instskip(NEXT) | instid1(VALU_DEP_1)
	v_cndmask_b32_e32 v3, v3, v4, vcc_lo
	v_sub_nc_u32_e32 v4, v3, v1
	v_cmp_ge_u32_e32 vcc_lo, v3, v1
	s_delay_alu instid0(VALU_DEP_2) | instskip(NEXT) | instid1(VALU_DEP_1)
	v_dual_cndmask_b32 v4, v3, v4 :: v_dual_mov_b32 v3, v1
	v_cmp_eq_u32_e32 vcc_lo, 0, v4
	s_or_b32 s11, vcc_lo, s11
	s_delay_alu instid0(SALU_CYCLE_1)
	s_and_not1_b32 exec_lo, exec_lo, s11
	s_cbranch_execnz .LBB17_7
; %bb.8:
	s_or_b32 exec_lo, exec_lo, s11
	v_mov_b32_e32 v3, v1
.LBB17_9:
	s_or_b32 exec_lo, exec_lo, s3
	v_sub_nc_u32_e32 v1, 0, v10
	s_mov_b32 s11, 0
	s_mov_b32 s3, exec_lo
	s_delay_alu instid0(VALU_DEP_1)
	v_max_i32_e32 v4, v10, v1
	v_cmpx_ne_u32_e32 0, v6
	s_cbranch_execz .LBB17_13
; %bb.10:
	v_sub_nc_u32_e32 v1, 0, v6
	s_delay_alu instid0(VALU_DEP_1)
	v_max_i32_e32 v5, v6, v1
.LBB17_11:                              ; =>This Inner Loop Header: Depth=1
	s_delay_alu instid0(VALU_DEP_1) | instskip(NEXT) | instid1(VALU_DEP_1)
	v_mov_b32_e32 v1, v5
	v_cvt_f32_u32_e32 v5, v1
	v_sub_nc_u32_e32 v6, 0, v1
	s_delay_alu instid0(VALU_DEP_2) | instskip(SKIP_1) | instid1(TRANS32_DEP_1)
	v_rcp_iflag_f32_e32 v5, v5
	v_nop
	v_mul_f32_e32 v5, 0x4f7ffffe, v5
	s_delay_alu instid0(VALU_DEP_1) | instskip(NEXT) | instid1(VALU_DEP_1)
	v_cvt_u32_f32_e32 v5, v5
	v_mul_lo_u32 v6, v6, v5
	s_delay_alu instid0(VALU_DEP_1) | instskip(NEXT) | instid1(VALU_DEP_1)
	v_mul_hi_u32 v6, v5, v6
	v_add_nc_u32_e32 v5, v5, v6
	s_delay_alu instid0(VALU_DEP_1) | instskip(NEXT) | instid1(VALU_DEP_1)
	v_mul_hi_u32 v5, v4, v5
	v_mul_lo_u32 v5, v5, v1
	s_delay_alu instid0(VALU_DEP_1) | instskip(NEXT) | instid1(VALU_DEP_1)
	v_sub_nc_u32_e32 v4, v4, v5
	v_sub_nc_u32_e32 v5, v4, v1
	v_cmp_ge_u32_e32 vcc_lo, v4, v1
	s_delay_alu instid0(VALU_DEP_2) | instskip(NEXT) | instid1(VALU_DEP_1)
	v_cndmask_b32_e32 v4, v4, v5, vcc_lo
	v_sub_nc_u32_e32 v5, v4, v1
	v_cmp_ge_u32_e32 vcc_lo, v4, v1
	s_delay_alu instid0(VALU_DEP_2) | instskip(NEXT) | instid1(VALU_DEP_1)
	v_dual_cndmask_b32 v5, v4, v5 :: v_dual_mov_b32 v4, v1
	v_cmp_eq_u32_e32 vcc_lo, 0, v5
	s_or_b32 s11, vcc_lo, s11
	s_delay_alu instid0(SALU_CYCLE_1)
	s_and_not1_b32 exec_lo, exec_lo, s11
	s_cbranch_execnz .LBB17_11
; %bb.12:
	s_or_b32 exec_lo, exec_lo, s11
	v_mov_b32_e32 v4, v1
.LBB17_13:
	s_or_b32 exec_lo, exec_lo, s3
	v_sub_nc_u32_e32 v1, 0, v11
	s_mov_b32 s11, 0
	s_mov_b32 s3, exec_lo
	s_delay_alu instid0(VALU_DEP_1)
	v_max_i32_e32 v5, v11, v1
	v_cmpx_ne_u32_e32 0, v7
	s_cbranch_execz .LBB17_17
; %bb.14:
	v_sub_nc_u32_e32 v1, 0, v7
	s_delay_alu instid0(VALU_DEP_1)
	v_max_i32_e32 v6, v7, v1
.LBB17_15:                              ; =>This Inner Loop Header: Depth=1
	s_delay_alu instid0(VALU_DEP_1) | instskip(NEXT) | instid1(VALU_DEP_1)
	v_mov_b32_e32 v1, v6
	v_cvt_f32_u32_e32 v6, v1
	s_delay_alu instid0(VALU_DEP_1) | instskip(SKIP_1) | instid1(TRANS32_DEP_1)
	v_rcp_iflag_f32_e32 v6, v6
	v_nop
	v_dual_mul_f32 v6, 0x4f7ffffe, v6 :: v_dual_sub_nc_u32 v7, 0, v1
	s_delay_alu instid0(VALU_DEP_1) | instskip(NEXT) | instid1(VALU_DEP_1)
	v_cvt_u32_f32_e32 v6, v6
	v_mul_lo_u32 v7, v7, v6
	s_delay_alu instid0(VALU_DEP_1) | instskip(NEXT) | instid1(VALU_DEP_1)
	v_mul_hi_u32 v7, v6, v7
	v_add_nc_u32_e32 v6, v6, v7
	s_delay_alu instid0(VALU_DEP_1) | instskip(NEXT) | instid1(VALU_DEP_1)
	v_mul_hi_u32 v6, v5, v6
	v_mul_lo_u32 v6, v6, v1
	s_delay_alu instid0(VALU_DEP_1) | instskip(NEXT) | instid1(VALU_DEP_1)
	v_sub_nc_u32_e32 v5, v5, v6
	v_sub_nc_u32_e32 v6, v5, v1
	v_cmp_ge_u32_e32 vcc_lo, v5, v1
	s_delay_alu instid0(VALU_DEP_2) | instskip(NEXT) | instid1(VALU_DEP_1)
	v_cndmask_b32_e32 v5, v5, v6, vcc_lo
	v_sub_nc_u32_e32 v6, v5, v1
	v_cmp_ge_u32_e32 vcc_lo, v5, v1
	s_delay_alu instid0(VALU_DEP_2) | instskip(SKIP_1) | instid1(VALU_DEP_2)
	v_cndmask_b32_e32 v6, v5, v6, vcc_lo
	v_mov_b32_e32 v5, v1
	v_cmp_eq_u32_e32 vcc_lo, 0, v6
	s_or_b32 s11, vcc_lo, s11
	s_delay_alu instid0(SALU_CYCLE_1)
	s_and_not1_b32 exec_lo, exec_lo, s11
	s_cbranch_execnz .LBB17_15
; %bb.16:
	s_or_b32 exec_lo, exec_lo, s11
	v_mov_b32_e32 v5, v1
.LBB17_17:
	s_or_b32 exec_lo, exec_lo, s3
	s_add_nc_u64 s[12:13], s[4:5], s[0:1]
	s_mov_b32 s0, 0
	global_store_b128 v0, v[2:5], s[12:13] scale_offset
.LBB17_18:
	s_and_b32 vcc_lo, exec_lo, s0
	s_cbranch_vccz .LBB17_51
; %bb.19:
	v_cmp_gt_i32_e32 vcc_lo, s10, v0
	s_wait_xcnt 0x0
	v_dual_mov_b32 v2, 0 :: v_dual_bitop2_b32 v10, s2, v0 bitop3:0x54
	v_or_b32_e32 v11, 0x100, v0
	v_dual_mov_b32 v12, 0 :: v_dual_mov_b32 v6, 0
	v_dual_mov_b32 v13, 0 :: v_dual_mov_b32 v5, 0
	v_dual_mov_b32 v14, 0 :: v_dual_mov_b32 v15, 0
	v_dual_mov_b32 v16, 0 :: v_dual_mov_b32 v17, 0
	s_and_saveexec_b32 s1, vcc_lo
	s_cbranch_execz .LBB17_27
; %bb.20:
	s_clause 0x1
	global_load_b32 v16, v10, s[6:7] scale_offset
	global_load_b32 v17, v10, s[8:9] scale_offset
	v_or_b32_e32 v1, 0x100, v0
	v_dual_mov_b32 v15, 0 :: v_dual_mov_b32 v14, 0
	v_dual_mov_b32 v5, 0 :: v_dual_mov_b32 v13, 0
	;; [unrolled: 1-line block ×3, first 2 shown]
	s_mov_b32 s3, exec_lo
	s_wait_xcnt 0x0
	v_cmpx_gt_u32_e64 s10, v1
	s_cbranch_execz .LBB17_26
; %bb.21:
	v_dual_mov_b32 v5, 0 :: v_dual_add_nc_u32 v4, s2, v0
	v_or_b32_e32 v1, 0x200, v0
	v_dual_mov_b32 v13, 0 :: v_dual_mov_b32 v6, 0
	s_clause 0x1
	global_load_b32 v14, v4, s[6:7] offset:1024 scale_offset
	global_load_b32 v15, v4, s[8:9] offset:1024 scale_offset
	v_mov_b32_e32 v12, 0
	s_mov_b32 s11, exec_lo
	s_wait_xcnt 0x0
	v_cmpx_gt_u32_e64 s10, v1
	s_cbranch_execz .LBB17_25
; %bb.22:
	v_lshlrev_b64_e32 v[8:9], 2, v[4:5]
	v_or_b32_e32 v3, 0x300, v0
	v_mov_b32_e32 v12, 0
	s_delay_alu instid0(VALU_DEP_3)
	v_add_nc_u64_e32 v[6:7], s[6:7], v[8:9]
	v_add_nc_u64_e32 v[8:9], s[8:9], v[8:9]
	s_mov_b32 s6, exec_lo
	global_load_b32 v13, v[6:7], off offset:2048
	global_load_b32 v1, v[8:9], off offset:2048
	s_wait_xcnt 0x0
	v_cmpx_gt_u32_e64 s10, v3
	s_cbranch_execz .LBB17_24
; %bb.23:
	global_load_b32 v3, v[8:9], off offset:3072
	global_load_b32 v12, v[6:7], off offset:3072
	s_wait_loadcnt 0x1
	v_sub_nc_u32_e32 v4, 0, v3
	s_delay_alu instid0(VALU_DEP_1)
	v_max_i32_e32 v5, v3, v4
.LBB17_24:
	s_wait_xcnt 0x0
	s_or_b32 exec_lo, exec_lo, s6
	s_wait_loadcnt 0x0
	s_delay_alu instid0(VALU_DEP_1)
	v_dual_mov_b32 v6, v5 :: v_dual_mov_b32 v5, v1
.LBB17_25:
	s_or_b32 exec_lo, exec_lo, s11
.LBB17_26:
	s_delay_alu instid0(SALU_CYCLE_1)
	s_or_b32 exec_lo, exec_lo, s3
.LBB17_27:
	s_delay_alu instid0(SALU_CYCLE_1)
	s_or_b32 exec_lo, exec_lo, s1
	v_dual_mov_b32 v1, v2 :: v_dual_mov_b32 v4, v2
	v_mov_b32_e32 v3, v2
	s_and_saveexec_b32 s1, vcc_lo
	s_cbranch_execz .LBB17_33
; %bb.28:
	s_wait_loadcnt 0x0
	v_sub_nc_u32_e32 v1, 0, v17
	s_mov_b32 s3, exec_lo
	s_delay_alu instid0(VALU_DEP_1)
	v_max_i32_e32 v2, v17, v1
	v_cmpx_ne_u32_e32 0, v16
	s_cbranch_execz .LBB17_32
; %bb.29:
	v_sub_nc_u32_e32 v1, 0, v16
	s_mov_b32 s6, 0
	s_delay_alu instid0(VALU_DEP_1)
	v_max_i32_e32 v3, v16, v1
.LBB17_30:                              ; =>This Inner Loop Header: Depth=1
	s_delay_alu instid0(VALU_DEP_1) | instskip(NEXT) | instid1(VALU_DEP_1)
	v_mov_b32_e32 v1, v3
	v_cvt_f32_u32_e32 v3, v1
	v_sub_nc_u32_e32 v4, 0, v1
	s_delay_alu instid0(VALU_DEP_2) | instskip(SKIP_1) | instid1(TRANS32_DEP_1)
	v_rcp_iflag_f32_e32 v3, v3
	v_nop
	v_mul_f32_e32 v3, 0x4f7ffffe, v3
	s_delay_alu instid0(VALU_DEP_1) | instskip(NEXT) | instid1(VALU_DEP_1)
	v_cvt_u32_f32_e32 v3, v3
	v_mul_lo_u32 v4, v4, v3
	s_delay_alu instid0(VALU_DEP_1) | instskip(NEXT) | instid1(VALU_DEP_1)
	v_mul_hi_u32 v4, v3, v4
	v_add_nc_u32_e32 v3, v3, v4
	s_delay_alu instid0(VALU_DEP_1) | instskip(NEXT) | instid1(VALU_DEP_1)
	v_mul_hi_u32 v3, v2, v3
	v_mul_lo_u32 v3, v3, v1
	s_delay_alu instid0(VALU_DEP_1) | instskip(NEXT) | instid1(VALU_DEP_1)
	v_sub_nc_u32_e32 v2, v2, v3
	v_sub_nc_u32_e32 v3, v2, v1
	v_cmp_ge_u32_e64 s0, v2, v1
	s_delay_alu instid0(VALU_DEP_1) | instskip(NEXT) | instid1(VALU_DEP_1)
	v_cndmask_b32_e64 v2, v2, v3, s0
	v_sub_nc_u32_e32 v3, v2, v1
	v_cmp_ge_u32_e64 s0, v2, v1
	s_delay_alu instid0(VALU_DEP_1) | instskip(NEXT) | instid1(VALU_DEP_1)
	v_dual_cndmask_b32 v3, v2, v3, s0 :: v_dual_mov_b32 v2, v1
	v_cmp_eq_u32_e64 s0, 0, v3
	s_or_b32 s6, s0, s6
	s_delay_alu instid0(SALU_CYCLE_1)
	s_and_not1_b32 exec_lo, exec_lo, s6
	s_cbranch_execnz .LBB17_30
; %bb.31:
	s_or_b32 exec_lo, exec_lo, s6
	v_mov_b32_e32 v2, v1
.LBB17_32:
	s_or_b32 exec_lo, exec_lo, s3
	v_mov_b32_e32 v1, 0
	s_delay_alu instid0(VALU_DEP_1)
	v_dual_mov_b32 v4, v1 :: v_dual_mov_b32 v3, v1
.LBB17_33:
	s_or_b32 exec_lo, exec_lo, s1
	s_delay_alu instid0(SALU_CYCLE_1)
	s_mov_b32 s1, exec_lo
	v_cmpx_gt_i32_e64 s10, v11
	s_cbranch_execz .LBB17_39
; %bb.34:
	s_wait_loadcnt 0x0
	v_sub_nc_u32_e32 v1, 0, v15
	s_mov_b32 s6, 0
	s_mov_b32 s3, exec_lo
	s_delay_alu instid0(VALU_DEP_1)
	v_max_i32_e32 v1, v15, v1
	v_cmpx_ne_u32_e32 0, v14
	s_cbranch_execz .LBB17_38
; %bb.35:
	v_sub_nc_u32_e32 v7, 0, v14
	s_delay_alu instid0(VALU_DEP_1)
	v_max_i32_e32 v8, v14, v7
.LBB17_36:                              ; =>This Inner Loop Header: Depth=1
	s_delay_alu instid0(VALU_DEP_1) | instskip(NEXT) | instid1(VALU_DEP_1)
	v_mov_b32_e32 v7, v8
	v_cvt_f32_u32_e32 v8, v7
	s_delay_alu instid0(VALU_DEP_1) | instskip(SKIP_1) | instid1(TRANS32_DEP_1)
	v_rcp_iflag_f32_e32 v8, v8
	v_nop
	v_dual_mul_f32 v8, 0x4f7ffffe, v8 :: v_dual_sub_nc_u32 v9, 0, v7
	s_delay_alu instid0(VALU_DEP_1) | instskip(NEXT) | instid1(VALU_DEP_1)
	v_cvt_u32_f32_e32 v8, v8
	v_mul_lo_u32 v9, v9, v8
	s_delay_alu instid0(VALU_DEP_1) | instskip(NEXT) | instid1(VALU_DEP_1)
	v_mul_hi_u32 v9, v8, v9
	v_add_nc_u32_e32 v8, v8, v9
	s_delay_alu instid0(VALU_DEP_1) | instskip(NEXT) | instid1(VALU_DEP_1)
	v_mul_hi_u32 v8, v1, v8
	v_mul_lo_u32 v8, v8, v7
	s_delay_alu instid0(VALU_DEP_1) | instskip(NEXT) | instid1(VALU_DEP_1)
	v_sub_nc_u32_e32 v1, v1, v8
	v_sub_nc_u32_e32 v8, v1, v7
	v_cmp_ge_u32_e64 s0, v1, v7
	s_delay_alu instid0(VALU_DEP_1) | instskip(NEXT) | instid1(VALU_DEP_1)
	v_cndmask_b32_e64 v1, v1, v8, s0
	v_sub_nc_u32_e32 v8, v1, v7
	v_cmp_ge_u32_e64 s0, v1, v7
	s_delay_alu instid0(VALU_DEP_1) | instskip(NEXT) | instid1(VALU_DEP_1)
	v_dual_cndmask_b32 v8, v1, v8, s0 :: v_dual_mov_b32 v1, v7
	v_cmp_eq_u32_e64 s0, 0, v8
	s_or_b32 s6, s0, s6
	s_delay_alu instid0(SALU_CYCLE_1)
	s_and_not1_b32 exec_lo, exec_lo, s6
	s_cbranch_execnz .LBB17_36
; %bb.37:
	s_or_b32 exec_lo, exec_lo, s6
	v_mov_b32_e32 v1, v7
.LBB17_38:
	s_or_b32 exec_lo, exec_lo, s3
.LBB17_39:
	s_delay_alu instid0(SALU_CYCLE_1) | instskip(SKIP_2) | instid1(VALU_DEP_1)
	s_or_b32 exec_lo, exec_lo, s1
	v_or_b32_e32 v7, 0x200, v0
	s_mov_b32 s1, exec_lo
	v_cmpx_gt_i32_e64 s10, v7
	s_cbranch_execz .LBB17_45
; %bb.40:
	v_sub_nc_u32_e32 v4, 0, v5
	s_mov_b32 s6, 0
	s_mov_b32 s3, exec_lo
	s_delay_alu instid0(VALU_DEP_1)
	v_max_i32_e32 v4, v5, v4
	v_cmpx_ne_u32_e32 0, v13
	s_cbranch_execz .LBB17_44
; %bb.41:
	v_sub_nc_u32_e32 v5, 0, v13
	s_delay_alu instid0(VALU_DEP_1)
	v_max_i32_e32 v7, v13, v5
.LBB17_42:                              ; =>This Inner Loop Header: Depth=1
	s_delay_alu instid0(VALU_DEP_1) | instskip(NEXT) | instid1(VALU_DEP_1)
	v_mov_b32_e32 v5, v7
	v_cvt_f32_u32_e32 v7, v5
	v_sub_nc_u32_e32 v8, 0, v5
	s_delay_alu instid0(VALU_DEP_2) | instskip(SKIP_1) | instid1(TRANS32_DEP_1)
	v_rcp_iflag_f32_e32 v7, v7
	v_nop
	v_mul_f32_e32 v7, 0x4f7ffffe, v7
	s_delay_alu instid0(VALU_DEP_1) | instskip(NEXT) | instid1(VALU_DEP_1)
	v_cvt_u32_f32_e32 v7, v7
	v_mul_lo_u32 v8, v8, v7
	s_delay_alu instid0(VALU_DEP_1) | instskip(NEXT) | instid1(VALU_DEP_1)
	v_mul_hi_u32 v8, v7, v8
	v_add_nc_u32_e32 v7, v7, v8
	s_delay_alu instid0(VALU_DEP_1) | instskip(NEXT) | instid1(VALU_DEP_1)
	v_mul_hi_u32 v7, v4, v7
	v_mul_lo_u32 v7, v7, v5
	s_delay_alu instid0(VALU_DEP_1) | instskip(NEXT) | instid1(VALU_DEP_1)
	v_sub_nc_u32_e32 v4, v4, v7
	v_sub_nc_u32_e32 v7, v4, v5
	v_cmp_ge_u32_e64 s0, v4, v5
	s_delay_alu instid0(VALU_DEP_1) | instskip(NEXT) | instid1(VALU_DEP_1)
	v_cndmask_b32_e64 v4, v4, v7, s0
	v_sub_nc_u32_e32 v7, v4, v5
	v_cmp_ge_u32_e64 s0, v4, v5
	s_delay_alu instid0(VALU_DEP_1) | instskip(NEXT) | instid1(VALU_DEP_1)
	v_dual_cndmask_b32 v7, v4, v7, s0 :: v_dual_mov_b32 v4, v5
	v_cmp_eq_u32_e64 s0, 0, v7
	s_or_b32 s6, s0, s6
	s_delay_alu instid0(SALU_CYCLE_1)
	s_and_not1_b32 exec_lo, exec_lo, s6
	s_cbranch_execnz .LBB17_42
; %bb.43:
	s_or_b32 exec_lo, exec_lo, s6
	v_mov_b32_e32 v4, v5
.LBB17_44:
	s_or_b32 exec_lo, exec_lo, s3
.LBB17_45:
	s_delay_alu instid0(SALU_CYCLE_1) | instskip(SKIP_2) | instid1(VALU_DEP_1)
	s_or_b32 exec_lo, exec_lo, s1
	v_or_b32_e32 v5, 0x300, v0
	s_mov_b32 s1, exec_lo
	v_cmpx_gt_i32_e64 s10, v5
	s_cbranch_execnz .LBB17_52
; %bb.46:
	s_or_b32 exec_lo, exec_lo, s1
	s_and_saveexec_b32 s0, vcc_lo
	s_delay_alu instid0(SALU_CYCLE_1)
	s_xor_b32 s0, exec_lo, s0
	s_cbranch_execnz .LBB17_57
.LBB17_47:
	s_or_b32 exec_lo, exec_lo, s0
	s_delay_alu instid0(SALU_CYCLE_1)
	s_mov_b32 s0, exec_lo
	v_cmpx_gt_i32_e64 s10, v0
	s_cbranch_execnz .LBB17_58
.LBB17_48:
	s_or_b32 exec_lo, exec_lo, s0
	s_delay_alu instid0(SALU_CYCLE_1)
	s_mov_b32 s0, exec_lo
	v_cmpx_gt_i32_e64 s10, v0
	s_cbranch_execnz .LBB17_59
.LBB17_49:
	s_or_b32 exec_lo, exec_lo, s0
	s_delay_alu instid0(SALU_CYCLE_1)
	s_mov_b32 s0, exec_lo
	v_cmpx_gt_i32_e64 s10, v0
	s_cbranch_execz .LBB17_51
.LBB17_50:
	v_add_nc_u32_e32 v0, s2, v0
	global_store_b32 v0, v3, s[4:5] scale_offset
.LBB17_51:
	s_endpgm
.LBB17_52:
	s_mov_b32 s6, 0
	s_mov_b32 s3, exec_lo
	v_cmpx_ne_u32_e32 0, v12
	s_cbranch_execz .LBB17_56
; %bb.53:
	v_sub_nc_u32_e32 v3, 0, v12
	s_delay_alu instid0(VALU_DEP_1)
	v_max_i32_e32 v5, v12, v3
.LBB17_54:                              ; =>This Inner Loop Header: Depth=1
	s_delay_alu instid0(VALU_DEP_1) | instskip(NEXT) | instid1(VALU_DEP_1)
	v_mov_b32_e32 v3, v5
	v_cvt_f32_u32_e32 v5, v3
	v_sub_nc_u32_e32 v7, 0, v3
	s_delay_alu instid0(VALU_DEP_2) | instskip(SKIP_1) | instid1(TRANS32_DEP_1)
	v_rcp_iflag_f32_e32 v5, v5
	v_nop
	v_mul_f32_e32 v5, 0x4f7ffffe, v5
	s_delay_alu instid0(VALU_DEP_1) | instskip(NEXT) | instid1(VALU_DEP_1)
	v_cvt_u32_f32_e32 v5, v5
	v_mul_lo_u32 v7, v7, v5
	s_delay_alu instid0(VALU_DEP_1) | instskip(NEXT) | instid1(VALU_DEP_1)
	v_mul_hi_u32 v7, v5, v7
	v_add_nc_u32_e32 v5, v5, v7
	s_delay_alu instid0(VALU_DEP_1) | instskip(NEXT) | instid1(VALU_DEP_1)
	v_mul_hi_u32 v5, v6, v5
	v_mul_lo_u32 v5, v5, v3
	s_delay_alu instid0(VALU_DEP_1) | instskip(NEXT) | instid1(VALU_DEP_1)
	v_sub_nc_u32_e32 v5, v6, v5
	v_sub_nc_u32_e32 v6, v5, v3
	v_cmp_ge_u32_e64 s0, v5, v3
	s_delay_alu instid0(VALU_DEP_1) | instskip(NEXT) | instid1(VALU_DEP_1)
	v_cndmask_b32_e64 v5, v5, v6, s0
	v_sub_nc_u32_e32 v6, v5, v3
	v_cmp_ge_u32_e64 s0, v5, v3
	s_delay_alu instid0(VALU_DEP_1) | instskip(NEXT) | instid1(VALU_DEP_1)
	v_dual_cndmask_b32 v5, v5, v6, s0 :: v_dual_mov_b32 v6, v3
	v_cmp_eq_u32_e64 s0, 0, v5
	s_or_b32 s6, s0, s6
	s_delay_alu instid0(SALU_CYCLE_1)
	s_and_not1_b32 exec_lo, exec_lo, s6
	s_cbranch_execnz .LBB17_54
; %bb.55:
	s_or_b32 exec_lo, exec_lo, s6
	v_mov_b32_e32 v6, v3
.LBB17_56:
	s_or_b32 exec_lo, exec_lo, s3
	s_delay_alu instid0(VALU_DEP_1) | instskip(SKIP_2) | instid1(SALU_CYCLE_1)
	v_mov_b32_e32 v3, v6
	s_or_b32 exec_lo, exec_lo, s1
	s_and_saveexec_b32 s0, vcc_lo
	s_xor_b32 s0, exec_lo, s0
	s_cbranch_execz .LBB17_47
.LBB17_57:
	v_mov_b32_e32 v0, v11
	global_store_b32 v10, v2, s[4:5] scale_offset
	s_wait_xcnt 0x0
	s_or_b32 exec_lo, exec_lo, s0
	s_delay_alu instid0(SALU_CYCLE_1)
	s_mov_b32 s0, exec_lo
	v_cmpx_gt_i32_e64 s10, v0
	s_cbranch_execz .LBB17_48
.LBB17_58:
	v_add_nc_u32_e32 v2, s2, v0
	v_add_nc_u32_e32 v0, 0x100, v0
	global_store_b32 v2, v1, s[4:5] scale_offset
	s_wait_xcnt 0x0
	s_or_b32 exec_lo, exec_lo, s0
	s_delay_alu instid0(SALU_CYCLE_1)
	s_mov_b32 s0, exec_lo
	v_cmpx_gt_i32_e64 s10, v0
	s_cbranch_execz .LBB17_49
.LBB17_59:
	v_add_nc_u32_e32 v1, s2, v0
	v_add_nc_u32_e32 v0, 0x100, v0
	global_store_b32 v1, v4, s[4:5] scale_offset
	s_wait_xcnt 0x0
	s_or_b32 exec_lo, exec_lo, s0
	s_delay_alu instid0(SALU_CYCLE_1)
	s_mov_b32 s0, exec_lo
	v_cmpx_gt_i32_e64 s10, v0
	s_cbranch_execnz .LBB17_50
	s_branch .LBB17_51
	.section	.rodata,"a",@progbits
	.p2align	6, 0x0
	.amdhsa_kernel _ZN2at6native29vectorized_elementwise_kernelILi8EZZZNS0_15gcd_kernel_cudaERNS_18TensorIteratorBaseEENKUlvE_clEvENKUlvE1_clEvEUliiE_St5arrayIPcLm3EEEEviT0_T1_
		.amdhsa_group_segment_fixed_size 0
		.amdhsa_private_segment_fixed_size 0
		.amdhsa_kernarg_size 32
		.amdhsa_user_sgpr_count 2
		.amdhsa_user_sgpr_dispatch_ptr 0
		.amdhsa_user_sgpr_queue_ptr 0
		.amdhsa_user_sgpr_kernarg_segment_ptr 1
		.amdhsa_user_sgpr_dispatch_id 0
		.amdhsa_user_sgpr_kernarg_preload_length 0
		.amdhsa_user_sgpr_kernarg_preload_offset 0
		.amdhsa_user_sgpr_private_segment_size 0
		.amdhsa_wavefront_size32 1
		.amdhsa_uses_dynamic_stack 0
		.amdhsa_enable_private_segment 0
		.amdhsa_system_sgpr_workgroup_id_x 1
		.amdhsa_system_sgpr_workgroup_id_y 0
		.amdhsa_system_sgpr_workgroup_id_z 0
		.amdhsa_system_sgpr_workgroup_info 0
		.amdhsa_system_vgpr_workitem_id 0
		.amdhsa_next_free_vgpr 18
		.amdhsa_next_free_sgpr 14
		.amdhsa_named_barrier_count 0
		.amdhsa_reserve_vcc 1
		.amdhsa_float_round_mode_32 0
		.amdhsa_float_round_mode_16_64 0
		.amdhsa_float_denorm_mode_32 3
		.amdhsa_float_denorm_mode_16_64 3
		.amdhsa_fp16_overflow 0
		.amdhsa_memory_ordered 1
		.amdhsa_forward_progress 1
		.amdhsa_inst_pref_size 22
		.amdhsa_round_robin_scheduling 0
		.amdhsa_exception_fp_ieee_invalid_op 0
		.amdhsa_exception_fp_denorm_src 0
		.amdhsa_exception_fp_ieee_div_zero 0
		.amdhsa_exception_fp_ieee_overflow 0
		.amdhsa_exception_fp_ieee_underflow 0
		.amdhsa_exception_fp_ieee_inexact 0
		.amdhsa_exception_int_div_zero 0
	.end_amdhsa_kernel
	.section	.text._ZN2at6native29vectorized_elementwise_kernelILi8EZZZNS0_15gcd_kernel_cudaERNS_18TensorIteratorBaseEENKUlvE_clEvENKUlvE1_clEvEUliiE_St5arrayIPcLm3EEEEviT0_T1_,"axG",@progbits,_ZN2at6native29vectorized_elementwise_kernelILi8EZZZNS0_15gcd_kernel_cudaERNS_18TensorIteratorBaseEENKUlvE_clEvENKUlvE1_clEvEUliiE_St5arrayIPcLm3EEEEviT0_T1_,comdat
.Lfunc_end17:
	.size	_ZN2at6native29vectorized_elementwise_kernelILi8EZZZNS0_15gcd_kernel_cudaERNS_18TensorIteratorBaseEENKUlvE_clEvENKUlvE1_clEvEUliiE_St5arrayIPcLm3EEEEviT0_T1_, .Lfunc_end17-_ZN2at6native29vectorized_elementwise_kernelILi8EZZZNS0_15gcd_kernel_cudaERNS_18TensorIteratorBaseEENKUlvE_clEvENKUlvE1_clEvEUliiE_St5arrayIPcLm3EEEEviT0_T1_
                                        ; -- End function
	.set _ZN2at6native29vectorized_elementwise_kernelILi8EZZZNS0_15gcd_kernel_cudaERNS_18TensorIteratorBaseEENKUlvE_clEvENKUlvE1_clEvEUliiE_St5arrayIPcLm3EEEEviT0_T1_.num_vgpr, 18
	.set _ZN2at6native29vectorized_elementwise_kernelILi8EZZZNS0_15gcd_kernel_cudaERNS_18TensorIteratorBaseEENKUlvE_clEvENKUlvE1_clEvEUliiE_St5arrayIPcLm3EEEEviT0_T1_.num_agpr, 0
	.set _ZN2at6native29vectorized_elementwise_kernelILi8EZZZNS0_15gcd_kernel_cudaERNS_18TensorIteratorBaseEENKUlvE_clEvENKUlvE1_clEvEUliiE_St5arrayIPcLm3EEEEviT0_T1_.numbered_sgpr, 14
	.set _ZN2at6native29vectorized_elementwise_kernelILi8EZZZNS0_15gcd_kernel_cudaERNS_18TensorIteratorBaseEENKUlvE_clEvENKUlvE1_clEvEUliiE_St5arrayIPcLm3EEEEviT0_T1_.num_named_barrier, 0
	.set _ZN2at6native29vectorized_elementwise_kernelILi8EZZZNS0_15gcd_kernel_cudaERNS_18TensorIteratorBaseEENKUlvE_clEvENKUlvE1_clEvEUliiE_St5arrayIPcLm3EEEEviT0_T1_.private_seg_size, 0
	.set _ZN2at6native29vectorized_elementwise_kernelILi8EZZZNS0_15gcd_kernel_cudaERNS_18TensorIteratorBaseEENKUlvE_clEvENKUlvE1_clEvEUliiE_St5arrayIPcLm3EEEEviT0_T1_.uses_vcc, 1
	.set _ZN2at6native29vectorized_elementwise_kernelILi8EZZZNS0_15gcd_kernel_cudaERNS_18TensorIteratorBaseEENKUlvE_clEvENKUlvE1_clEvEUliiE_St5arrayIPcLm3EEEEviT0_T1_.uses_flat_scratch, 0
	.set _ZN2at6native29vectorized_elementwise_kernelILi8EZZZNS0_15gcd_kernel_cudaERNS_18TensorIteratorBaseEENKUlvE_clEvENKUlvE1_clEvEUliiE_St5arrayIPcLm3EEEEviT0_T1_.has_dyn_sized_stack, 0
	.set _ZN2at6native29vectorized_elementwise_kernelILi8EZZZNS0_15gcd_kernel_cudaERNS_18TensorIteratorBaseEENKUlvE_clEvENKUlvE1_clEvEUliiE_St5arrayIPcLm3EEEEviT0_T1_.has_recursion, 0
	.set _ZN2at6native29vectorized_elementwise_kernelILi8EZZZNS0_15gcd_kernel_cudaERNS_18TensorIteratorBaseEENKUlvE_clEvENKUlvE1_clEvEUliiE_St5arrayIPcLm3EEEEviT0_T1_.has_indirect_call, 0
	.section	.AMDGPU.csdata,"",@progbits
; Kernel info:
; codeLenInByte = 2704
; TotalNumSgprs: 16
; NumVgprs: 18
; ScratchSize: 0
; MemoryBound: 0
; FloatMode: 240
; IeeeMode: 1
; LDSByteSize: 0 bytes/workgroup (compile time only)
; SGPRBlocks: 0
; VGPRBlocks: 1
; NumSGPRsForWavesPerEU: 16
; NumVGPRsForWavesPerEU: 18
; NamedBarCnt: 0
; Occupancy: 16
; WaveLimiterHint : 0
; COMPUTE_PGM_RSRC2:SCRATCH_EN: 0
; COMPUTE_PGM_RSRC2:USER_SGPR: 2
; COMPUTE_PGM_RSRC2:TRAP_HANDLER: 0
; COMPUTE_PGM_RSRC2:TGID_X_EN: 1
; COMPUTE_PGM_RSRC2:TGID_Y_EN: 0
; COMPUTE_PGM_RSRC2:TGID_Z_EN: 0
; COMPUTE_PGM_RSRC2:TIDIG_COMP_CNT: 0
	.section	.text._ZN2at6native29vectorized_elementwise_kernelILi4EZZZNS0_15gcd_kernel_cudaERNS_18TensorIteratorBaseEENKUlvE_clEvENKUlvE1_clEvEUliiE_St5arrayIPcLm3EEEEviT0_T1_,"axG",@progbits,_ZN2at6native29vectorized_elementwise_kernelILi4EZZZNS0_15gcd_kernel_cudaERNS_18TensorIteratorBaseEENKUlvE_clEvENKUlvE1_clEvEUliiE_St5arrayIPcLm3EEEEviT0_T1_,comdat
	.globl	_ZN2at6native29vectorized_elementwise_kernelILi4EZZZNS0_15gcd_kernel_cudaERNS_18TensorIteratorBaseEENKUlvE_clEvENKUlvE1_clEvEUliiE_St5arrayIPcLm3EEEEviT0_T1_ ; -- Begin function _ZN2at6native29vectorized_elementwise_kernelILi4EZZZNS0_15gcd_kernel_cudaERNS_18TensorIteratorBaseEENKUlvE_clEvENKUlvE1_clEvEUliiE_St5arrayIPcLm3EEEEviT0_T1_
	.p2align	8
	.type	_ZN2at6native29vectorized_elementwise_kernelILi4EZZZNS0_15gcd_kernel_cudaERNS_18TensorIteratorBaseEENKUlvE_clEvENKUlvE1_clEvEUliiE_St5arrayIPcLm3EEEEviT0_T1_,@function
_ZN2at6native29vectorized_elementwise_kernelILi4EZZZNS0_15gcd_kernel_cudaERNS_18TensorIteratorBaseEENKUlvE_clEvENKUlvE1_clEvEUliiE_St5arrayIPcLm3EEEEviT0_T1_: ; @_ZN2at6native29vectorized_elementwise_kernelILi4EZZZNS0_15gcd_kernel_cudaERNS_18TensorIteratorBaseEENKUlvE_clEvENKUlvE1_clEvEUliiE_St5arrayIPcLm3EEEEviT0_T1_
; %bb.0:
	s_clause 0x2
	s_load_b32 s3, s[0:1], 0x0
	s_load_b128 s[4:7], s[0:1], 0x8
	s_load_b64 s[8:9], s[0:1], 0x18
	s_wait_xcnt 0x0
	s_bfe_u32 s0, ttmp6, 0x4000c
	s_and_b32 s1, ttmp6, 15
	s_add_co_i32 s0, s0, 1
	s_getreg_b32 s2, hwreg(HW_REG_IB_STS2, 6, 4)
	s_mul_i32 s0, ttmp9, s0
	s_delay_alu instid0(SALU_CYCLE_1) | instskip(SKIP_2) | instid1(SALU_CYCLE_1)
	s_add_co_i32 s1, s1, s0
	s_cmp_eq_u32 s2, 0
	s_cselect_b32 s0, ttmp9, s1
	s_lshl_b32 s2, s0, 10
	s_mov_b32 s0, -1
	s_wait_kmcnt 0x0
	s_sub_co_i32 s10, s3, s2
	s_delay_alu instid0(SALU_CYCLE_1)
	s_cmp_gt_i32 s10, 0x3ff
	s_cbranch_scc0 .LBB18_18
; %bb.1:
	s_ashr_i32 s3, s2, 31
	s_delay_alu instid0(SALU_CYCLE_1)
	s_lshl_b64 s[0:1], s[2:3], 2
	s_mov_b32 s3, exec_lo
	s_add_nc_u64 s[12:13], s[8:9], s[0:1]
	global_load_b128 v[8:11], v0, s[12:13] scale_offset
	s_wait_xcnt 0x0
	s_add_nc_u64 s[12:13], s[6:7], s[0:1]
	global_load_b128 v[4:7], v0, s[12:13] scale_offset
	s_wait_loadcnt 0x1
	v_sub_nc_u32_e32 v1, 0, v8
	s_delay_alu instid0(VALU_DEP_1)
	v_max_i32_e32 v2, v8, v1
	s_wait_loadcnt 0x0
	v_cmpx_ne_u32_e32 0, v4
	s_cbranch_execz .LBB18_5
; %bb.2:
	v_sub_nc_u32_e32 v1, 0, v4
	s_mov_b32 s11, 0
	s_delay_alu instid0(VALU_DEP_1)
	v_max_i32_e32 v3, v4, v1
.LBB18_3:                               ; =>This Inner Loop Header: Depth=1
	s_delay_alu instid0(VALU_DEP_1) | instskip(NEXT) | instid1(VALU_DEP_1)
	v_mov_b32_e32 v1, v3
	v_cvt_f32_u32_e32 v3, v1
	v_sub_nc_u32_e32 v4, 0, v1
	s_delay_alu instid0(VALU_DEP_2) | instskip(SKIP_1) | instid1(TRANS32_DEP_1)
	v_rcp_iflag_f32_e32 v3, v3
	v_nop
	v_mul_f32_e32 v3, 0x4f7ffffe, v3
	s_delay_alu instid0(VALU_DEP_1) | instskip(NEXT) | instid1(VALU_DEP_1)
	v_cvt_u32_f32_e32 v3, v3
	v_mul_lo_u32 v4, v4, v3
	s_delay_alu instid0(VALU_DEP_1) | instskip(NEXT) | instid1(VALU_DEP_1)
	v_mul_hi_u32 v4, v3, v4
	v_add_nc_u32_e32 v3, v3, v4
	s_delay_alu instid0(VALU_DEP_1) | instskip(NEXT) | instid1(VALU_DEP_1)
	v_mul_hi_u32 v3, v2, v3
	v_mul_lo_u32 v3, v3, v1
	s_delay_alu instid0(VALU_DEP_1) | instskip(NEXT) | instid1(VALU_DEP_1)
	v_sub_nc_u32_e32 v2, v2, v3
	v_sub_nc_u32_e32 v3, v2, v1
	v_cmp_ge_u32_e32 vcc_lo, v2, v1
	s_delay_alu instid0(VALU_DEP_2) | instskip(NEXT) | instid1(VALU_DEP_1)
	v_cndmask_b32_e32 v2, v2, v3, vcc_lo
	v_sub_nc_u32_e32 v3, v2, v1
	v_cmp_ge_u32_e32 vcc_lo, v2, v1
	s_delay_alu instid0(VALU_DEP_2) | instskip(NEXT) | instid1(VALU_DEP_1)
	v_dual_cndmask_b32 v3, v2, v3 :: v_dual_mov_b32 v2, v1
	v_cmp_eq_u32_e32 vcc_lo, 0, v3
	s_or_b32 s11, vcc_lo, s11
	s_delay_alu instid0(SALU_CYCLE_1)
	s_and_not1_b32 exec_lo, exec_lo, s11
	s_cbranch_execnz .LBB18_3
; %bb.4:
	s_or_b32 exec_lo, exec_lo, s11
	v_mov_b32_e32 v2, v1
.LBB18_5:
	s_or_b32 exec_lo, exec_lo, s3
	v_sub_nc_u32_e32 v1, 0, v9
	s_mov_b32 s11, 0
	s_mov_b32 s3, exec_lo
	s_delay_alu instid0(VALU_DEP_1)
	v_max_i32_e32 v3, v9, v1
	v_cmpx_ne_u32_e32 0, v5
	s_cbranch_execz .LBB18_9
; %bb.6:
	v_sub_nc_u32_e32 v1, 0, v5
	s_delay_alu instid0(VALU_DEP_1)
	v_max_i32_e32 v4, v5, v1
.LBB18_7:                               ; =>This Inner Loop Header: Depth=1
	s_delay_alu instid0(VALU_DEP_1) | instskip(NEXT) | instid1(VALU_DEP_1)
	v_mov_b32_e32 v1, v4
	v_cvt_f32_u32_e32 v4, v1
	s_delay_alu instid0(VALU_DEP_1) | instskip(SKIP_1) | instid1(TRANS32_DEP_1)
	v_rcp_iflag_f32_e32 v4, v4
	v_nop
	v_dual_mul_f32 v4, 0x4f7ffffe, v4 :: v_dual_sub_nc_u32 v5, 0, v1
	s_delay_alu instid0(VALU_DEP_1) | instskip(NEXT) | instid1(VALU_DEP_1)
	v_cvt_u32_f32_e32 v4, v4
	v_mul_lo_u32 v5, v5, v4
	s_delay_alu instid0(VALU_DEP_1) | instskip(NEXT) | instid1(VALU_DEP_1)
	v_mul_hi_u32 v5, v4, v5
	v_add_nc_u32_e32 v4, v4, v5
	s_delay_alu instid0(VALU_DEP_1) | instskip(NEXT) | instid1(VALU_DEP_1)
	v_mul_hi_u32 v4, v3, v4
	v_mul_lo_u32 v4, v4, v1
	s_delay_alu instid0(VALU_DEP_1) | instskip(NEXT) | instid1(VALU_DEP_1)
	v_sub_nc_u32_e32 v3, v3, v4
	v_sub_nc_u32_e32 v4, v3, v1
	v_cmp_ge_u32_e32 vcc_lo, v3, v1
	s_delay_alu instid0(VALU_DEP_2) | instskip(NEXT) | instid1(VALU_DEP_1)
	v_cndmask_b32_e32 v3, v3, v4, vcc_lo
	v_sub_nc_u32_e32 v4, v3, v1
	v_cmp_ge_u32_e32 vcc_lo, v3, v1
	s_delay_alu instid0(VALU_DEP_2) | instskip(NEXT) | instid1(VALU_DEP_1)
	v_dual_cndmask_b32 v4, v3, v4 :: v_dual_mov_b32 v3, v1
	v_cmp_eq_u32_e32 vcc_lo, 0, v4
	s_or_b32 s11, vcc_lo, s11
	s_delay_alu instid0(SALU_CYCLE_1)
	s_and_not1_b32 exec_lo, exec_lo, s11
	s_cbranch_execnz .LBB18_7
; %bb.8:
	s_or_b32 exec_lo, exec_lo, s11
	v_mov_b32_e32 v3, v1
.LBB18_9:
	s_or_b32 exec_lo, exec_lo, s3
	v_sub_nc_u32_e32 v1, 0, v10
	s_mov_b32 s11, 0
	s_mov_b32 s3, exec_lo
	s_delay_alu instid0(VALU_DEP_1)
	v_max_i32_e32 v4, v10, v1
	v_cmpx_ne_u32_e32 0, v6
	s_cbranch_execz .LBB18_13
; %bb.10:
	v_sub_nc_u32_e32 v1, 0, v6
	s_delay_alu instid0(VALU_DEP_1)
	v_max_i32_e32 v5, v6, v1
.LBB18_11:                              ; =>This Inner Loop Header: Depth=1
	s_delay_alu instid0(VALU_DEP_1) | instskip(NEXT) | instid1(VALU_DEP_1)
	v_mov_b32_e32 v1, v5
	v_cvt_f32_u32_e32 v5, v1
	v_sub_nc_u32_e32 v6, 0, v1
	s_delay_alu instid0(VALU_DEP_2) | instskip(SKIP_1) | instid1(TRANS32_DEP_1)
	v_rcp_iflag_f32_e32 v5, v5
	v_nop
	v_mul_f32_e32 v5, 0x4f7ffffe, v5
	s_delay_alu instid0(VALU_DEP_1) | instskip(NEXT) | instid1(VALU_DEP_1)
	v_cvt_u32_f32_e32 v5, v5
	v_mul_lo_u32 v6, v6, v5
	s_delay_alu instid0(VALU_DEP_1) | instskip(NEXT) | instid1(VALU_DEP_1)
	v_mul_hi_u32 v6, v5, v6
	v_add_nc_u32_e32 v5, v5, v6
	s_delay_alu instid0(VALU_DEP_1) | instskip(NEXT) | instid1(VALU_DEP_1)
	v_mul_hi_u32 v5, v4, v5
	v_mul_lo_u32 v5, v5, v1
	s_delay_alu instid0(VALU_DEP_1) | instskip(NEXT) | instid1(VALU_DEP_1)
	v_sub_nc_u32_e32 v4, v4, v5
	v_sub_nc_u32_e32 v5, v4, v1
	v_cmp_ge_u32_e32 vcc_lo, v4, v1
	s_delay_alu instid0(VALU_DEP_2) | instskip(NEXT) | instid1(VALU_DEP_1)
	v_cndmask_b32_e32 v4, v4, v5, vcc_lo
	v_sub_nc_u32_e32 v5, v4, v1
	v_cmp_ge_u32_e32 vcc_lo, v4, v1
	s_delay_alu instid0(VALU_DEP_2) | instskip(NEXT) | instid1(VALU_DEP_1)
	v_dual_cndmask_b32 v5, v4, v5 :: v_dual_mov_b32 v4, v1
	v_cmp_eq_u32_e32 vcc_lo, 0, v5
	s_or_b32 s11, vcc_lo, s11
	s_delay_alu instid0(SALU_CYCLE_1)
	s_and_not1_b32 exec_lo, exec_lo, s11
	s_cbranch_execnz .LBB18_11
; %bb.12:
	s_or_b32 exec_lo, exec_lo, s11
	v_mov_b32_e32 v4, v1
.LBB18_13:
	s_or_b32 exec_lo, exec_lo, s3
	v_sub_nc_u32_e32 v1, 0, v11
	s_mov_b32 s11, 0
	s_mov_b32 s3, exec_lo
	s_delay_alu instid0(VALU_DEP_1)
	v_max_i32_e32 v5, v11, v1
	v_cmpx_ne_u32_e32 0, v7
	s_cbranch_execz .LBB18_17
; %bb.14:
	v_sub_nc_u32_e32 v1, 0, v7
	s_delay_alu instid0(VALU_DEP_1)
	v_max_i32_e32 v6, v7, v1
.LBB18_15:                              ; =>This Inner Loop Header: Depth=1
	s_delay_alu instid0(VALU_DEP_1) | instskip(NEXT) | instid1(VALU_DEP_1)
	v_mov_b32_e32 v1, v6
	v_cvt_f32_u32_e32 v6, v1
	s_delay_alu instid0(VALU_DEP_1) | instskip(SKIP_1) | instid1(TRANS32_DEP_1)
	v_rcp_iflag_f32_e32 v6, v6
	v_nop
	v_dual_mul_f32 v6, 0x4f7ffffe, v6 :: v_dual_sub_nc_u32 v7, 0, v1
	s_delay_alu instid0(VALU_DEP_1) | instskip(NEXT) | instid1(VALU_DEP_1)
	v_cvt_u32_f32_e32 v6, v6
	v_mul_lo_u32 v7, v7, v6
	s_delay_alu instid0(VALU_DEP_1) | instskip(NEXT) | instid1(VALU_DEP_1)
	v_mul_hi_u32 v7, v6, v7
	v_add_nc_u32_e32 v6, v6, v7
	s_delay_alu instid0(VALU_DEP_1) | instskip(NEXT) | instid1(VALU_DEP_1)
	v_mul_hi_u32 v6, v5, v6
	v_mul_lo_u32 v6, v6, v1
	s_delay_alu instid0(VALU_DEP_1) | instskip(NEXT) | instid1(VALU_DEP_1)
	v_sub_nc_u32_e32 v5, v5, v6
	v_sub_nc_u32_e32 v6, v5, v1
	v_cmp_ge_u32_e32 vcc_lo, v5, v1
	s_delay_alu instid0(VALU_DEP_2) | instskip(NEXT) | instid1(VALU_DEP_1)
	v_cndmask_b32_e32 v5, v5, v6, vcc_lo
	v_sub_nc_u32_e32 v6, v5, v1
	v_cmp_ge_u32_e32 vcc_lo, v5, v1
	s_delay_alu instid0(VALU_DEP_2) | instskip(SKIP_1) | instid1(VALU_DEP_2)
	v_cndmask_b32_e32 v6, v5, v6, vcc_lo
	v_mov_b32_e32 v5, v1
	v_cmp_eq_u32_e32 vcc_lo, 0, v6
	s_or_b32 s11, vcc_lo, s11
	s_delay_alu instid0(SALU_CYCLE_1)
	s_and_not1_b32 exec_lo, exec_lo, s11
	s_cbranch_execnz .LBB18_15
; %bb.16:
	s_or_b32 exec_lo, exec_lo, s11
	v_mov_b32_e32 v5, v1
.LBB18_17:
	s_or_b32 exec_lo, exec_lo, s3
	s_add_nc_u64 s[12:13], s[4:5], s[0:1]
	s_mov_b32 s0, 0
	global_store_b128 v0, v[2:5], s[12:13] scale_offset
.LBB18_18:
	s_and_b32 vcc_lo, exec_lo, s0
	s_cbranch_vccz .LBB18_51
; %bb.19:
	v_cmp_gt_i32_e32 vcc_lo, s10, v0
	s_wait_xcnt 0x0
	v_dual_mov_b32 v2, 0 :: v_dual_bitop2_b32 v10, s2, v0 bitop3:0x54
	v_or_b32_e32 v11, 0x100, v0
	v_dual_mov_b32 v12, 0 :: v_dual_mov_b32 v6, 0
	v_dual_mov_b32 v13, 0 :: v_dual_mov_b32 v5, 0
	;; [unrolled: 1-line block ×4, first 2 shown]
	s_and_saveexec_b32 s1, vcc_lo
	s_cbranch_execz .LBB18_27
; %bb.20:
	s_clause 0x1
	global_load_b32 v16, v10, s[6:7] scale_offset
	global_load_b32 v17, v10, s[8:9] scale_offset
	v_or_b32_e32 v1, 0x100, v0
	v_dual_mov_b32 v15, 0 :: v_dual_mov_b32 v14, 0
	v_dual_mov_b32 v5, 0 :: v_dual_mov_b32 v13, 0
	;; [unrolled: 1-line block ×3, first 2 shown]
	s_mov_b32 s3, exec_lo
	s_wait_xcnt 0x0
	v_cmpx_gt_u32_e64 s10, v1
	s_cbranch_execz .LBB18_26
; %bb.21:
	v_dual_mov_b32 v5, 0 :: v_dual_add_nc_u32 v4, s2, v0
	v_or_b32_e32 v1, 0x200, v0
	v_dual_mov_b32 v13, 0 :: v_dual_mov_b32 v6, 0
	s_clause 0x1
	global_load_b32 v14, v4, s[6:7] offset:1024 scale_offset
	global_load_b32 v15, v4, s[8:9] offset:1024 scale_offset
	v_mov_b32_e32 v12, 0
	s_mov_b32 s11, exec_lo
	s_wait_xcnt 0x0
	v_cmpx_gt_u32_e64 s10, v1
	s_cbranch_execz .LBB18_25
; %bb.22:
	v_lshlrev_b64_e32 v[8:9], 2, v[4:5]
	v_or_b32_e32 v3, 0x300, v0
	v_mov_b32_e32 v12, 0
	s_delay_alu instid0(VALU_DEP_3)
	v_add_nc_u64_e32 v[6:7], s[6:7], v[8:9]
	v_add_nc_u64_e32 v[8:9], s[8:9], v[8:9]
	s_mov_b32 s6, exec_lo
	global_load_b32 v13, v[6:7], off offset:2048
	global_load_b32 v1, v[8:9], off offset:2048
	s_wait_xcnt 0x0
	v_cmpx_gt_u32_e64 s10, v3
	s_cbranch_execz .LBB18_24
; %bb.23:
	global_load_b32 v3, v[8:9], off offset:3072
	global_load_b32 v12, v[6:7], off offset:3072
	s_wait_loadcnt 0x1
	v_sub_nc_u32_e32 v4, 0, v3
	s_delay_alu instid0(VALU_DEP_1)
	v_max_i32_e32 v5, v3, v4
.LBB18_24:
	s_wait_xcnt 0x0
	s_or_b32 exec_lo, exec_lo, s6
	s_wait_loadcnt 0x0
	s_delay_alu instid0(VALU_DEP_1)
	v_dual_mov_b32 v6, v5 :: v_dual_mov_b32 v5, v1
.LBB18_25:
	s_or_b32 exec_lo, exec_lo, s11
.LBB18_26:
	s_delay_alu instid0(SALU_CYCLE_1)
	s_or_b32 exec_lo, exec_lo, s3
.LBB18_27:
	s_delay_alu instid0(SALU_CYCLE_1)
	s_or_b32 exec_lo, exec_lo, s1
	v_dual_mov_b32 v1, v2 :: v_dual_mov_b32 v4, v2
	v_mov_b32_e32 v3, v2
	s_and_saveexec_b32 s1, vcc_lo
	s_cbranch_execz .LBB18_33
; %bb.28:
	s_wait_loadcnt 0x0
	v_sub_nc_u32_e32 v1, 0, v17
	s_mov_b32 s3, exec_lo
	s_delay_alu instid0(VALU_DEP_1)
	v_max_i32_e32 v2, v17, v1
	v_cmpx_ne_u32_e32 0, v16
	s_cbranch_execz .LBB18_32
; %bb.29:
	v_sub_nc_u32_e32 v1, 0, v16
	s_mov_b32 s6, 0
	s_delay_alu instid0(VALU_DEP_1)
	v_max_i32_e32 v3, v16, v1
.LBB18_30:                              ; =>This Inner Loop Header: Depth=1
	s_delay_alu instid0(VALU_DEP_1) | instskip(NEXT) | instid1(VALU_DEP_1)
	v_mov_b32_e32 v1, v3
	v_cvt_f32_u32_e32 v3, v1
	v_sub_nc_u32_e32 v4, 0, v1
	s_delay_alu instid0(VALU_DEP_2) | instskip(SKIP_1) | instid1(TRANS32_DEP_1)
	v_rcp_iflag_f32_e32 v3, v3
	v_nop
	v_mul_f32_e32 v3, 0x4f7ffffe, v3
	s_delay_alu instid0(VALU_DEP_1) | instskip(NEXT) | instid1(VALU_DEP_1)
	v_cvt_u32_f32_e32 v3, v3
	v_mul_lo_u32 v4, v4, v3
	s_delay_alu instid0(VALU_DEP_1) | instskip(NEXT) | instid1(VALU_DEP_1)
	v_mul_hi_u32 v4, v3, v4
	v_add_nc_u32_e32 v3, v3, v4
	s_delay_alu instid0(VALU_DEP_1) | instskip(NEXT) | instid1(VALU_DEP_1)
	v_mul_hi_u32 v3, v2, v3
	v_mul_lo_u32 v3, v3, v1
	s_delay_alu instid0(VALU_DEP_1) | instskip(NEXT) | instid1(VALU_DEP_1)
	v_sub_nc_u32_e32 v2, v2, v3
	v_sub_nc_u32_e32 v3, v2, v1
	v_cmp_ge_u32_e64 s0, v2, v1
	s_delay_alu instid0(VALU_DEP_1) | instskip(NEXT) | instid1(VALU_DEP_1)
	v_cndmask_b32_e64 v2, v2, v3, s0
	v_sub_nc_u32_e32 v3, v2, v1
	v_cmp_ge_u32_e64 s0, v2, v1
	s_delay_alu instid0(VALU_DEP_1) | instskip(NEXT) | instid1(VALU_DEP_1)
	v_dual_cndmask_b32 v3, v2, v3, s0 :: v_dual_mov_b32 v2, v1
	v_cmp_eq_u32_e64 s0, 0, v3
	s_or_b32 s6, s0, s6
	s_delay_alu instid0(SALU_CYCLE_1)
	s_and_not1_b32 exec_lo, exec_lo, s6
	s_cbranch_execnz .LBB18_30
; %bb.31:
	s_or_b32 exec_lo, exec_lo, s6
	v_mov_b32_e32 v2, v1
.LBB18_32:
	s_or_b32 exec_lo, exec_lo, s3
	v_mov_b32_e32 v1, 0
	s_delay_alu instid0(VALU_DEP_1)
	v_dual_mov_b32 v4, v1 :: v_dual_mov_b32 v3, v1
.LBB18_33:
	s_or_b32 exec_lo, exec_lo, s1
	s_delay_alu instid0(SALU_CYCLE_1)
	s_mov_b32 s1, exec_lo
	v_cmpx_gt_i32_e64 s10, v11
	s_cbranch_execz .LBB18_39
; %bb.34:
	s_wait_loadcnt 0x0
	v_sub_nc_u32_e32 v1, 0, v15
	s_mov_b32 s6, 0
	s_mov_b32 s3, exec_lo
	s_delay_alu instid0(VALU_DEP_1)
	v_max_i32_e32 v1, v15, v1
	v_cmpx_ne_u32_e32 0, v14
	s_cbranch_execz .LBB18_38
; %bb.35:
	v_sub_nc_u32_e32 v7, 0, v14
	s_delay_alu instid0(VALU_DEP_1)
	v_max_i32_e32 v8, v14, v7
.LBB18_36:                              ; =>This Inner Loop Header: Depth=1
	s_delay_alu instid0(VALU_DEP_1) | instskip(NEXT) | instid1(VALU_DEP_1)
	v_mov_b32_e32 v7, v8
	v_cvt_f32_u32_e32 v8, v7
	s_delay_alu instid0(VALU_DEP_1) | instskip(SKIP_1) | instid1(TRANS32_DEP_1)
	v_rcp_iflag_f32_e32 v8, v8
	v_nop
	v_dual_mul_f32 v8, 0x4f7ffffe, v8 :: v_dual_sub_nc_u32 v9, 0, v7
	s_delay_alu instid0(VALU_DEP_1) | instskip(NEXT) | instid1(VALU_DEP_1)
	v_cvt_u32_f32_e32 v8, v8
	v_mul_lo_u32 v9, v9, v8
	s_delay_alu instid0(VALU_DEP_1) | instskip(NEXT) | instid1(VALU_DEP_1)
	v_mul_hi_u32 v9, v8, v9
	v_add_nc_u32_e32 v8, v8, v9
	s_delay_alu instid0(VALU_DEP_1) | instskip(NEXT) | instid1(VALU_DEP_1)
	v_mul_hi_u32 v8, v1, v8
	v_mul_lo_u32 v8, v8, v7
	s_delay_alu instid0(VALU_DEP_1) | instskip(NEXT) | instid1(VALU_DEP_1)
	v_sub_nc_u32_e32 v1, v1, v8
	v_sub_nc_u32_e32 v8, v1, v7
	v_cmp_ge_u32_e64 s0, v1, v7
	s_delay_alu instid0(VALU_DEP_1) | instskip(NEXT) | instid1(VALU_DEP_1)
	v_cndmask_b32_e64 v1, v1, v8, s0
	v_sub_nc_u32_e32 v8, v1, v7
	v_cmp_ge_u32_e64 s0, v1, v7
	s_delay_alu instid0(VALU_DEP_1) | instskip(NEXT) | instid1(VALU_DEP_1)
	v_dual_cndmask_b32 v8, v1, v8, s0 :: v_dual_mov_b32 v1, v7
	v_cmp_eq_u32_e64 s0, 0, v8
	s_or_b32 s6, s0, s6
	s_delay_alu instid0(SALU_CYCLE_1)
	s_and_not1_b32 exec_lo, exec_lo, s6
	s_cbranch_execnz .LBB18_36
; %bb.37:
	s_or_b32 exec_lo, exec_lo, s6
	v_mov_b32_e32 v1, v7
.LBB18_38:
	s_or_b32 exec_lo, exec_lo, s3
.LBB18_39:
	s_delay_alu instid0(SALU_CYCLE_1) | instskip(SKIP_2) | instid1(VALU_DEP_1)
	s_or_b32 exec_lo, exec_lo, s1
	v_or_b32_e32 v7, 0x200, v0
	s_mov_b32 s1, exec_lo
	v_cmpx_gt_i32_e64 s10, v7
	s_cbranch_execz .LBB18_45
; %bb.40:
	v_sub_nc_u32_e32 v4, 0, v5
	s_mov_b32 s6, 0
	s_mov_b32 s3, exec_lo
	s_delay_alu instid0(VALU_DEP_1)
	v_max_i32_e32 v4, v5, v4
	v_cmpx_ne_u32_e32 0, v13
	s_cbranch_execz .LBB18_44
; %bb.41:
	v_sub_nc_u32_e32 v5, 0, v13
	s_delay_alu instid0(VALU_DEP_1)
	v_max_i32_e32 v7, v13, v5
.LBB18_42:                              ; =>This Inner Loop Header: Depth=1
	s_delay_alu instid0(VALU_DEP_1) | instskip(NEXT) | instid1(VALU_DEP_1)
	v_mov_b32_e32 v5, v7
	v_cvt_f32_u32_e32 v7, v5
	v_sub_nc_u32_e32 v8, 0, v5
	s_delay_alu instid0(VALU_DEP_2) | instskip(SKIP_1) | instid1(TRANS32_DEP_1)
	v_rcp_iflag_f32_e32 v7, v7
	v_nop
	v_mul_f32_e32 v7, 0x4f7ffffe, v7
	s_delay_alu instid0(VALU_DEP_1) | instskip(NEXT) | instid1(VALU_DEP_1)
	v_cvt_u32_f32_e32 v7, v7
	v_mul_lo_u32 v8, v8, v7
	s_delay_alu instid0(VALU_DEP_1) | instskip(NEXT) | instid1(VALU_DEP_1)
	v_mul_hi_u32 v8, v7, v8
	v_add_nc_u32_e32 v7, v7, v8
	s_delay_alu instid0(VALU_DEP_1) | instskip(NEXT) | instid1(VALU_DEP_1)
	v_mul_hi_u32 v7, v4, v7
	v_mul_lo_u32 v7, v7, v5
	s_delay_alu instid0(VALU_DEP_1) | instskip(NEXT) | instid1(VALU_DEP_1)
	v_sub_nc_u32_e32 v4, v4, v7
	v_sub_nc_u32_e32 v7, v4, v5
	v_cmp_ge_u32_e64 s0, v4, v5
	s_delay_alu instid0(VALU_DEP_1) | instskip(NEXT) | instid1(VALU_DEP_1)
	v_cndmask_b32_e64 v4, v4, v7, s0
	v_sub_nc_u32_e32 v7, v4, v5
	v_cmp_ge_u32_e64 s0, v4, v5
	s_delay_alu instid0(VALU_DEP_1) | instskip(NEXT) | instid1(VALU_DEP_1)
	v_dual_cndmask_b32 v7, v4, v7, s0 :: v_dual_mov_b32 v4, v5
	v_cmp_eq_u32_e64 s0, 0, v7
	s_or_b32 s6, s0, s6
	s_delay_alu instid0(SALU_CYCLE_1)
	s_and_not1_b32 exec_lo, exec_lo, s6
	s_cbranch_execnz .LBB18_42
; %bb.43:
	s_or_b32 exec_lo, exec_lo, s6
	v_mov_b32_e32 v4, v5
.LBB18_44:
	s_or_b32 exec_lo, exec_lo, s3
.LBB18_45:
	s_delay_alu instid0(SALU_CYCLE_1) | instskip(SKIP_2) | instid1(VALU_DEP_1)
	s_or_b32 exec_lo, exec_lo, s1
	v_or_b32_e32 v5, 0x300, v0
	s_mov_b32 s1, exec_lo
	v_cmpx_gt_i32_e64 s10, v5
	s_cbranch_execnz .LBB18_52
; %bb.46:
	s_or_b32 exec_lo, exec_lo, s1
	s_and_saveexec_b32 s0, vcc_lo
	s_delay_alu instid0(SALU_CYCLE_1)
	s_xor_b32 s0, exec_lo, s0
	s_cbranch_execnz .LBB18_57
.LBB18_47:
	s_or_b32 exec_lo, exec_lo, s0
	s_delay_alu instid0(SALU_CYCLE_1)
	s_mov_b32 s0, exec_lo
	v_cmpx_gt_i32_e64 s10, v0
	s_cbranch_execnz .LBB18_58
.LBB18_48:
	s_or_b32 exec_lo, exec_lo, s0
	s_delay_alu instid0(SALU_CYCLE_1)
	s_mov_b32 s0, exec_lo
	v_cmpx_gt_i32_e64 s10, v0
	s_cbranch_execnz .LBB18_59
.LBB18_49:
	s_or_b32 exec_lo, exec_lo, s0
	s_delay_alu instid0(SALU_CYCLE_1)
	s_mov_b32 s0, exec_lo
	v_cmpx_gt_i32_e64 s10, v0
	s_cbranch_execz .LBB18_51
.LBB18_50:
	v_add_nc_u32_e32 v0, s2, v0
	global_store_b32 v0, v3, s[4:5] scale_offset
.LBB18_51:
	s_endpgm
.LBB18_52:
	s_mov_b32 s6, 0
	s_mov_b32 s3, exec_lo
	v_cmpx_ne_u32_e32 0, v12
	s_cbranch_execz .LBB18_56
; %bb.53:
	v_sub_nc_u32_e32 v3, 0, v12
	s_delay_alu instid0(VALU_DEP_1)
	v_max_i32_e32 v5, v12, v3
.LBB18_54:                              ; =>This Inner Loop Header: Depth=1
	s_delay_alu instid0(VALU_DEP_1) | instskip(NEXT) | instid1(VALU_DEP_1)
	v_mov_b32_e32 v3, v5
	v_cvt_f32_u32_e32 v5, v3
	v_sub_nc_u32_e32 v7, 0, v3
	s_delay_alu instid0(VALU_DEP_2) | instskip(SKIP_1) | instid1(TRANS32_DEP_1)
	v_rcp_iflag_f32_e32 v5, v5
	v_nop
	v_mul_f32_e32 v5, 0x4f7ffffe, v5
	s_delay_alu instid0(VALU_DEP_1) | instskip(NEXT) | instid1(VALU_DEP_1)
	v_cvt_u32_f32_e32 v5, v5
	v_mul_lo_u32 v7, v7, v5
	s_delay_alu instid0(VALU_DEP_1) | instskip(NEXT) | instid1(VALU_DEP_1)
	v_mul_hi_u32 v7, v5, v7
	v_add_nc_u32_e32 v5, v5, v7
	s_delay_alu instid0(VALU_DEP_1) | instskip(NEXT) | instid1(VALU_DEP_1)
	v_mul_hi_u32 v5, v6, v5
	v_mul_lo_u32 v5, v5, v3
	s_delay_alu instid0(VALU_DEP_1) | instskip(NEXT) | instid1(VALU_DEP_1)
	v_sub_nc_u32_e32 v5, v6, v5
	v_sub_nc_u32_e32 v6, v5, v3
	v_cmp_ge_u32_e64 s0, v5, v3
	s_delay_alu instid0(VALU_DEP_1) | instskip(NEXT) | instid1(VALU_DEP_1)
	v_cndmask_b32_e64 v5, v5, v6, s0
	v_sub_nc_u32_e32 v6, v5, v3
	v_cmp_ge_u32_e64 s0, v5, v3
	s_delay_alu instid0(VALU_DEP_1) | instskip(NEXT) | instid1(VALU_DEP_1)
	v_dual_cndmask_b32 v5, v5, v6, s0 :: v_dual_mov_b32 v6, v3
	v_cmp_eq_u32_e64 s0, 0, v5
	s_or_b32 s6, s0, s6
	s_delay_alu instid0(SALU_CYCLE_1)
	s_and_not1_b32 exec_lo, exec_lo, s6
	s_cbranch_execnz .LBB18_54
; %bb.55:
	s_or_b32 exec_lo, exec_lo, s6
	v_mov_b32_e32 v6, v3
.LBB18_56:
	s_or_b32 exec_lo, exec_lo, s3
	s_delay_alu instid0(VALU_DEP_1) | instskip(SKIP_2) | instid1(SALU_CYCLE_1)
	v_mov_b32_e32 v3, v6
	s_or_b32 exec_lo, exec_lo, s1
	s_and_saveexec_b32 s0, vcc_lo
	s_xor_b32 s0, exec_lo, s0
	s_cbranch_execz .LBB18_47
.LBB18_57:
	v_mov_b32_e32 v0, v11
	global_store_b32 v10, v2, s[4:5] scale_offset
	s_wait_xcnt 0x0
	s_or_b32 exec_lo, exec_lo, s0
	s_delay_alu instid0(SALU_CYCLE_1)
	s_mov_b32 s0, exec_lo
	v_cmpx_gt_i32_e64 s10, v0
	s_cbranch_execz .LBB18_48
.LBB18_58:
	v_add_nc_u32_e32 v2, s2, v0
	v_add_nc_u32_e32 v0, 0x100, v0
	global_store_b32 v2, v1, s[4:5] scale_offset
	s_wait_xcnt 0x0
	s_or_b32 exec_lo, exec_lo, s0
	s_delay_alu instid0(SALU_CYCLE_1)
	s_mov_b32 s0, exec_lo
	v_cmpx_gt_i32_e64 s10, v0
	s_cbranch_execz .LBB18_49
.LBB18_59:
	v_add_nc_u32_e32 v1, s2, v0
	v_add_nc_u32_e32 v0, 0x100, v0
	global_store_b32 v1, v4, s[4:5] scale_offset
	s_wait_xcnt 0x0
	s_or_b32 exec_lo, exec_lo, s0
	s_delay_alu instid0(SALU_CYCLE_1)
	s_mov_b32 s0, exec_lo
	v_cmpx_gt_i32_e64 s10, v0
	s_cbranch_execnz .LBB18_50
	s_branch .LBB18_51
	.section	.rodata,"a",@progbits
	.p2align	6, 0x0
	.amdhsa_kernel _ZN2at6native29vectorized_elementwise_kernelILi4EZZZNS0_15gcd_kernel_cudaERNS_18TensorIteratorBaseEENKUlvE_clEvENKUlvE1_clEvEUliiE_St5arrayIPcLm3EEEEviT0_T1_
		.amdhsa_group_segment_fixed_size 0
		.amdhsa_private_segment_fixed_size 0
		.amdhsa_kernarg_size 32
		.amdhsa_user_sgpr_count 2
		.amdhsa_user_sgpr_dispatch_ptr 0
		.amdhsa_user_sgpr_queue_ptr 0
		.amdhsa_user_sgpr_kernarg_segment_ptr 1
		.amdhsa_user_sgpr_dispatch_id 0
		.amdhsa_user_sgpr_kernarg_preload_length 0
		.amdhsa_user_sgpr_kernarg_preload_offset 0
		.amdhsa_user_sgpr_private_segment_size 0
		.amdhsa_wavefront_size32 1
		.amdhsa_uses_dynamic_stack 0
		.amdhsa_enable_private_segment 0
		.amdhsa_system_sgpr_workgroup_id_x 1
		.amdhsa_system_sgpr_workgroup_id_y 0
		.amdhsa_system_sgpr_workgroup_id_z 0
		.amdhsa_system_sgpr_workgroup_info 0
		.amdhsa_system_vgpr_workitem_id 0
		.amdhsa_next_free_vgpr 18
		.amdhsa_next_free_sgpr 14
		.amdhsa_named_barrier_count 0
		.amdhsa_reserve_vcc 1
		.amdhsa_float_round_mode_32 0
		.amdhsa_float_round_mode_16_64 0
		.amdhsa_float_denorm_mode_32 3
		.amdhsa_float_denorm_mode_16_64 3
		.amdhsa_fp16_overflow 0
		.amdhsa_memory_ordered 1
		.amdhsa_forward_progress 1
		.amdhsa_inst_pref_size 22
		.amdhsa_round_robin_scheduling 0
		.amdhsa_exception_fp_ieee_invalid_op 0
		.amdhsa_exception_fp_denorm_src 0
		.amdhsa_exception_fp_ieee_div_zero 0
		.amdhsa_exception_fp_ieee_overflow 0
		.amdhsa_exception_fp_ieee_underflow 0
		.amdhsa_exception_fp_ieee_inexact 0
		.amdhsa_exception_int_div_zero 0
	.end_amdhsa_kernel
	.section	.text._ZN2at6native29vectorized_elementwise_kernelILi4EZZZNS0_15gcd_kernel_cudaERNS_18TensorIteratorBaseEENKUlvE_clEvENKUlvE1_clEvEUliiE_St5arrayIPcLm3EEEEviT0_T1_,"axG",@progbits,_ZN2at6native29vectorized_elementwise_kernelILi4EZZZNS0_15gcd_kernel_cudaERNS_18TensorIteratorBaseEENKUlvE_clEvENKUlvE1_clEvEUliiE_St5arrayIPcLm3EEEEviT0_T1_,comdat
.Lfunc_end18:
	.size	_ZN2at6native29vectorized_elementwise_kernelILi4EZZZNS0_15gcd_kernel_cudaERNS_18TensorIteratorBaseEENKUlvE_clEvENKUlvE1_clEvEUliiE_St5arrayIPcLm3EEEEviT0_T1_, .Lfunc_end18-_ZN2at6native29vectorized_elementwise_kernelILi4EZZZNS0_15gcd_kernel_cudaERNS_18TensorIteratorBaseEENKUlvE_clEvENKUlvE1_clEvEUliiE_St5arrayIPcLm3EEEEviT0_T1_
                                        ; -- End function
	.set _ZN2at6native29vectorized_elementwise_kernelILi4EZZZNS0_15gcd_kernel_cudaERNS_18TensorIteratorBaseEENKUlvE_clEvENKUlvE1_clEvEUliiE_St5arrayIPcLm3EEEEviT0_T1_.num_vgpr, 18
	.set _ZN2at6native29vectorized_elementwise_kernelILi4EZZZNS0_15gcd_kernel_cudaERNS_18TensorIteratorBaseEENKUlvE_clEvENKUlvE1_clEvEUliiE_St5arrayIPcLm3EEEEviT0_T1_.num_agpr, 0
	.set _ZN2at6native29vectorized_elementwise_kernelILi4EZZZNS0_15gcd_kernel_cudaERNS_18TensorIteratorBaseEENKUlvE_clEvENKUlvE1_clEvEUliiE_St5arrayIPcLm3EEEEviT0_T1_.numbered_sgpr, 14
	.set _ZN2at6native29vectorized_elementwise_kernelILi4EZZZNS0_15gcd_kernel_cudaERNS_18TensorIteratorBaseEENKUlvE_clEvENKUlvE1_clEvEUliiE_St5arrayIPcLm3EEEEviT0_T1_.num_named_barrier, 0
	.set _ZN2at6native29vectorized_elementwise_kernelILi4EZZZNS0_15gcd_kernel_cudaERNS_18TensorIteratorBaseEENKUlvE_clEvENKUlvE1_clEvEUliiE_St5arrayIPcLm3EEEEviT0_T1_.private_seg_size, 0
	.set _ZN2at6native29vectorized_elementwise_kernelILi4EZZZNS0_15gcd_kernel_cudaERNS_18TensorIteratorBaseEENKUlvE_clEvENKUlvE1_clEvEUliiE_St5arrayIPcLm3EEEEviT0_T1_.uses_vcc, 1
	.set _ZN2at6native29vectorized_elementwise_kernelILi4EZZZNS0_15gcd_kernel_cudaERNS_18TensorIteratorBaseEENKUlvE_clEvENKUlvE1_clEvEUliiE_St5arrayIPcLm3EEEEviT0_T1_.uses_flat_scratch, 0
	.set _ZN2at6native29vectorized_elementwise_kernelILi4EZZZNS0_15gcd_kernel_cudaERNS_18TensorIteratorBaseEENKUlvE_clEvENKUlvE1_clEvEUliiE_St5arrayIPcLm3EEEEviT0_T1_.has_dyn_sized_stack, 0
	.set _ZN2at6native29vectorized_elementwise_kernelILi4EZZZNS0_15gcd_kernel_cudaERNS_18TensorIteratorBaseEENKUlvE_clEvENKUlvE1_clEvEUliiE_St5arrayIPcLm3EEEEviT0_T1_.has_recursion, 0
	.set _ZN2at6native29vectorized_elementwise_kernelILi4EZZZNS0_15gcd_kernel_cudaERNS_18TensorIteratorBaseEENKUlvE_clEvENKUlvE1_clEvEUliiE_St5arrayIPcLm3EEEEviT0_T1_.has_indirect_call, 0
	.section	.AMDGPU.csdata,"",@progbits
; Kernel info:
; codeLenInByte = 2704
; TotalNumSgprs: 16
; NumVgprs: 18
; ScratchSize: 0
; MemoryBound: 0
; FloatMode: 240
; IeeeMode: 1
; LDSByteSize: 0 bytes/workgroup (compile time only)
; SGPRBlocks: 0
; VGPRBlocks: 1
; NumSGPRsForWavesPerEU: 16
; NumVGPRsForWavesPerEU: 18
; NamedBarCnt: 0
; Occupancy: 16
; WaveLimiterHint : 0
; COMPUTE_PGM_RSRC2:SCRATCH_EN: 0
; COMPUTE_PGM_RSRC2:USER_SGPR: 2
; COMPUTE_PGM_RSRC2:TRAP_HANDLER: 0
; COMPUTE_PGM_RSRC2:TGID_X_EN: 1
; COMPUTE_PGM_RSRC2:TGID_Y_EN: 0
; COMPUTE_PGM_RSRC2:TGID_Z_EN: 0
; COMPUTE_PGM_RSRC2:TIDIG_COMP_CNT: 0
	.section	.text._ZN2at6native29vectorized_elementwise_kernelILi2EZZZNS0_15gcd_kernel_cudaERNS_18TensorIteratorBaseEENKUlvE_clEvENKUlvE1_clEvEUliiE_St5arrayIPcLm3EEEEviT0_T1_,"axG",@progbits,_ZN2at6native29vectorized_elementwise_kernelILi2EZZZNS0_15gcd_kernel_cudaERNS_18TensorIteratorBaseEENKUlvE_clEvENKUlvE1_clEvEUliiE_St5arrayIPcLm3EEEEviT0_T1_,comdat
	.globl	_ZN2at6native29vectorized_elementwise_kernelILi2EZZZNS0_15gcd_kernel_cudaERNS_18TensorIteratorBaseEENKUlvE_clEvENKUlvE1_clEvEUliiE_St5arrayIPcLm3EEEEviT0_T1_ ; -- Begin function _ZN2at6native29vectorized_elementwise_kernelILi2EZZZNS0_15gcd_kernel_cudaERNS_18TensorIteratorBaseEENKUlvE_clEvENKUlvE1_clEvEUliiE_St5arrayIPcLm3EEEEviT0_T1_
	.p2align	8
	.type	_ZN2at6native29vectorized_elementwise_kernelILi2EZZZNS0_15gcd_kernel_cudaERNS_18TensorIteratorBaseEENKUlvE_clEvENKUlvE1_clEvEUliiE_St5arrayIPcLm3EEEEviT0_T1_,@function
_ZN2at6native29vectorized_elementwise_kernelILi2EZZZNS0_15gcd_kernel_cudaERNS_18TensorIteratorBaseEENKUlvE_clEvENKUlvE1_clEvEUliiE_St5arrayIPcLm3EEEEviT0_T1_: ; @_ZN2at6native29vectorized_elementwise_kernelILi2EZZZNS0_15gcd_kernel_cudaERNS_18TensorIteratorBaseEENKUlvE_clEvENKUlvE1_clEvEUliiE_St5arrayIPcLm3EEEEviT0_T1_
; %bb.0:
	s_clause 0x2
	s_load_b32 s3, s[0:1], 0x0
	s_load_b128 s[4:7], s[0:1], 0x8
	s_load_b64 s[8:9], s[0:1], 0x18
	s_wait_xcnt 0x0
	s_bfe_u32 s0, ttmp6, 0x4000c
	s_and_b32 s1, ttmp6, 15
	s_add_co_i32 s0, s0, 1
	s_getreg_b32 s2, hwreg(HW_REG_IB_STS2, 6, 4)
	s_mul_i32 s0, ttmp9, s0
	s_delay_alu instid0(SALU_CYCLE_1) | instskip(SKIP_2) | instid1(SALU_CYCLE_1)
	s_add_co_i32 s1, s1, s0
	s_cmp_eq_u32 s2, 0
	s_cselect_b32 s0, ttmp9, s1
	s_lshl_b32 s2, s0, 10
	s_mov_b32 s0, -1
	s_wait_kmcnt 0x0
	s_sub_co_i32 s10, s3, s2
	s_delay_alu instid0(SALU_CYCLE_1)
	s_cmp_gt_i32 s10, 0x3ff
	s_cbranch_scc0 .LBB19_18
; %bb.1:
	s_ashr_i32 s3, s2, 31
	s_delay_alu instid0(SALU_CYCLE_1)
	s_lshl_b64 s[0:1], s[2:3], 2
	s_mov_b32 s3, exec_lo
	s_add_nc_u64 s[12:13], s[8:9], s[0:1]
	s_add_nc_u64 s[14:15], s[6:7], s[0:1]
	s_clause 0x3
	global_load_b64 v[2:3], v0, s[12:13] scale_offset
	global_load_b64 v[8:9], v0, s[14:15] scale_offset
	global_load_b64 v[4:5], v0, s[14:15] offset:2048 scale_offset
	global_load_b64 v[6:7], v0, s[12:13] offset:2048 scale_offset
	s_wait_loadcnt 0x3
	v_sub_nc_u32_e32 v1, 0, v2
	s_delay_alu instid0(VALU_DEP_1)
	v_max_i32_e32 v2, v2, v1
	s_wait_loadcnt 0x2
	s_wait_xcnt 0x0
	v_cmpx_ne_u32_e32 0, v8
	s_cbranch_execz .LBB19_5
; %bb.2:
	v_sub_nc_u32_e32 v1, 0, v8
	s_mov_b32 s11, 0
	s_delay_alu instid0(VALU_DEP_1)
	v_max_i32_e32 v8, v8, v1
.LBB19_3:                               ; =>This Inner Loop Header: Depth=1
	s_delay_alu instid0(VALU_DEP_1) | instskip(NEXT) | instid1(VALU_DEP_1)
	v_mov_b32_e32 v1, v8
	v_cvt_f32_u32_e32 v8, v1
	s_delay_alu instid0(VALU_DEP_1) | instskip(SKIP_1) | instid1(TRANS32_DEP_1)
	v_rcp_iflag_f32_e32 v8, v8
	v_nop
	v_mul_f32_e32 v8, 0x4f7ffffe, v8
	v_sub_nc_u32_e32 v10, 0, v1
	s_delay_alu instid0(VALU_DEP_2) | instskip(NEXT) | instid1(VALU_DEP_1)
	v_cvt_u32_f32_e32 v8, v8
	v_mul_lo_u32 v10, v10, v8
	s_delay_alu instid0(VALU_DEP_1) | instskip(NEXT) | instid1(VALU_DEP_1)
	v_mul_hi_u32 v10, v8, v10
	v_add_nc_u32_e32 v8, v8, v10
	s_delay_alu instid0(VALU_DEP_1) | instskip(NEXT) | instid1(VALU_DEP_1)
	v_mul_hi_u32 v8, v2, v8
	v_mul_lo_u32 v8, v8, v1
	s_delay_alu instid0(VALU_DEP_1) | instskip(NEXT) | instid1(VALU_DEP_1)
	v_sub_nc_u32_e32 v2, v2, v8
	v_sub_nc_u32_e32 v8, v2, v1
	v_cmp_ge_u32_e32 vcc_lo, v2, v1
	s_delay_alu instid0(VALU_DEP_2) | instskip(NEXT) | instid1(VALU_DEP_1)
	v_cndmask_b32_e32 v2, v2, v8, vcc_lo
	v_sub_nc_u32_e32 v8, v2, v1
	v_cmp_ge_u32_e32 vcc_lo, v2, v1
	s_delay_alu instid0(VALU_DEP_2) | instskip(NEXT) | instid1(VALU_DEP_1)
	v_dual_cndmask_b32 v8, v2, v8, vcc_lo :: v_dual_mov_b32 v2, v1
	v_cmp_eq_u32_e32 vcc_lo, 0, v8
	s_or_b32 s11, vcc_lo, s11
	s_delay_alu instid0(SALU_CYCLE_1)
	s_and_not1_b32 exec_lo, exec_lo, s11
	s_cbranch_execnz .LBB19_3
; %bb.4:
	s_or_b32 exec_lo, exec_lo, s11
	v_mov_b32_e32 v2, v1
.LBB19_5:
	s_or_b32 exec_lo, exec_lo, s3
	v_sub_nc_u32_e32 v1, 0, v3
	s_mov_b32 s11, 0
	s_mov_b32 s3, exec_lo
	s_delay_alu instid0(VALU_DEP_1)
	v_max_i32_e32 v3, v3, v1
	v_cmpx_ne_u32_e32 0, v9
	s_cbranch_execz .LBB19_9
; %bb.6:
	v_sub_nc_u32_e32 v1, 0, v9
	s_delay_alu instid0(VALU_DEP_1)
	v_max_i32_e32 v8, v9, v1
.LBB19_7:                               ; =>This Inner Loop Header: Depth=1
	s_delay_alu instid0(VALU_DEP_1) | instskip(NEXT) | instid1(VALU_DEP_1)
	v_mov_b32_e32 v1, v8
	v_cvt_f32_u32_e32 v8, v1
	s_delay_alu instid0(VALU_DEP_1) | instskip(SKIP_1) | instid1(TRANS32_DEP_1)
	v_rcp_iflag_f32_e32 v8, v8
	v_nop
	v_dual_mul_f32 v8, 0x4f7ffffe, v8 :: v_dual_sub_nc_u32 v9, 0, v1
	s_delay_alu instid0(VALU_DEP_1) | instskip(NEXT) | instid1(VALU_DEP_1)
	v_cvt_u32_f32_e32 v8, v8
	v_mul_lo_u32 v9, v9, v8
	s_delay_alu instid0(VALU_DEP_1) | instskip(NEXT) | instid1(VALU_DEP_1)
	v_mul_hi_u32 v9, v8, v9
	v_add_nc_u32_e32 v8, v8, v9
	s_delay_alu instid0(VALU_DEP_1) | instskip(NEXT) | instid1(VALU_DEP_1)
	v_mul_hi_u32 v8, v3, v8
	v_mul_lo_u32 v8, v8, v1
	s_delay_alu instid0(VALU_DEP_1) | instskip(NEXT) | instid1(VALU_DEP_1)
	v_sub_nc_u32_e32 v3, v3, v8
	v_sub_nc_u32_e32 v8, v3, v1
	v_cmp_ge_u32_e32 vcc_lo, v3, v1
	s_delay_alu instid0(VALU_DEP_2) | instskip(NEXT) | instid1(VALU_DEP_1)
	v_cndmask_b32_e32 v3, v3, v8, vcc_lo
	v_sub_nc_u32_e32 v8, v3, v1
	v_cmp_ge_u32_e32 vcc_lo, v3, v1
	s_delay_alu instid0(VALU_DEP_2) | instskip(NEXT) | instid1(VALU_DEP_1)
	v_dual_cndmask_b32 v8, v3, v8 :: v_dual_mov_b32 v3, v1
	v_cmp_eq_u32_e32 vcc_lo, 0, v8
	s_or_b32 s11, vcc_lo, s11
	s_delay_alu instid0(SALU_CYCLE_1)
	s_and_not1_b32 exec_lo, exec_lo, s11
	s_cbranch_execnz .LBB19_7
; %bb.8:
	s_or_b32 exec_lo, exec_lo, s11
	v_mov_b32_e32 v3, v1
.LBB19_9:
	s_or_b32 exec_lo, exec_lo, s3
	s_wait_loadcnt 0x0
	v_sub_nc_u32_e32 v1, 0, v6
	s_mov_b32 s11, 0
	s_mov_b32 s3, exec_lo
	s_delay_alu instid0(VALU_DEP_1)
	v_max_i32_e32 v6, v6, v1
	v_cmpx_ne_u32_e32 0, v4
	s_cbranch_execz .LBB19_13
; %bb.10:
	v_sub_nc_u32_e32 v1, 0, v4
	s_delay_alu instid0(VALU_DEP_1)
	v_max_i32_e32 v4, v4, v1
.LBB19_11:                              ; =>This Inner Loop Header: Depth=1
	s_delay_alu instid0(VALU_DEP_1) | instskip(NEXT) | instid1(VALU_DEP_1)
	v_mov_b32_e32 v1, v4
	v_cvt_f32_u32_e32 v4, v1
	s_delay_alu instid0(VALU_DEP_1) | instskip(SKIP_1) | instid1(TRANS32_DEP_1)
	v_rcp_iflag_f32_e32 v4, v4
	v_nop
	v_mul_f32_e32 v4, 0x4f7ffffe, v4
	v_sub_nc_u32_e32 v8, 0, v1
	s_delay_alu instid0(VALU_DEP_2) | instskip(NEXT) | instid1(VALU_DEP_1)
	v_cvt_u32_f32_e32 v4, v4
	v_mul_lo_u32 v8, v8, v4
	s_delay_alu instid0(VALU_DEP_1) | instskip(NEXT) | instid1(VALU_DEP_1)
	v_mul_hi_u32 v8, v4, v8
	v_add_nc_u32_e32 v4, v4, v8
	s_delay_alu instid0(VALU_DEP_1) | instskip(NEXT) | instid1(VALU_DEP_1)
	v_mul_hi_u32 v4, v6, v4
	v_mul_lo_u32 v4, v4, v1
	s_delay_alu instid0(VALU_DEP_1) | instskip(NEXT) | instid1(VALU_DEP_1)
	v_sub_nc_u32_e32 v4, v6, v4
	v_sub_nc_u32_e32 v6, v4, v1
	v_cmp_ge_u32_e32 vcc_lo, v4, v1
	s_delay_alu instid0(VALU_DEP_2) | instskip(NEXT) | instid1(VALU_DEP_1)
	v_cndmask_b32_e32 v4, v4, v6, vcc_lo
	v_sub_nc_u32_e32 v6, v4, v1
	v_cmp_ge_u32_e32 vcc_lo, v4, v1
	s_delay_alu instid0(VALU_DEP_2) | instskip(NEXT) | instid1(VALU_DEP_1)
	v_dual_cndmask_b32 v4, v4, v6, vcc_lo :: v_dual_mov_b32 v6, v1
	v_cmp_eq_u32_e32 vcc_lo, 0, v4
	s_or_b32 s11, vcc_lo, s11
	s_delay_alu instid0(SALU_CYCLE_1)
	s_and_not1_b32 exec_lo, exec_lo, s11
	s_cbranch_execnz .LBB19_11
; %bb.12:
	s_or_b32 exec_lo, exec_lo, s11
	v_mov_b32_e32 v6, v1
.LBB19_13:
	s_or_b32 exec_lo, exec_lo, s3
	v_sub_nc_u32_e32 v1, 0, v7
	s_mov_b32 s11, 0
	s_mov_b32 s3, exec_lo
	s_delay_alu instid0(VALU_DEP_1)
	v_max_i32_e32 v7, v7, v1
	v_cmpx_ne_u32_e32 0, v5
	s_cbranch_execz .LBB19_17
; %bb.14:
	v_sub_nc_u32_e32 v1, 0, v5
	s_delay_alu instid0(VALU_DEP_1)
	v_max_i32_e32 v4, v5, v1
.LBB19_15:                              ; =>This Inner Loop Header: Depth=1
	s_delay_alu instid0(VALU_DEP_1) | instskip(NEXT) | instid1(VALU_DEP_1)
	v_mov_b32_e32 v1, v4
	v_cvt_f32_u32_e32 v4, v1
	s_delay_alu instid0(VALU_DEP_1) | instskip(SKIP_1) | instid1(TRANS32_DEP_1)
	v_rcp_iflag_f32_e32 v4, v4
	v_nop
	v_dual_mul_f32 v4, 0x4f7ffffe, v4 :: v_dual_sub_nc_u32 v5, 0, v1
	s_delay_alu instid0(VALU_DEP_1) | instskip(NEXT) | instid1(VALU_DEP_1)
	v_cvt_u32_f32_e32 v4, v4
	v_mul_lo_u32 v5, v5, v4
	s_delay_alu instid0(VALU_DEP_1) | instskip(NEXT) | instid1(VALU_DEP_1)
	v_mul_hi_u32 v5, v4, v5
	v_add_nc_u32_e32 v4, v4, v5
	s_delay_alu instid0(VALU_DEP_1) | instskip(NEXT) | instid1(VALU_DEP_1)
	v_mul_hi_u32 v4, v7, v4
	v_mul_lo_u32 v4, v4, v1
	s_delay_alu instid0(VALU_DEP_1) | instskip(NEXT) | instid1(VALU_DEP_1)
	v_dual_mov_b32 v7, v1 :: v_dual_sub_nc_u32 v4, v7, v4
	v_sub_nc_u32_e32 v5, v4, v1
	v_cmp_ge_u32_e32 vcc_lo, v4, v1
	s_delay_alu instid0(VALU_DEP_2) | instskip(NEXT) | instid1(VALU_DEP_1)
	v_cndmask_b32_e32 v4, v4, v5, vcc_lo
	v_sub_nc_u32_e32 v5, v4, v1
	v_cmp_ge_u32_e32 vcc_lo, v4, v1
	s_delay_alu instid0(VALU_DEP_2) | instskip(NEXT) | instid1(VALU_DEP_1)
	v_cndmask_b32_e32 v4, v4, v5, vcc_lo
	v_cmp_eq_u32_e32 vcc_lo, 0, v4
	s_or_b32 s11, vcc_lo, s11
	s_delay_alu instid0(SALU_CYCLE_1)
	s_and_not1_b32 exec_lo, exec_lo, s11
	s_cbranch_execnz .LBB19_15
; %bb.16:
	s_or_b32 exec_lo, exec_lo, s11
	v_mov_b32_e32 v7, v1
.LBB19_17:
	s_or_b32 exec_lo, exec_lo, s3
	s_add_nc_u64 s[12:13], s[4:5], s[0:1]
	s_mov_b32 s0, 0
	s_clause 0x1
	global_store_b64 v0, v[2:3], s[12:13] scale_offset
	global_store_b64 v0, v[6:7], s[12:13] offset:2048 scale_offset
.LBB19_18:
	s_and_b32 vcc_lo, exec_lo, s0
	s_cbranch_vccz .LBB19_51
; %bb.19:
	v_cmp_gt_i32_e32 vcc_lo, s10, v0
	s_wait_xcnt 0x1
	v_dual_mov_b32 v2, 0 :: v_dual_bitop2_b32 v10, s2, v0 bitop3:0x54
	v_or_b32_e32 v11, 0x100, v0
	s_wait_xcnt 0x0
	v_dual_mov_b32 v12, 0 :: v_dual_mov_b32 v6, 0
	v_dual_mov_b32 v13, 0 :: v_dual_mov_b32 v5, 0
	;; [unrolled: 1-line block ×4, first 2 shown]
	s_and_saveexec_b32 s1, vcc_lo
	s_cbranch_execz .LBB19_27
; %bb.20:
	s_clause 0x1
	global_load_b32 v16, v10, s[6:7] scale_offset
	global_load_b32 v17, v10, s[8:9] scale_offset
	v_or_b32_e32 v1, 0x100, v0
	v_dual_mov_b32 v15, 0 :: v_dual_mov_b32 v14, 0
	v_dual_mov_b32 v5, 0 :: v_dual_mov_b32 v13, 0
	;; [unrolled: 1-line block ×3, first 2 shown]
	s_mov_b32 s3, exec_lo
	s_wait_xcnt 0x0
	v_cmpx_gt_u32_e64 s10, v1
	s_cbranch_execz .LBB19_26
; %bb.21:
	v_dual_mov_b32 v5, 0 :: v_dual_add_nc_u32 v4, s2, v0
	v_or_b32_e32 v1, 0x200, v0
	v_dual_mov_b32 v13, 0 :: v_dual_mov_b32 v6, 0
	s_clause 0x1
	global_load_b32 v14, v4, s[6:7] offset:1024 scale_offset
	global_load_b32 v15, v4, s[8:9] offset:1024 scale_offset
	v_mov_b32_e32 v12, 0
	s_mov_b32 s11, exec_lo
	s_wait_xcnt 0x0
	v_cmpx_gt_u32_e64 s10, v1
	s_cbranch_execz .LBB19_25
; %bb.22:
	v_lshlrev_b64_e32 v[8:9], 2, v[4:5]
	v_or_b32_e32 v3, 0x300, v0
	v_mov_b32_e32 v12, 0
	s_delay_alu instid0(VALU_DEP_3)
	v_add_nc_u64_e32 v[6:7], s[6:7], v[8:9]
	v_add_nc_u64_e32 v[8:9], s[8:9], v[8:9]
	s_mov_b32 s6, exec_lo
	global_load_b32 v13, v[6:7], off offset:2048
	global_load_b32 v1, v[8:9], off offset:2048
	s_wait_xcnt 0x0
	v_cmpx_gt_u32_e64 s10, v3
	s_cbranch_execz .LBB19_24
; %bb.23:
	global_load_b32 v3, v[8:9], off offset:3072
	global_load_b32 v12, v[6:7], off offset:3072
	s_wait_loadcnt 0x1
	v_sub_nc_u32_e32 v4, 0, v3
	s_delay_alu instid0(VALU_DEP_1)
	v_max_i32_e32 v5, v3, v4
.LBB19_24:
	s_wait_xcnt 0x0
	s_or_b32 exec_lo, exec_lo, s6
	s_wait_loadcnt 0x0
	s_delay_alu instid0(VALU_DEP_1)
	v_dual_mov_b32 v6, v5 :: v_dual_mov_b32 v5, v1
.LBB19_25:
	s_or_b32 exec_lo, exec_lo, s11
.LBB19_26:
	s_delay_alu instid0(SALU_CYCLE_1)
	s_or_b32 exec_lo, exec_lo, s3
.LBB19_27:
	s_delay_alu instid0(SALU_CYCLE_1)
	s_or_b32 exec_lo, exec_lo, s1
	v_dual_mov_b32 v1, v2 :: v_dual_mov_b32 v4, v2
	v_mov_b32_e32 v3, v2
	s_and_saveexec_b32 s1, vcc_lo
	s_cbranch_execz .LBB19_33
; %bb.28:
	s_wait_loadcnt 0x0
	v_sub_nc_u32_e32 v1, 0, v17
	s_mov_b32 s3, exec_lo
	s_delay_alu instid0(VALU_DEP_1)
	v_max_i32_e32 v2, v17, v1
	v_cmpx_ne_u32_e32 0, v16
	s_cbranch_execz .LBB19_32
; %bb.29:
	v_sub_nc_u32_e32 v1, 0, v16
	s_mov_b32 s6, 0
	s_delay_alu instid0(VALU_DEP_1)
	v_max_i32_e32 v3, v16, v1
.LBB19_30:                              ; =>This Inner Loop Header: Depth=1
	s_delay_alu instid0(VALU_DEP_1) | instskip(NEXT) | instid1(VALU_DEP_1)
	v_mov_b32_e32 v1, v3
	v_cvt_f32_u32_e32 v3, v1
	v_sub_nc_u32_e32 v4, 0, v1
	s_delay_alu instid0(VALU_DEP_2) | instskip(SKIP_1) | instid1(TRANS32_DEP_1)
	v_rcp_iflag_f32_e32 v3, v3
	v_nop
	v_mul_f32_e32 v3, 0x4f7ffffe, v3
	s_delay_alu instid0(VALU_DEP_1) | instskip(NEXT) | instid1(VALU_DEP_1)
	v_cvt_u32_f32_e32 v3, v3
	v_mul_lo_u32 v4, v4, v3
	s_delay_alu instid0(VALU_DEP_1) | instskip(NEXT) | instid1(VALU_DEP_1)
	v_mul_hi_u32 v4, v3, v4
	v_add_nc_u32_e32 v3, v3, v4
	s_delay_alu instid0(VALU_DEP_1) | instskip(NEXT) | instid1(VALU_DEP_1)
	v_mul_hi_u32 v3, v2, v3
	v_mul_lo_u32 v3, v3, v1
	s_delay_alu instid0(VALU_DEP_1) | instskip(NEXT) | instid1(VALU_DEP_1)
	v_sub_nc_u32_e32 v2, v2, v3
	v_sub_nc_u32_e32 v3, v2, v1
	v_cmp_ge_u32_e64 s0, v2, v1
	s_delay_alu instid0(VALU_DEP_1) | instskip(NEXT) | instid1(VALU_DEP_1)
	v_cndmask_b32_e64 v2, v2, v3, s0
	v_sub_nc_u32_e32 v3, v2, v1
	v_cmp_ge_u32_e64 s0, v2, v1
	s_delay_alu instid0(VALU_DEP_1) | instskip(NEXT) | instid1(VALU_DEP_1)
	v_dual_cndmask_b32 v3, v2, v3, s0 :: v_dual_mov_b32 v2, v1
	v_cmp_eq_u32_e64 s0, 0, v3
	s_or_b32 s6, s0, s6
	s_delay_alu instid0(SALU_CYCLE_1)
	s_and_not1_b32 exec_lo, exec_lo, s6
	s_cbranch_execnz .LBB19_30
; %bb.31:
	s_or_b32 exec_lo, exec_lo, s6
	v_mov_b32_e32 v2, v1
.LBB19_32:
	s_or_b32 exec_lo, exec_lo, s3
	v_mov_b32_e32 v1, 0
	s_delay_alu instid0(VALU_DEP_1)
	v_dual_mov_b32 v4, v1 :: v_dual_mov_b32 v3, v1
.LBB19_33:
	s_or_b32 exec_lo, exec_lo, s1
	s_delay_alu instid0(SALU_CYCLE_1)
	s_mov_b32 s1, exec_lo
	v_cmpx_gt_i32_e64 s10, v11
	s_cbranch_execz .LBB19_39
; %bb.34:
	s_wait_loadcnt 0x0
	v_sub_nc_u32_e32 v1, 0, v15
	s_mov_b32 s6, 0
	s_mov_b32 s3, exec_lo
	s_delay_alu instid0(VALU_DEP_1)
	v_max_i32_e32 v1, v15, v1
	v_cmpx_ne_u32_e32 0, v14
	s_cbranch_execz .LBB19_38
; %bb.35:
	v_sub_nc_u32_e32 v7, 0, v14
	s_delay_alu instid0(VALU_DEP_1)
	v_max_i32_e32 v8, v14, v7
.LBB19_36:                              ; =>This Inner Loop Header: Depth=1
	s_delay_alu instid0(VALU_DEP_1) | instskip(NEXT) | instid1(VALU_DEP_1)
	v_mov_b32_e32 v7, v8
	v_cvt_f32_u32_e32 v8, v7
	s_delay_alu instid0(VALU_DEP_1) | instskip(SKIP_1) | instid1(TRANS32_DEP_1)
	v_rcp_iflag_f32_e32 v8, v8
	v_nop
	v_dual_mul_f32 v8, 0x4f7ffffe, v8 :: v_dual_sub_nc_u32 v9, 0, v7
	s_delay_alu instid0(VALU_DEP_1) | instskip(NEXT) | instid1(VALU_DEP_1)
	v_cvt_u32_f32_e32 v8, v8
	v_mul_lo_u32 v9, v9, v8
	s_delay_alu instid0(VALU_DEP_1) | instskip(NEXT) | instid1(VALU_DEP_1)
	v_mul_hi_u32 v9, v8, v9
	v_add_nc_u32_e32 v8, v8, v9
	s_delay_alu instid0(VALU_DEP_1) | instskip(NEXT) | instid1(VALU_DEP_1)
	v_mul_hi_u32 v8, v1, v8
	v_mul_lo_u32 v8, v8, v7
	s_delay_alu instid0(VALU_DEP_1) | instskip(NEXT) | instid1(VALU_DEP_1)
	v_sub_nc_u32_e32 v1, v1, v8
	v_sub_nc_u32_e32 v8, v1, v7
	v_cmp_ge_u32_e64 s0, v1, v7
	s_delay_alu instid0(VALU_DEP_1) | instskip(NEXT) | instid1(VALU_DEP_1)
	v_cndmask_b32_e64 v1, v1, v8, s0
	v_sub_nc_u32_e32 v8, v1, v7
	v_cmp_ge_u32_e64 s0, v1, v7
	s_delay_alu instid0(VALU_DEP_1) | instskip(NEXT) | instid1(VALU_DEP_1)
	v_dual_cndmask_b32 v8, v1, v8, s0 :: v_dual_mov_b32 v1, v7
	v_cmp_eq_u32_e64 s0, 0, v8
	s_or_b32 s6, s0, s6
	s_delay_alu instid0(SALU_CYCLE_1)
	s_and_not1_b32 exec_lo, exec_lo, s6
	s_cbranch_execnz .LBB19_36
; %bb.37:
	s_or_b32 exec_lo, exec_lo, s6
	v_mov_b32_e32 v1, v7
.LBB19_38:
	s_or_b32 exec_lo, exec_lo, s3
.LBB19_39:
	s_delay_alu instid0(SALU_CYCLE_1) | instskip(SKIP_2) | instid1(VALU_DEP_1)
	s_or_b32 exec_lo, exec_lo, s1
	v_or_b32_e32 v7, 0x200, v0
	s_mov_b32 s1, exec_lo
	v_cmpx_gt_i32_e64 s10, v7
	s_cbranch_execz .LBB19_45
; %bb.40:
	v_sub_nc_u32_e32 v4, 0, v5
	s_mov_b32 s6, 0
	s_mov_b32 s3, exec_lo
	s_delay_alu instid0(VALU_DEP_1)
	v_max_i32_e32 v4, v5, v4
	v_cmpx_ne_u32_e32 0, v13
	s_cbranch_execz .LBB19_44
; %bb.41:
	v_sub_nc_u32_e32 v5, 0, v13
	s_delay_alu instid0(VALU_DEP_1)
	v_max_i32_e32 v7, v13, v5
.LBB19_42:                              ; =>This Inner Loop Header: Depth=1
	s_delay_alu instid0(VALU_DEP_1) | instskip(NEXT) | instid1(VALU_DEP_1)
	v_mov_b32_e32 v5, v7
	v_cvt_f32_u32_e32 v7, v5
	v_sub_nc_u32_e32 v8, 0, v5
	s_delay_alu instid0(VALU_DEP_2) | instskip(SKIP_1) | instid1(TRANS32_DEP_1)
	v_rcp_iflag_f32_e32 v7, v7
	v_nop
	v_mul_f32_e32 v7, 0x4f7ffffe, v7
	s_delay_alu instid0(VALU_DEP_1) | instskip(NEXT) | instid1(VALU_DEP_1)
	v_cvt_u32_f32_e32 v7, v7
	v_mul_lo_u32 v8, v8, v7
	s_delay_alu instid0(VALU_DEP_1) | instskip(NEXT) | instid1(VALU_DEP_1)
	v_mul_hi_u32 v8, v7, v8
	v_add_nc_u32_e32 v7, v7, v8
	s_delay_alu instid0(VALU_DEP_1) | instskip(NEXT) | instid1(VALU_DEP_1)
	v_mul_hi_u32 v7, v4, v7
	v_mul_lo_u32 v7, v7, v5
	s_delay_alu instid0(VALU_DEP_1) | instskip(NEXT) | instid1(VALU_DEP_1)
	v_sub_nc_u32_e32 v4, v4, v7
	v_sub_nc_u32_e32 v7, v4, v5
	v_cmp_ge_u32_e64 s0, v4, v5
	s_delay_alu instid0(VALU_DEP_1) | instskip(NEXT) | instid1(VALU_DEP_1)
	v_cndmask_b32_e64 v4, v4, v7, s0
	v_sub_nc_u32_e32 v7, v4, v5
	v_cmp_ge_u32_e64 s0, v4, v5
	s_delay_alu instid0(VALU_DEP_1) | instskip(NEXT) | instid1(VALU_DEP_1)
	v_dual_cndmask_b32 v7, v4, v7, s0 :: v_dual_mov_b32 v4, v5
	v_cmp_eq_u32_e64 s0, 0, v7
	s_or_b32 s6, s0, s6
	s_delay_alu instid0(SALU_CYCLE_1)
	s_and_not1_b32 exec_lo, exec_lo, s6
	s_cbranch_execnz .LBB19_42
; %bb.43:
	s_or_b32 exec_lo, exec_lo, s6
	v_mov_b32_e32 v4, v5
.LBB19_44:
	s_or_b32 exec_lo, exec_lo, s3
.LBB19_45:
	s_delay_alu instid0(SALU_CYCLE_1) | instskip(SKIP_2) | instid1(VALU_DEP_1)
	s_or_b32 exec_lo, exec_lo, s1
	v_or_b32_e32 v5, 0x300, v0
	s_mov_b32 s1, exec_lo
	v_cmpx_gt_i32_e64 s10, v5
	s_cbranch_execnz .LBB19_52
; %bb.46:
	s_or_b32 exec_lo, exec_lo, s1
	s_and_saveexec_b32 s0, vcc_lo
	s_delay_alu instid0(SALU_CYCLE_1)
	s_xor_b32 s0, exec_lo, s0
	s_cbranch_execnz .LBB19_57
.LBB19_47:
	s_or_b32 exec_lo, exec_lo, s0
	s_delay_alu instid0(SALU_CYCLE_1)
	s_mov_b32 s0, exec_lo
	v_cmpx_gt_i32_e64 s10, v0
	s_cbranch_execnz .LBB19_58
.LBB19_48:
	s_or_b32 exec_lo, exec_lo, s0
	s_delay_alu instid0(SALU_CYCLE_1)
	s_mov_b32 s0, exec_lo
	v_cmpx_gt_i32_e64 s10, v0
	s_cbranch_execnz .LBB19_59
.LBB19_49:
	s_or_b32 exec_lo, exec_lo, s0
	s_delay_alu instid0(SALU_CYCLE_1)
	s_mov_b32 s0, exec_lo
	v_cmpx_gt_i32_e64 s10, v0
	s_cbranch_execz .LBB19_51
.LBB19_50:
	v_add_nc_u32_e32 v0, s2, v0
	global_store_b32 v0, v3, s[4:5] scale_offset
.LBB19_51:
	s_endpgm
.LBB19_52:
	s_mov_b32 s6, 0
	s_mov_b32 s3, exec_lo
	v_cmpx_ne_u32_e32 0, v12
	s_cbranch_execz .LBB19_56
; %bb.53:
	v_sub_nc_u32_e32 v3, 0, v12
	s_delay_alu instid0(VALU_DEP_1)
	v_max_i32_e32 v5, v12, v3
.LBB19_54:                              ; =>This Inner Loop Header: Depth=1
	s_delay_alu instid0(VALU_DEP_1) | instskip(NEXT) | instid1(VALU_DEP_1)
	v_mov_b32_e32 v3, v5
	v_cvt_f32_u32_e32 v5, v3
	v_sub_nc_u32_e32 v7, 0, v3
	s_delay_alu instid0(VALU_DEP_2) | instskip(SKIP_1) | instid1(TRANS32_DEP_1)
	v_rcp_iflag_f32_e32 v5, v5
	v_nop
	v_mul_f32_e32 v5, 0x4f7ffffe, v5
	s_delay_alu instid0(VALU_DEP_1) | instskip(NEXT) | instid1(VALU_DEP_1)
	v_cvt_u32_f32_e32 v5, v5
	v_mul_lo_u32 v7, v7, v5
	s_delay_alu instid0(VALU_DEP_1) | instskip(NEXT) | instid1(VALU_DEP_1)
	v_mul_hi_u32 v7, v5, v7
	v_add_nc_u32_e32 v5, v5, v7
	s_delay_alu instid0(VALU_DEP_1) | instskip(NEXT) | instid1(VALU_DEP_1)
	v_mul_hi_u32 v5, v6, v5
	v_mul_lo_u32 v5, v5, v3
	s_delay_alu instid0(VALU_DEP_1) | instskip(NEXT) | instid1(VALU_DEP_1)
	v_sub_nc_u32_e32 v5, v6, v5
	v_sub_nc_u32_e32 v6, v5, v3
	v_cmp_ge_u32_e64 s0, v5, v3
	s_delay_alu instid0(VALU_DEP_1) | instskip(NEXT) | instid1(VALU_DEP_1)
	v_cndmask_b32_e64 v5, v5, v6, s0
	v_sub_nc_u32_e32 v6, v5, v3
	v_cmp_ge_u32_e64 s0, v5, v3
	s_delay_alu instid0(VALU_DEP_1) | instskip(NEXT) | instid1(VALU_DEP_1)
	v_dual_cndmask_b32 v5, v5, v6, s0 :: v_dual_mov_b32 v6, v3
	v_cmp_eq_u32_e64 s0, 0, v5
	s_or_b32 s6, s0, s6
	s_delay_alu instid0(SALU_CYCLE_1)
	s_and_not1_b32 exec_lo, exec_lo, s6
	s_cbranch_execnz .LBB19_54
; %bb.55:
	s_or_b32 exec_lo, exec_lo, s6
	v_mov_b32_e32 v6, v3
.LBB19_56:
	s_or_b32 exec_lo, exec_lo, s3
	s_delay_alu instid0(VALU_DEP_1) | instskip(SKIP_2) | instid1(SALU_CYCLE_1)
	v_mov_b32_e32 v3, v6
	s_or_b32 exec_lo, exec_lo, s1
	s_and_saveexec_b32 s0, vcc_lo
	s_xor_b32 s0, exec_lo, s0
	s_cbranch_execz .LBB19_47
.LBB19_57:
	v_mov_b32_e32 v0, v11
	global_store_b32 v10, v2, s[4:5] scale_offset
	s_wait_xcnt 0x0
	s_or_b32 exec_lo, exec_lo, s0
	s_delay_alu instid0(SALU_CYCLE_1)
	s_mov_b32 s0, exec_lo
	v_cmpx_gt_i32_e64 s10, v0
	s_cbranch_execz .LBB19_48
.LBB19_58:
	v_add_nc_u32_e32 v2, s2, v0
	v_add_nc_u32_e32 v0, 0x100, v0
	global_store_b32 v2, v1, s[4:5] scale_offset
	s_wait_xcnt 0x0
	s_or_b32 exec_lo, exec_lo, s0
	s_delay_alu instid0(SALU_CYCLE_1)
	s_mov_b32 s0, exec_lo
	v_cmpx_gt_i32_e64 s10, v0
	s_cbranch_execz .LBB19_49
.LBB19_59:
	v_add_nc_u32_e32 v1, s2, v0
	v_add_nc_u32_e32 v0, 0x100, v0
	global_store_b32 v1, v4, s[4:5] scale_offset
	s_wait_xcnt 0x0
	s_or_b32 exec_lo, exec_lo, s0
	s_delay_alu instid0(SALU_CYCLE_1)
	s_mov_b32 s0, exec_lo
	v_cmpx_gt_i32_e64 s10, v0
	s_cbranch_execnz .LBB19_50
	s_branch .LBB19_51
	.section	.rodata,"a",@progbits
	.p2align	6, 0x0
	.amdhsa_kernel _ZN2at6native29vectorized_elementwise_kernelILi2EZZZNS0_15gcd_kernel_cudaERNS_18TensorIteratorBaseEENKUlvE_clEvENKUlvE1_clEvEUliiE_St5arrayIPcLm3EEEEviT0_T1_
		.amdhsa_group_segment_fixed_size 0
		.amdhsa_private_segment_fixed_size 0
		.amdhsa_kernarg_size 32
		.amdhsa_user_sgpr_count 2
		.amdhsa_user_sgpr_dispatch_ptr 0
		.amdhsa_user_sgpr_queue_ptr 0
		.amdhsa_user_sgpr_kernarg_segment_ptr 1
		.amdhsa_user_sgpr_dispatch_id 0
		.amdhsa_user_sgpr_kernarg_preload_length 0
		.amdhsa_user_sgpr_kernarg_preload_offset 0
		.amdhsa_user_sgpr_private_segment_size 0
		.amdhsa_wavefront_size32 1
		.amdhsa_uses_dynamic_stack 0
		.amdhsa_enable_private_segment 0
		.amdhsa_system_sgpr_workgroup_id_x 1
		.amdhsa_system_sgpr_workgroup_id_y 0
		.amdhsa_system_sgpr_workgroup_id_z 0
		.amdhsa_system_sgpr_workgroup_info 0
		.amdhsa_system_vgpr_workitem_id 0
		.amdhsa_next_free_vgpr 18
		.amdhsa_next_free_sgpr 16
		.amdhsa_named_barrier_count 0
		.amdhsa_reserve_vcc 1
		.amdhsa_float_round_mode_32 0
		.amdhsa_float_round_mode_16_64 0
		.amdhsa_float_denorm_mode_32 3
		.amdhsa_float_denorm_mode_16_64 3
		.amdhsa_fp16_overflow 0
		.amdhsa_memory_ordered 1
		.amdhsa_forward_progress 1
		.amdhsa_inst_pref_size 22
		.amdhsa_round_robin_scheduling 0
		.amdhsa_exception_fp_ieee_invalid_op 0
		.amdhsa_exception_fp_denorm_src 0
		.amdhsa_exception_fp_ieee_div_zero 0
		.amdhsa_exception_fp_ieee_overflow 0
		.amdhsa_exception_fp_ieee_underflow 0
		.amdhsa_exception_fp_ieee_inexact 0
		.amdhsa_exception_int_div_zero 0
	.end_amdhsa_kernel
	.section	.text._ZN2at6native29vectorized_elementwise_kernelILi2EZZZNS0_15gcd_kernel_cudaERNS_18TensorIteratorBaseEENKUlvE_clEvENKUlvE1_clEvEUliiE_St5arrayIPcLm3EEEEviT0_T1_,"axG",@progbits,_ZN2at6native29vectorized_elementwise_kernelILi2EZZZNS0_15gcd_kernel_cudaERNS_18TensorIteratorBaseEENKUlvE_clEvENKUlvE1_clEvEUliiE_St5arrayIPcLm3EEEEviT0_T1_,comdat
.Lfunc_end19:
	.size	_ZN2at6native29vectorized_elementwise_kernelILi2EZZZNS0_15gcd_kernel_cudaERNS_18TensorIteratorBaseEENKUlvE_clEvENKUlvE1_clEvEUliiE_St5arrayIPcLm3EEEEviT0_T1_, .Lfunc_end19-_ZN2at6native29vectorized_elementwise_kernelILi2EZZZNS0_15gcd_kernel_cudaERNS_18TensorIteratorBaseEENKUlvE_clEvENKUlvE1_clEvEUliiE_St5arrayIPcLm3EEEEviT0_T1_
                                        ; -- End function
	.set _ZN2at6native29vectorized_elementwise_kernelILi2EZZZNS0_15gcd_kernel_cudaERNS_18TensorIteratorBaseEENKUlvE_clEvENKUlvE1_clEvEUliiE_St5arrayIPcLm3EEEEviT0_T1_.num_vgpr, 18
	.set _ZN2at6native29vectorized_elementwise_kernelILi2EZZZNS0_15gcd_kernel_cudaERNS_18TensorIteratorBaseEENKUlvE_clEvENKUlvE1_clEvEUliiE_St5arrayIPcLm3EEEEviT0_T1_.num_agpr, 0
	.set _ZN2at6native29vectorized_elementwise_kernelILi2EZZZNS0_15gcd_kernel_cudaERNS_18TensorIteratorBaseEENKUlvE_clEvENKUlvE1_clEvEUliiE_St5arrayIPcLm3EEEEviT0_T1_.numbered_sgpr, 16
	.set _ZN2at6native29vectorized_elementwise_kernelILi2EZZZNS0_15gcd_kernel_cudaERNS_18TensorIteratorBaseEENKUlvE_clEvENKUlvE1_clEvEUliiE_St5arrayIPcLm3EEEEviT0_T1_.num_named_barrier, 0
	.set _ZN2at6native29vectorized_elementwise_kernelILi2EZZZNS0_15gcd_kernel_cudaERNS_18TensorIteratorBaseEENKUlvE_clEvENKUlvE1_clEvEUliiE_St5arrayIPcLm3EEEEviT0_T1_.private_seg_size, 0
	.set _ZN2at6native29vectorized_elementwise_kernelILi2EZZZNS0_15gcd_kernel_cudaERNS_18TensorIteratorBaseEENKUlvE_clEvENKUlvE1_clEvEUliiE_St5arrayIPcLm3EEEEviT0_T1_.uses_vcc, 1
	.set _ZN2at6native29vectorized_elementwise_kernelILi2EZZZNS0_15gcd_kernel_cudaERNS_18TensorIteratorBaseEENKUlvE_clEvENKUlvE1_clEvEUliiE_St5arrayIPcLm3EEEEviT0_T1_.uses_flat_scratch, 0
	.set _ZN2at6native29vectorized_elementwise_kernelILi2EZZZNS0_15gcd_kernel_cudaERNS_18TensorIteratorBaseEENKUlvE_clEvENKUlvE1_clEvEUliiE_St5arrayIPcLm3EEEEviT0_T1_.has_dyn_sized_stack, 0
	.set _ZN2at6native29vectorized_elementwise_kernelILi2EZZZNS0_15gcd_kernel_cudaERNS_18TensorIteratorBaseEENKUlvE_clEvENKUlvE1_clEvEUliiE_St5arrayIPcLm3EEEEviT0_T1_.has_recursion, 0
	.set _ZN2at6native29vectorized_elementwise_kernelILi2EZZZNS0_15gcd_kernel_cudaERNS_18TensorIteratorBaseEENKUlvE_clEvENKUlvE1_clEvEUliiE_St5arrayIPcLm3EEEEviT0_T1_.has_indirect_call, 0
	.section	.AMDGPU.csdata,"",@progbits
; Kernel info:
; codeLenInByte = 2764
; TotalNumSgprs: 18
; NumVgprs: 18
; ScratchSize: 0
; MemoryBound: 0
; FloatMode: 240
; IeeeMode: 1
; LDSByteSize: 0 bytes/workgroup (compile time only)
; SGPRBlocks: 0
; VGPRBlocks: 1
; NumSGPRsForWavesPerEU: 18
; NumVGPRsForWavesPerEU: 18
; NamedBarCnt: 0
; Occupancy: 16
; WaveLimiterHint : 1
; COMPUTE_PGM_RSRC2:SCRATCH_EN: 0
; COMPUTE_PGM_RSRC2:USER_SGPR: 2
; COMPUTE_PGM_RSRC2:TRAP_HANDLER: 0
; COMPUTE_PGM_RSRC2:TGID_X_EN: 1
; COMPUTE_PGM_RSRC2:TGID_Y_EN: 0
; COMPUTE_PGM_RSRC2:TGID_Z_EN: 0
; COMPUTE_PGM_RSRC2:TIDIG_COMP_CNT: 0
	.section	.text._ZN2at6native27unrolled_elementwise_kernelIZZZNS0_15gcd_kernel_cudaERNS_18TensorIteratorBaseEENKUlvE_clEvENKUlvE1_clEvEUliiE_St5arrayIPcLm3EELi4E23TrivialOffsetCalculatorILi2EjESA_ILi1EjENS0_6memory15LoadWithoutCastENSD_16StoreWithoutCastEEEviT_T0_T2_T3_T4_T5_,"axG",@progbits,_ZN2at6native27unrolled_elementwise_kernelIZZZNS0_15gcd_kernel_cudaERNS_18TensorIteratorBaseEENKUlvE_clEvENKUlvE1_clEvEUliiE_St5arrayIPcLm3EELi4E23TrivialOffsetCalculatorILi2EjESA_ILi1EjENS0_6memory15LoadWithoutCastENSD_16StoreWithoutCastEEEviT_T0_T2_T3_T4_T5_,comdat
	.globl	_ZN2at6native27unrolled_elementwise_kernelIZZZNS0_15gcd_kernel_cudaERNS_18TensorIteratorBaseEENKUlvE_clEvENKUlvE1_clEvEUliiE_St5arrayIPcLm3EELi4E23TrivialOffsetCalculatorILi2EjESA_ILi1EjENS0_6memory15LoadWithoutCastENSD_16StoreWithoutCastEEEviT_T0_T2_T3_T4_T5_ ; -- Begin function _ZN2at6native27unrolled_elementwise_kernelIZZZNS0_15gcd_kernel_cudaERNS_18TensorIteratorBaseEENKUlvE_clEvENKUlvE1_clEvEUliiE_St5arrayIPcLm3EELi4E23TrivialOffsetCalculatorILi2EjESA_ILi1EjENS0_6memory15LoadWithoutCastENSD_16StoreWithoutCastEEEviT_T0_T2_T3_T4_T5_
	.p2align	8
	.type	_ZN2at6native27unrolled_elementwise_kernelIZZZNS0_15gcd_kernel_cudaERNS_18TensorIteratorBaseEENKUlvE_clEvENKUlvE1_clEvEUliiE_St5arrayIPcLm3EELi4E23TrivialOffsetCalculatorILi2EjESA_ILi1EjENS0_6memory15LoadWithoutCastENSD_16StoreWithoutCastEEEviT_T0_T2_T3_T4_T5_,@function
_ZN2at6native27unrolled_elementwise_kernelIZZZNS0_15gcd_kernel_cudaERNS_18TensorIteratorBaseEENKUlvE_clEvENKUlvE1_clEvEUliiE_St5arrayIPcLm3EELi4E23TrivialOffsetCalculatorILi2EjESA_ILi1EjENS0_6memory15LoadWithoutCastENSD_16StoreWithoutCastEEEviT_T0_T2_T3_T4_T5_: ; @_ZN2at6native27unrolled_elementwise_kernelIZZZNS0_15gcd_kernel_cudaERNS_18TensorIteratorBaseEENKUlvE_clEvENKUlvE1_clEvEUliiE_St5arrayIPcLm3EELi4E23TrivialOffsetCalculatorILi2EjESA_ILi1EjENS0_6memory15LoadWithoutCastENSD_16StoreWithoutCastEEEviT_T0_T2_T3_T4_T5_
; %bb.0:
	s_load_b32 s8, s[0:1], 0x0
	s_bfe_u32 s10, ttmp6, 0x4000c
	s_clause 0x1
	s_load_b128 s[4:7], s[0:1], 0x8
	s_load_b64 s[2:3], s[0:1], 0x18
	s_add_co_i32 s10, s10, 1
	s_and_b32 s9, ttmp6, 15
	s_wait_xcnt 0x0
	s_mul_i32 s0, ttmp9, s10
	s_getreg_b32 s11, hwreg(HW_REG_IB_STS2, 6, 4)
	s_add_co_i32 s9, s9, s0
	s_cmp_eq_u32 s11, 0
	v_dual_mov_b32 v2, 0 :: v_dual_mov_b32 v8, 0
	s_cselect_b32 s0, ttmp9, s9
	v_dual_mov_b32 v7, 0 :: v_dual_mov_b32 v9, 0
	s_lshl_b32 s1, s0, 10
	v_dual_mov_b32 v10, 0 :: v_dual_mov_b32 v11, 0
	v_dual_mov_b32 v12, 0 :: v_dual_bitop2_b32 v6, s1, v0 bitop3:0x54
	v_or_b32_e32 v5, 0x100, v0
	s_wait_kmcnt 0x0
	s_sub_co_i32 s8, s8, s1
	v_dual_mov_b32 v13, 0 :: v_dual_mov_b32 v14, 0
	v_cmp_gt_i32_e32 vcc_lo, s8, v0
	s_and_saveexec_b32 s9, vcc_lo
	s_cbranch_execz .LBB20_8
; %bb.1:
	s_clause 0x1
	global_load_b32 v13, v6, s[6:7] scale_offset
	global_load_b32 v14, v6, s[2:3] scale_offset
	v_or_b32_e32 v1, 0x100, v0
	v_dual_mov_b32 v12, 0 :: v_dual_mov_b32 v11, 0
	v_dual_mov_b32 v10, 0 :: v_dual_mov_b32 v9, 0
	;; [unrolled: 1-line block ×3, first 2 shown]
	s_mov_b32 s10, exec_lo
	s_wait_xcnt 0x0
	v_cmpx_gt_u32_e64 s8, v1
	s_cbranch_execz .LBB20_7
; %bb.2:
	v_dual_mov_b32 v10, 0 :: v_dual_add_nc_u32 v1, s1, v1
	v_dual_mov_b32 v9, 0 :: v_dual_mov_b32 v7, 0
	v_mov_b32_e32 v8, 0
	s_clause 0x1
	global_load_b32 v11, v1, s[6:7] scale_offset
	global_load_b32 v12, v1, s[2:3] scale_offset
	s_wait_xcnt 0x0
	v_or_b32_e32 v1, 0x200, v0
	s_mov_b32 s11, exec_lo
	s_delay_alu instid0(VALU_DEP_1)
	v_cmpx_gt_u32_e64 s8, v1
	s_cbranch_execz .LBB20_6
; %bb.3:
	v_dual_add_nc_u32 v1, s1, v1 :: v_dual_mov_b32 v7, 0
	v_mov_b32_e32 v8, 0
	s_mov_b32 s12, exec_lo
	s_clause 0x1
	global_load_b32 v9, v1, s[6:7] scale_offset
	global_load_b32 v10, v1, s[2:3] scale_offset
	s_wait_xcnt 0x0
	v_or_b32_e32 v1, 0x300, v0
	s_delay_alu instid0(VALU_DEP_1)
	v_cmpx_gt_u32_e64 s8, v1
	s_cbranch_execz .LBB20_5
; %bb.4:
	v_add_nc_u32_e32 v1, s1, v1
	s_clause 0x1
	global_load_b32 v3, v1, s[2:3] scale_offset
	global_load_b32 v8, v1, s[6:7] scale_offset
	s_wait_loadcnt 0x1
	s_wait_xcnt 0x0
	v_sub_nc_u32_e32 v1, 0, v3
	s_delay_alu instid0(VALU_DEP_1)
	v_max_i32_e32 v7, v3, v1
.LBB20_5:
	s_or_b32 exec_lo, exec_lo, s12
.LBB20_6:
	s_delay_alu instid0(SALU_CYCLE_1)
	s_or_b32 exec_lo, exec_lo, s11
.LBB20_7:
	s_delay_alu instid0(SALU_CYCLE_1)
	s_or_b32 exec_lo, exec_lo, s10
.LBB20_8:
	s_delay_alu instid0(SALU_CYCLE_1)
	s_or_b32 exec_lo, exec_lo, s9
	v_dual_mov_b32 v1, v2 :: v_dual_mov_b32 v4, v2
	v_mov_b32_e32 v3, v2
	s_and_saveexec_b32 s2, vcc_lo
	s_cbranch_execz .LBB20_14
; %bb.9:
	s_wait_loadcnt 0x0
	v_sub_nc_u32_e32 v1, 0, v14
	s_mov_b32 s3, exec_lo
	s_delay_alu instid0(VALU_DEP_1)
	v_max_i32_e32 v2, v14, v1
	v_cmpx_ne_u32_e32 0, v13
	s_cbranch_execz .LBB20_13
; %bb.10:
	v_sub_nc_u32_e32 v1, 0, v13
	s_mov_b32 s6, 0
	s_delay_alu instid0(VALU_DEP_1)
	v_max_i32_e32 v3, v13, v1
.LBB20_11:                              ; =>This Inner Loop Header: Depth=1
	s_delay_alu instid0(VALU_DEP_1) | instskip(NEXT) | instid1(VALU_DEP_1)
	v_mov_b32_e32 v1, v3
	v_cvt_f32_u32_e32 v3, v1
	v_sub_nc_u32_e32 v4, 0, v1
	s_delay_alu instid0(VALU_DEP_2) | instskip(SKIP_1) | instid1(TRANS32_DEP_1)
	v_rcp_iflag_f32_e32 v3, v3
	v_nop
	v_mul_f32_e32 v3, 0x4f7ffffe, v3
	s_delay_alu instid0(VALU_DEP_1) | instskip(NEXT) | instid1(VALU_DEP_1)
	v_cvt_u32_f32_e32 v3, v3
	v_mul_lo_u32 v4, v4, v3
	s_delay_alu instid0(VALU_DEP_1) | instskip(NEXT) | instid1(VALU_DEP_1)
	v_mul_hi_u32 v4, v3, v4
	v_add_nc_u32_e32 v3, v3, v4
	s_delay_alu instid0(VALU_DEP_1) | instskip(NEXT) | instid1(VALU_DEP_1)
	v_mul_hi_u32 v3, v2, v3
	v_mul_lo_u32 v3, v3, v1
	s_delay_alu instid0(VALU_DEP_1) | instskip(NEXT) | instid1(VALU_DEP_1)
	v_sub_nc_u32_e32 v2, v2, v3
	v_sub_nc_u32_e32 v3, v2, v1
	v_cmp_ge_u32_e64 s0, v2, v1
	s_delay_alu instid0(VALU_DEP_1) | instskip(NEXT) | instid1(VALU_DEP_1)
	v_cndmask_b32_e64 v2, v2, v3, s0
	v_sub_nc_u32_e32 v3, v2, v1
	v_cmp_ge_u32_e64 s0, v2, v1
	s_delay_alu instid0(VALU_DEP_1) | instskip(NEXT) | instid1(VALU_DEP_1)
	v_dual_cndmask_b32 v3, v2, v3, s0 :: v_dual_mov_b32 v2, v1
	v_cmp_eq_u32_e64 s0, 0, v3
	s_or_b32 s6, s0, s6
	s_delay_alu instid0(SALU_CYCLE_1)
	s_and_not1_b32 exec_lo, exec_lo, s6
	s_cbranch_execnz .LBB20_11
; %bb.12:
	s_or_b32 exec_lo, exec_lo, s6
	v_mov_b32_e32 v2, v1
.LBB20_13:
	s_or_b32 exec_lo, exec_lo, s3
	v_mov_b32_e32 v1, 0
	s_delay_alu instid0(VALU_DEP_1)
	v_dual_mov_b32 v4, v1 :: v_dual_mov_b32 v3, v1
.LBB20_14:
	s_or_b32 exec_lo, exec_lo, s2
	s_delay_alu instid0(SALU_CYCLE_1)
	s_mov_b32 s2, exec_lo
	v_cmpx_gt_i32_e64 s8, v5
	s_cbranch_execz .LBB20_20
; %bb.15:
	s_wait_loadcnt 0x0
	v_sub_nc_u32_e32 v1, 0, v12
	s_mov_b32 s6, 0
	s_mov_b32 s3, exec_lo
	s_delay_alu instid0(VALU_DEP_1)
	v_max_i32_e32 v1, v12, v1
	v_cmpx_ne_u32_e32 0, v11
	s_cbranch_execz .LBB20_19
; %bb.16:
	v_sub_nc_u32_e32 v12, 0, v11
	s_delay_alu instid0(VALU_DEP_1)
	v_max_i32_e32 v12, v11, v12
.LBB20_17:                              ; =>This Inner Loop Header: Depth=1
	s_delay_alu instid0(VALU_DEP_1) | instskip(NEXT) | instid1(VALU_DEP_1)
	v_mov_b32_e32 v11, v12
	v_cvt_f32_u32_e32 v12, v11
	s_delay_alu instid0(VALU_DEP_1) | instskip(SKIP_1) | instid1(TRANS32_DEP_1)
	v_rcp_iflag_f32_e32 v12, v12
	v_nop
	v_dual_mul_f32 v12, 0x4f7ffffe, v12 :: v_dual_sub_nc_u32 v13, 0, v11
	s_delay_alu instid0(VALU_DEP_1) | instskip(NEXT) | instid1(VALU_DEP_1)
	v_cvt_u32_f32_e32 v12, v12
	v_mul_lo_u32 v13, v13, v12
	s_delay_alu instid0(VALU_DEP_1) | instskip(NEXT) | instid1(VALU_DEP_1)
	v_mul_hi_u32 v13, v12, v13
	v_add_nc_u32_e32 v12, v12, v13
	s_delay_alu instid0(VALU_DEP_1) | instskip(NEXT) | instid1(VALU_DEP_1)
	v_mul_hi_u32 v12, v1, v12
	v_mul_lo_u32 v12, v12, v11
	s_delay_alu instid0(VALU_DEP_1) | instskip(NEXT) | instid1(VALU_DEP_1)
	v_sub_nc_u32_e32 v1, v1, v12
	v_sub_nc_u32_e32 v12, v1, v11
	v_cmp_ge_u32_e64 s0, v1, v11
	s_delay_alu instid0(VALU_DEP_1) | instskip(NEXT) | instid1(VALU_DEP_1)
	v_cndmask_b32_e64 v1, v1, v12, s0
	v_sub_nc_u32_e32 v12, v1, v11
	v_cmp_ge_u32_e64 s0, v1, v11
	s_delay_alu instid0(VALU_DEP_1) | instskip(NEXT) | instid1(VALU_DEP_1)
	v_dual_cndmask_b32 v12, v1, v12, s0 :: v_dual_mov_b32 v1, v11
	v_cmp_eq_u32_e64 s0, 0, v12
	s_or_b32 s6, s0, s6
	s_delay_alu instid0(SALU_CYCLE_1)
	s_and_not1_b32 exec_lo, exec_lo, s6
	s_cbranch_execnz .LBB20_17
; %bb.18:
	s_or_b32 exec_lo, exec_lo, s6
	v_mov_b32_e32 v1, v11
.LBB20_19:
	s_or_b32 exec_lo, exec_lo, s3
.LBB20_20:
	s_delay_alu instid0(SALU_CYCLE_1) | instskip(SKIP_3) | instid1(VALU_DEP_1)
	s_or_b32 exec_lo, exec_lo, s2
	s_wait_loadcnt 0x1
	v_or_b32_e32 v11, 0x200, v0
	s_mov_b32 s2, exec_lo
	v_cmpx_gt_i32_e64 s8, v11
	s_cbranch_execz .LBB20_26
; %bb.21:
	s_wait_loadcnt 0x0
	v_sub_nc_u32_e32 v4, 0, v10
	s_mov_b32 s6, 0
	s_mov_b32 s3, exec_lo
	s_delay_alu instid0(VALU_DEP_1)
	v_max_i32_e32 v4, v10, v4
	v_cmpx_ne_u32_e32 0, v9
	s_cbranch_execz .LBB20_25
; %bb.22:
	v_sub_nc_u32_e32 v10, 0, v9
	s_delay_alu instid0(VALU_DEP_1)
	v_max_i32_e32 v10, v9, v10
.LBB20_23:                              ; =>This Inner Loop Header: Depth=1
	s_delay_alu instid0(VALU_DEP_1) | instskip(NEXT) | instid1(VALU_DEP_1)
	v_mov_b32_e32 v9, v10
	v_cvt_f32_u32_e32 v10, v9
	s_delay_alu instid0(VALU_DEP_1) | instskip(SKIP_1) | instid1(TRANS32_DEP_1)
	v_rcp_iflag_f32_e32 v10, v10
	v_nop
	v_dual_mul_f32 v10, 0x4f7ffffe, v10 :: v_dual_sub_nc_u32 v11, 0, v9
	s_delay_alu instid0(VALU_DEP_1) | instskip(NEXT) | instid1(VALU_DEP_1)
	v_cvt_u32_f32_e32 v10, v10
	v_mul_lo_u32 v11, v11, v10
	s_delay_alu instid0(VALU_DEP_1) | instskip(NEXT) | instid1(VALU_DEP_1)
	v_mul_hi_u32 v11, v10, v11
	v_add_nc_u32_e32 v10, v10, v11
	s_delay_alu instid0(VALU_DEP_1) | instskip(NEXT) | instid1(VALU_DEP_1)
	v_mul_hi_u32 v10, v4, v10
	v_mul_lo_u32 v10, v10, v9
	s_delay_alu instid0(VALU_DEP_1) | instskip(NEXT) | instid1(VALU_DEP_1)
	v_sub_nc_u32_e32 v4, v4, v10
	v_sub_nc_u32_e32 v10, v4, v9
	v_cmp_ge_u32_e64 s0, v4, v9
	s_delay_alu instid0(VALU_DEP_1) | instskip(NEXT) | instid1(VALU_DEP_1)
	v_cndmask_b32_e64 v4, v4, v10, s0
	v_sub_nc_u32_e32 v10, v4, v9
	v_cmp_ge_u32_e64 s0, v4, v9
	s_delay_alu instid0(VALU_DEP_1) | instskip(NEXT) | instid1(VALU_DEP_1)
	v_dual_cndmask_b32 v10, v4, v10, s0 :: v_dual_mov_b32 v4, v9
	v_cmp_eq_u32_e64 s0, 0, v10
	s_or_b32 s6, s0, s6
	s_delay_alu instid0(SALU_CYCLE_1)
	s_and_not1_b32 exec_lo, exec_lo, s6
	s_cbranch_execnz .LBB20_23
; %bb.24:
	s_or_b32 exec_lo, exec_lo, s6
	v_mov_b32_e32 v4, v9
.LBB20_25:
	s_or_b32 exec_lo, exec_lo, s3
.LBB20_26:
	s_delay_alu instid0(SALU_CYCLE_1) | instskip(SKIP_2) | instid1(VALU_DEP_1)
	s_or_b32 exec_lo, exec_lo, s2
	v_or_b32_e32 v9, 0x300, v0
	s_mov_b32 s2, exec_lo
	v_cmpx_gt_i32_e64 s8, v9
	s_cbranch_execnz .LBB20_32
; %bb.27:
	s_or_b32 exec_lo, exec_lo, s2
	s_and_saveexec_b32 s0, vcc_lo
	s_delay_alu instid0(SALU_CYCLE_1)
	s_xor_b32 s0, exec_lo, s0
	s_cbranch_execnz .LBB20_37
.LBB20_28:
	s_or_b32 exec_lo, exec_lo, s0
	s_delay_alu instid0(SALU_CYCLE_1)
	s_mov_b32 s0, exec_lo
	v_cmpx_gt_i32_e64 s8, v0
	s_cbranch_execnz .LBB20_38
.LBB20_29:
	s_or_b32 exec_lo, exec_lo, s0
	s_delay_alu instid0(SALU_CYCLE_1)
	s_mov_b32 s0, exec_lo
	v_cmpx_gt_i32_e64 s8, v0
	s_cbranch_execnz .LBB20_39
.LBB20_30:
	s_or_b32 exec_lo, exec_lo, s0
	s_delay_alu instid0(SALU_CYCLE_1)
	s_mov_b32 s0, exec_lo
	v_cmpx_gt_i32_e64 s8, v0
	s_cbranch_execnz .LBB20_40
.LBB20_31:
	s_endpgm
.LBB20_32:
	s_mov_b32 s6, 0
	s_mov_b32 s3, exec_lo
	s_wait_loadcnt 0x0
	v_cmpx_ne_u32_e32 0, v8
	s_cbranch_execz .LBB20_36
; %bb.33:
	v_sub_nc_u32_e32 v3, 0, v8
	s_delay_alu instid0(VALU_DEP_1)
	v_max_i32_e32 v8, v8, v3
.LBB20_34:                              ; =>This Inner Loop Header: Depth=1
	s_delay_alu instid0(VALU_DEP_1) | instskip(NEXT) | instid1(VALU_DEP_1)
	v_mov_b32_e32 v3, v8
	v_cvt_f32_u32_e32 v8, v3
	s_delay_alu instid0(VALU_DEP_1) | instskip(SKIP_1) | instid1(TRANS32_DEP_1)
	v_rcp_iflag_f32_e32 v8, v8
	v_nop
	v_dual_mul_f32 v8, 0x4f7ffffe, v8 :: v_dual_sub_nc_u32 v9, 0, v3
	s_delay_alu instid0(VALU_DEP_1) | instskip(NEXT) | instid1(VALU_DEP_1)
	v_cvt_u32_f32_e32 v8, v8
	v_mul_lo_u32 v9, v9, v8
	s_delay_alu instid0(VALU_DEP_1) | instskip(NEXT) | instid1(VALU_DEP_1)
	v_mul_hi_u32 v9, v8, v9
	v_add_nc_u32_e32 v8, v8, v9
	s_delay_alu instid0(VALU_DEP_1) | instskip(NEXT) | instid1(VALU_DEP_1)
	v_mul_hi_u32 v8, v7, v8
	v_mul_lo_u32 v8, v8, v3
	s_delay_alu instid0(VALU_DEP_1) | instskip(NEXT) | instid1(VALU_DEP_1)
	v_sub_nc_u32_e32 v7, v7, v8
	v_sub_nc_u32_e32 v8, v7, v3
	v_cmp_ge_u32_e64 s0, v7, v3
	s_delay_alu instid0(VALU_DEP_1) | instskip(NEXT) | instid1(VALU_DEP_1)
	v_cndmask_b32_e64 v7, v7, v8, s0
	v_sub_nc_u32_e32 v8, v7, v3
	v_cmp_ge_u32_e64 s0, v7, v3
	s_delay_alu instid0(VALU_DEP_1) | instskip(SKIP_1) | instid1(VALU_DEP_2)
	v_cndmask_b32_e64 v8, v7, v8, s0
	v_mov_b32_e32 v7, v3
	v_cmp_eq_u32_e64 s0, 0, v8
	s_or_b32 s6, s0, s6
	s_delay_alu instid0(SALU_CYCLE_1)
	s_and_not1_b32 exec_lo, exec_lo, s6
	s_cbranch_execnz .LBB20_34
; %bb.35:
	s_or_b32 exec_lo, exec_lo, s6
	v_mov_b32_e32 v7, v3
.LBB20_36:
	s_or_b32 exec_lo, exec_lo, s3
	s_delay_alu instid0(VALU_DEP_1) | instskip(SKIP_2) | instid1(SALU_CYCLE_1)
	v_mov_b32_e32 v3, v7
	s_or_b32 exec_lo, exec_lo, s2
	s_and_saveexec_b32 s0, vcc_lo
	s_xor_b32 s0, exec_lo, s0
	s_cbranch_execz .LBB20_28
.LBB20_37:
	v_mov_b32_e32 v0, v5
	global_store_b32 v6, v2, s[4:5] scale_offset
	s_wait_xcnt 0x0
	s_or_b32 exec_lo, exec_lo, s0
	s_delay_alu instid0(SALU_CYCLE_1)
	s_mov_b32 s0, exec_lo
	v_cmpx_gt_i32_e64 s8, v0
	s_cbranch_execz .LBB20_29
.LBB20_38:
	v_add_nc_u32_e32 v2, 0x100, v0
	s_delay_alu instid0(VALU_DEP_1) | instskip(SKIP_3) | instid1(SALU_CYCLE_1)
	v_dual_mov_b32 v0, v2 :: v_dual_add_nc_u32 v5, s1, v0
	global_store_b32 v5, v1, s[4:5] scale_offset
	s_wait_xcnt 0x0
	s_or_b32 exec_lo, exec_lo, s0
	s_mov_b32 s0, exec_lo
	v_cmpx_gt_i32_e64 s8, v0
	s_cbranch_execz .LBB20_30
.LBB20_39:
	v_add_nc_u32_e32 v1, 0x100, v0
	s_delay_alu instid0(VALU_DEP_1) | instskip(SKIP_3) | instid1(SALU_CYCLE_1)
	v_dual_add_nc_u32 v2, s1, v0 :: v_dual_mov_b32 v0, v1
	global_store_b32 v2, v4, s[4:5] scale_offset
	s_wait_xcnt 0x0
	s_or_b32 exec_lo, exec_lo, s0
	s_mov_b32 s0, exec_lo
	v_cmpx_gt_i32_e64 s8, v0
	s_cbranch_execz .LBB20_31
.LBB20_40:
	v_add_nc_u32_e32 v0, s1, v0
	global_store_b32 v0, v3, s[4:5] scale_offset
	s_endpgm
	.section	.rodata,"a",@progbits
	.p2align	6, 0x0
	.amdhsa_kernel _ZN2at6native27unrolled_elementwise_kernelIZZZNS0_15gcd_kernel_cudaERNS_18TensorIteratorBaseEENKUlvE_clEvENKUlvE1_clEvEUliiE_St5arrayIPcLm3EELi4E23TrivialOffsetCalculatorILi2EjESA_ILi1EjENS0_6memory15LoadWithoutCastENSD_16StoreWithoutCastEEEviT_T0_T2_T3_T4_T5_
		.amdhsa_group_segment_fixed_size 0
		.amdhsa_private_segment_fixed_size 0
		.amdhsa_kernarg_size 36
		.amdhsa_user_sgpr_count 2
		.amdhsa_user_sgpr_dispatch_ptr 0
		.amdhsa_user_sgpr_queue_ptr 0
		.amdhsa_user_sgpr_kernarg_segment_ptr 1
		.amdhsa_user_sgpr_dispatch_id 0
		.amdhsa_user_sgpr_kernarg_preload_length 0
		.amdhsa_user_sgpr_kernarg_preload_offset 0
		.amdhsa_user_sgpr_private_segment_size 0
		.amdhsa_wavefront_size32 1
		.amdhsa_uses_dynamic_stack 0
		.amdhsa_enable_private_segment 0
		.amdhsa_system_sgpr_workgroup_id_x 1
		.amdhsa_system_sgpr_workgroup_id_y 0
		.amdhsa_system_sgpr_workgroup_id_z 0
		.amdhsa_system_sgpr_workgroup_info 0
		.amdhsa_system_vgpr_workitem_id 0
		.amdhsa_next_free_vgpr 15
		.amdhsa_next_free_sgpr 13
		.amdhsa_named_barrier_count 0
		.amdhsa_reserve_vcc 1
		.amdhsa_float_round_mode_32 0
		.amdhsa_float_round_mode_16_64 0
		.amdhsa_float_denorm_mode_32 3
		.amdhsa_float_denorm_mode_16_64 3
		.amdhsa_fp16_overflow 0
		.amdhsa_memory_ordered 1
		.amdhsa_forward_progress 1
		.amdhsa_inst_pref_size 15
		.amdhsa_round_robin_scheduling 0
		.amdhsa_exception_fp_ieee_invalid_op 0
		.amdhsa_exception_fp_denorm_src 0
		.amdhsa_exception_fp_ieee_div_zero 0
		.amdhsa_exception_fp_ieee_overflow 0
		.amdhsa_exception_fp_ieee_underflow 0
		.amdhsa_exception_fp_ieee_inexact 0
		.amdhsa_exception_int_div_zero 0
	.end_amdhsa_kernel
	.section	.text._ZN2at6native27unrolled_elementwise_kernelIZZZNS0_15gcd_kernel_cudaERNS_18TensorIteratorBaseEENKUlvE_clEvENKUlvE1_clEvEUliiE_St5arrayIPcLm3EELi4E23TrivialOffsetCalculatorILi2EjESA_ILi1EjENS0_6memory15LoadWithoutCastENSD_16StoreWithoutCastEEEviT_T0_T2_T3_T4_T5_,"axG",@progbits,_ZN2at6native27unrolled_elementwise_kernelIZZZNS0_15gcd_kernel_cudaERNS_18TensorIteratorBaseEENKUlvE_clEvENKUlvE1_clEvEUliiE_St5arrayIPcLm3EELi4E23TrivialOffsetCalculatorILi2EjESA_ILi1EjENS0_6memory15LoadWithoutCastENSD_16StoreWithoutCastEEEviT_T0_T2_T3_T4_T5_,comdat
.Lfunc_end20:
	.size	_ZN2at6native27unrolled_elementwise_kernelIZZZNS0_15gcd_kernel_cudaERNS_18TensorIteratorBaseEENKUlvE_clEvENKUlvE1_clEvEUliiE_St5arrayIPcLm3EELi4E23TrivialOffsetCalculatorILi2EjESA_ILi1EjENS0_6memory15LoadWithoutCastENSD_16StoreWithoutCastEEEviT_T0_T2_T3_T4_T5_, .Lfunc_end20-_ZN2at6native27unrolled_elementwise_kernelIZZZNS0_15gcd_kernel_cudaERNS_18TensorIteratorBaseEENKUlvE_clEvENKUlvE1_clEvEUliiE_St5arrayIPcLm3EELi4E23TrivialOffsetCalculatorILi2EjESA_ILi1EjENS0_6memory15LoadWithoutCastENSD_16StoreWithoutCastEEEviT_T0_T2_T3_T4_T5_
                                        ; -- End function
	.set _ZN2at6native27unrolled_elementwise_kernelIZZZNS0_15gcd_kernel_cudaERNS_18TensorIteratorBaseEENKUlvE_clEvENKUlvE1_clEvEUliiE_St5arrayIPcLm3EELi4E23TrivialOffsetCalculatorILi2EjESA_ILi1EjENS0_6memory15LoadWithoutCastENSD_16StoreWithoutCastEEEviT_T0_T2_T3_T4_T5_.num_vgpr, 15
	.set _ZN2at6native27unrolled_elementwise_kernelIZZZNS0_15gcd_kernel_cudaERNS_18TensorIteratorBaseEENKUlvE_clEvENKUlvE1_clEvEUliiE_St5arrayIPcLm3EELi4E23TrivialOffsetCalculatorILi2EjESA_ILi1EjENS0_6memory15LoadWithoutCastENSD_16StoreWithoutCastEEEviT_T0_T2_T3_T4_T5_.num_agpr, 0
	.set _ZN2at6native27unrolled_elementwise_kernelIZZZNS0_15gcd_kernel_cudaERNS_18TensorIteratorBaseEENKUlvE_clEvENKUlvE1_clEvEUliiE_St5arrayIPcLm3EELi4E23TrivialOffsetCalculatorILi2EjESA_ILi1EjENS0_6memory15LoadWithoutCastENSD_16StoreWithoutCastEEEviT_T0_T2_T3_T4_T5_.numbered_sgpr, 13
	.set _ZN2at6native27unrolled_elementwise_kernelIZZZNS0_15gcd_kernel_cudaERNS_18TensorIteratorBaseEENKUlvE_clEvENKUlvE1_clEvEUliiE_St5arrayIPcLm3EELi4E23TrivialOffsetCalculatorILi2EjESA_ILi1EjENS0_6memory15LoadWithoutCastENSD_16StoreWithoutCastEEEviT_T0_T2_T3_T4_T5_.num_named_barrier, 0
	.set _ZN2at6native27unrolled_elementwise_kernelIZZZNS0_15gcd_kernel_cudaERNS_18TensorIteratorBaseEENKUlvE_clEvENKUlvE1_clEvEUliiE_St5arrayIPcLm3EELi4E23TrivialOffsetCalculatorILi2EjESA_ILi1EjENS0_6memory15LoadWithoutCastENSD_16StoreWithoutCastEEEviT_T0_T2_T3_T4_T5_.private_seg_size, 0
	.set _ZN2at6native27unrolled_elementwise_kernelIZZZNS0_15gcd_kernel_cudaERNS_18TensorIteratorBaseEENKUlvE_clEvENKUlvE1_clEvEUliiE_St5arrayIPcLm3EELi4E23TrivialOffsetCalculatorILi2EjESA_ILi1EjENS0_6memory15LoadWithoutCastENSD_16StoreWithoutCastEEEviT_T0_T2_T3_T4_T5_.uses_vcc, 1
	.set _ZN2at6native27unrolled_elementwise_kernelIZZZNS0_15gcd_kernel_cudaERNS_18TensorIteratorBaseEENKUlvE_clEvENKUlvE1_clEvEUliiE_St5arrayIPcLm3EELi4E23TrivialOffsetCalculatorILi2EjESA_ILi1EjENS0_6memory15LoadWithoutCastENSD_16StoreWithoutCastEEEviT_T0_T2_T3_T4_T5_.uses_flat_scratch, 0
	.set _ZN2at6native27unrolled_elementwise_kernelIZZZNS0_15gcd_kernel_cudaERNS_18TensorIteratorBaseEENKUlvE_clEvENKUlvE1_clEvEUliiE_St5arrayIPcLm3EELi4E23TrivialOffsetCalculatorILi2EjESA_ILi1EjENS0_6memory15LoadWithoutCastENSD_16StoreWithoutCastEEEviT_T0_T2_T3_T4_T5_.has_dyn_sized_stack, 0
	.set _ZN2at6native27unrolled_elementwise_kernelIZZZNS0_15gcd_kernel_cudaERNS_18TensorIteratorBaseEENKUlvE_clEvENKUlvE1_clEvEUliiE_St5arrayIPcLm3EELi4E23TrivialOffsetCalculatorILi2EjESA_ILi1EjENS0_6memory15LoadWithoutCastENSD_16StoreWithoutCastEEEviT_T0_T2_T3_T4_T5_.has_recursion, 0
	.set _ZN2at6native27unrolled_elementwise_kernelIZZZNS0_15gcd_kernel_cudaERNS_18TensorIteratorBaseEENKUlvE_clEvENKUlvE1_clEvEUliiE_St5arrayIPcLm3EELi4E23TrivialOffsetCalculatorILi2EjESA_ILi1EjENS0_6memory15LoadWithoutCastENSD_16StoreWithoutCastEEEviT_T0_T2_T3_T4_T5_.has_indirect_call, 0
	.section	.AMDGPU.csdata,"",@progbits
; Kernel info:
; codeLenInByte = 1800
; TotalNumSgprs: 15
; NumVgprs: 15
; ScratchSize: 0
; MemoryBound: 0
; FloatMode: 240
; IeeeMode: 1
; LDSByteSize: 0 bytes/workgroup (compile time only)
; SGPRBlocks: 0
; VGPRBlocks: 0
; NumSGPRsForWavesPerEU: 15
; NumVGPRsForWavesPerEU: 15
; NamedBarCnt: 0
; Occupancy: 16
; WaveLimiterHint : 0
; COMPUTE_PGM_RSRC2:SCRATCH_EN: 0
; COMPUTE_PGM_RSRC2:USER_SGPR: 2
; COMPUTE_PGM_RSRC2:TRAP_HANDLER: 0
; COMPUTE_PGM_RSRC2:TGID_X_EN: 1
; COMPUTE_PGM_RSRC2:TGID_Y_EN: 0
; COMPUTE_PGM_RSRC2:TGID_Z_EN: 0
; COMPUTE_PGM_RSRC2:TIDIG_COMP_CNT: 0
	.section	.text._ZN2at6native32elementwise_kernel_manual_unrollILi128ELi4EZNS0_22gpu_kernel_impl_nocastIZZZNS0_15gcd_kernel_cudaERNS_18TensorIteratorBaseEENKUlvE_clEvENKUlvE1_clEvEUliiE_EEvS4_RKT_EUlibE_EEviT1_,"axG",@progbits,_ZN2at6native32elementwise_kernel_manual_unrollILi128ELi4EZNS0_22gpu_kernel_impl_nocastIZZZNS0_15gcd_kernel_cudaERNS_18TensorIteratorBaseEENKUlvE_clEvENKUlvE1_clEvEUliiE_EEvS4_RKT_EUlibE_EEviT1_,comdat
	.globl	_ZN2at6native32elementwise_kernel_manual_unrollILi128ELi4EZNS0_22gpu_kernel_impl_nocastIZZZNS0_15gcd_kernel_cudaERNS_18TensorIteratorBaseEENKUlvE_clEvENKUlvE1_clEvEUliiE_EEvS4_RKT_EUlibE_EEviT1_ ; -- Begin function _ZN2at6native32elementwise_kernel_manual_unrollILi128ELi4EZNS0_22gpu_kernel_impl_nocastIZZZNS0_15gcd_kernel_cudaERNS_18TensorIteratorBaseEENKUlvE_clEvENKUlvE1_clEvEUliiE_EEvS4_RKT_EUlibE_EEviT1_
	.p2align	8
	.type	_ZN2at6native32elementwise_kernel_manual_unrollILi128ELi4EZNS0_22gpu_kernel_impl_nocastIZZZNS0_15gcd_kernel_cudaERNS_18TensorIteratorBaseEENKUlvE_clEvENKUlvE1_clEvEUliiE_EEvS4_RKT_EUlibE_EEviT1_,@function
_ZN2at6native32elementwise_kernel_manual_unrollILi128ELi4EZNS0_22gpu_kernel_impl_nocastIZZZNS0_15gcd_kernel_cudaERNS_18TensorIteratorBaseEENKUlvE_clEvENKUlvE1_clEvEUliiE_EEvS4_RKT_EUlibE_EEviT1_: ; @_ZN2at6native32elementwise_kernel_manual_unrollILi128ELi4EZNS0_22gpu_kernel_impl_nocastIZZZNS0_15gcd_kernel_cudaERNS_18TensorIteratorBaseEENKUlvE_clEvENKUlvE1_clEvEUliiE_EEvS4_RKT_EUlibE_EEviT1_
; %bb.0:
	s_clause 0x1
	s_load_b32 s26, s[0:1], 0x8
	s_load_b32 s33, s[0:1], 0x0
	s_bfe_u32 s2, ttmp6, 0x4000c
	s_and_b32 s3, ttmp6, 15
	s_add_co_i32 s2, s2, 1
	s_getreg_b32 s4, hwreg(HW_REG_IB_STS2, 6, 4)
	s_mul_i32 s2, ttmp9, s2
	s_add_nc_u64 s[12:13], s[0:1], 8
	s_add_co_i32 s3, s3, s2
	s_cmp_eq_u32 s4, 0
	s_mov_b32 s21, 0
	s_cselect_b32 s2, ttmp9, s3
	s_wait_xcnt 0x0
	s_mov_b32 s0, exec_lo
	v_lshl_or_b32 v0, s2, 9, v0
	s_delay_alu instid0(VALU_DEP_1) | instskip(SKIP_2) | instid1(SALU_CYCLE_1)
	v_or_b32_e32 v3, 0x180, v0
	s_wait_kmcnt 0x0
	s_add_co_i32 s27, s26, -1
	s_cmp_gt_u32 s27, 1
	s_cselect_b32 s28, -1, 0
	v_cmpx_le_i32_e64 s33, v3
	s_xor_b32 s29, exec_lo, s0
	s_cbranch_execz .LBB21_70
; %bb.1:
	s_clause 0x5
	s_load_b128 s[4:7], s[12:13], 0x4
	s_load_b64 s[16:17], s[12:13], 0x14
	s_load_b128 s[8:11], s[12:13], 0xc4
	s_load_b64 s[18:19], s[12:13], 0xd4
	s_load_b64 s[14:15], s[12:13], 0x198
	s_load_b128 s[0:3], s[12:13], 0x188
	s_cmp_lg_u32 s26, 0
	s_mov_b32 s23, s21
	s_cselect_b32 s34, -1, 0
	s_min_u32 s31, s27, 15
	s_cmp_gt_u32 s26, 1
	s_cselect_b32 s30, -1, 0
	s_wait_kmcnt 0x0
	s_mov_b32 s20, s5
	s_mov_b32 s22, s16
	s_mov_b32 s5, exec_lo
	v_cmpx_gt_i32_e64 s33, v0
	s_cbranch_execnz .LBB21_5
; %bb.2:
	s_or_b32 exec_lo, exec_lo, s5
	s_delay_alu instid0(SALU_CYCLE_1)
	s_mov_b32 s5, exec_lo
	v_cmpx_gt_i32_e64 s33, v0
	s_cbranch_execnz .LBB21_21
.LBB21_3:
	s_or_b32 exec_lo, exec_lo, s5
	s_delay_alu instid0(SALU_CYCLE_1)
	s_mov_b32 s5, exec_lo
	v_cmpx_gt_i32_e64 s33, v0
	s_cbranch_execnz .LBB21_37
.LBB21_4:
	s_or_b32 exec_lo, exec_lo, s5
	s_delay_alu instid0(SALU_CYCLE_1)
	s_mov_b32 s5, exec_lo
	v_cmpx_gt_i32_e64 s33, v0
	s_cbranch_execnz .LBB21_53
	s_branch .LBB21_69
.LBB21_5:
	s_and_not1_b32 vcc_lo, exec_lo, s28
	s_cbranch_vccnz .LBB21_11
; %bb.6:
	s_and_not1_b32 vcc_lo, exec_lo, s34
	s_cbranch_vccnz .LBB21_12
; %bb.7:
	v_dual_mov_b32 v4, 0 :: v_dual_mov_b32 v1, v0
	v_dual_mov_b32 v6, 0 :: v_dual_mov_b32 v5, 0
	s_add_co_i32 s16, s31, 1
	s_mov_b64 s[24:25], 0xffffffffffffffe8
	s_and_b32 s16, s16, 30
	s_add_nc_u64 s[24:25], s[12:13], s[24:25]
.LBB21_8:                               ; =>This Inner Loop Header: Depth=1
	s_clause 0x1
	s_load_b128 s[36:39], s[24:25], 0x1c
	s_load_b64 s[44:45], s[24:25], 0x2c
	s_add_co_i32 s16, s16, -2
	s_delay_alu instid0(SALU_CYCLE_1) | instskip(SKIP_2) | instid1(VALU_DEP_1)
	s_cmp_lg_u32 s16, 0
	s_wait_kmcnt 0x0
	v_mul_hi_u32 v2, s37, v1
	v_add_nc_u32_e32 v2, v1, v2
	s_delay_alu instid0(VALU_DEP_1) | instskip(NEXT) | instid1(VALU_DEP_1)
	v_lshrrev_b32_e32 v2, s38, v2
	v_mul_hi_u32 v3, s44, v2
	v_mul_lo_u32 v7, v2, s36
	s_clause 0x1
	s_load_b128 s[40:43], s[24:25], 0xdc
	s_load_b64 s[36:37], s[24:25], 0xec
	s_wait_xcnt 0x0
	s_add_nc_u64 s[24:25], s[24:25], 24
	s_delay_alu instid0(VALU_DEP_2) | instskip(NEXT) | instid1(VALU_DEP_2)
	v_add_nc_u32_e32 v3, v2, v3
	v_sub_nc_u32_e32 v7, v1, v7
	s_delay_alu instid0(VALU_DEP_2) | instskip(SKIP_1) | instid1(VALU_DEP_2)
	v_lshrrev_b32_e32 v1, s45, v3
	s_wait_kmcnt 0x0
	v_mad_u32 v4, v7, s40, v4
	s_delay_alu instid0(VALU_DEP_2) | instskip(SKIP_2) | instid1(VALU_DEP_3)
	v_mul_lo_u32 v3, v1, s39
	v_mad_u32 v5, v7, s42, v5
	v_mad_u32 v6, v7, s41, v6
	v_sub_nc_u32_e32 v2, v2, v3
	s_delay_alu instid0(VALU_DEP_1) | instskip(NEXT) | instid1(VALU_DEP_4)
	v_mad_u32 v4, v2, s43, v4
	v_mad_u32 v5, v2, s37, v5
	s_delay_alu instid0(VALU_DEP_4)
	v_mad_u32 v6, v2, s36, v6
	s_cbranch_scc1 .LBB21_8
; %bb.9:
	s_bitcmp1_b32 s31, 0
	s_cselect_b32 s16, -1, 0
	s_delay_alu instid0(SALU_CYCLE_1)
	s_and_b32 vcc_lo, exec_lo, s16
	s_cbranch_vccnz .LBB21_13
; %bb.10:
	s_clause 0x1
	s_load_b96 s[36:38], s[24:25], 0x1c
	s_load_b96 s[40:42], s[24:25], 0xdc
	s_wait_kmcnt 0x0
	v_mul_hi_u32 v2, s37, v1
	s_delay_alu instid0(VALU_DEP_1) | instskip(NEXT) | instid1(VALU_DEP_1)
	v_add_nc_u32_e32 v2, v1, v2
	v_lshrrev_b32_e32 v2, s38, v2
	s_delay_alu instid0(VALU_DEP_1) | instskip(NEXT) | instid1(VALU_DEP_1)
	v_mul_lo_u32 v2, v2, s36
	v_sub_nc_u32_e32 v1, v1, v2
	s_delay_alu instid0(VALU_DEP_1)
	v_mad_u32 v4, v1, s40, v4
	v_mad_u32 v6, v1, s41, v6
	;; [unrolled: 1-line block ×3, first 2 shown]
	s_cbranch_execz .LBB21_14
	s_branch .LBB21_16
.LBB21_11:
                                        ; implicit-def: $vgpr5
                                        ; implicit-def: $vgpr6
                                        ; implicit-def: $vgpr4
	s_branch .LBB21_14
.LBB21_12:
	v_dual_mov_b32 v5, 0 :: v_dual_mov_b32 v6, 0
	v_mov_b32_e32 v4, 0
.LBB21_13:
	s_cbranch_execnz .LBB21_16
.LBB21_14:
	v_mov_b32_e32 v1, 0
	s_and_not1_b32 vcc_lo, exec_lo, s30
	s_delay_alu instid0(VALU_DEP_1) | instskip(NEXT) | instid1(VALU_DEP_1)
	v_mul_u64_e32 v[2:3], s[20:21], v[0:1]
	v_add_nc_u32_e32 v2, v0, v3
	s_delay_alu instid0(VALU_DEP_1) | instskip(NEXT) | instid1(VALU_DEP_1)
	v_lshrrev_b32_e32 v2, s6, v2
	v_mul_lo_u32 v3, v2, s4
	s_delay_alu instid0(VALU_DEP_1) | instskip(NEXT) | instid1(VALU_DEP_1)
	v_sub_nc_u32_e32 v3, v0, v3
	v_mul_lo_u32 v4, v3, s8
	v_mul_lo_u32 v5, v3, s10
	;; [unrolled: 1-line block ×3, first 2 shown]
	s_cbranch_vccnz .LBB21_16
; %bb.15:
	v_mov_b32_e32 v3, v1
	s_delay_alu instid0(VALU_DEP_1) | instskip(NEXT) | instid1(VALU_DEP_1)
	v_mul_u64_e32 v[8:9], s[22:23], v[2:3]
	v_add_nc_u32_e32 v1, v2, v9
	s_delay_alu instid0(VALU_DEP_1) | instskip(NEXT) | instid1(VALU_DEP_1)
	v_lshrrev_b32_e32 v1, s17, v1
	v_mul_lo_u32 v1, v1, s7
	s_delay_alu instid0(VALU_DEP_1) | instskip(NEXT) | instid1(VALU_DEP_1)
	v_sub_nc_u32_e32 v1, v2, v1
	v_mad_u32 v4, v1, s11, v4
	v_mad_u32 v6, v1, s18, v6
	;; [unrolled: 1-line block ×3, first 2 shown]
.LBB21_16:
	global_load_b32 v1, v5, s[14:15]
	global_load_b32 v2, v6, s[2:3]
	s_mov_b32 s24, 0
	s_mov_b32 s16, exec_lo
	s_wait_loadcnt 0x1
	v_sub_nc_u32_e32 v3, 0, v1
	s_delay_alu instid0(VALU_DEP_1)
	v_max_i32_e32 v1, v1, v3
	s_wait_loadcnt 0x0
	v_cmpx_ne_u32_e32 0, v2
	s_cbranch_execz .LBB21_20
; %bb.17:
	v_sub_nc_u32_e32 v3, 0, v2
	s_delay_alu instid0(VALU_DEP_1)
	v_max_i32_e32 v3, v2, v3
.LBB21_18:                              ; =>This Inner Loop Header: Depth=1
	s_delay_alu instid0(VALU_DEP_1) | instskip(NEXT) | instid1(VALU_DEP_1)
	v_mov_b32_e32 v2, v3
	v_cvt_f32_u32_e32 v3, v2
	s_delay_alu instid0(VALU_DEP_1) | instskip(SKIP_1) | instid1(TRANS32_DEP_1)
	v_rcp_iflag_f32_e32 v3, v3
	v_nop
	v_mul_f32_e32 v3, 0x4f7ffffe, v3
	v_sub_nc_u32_e32 v5, 0, v2
	s_delay_alu instid0(VALU_DEP_2) | instskip(NEXT) | instid1(VALU_DEP_1)
	v_cvt_u32_f32_e32 v3, v3
	v_mul_lo_u32 v5, v5, v3
	s_delay_alu instid0(VALU_DEP_1) | instskip(NEXT) | instid1(VALU_DEP_1)
	v_mul_hi_u32 v5, v3, v5
	v_add_nc_u32_e32 v3, v3, v5
	s_delay_alu instid0(VALU_DEP_1) | instskip(NEXT) | instid1(VALU_DEP_1)
	v_mul_hi_u32 v3, v1, v3
	v_mul_lo_u32 v3, v3, v2
	s_delay_alu instid0(VALU_DEP_1) | instskip(NEXT) | instid1(VALU_DEP_1)
	v_sub_nc_u32_e32 v1, v1, v3
	v_sub_nc_u32_e32 v3, v1, v2
	v_cmp_ge_u32_e32 vcc_lo, v1, v2
	s_delay_alu instid0(VALU_DEP_2) | instskip(NEXT) | instid1(VALU_DEP_1)
	v_cndmask_b32_e32 v1, v1, v3, vcc_lo
	v_sub_nc_u32_e32 v3, v1, v2
	v_cmp_ge_u32_e32 vcc_lo, v1, v2
	s_delay_alu instid0(VALU_DEP_2) | instskip(NEXT) | instid1(VALU_DEP_1)
	v_dual_cndmask_b32 v3, v1, v3, vcc_lo :: v_dual_mov_b32 v1, v2
	v_cmp_eq_u32_e32 vcc_lo, 0, v3
	s_or_b32 s24, vcc_lo, s24
	s_delay_alu instid0(SALU_CYCLE_1)
	s_and_not1_b32 exec_lo, exec_lo, s24
	s_cbranch_execnz .LBB21_18
; %bb.19:
	s_or_b32 exec_lo, exec_lo, s24
	v_mov_b32_e32 v1, v2
.LBB21_20:
	s_or_b32 exec_lo, exec_lo, s16
	v_add_nc_u32_e32 v0, 0x80, v0
	global_store_b32 v4, v1, s[0:1]
	s_wait_xcnt 0x0
	s_or_b32 exec_lo, exec_lo, s5
	s_delay_alu instid0(SALU_CYCLE_1)
	s_mov_b32 s5, exec_lo
	v_cmpx_gt_i32_e64 s33, v0
	s_cbranch_execz .LBB21_3
.LBB21_21:
	s_and_not1_b32 vcc_lo, exec_lo, s28
	s_cbranch_vccnz .LBB21_27
; %bb.22:
	s_and_not1_b32 vcc_lo, exec_lo, s34
	s_cbranch_vccnz .LBB21_28
; %bb.23:
	v_dual_mov_b32 v4, 0 :: v_dual_mov_b32 v1, v0
	v_dual_mov_b32 v6, 0 :: v_dual_mov_b32 v5, 0
	s_add_co_i32 s16, s31, 1
	s_mov_b64 s[24:25], 0xffffffffffffffe8
	s_and_b32 s16, s16, 30
	s_add_nc_u64 s[24:25], s[12:13], s[24:25]
.LBB21_24:                              ; =>This Inner Loop Header: Depth=1
	s_clause 0x1
	s_load_b128 s[36:39], s[24:25], 0x1c
	s_load_b64 s[44:45], s[24:25], 0x2c
	s_add_co_i32 s16, s16, -2
	s_delay_alu instid0(SALU_CYCLE_1) | instskip(SKIP_2) | instid1(VALU_DEP_1)
	s_cmp_eq_u32 s16, 0
	s_wait_kmcnt 0x0
	v_mul_hi_u32 v2, s37, v1
	v_add_nc_u32_e32 v2, v1, v2
	s_delay_alu instid0(VALU_DEP_1) | instskip(NEXT) | instid1(VALU_DEP_1)
	v_lshrrev_b32_e32 v2, s38, v2
	v_mul_hi_u32 v3, s44, v2
	v_mul_lo_u32 v7, v2, s36
	s_clause 0x1
	s_load_b128 s[40:43], s[24:25], 0xdc
	s_load_b64 s[36:37], s[24:25], 0xec
	s_wait_xcnt 0x0
	s_add_nc_u64 s[24:25], s[24:25], 24
	s_delay_alu instid0(VALU_DEP_2) | instskip(NEXT) | instid1(VALU_DEP_2)
	v_add_nc_u32_e32 v3, v2, v3
	v_sub_nc_u32_e32 v7, v1, v7
	s_delay_alu instid0(VALU_DEP_2) | instskip(SKIP_1) | instid1(VALU_DEP_2)
	v_lshrrev_b32_e32 v1, s45, v3
	s_wait_kmcnt 0x0
	v_mad_u32 v4, v7, s40, v4
	s_delay_alu instid0(VALU_DEP_2) | instskip(SKIP_2) | instid1(VALU_DEP_3)
	v_mul_lo_u32 v3, v1, s39
	v_mad_u32 v5, v7, s42, v5
	v_mad_u32 v6, v7, s41, v6
	v_sub_nc_u32_e32 v2, v2, v3
	s_delay_alu instid0(VALU_DEP_1) | instskip(NEXT) | instid1(VALU_DEP_4)
	v_mad_u32 v4, v2, s43, v4
	v_mad_u32 v5, v2, s37, v5
	s_delay_alu instid0(VALU_DEP_4)
	v_mad_u32 v6, v2, s36, v6
	s_cbranch_scc0 .LBB21_24
; %bb.25:
	s_bitcmp1_b32 s31, 0
	s_cselect_b32 s16, -1, 0
	s_delay_alu instid0(SALU_CYCLE_1)
	s_and_b32 vcc_lo, exec_lo, s16
	s_cbranch_vccnz .LBB21_29
; %bb.26:
	s_clause 0x1
	s_load_b96 s[36:38], s[24:25], 0x1c
	s_load_b96 s[40:42], s[24:25], 0xdc
	s_wait_kmcnt 0x0
	v_mul_hi_u32 v2, s37, v1
	s_delay_alu instid0(VALU_DEP_1) | instskip(NEXT) | instid1(VALU_DEP_1)
	v_add_nc_u32_e32 v2, v1, v2
	v_lshrrev_b32_e32 v2, s38, v2
	s_delay_alu instid0(VALU_DEP_1) | instskip(NEXT) | instid1(VALU_DEP_1)
	v_mul_lo_u32 v2, v2, s36
	v_sub_nc_u32_e32 v1, v1, v2
	s_delay_alu instid0(VALU_DEP_1)
	v_mad_u32 v4, v1, s40, v4
	v_mad_u32 v6, v1, s41, v6
	;; [unrolled: 1-line block ×3, first 2 shown]
	s_branch .LBB21_29
.LBB21_27:
                                        ; implicit-def: $vgpr5
                                        ; implicit-def: $vgpr6
                                        ; implicit-def: $vgpr4
	s_branch .LBB21_30
.LBB21_28:
	v_dual_mov_b32 v5, 0 :: v_dual_mov_b32 v6, 0
	v_mov_b32_e32 v4, 0
.LBB21_29:
	s_cbranch_execnz .LBB21_32
.LBB21_30:
	v_mov_b32_e32 v1, 0
	s_and_not1_b32 vcc_lo, exec_lo, s30
	s_delay_alu instid0(VALU_DEP_1) | instskip(NEXT) | instid1(VALU_DEP_1)
	v_mul_u64_e32 v[2:3], s[20:21], v[0:1]
	v_add_nc_u32_e32 v2, v0, v3
	s_delay_alu instid0(VALU_DEP_1) | instskip(NEXT) | instid1(VALU_DEP_1)
	v_lshrrev_b32_e32 v2, s6, v2
	v_mul_lo_u32 v3, v2, s4
	s_delay_alu instid0(VALU_DEP_1) | instskip(NEXT) | instid1(VALU_DEP_1)
	v_sub_nc_u32_e32 v3, v0, v3
	v_mul_lo_u32 v4, v3, s8
	v_mul_lo_u32 v5, v3, s10
	;; [unrolled: 1-line block ×3, first 2 shown]
	s_cbranch_vccnz .LBB21_32
; %bb.31:
	v_mov_b32_e32 v3, v1
	s_delay_alu instid0(VALU_DEP_1) | instskip(NEXT) | instid1(VALU_DEP_1)
	v_mul_u64_e32 v[8:9], s[22:23], v[2:3]
	v_add_nc_u32_e32 v1, v2, v9
	s_delay_alu instid0(VALU_DEP_1) | instskip(NEXT) | instid1(VALU_DEP_1)
	v_lshrrev_b32_e32 v1, s17, v1
	v_mul_lo_u32 v1, v1, s7
	s_delay_alu instid0(VALU_DEP_1) | instskip(NEXT) | instid1(VALU_DEP_1)
	v_sub_nc_u32_e32 v1, v2, v1
	v_mad_u32 v4, v1, s11, v4
	v_mad_u32 v6, v1, s18, v6
	;; [unrolled: 1-line block ×3, first 2 shown]
.LBB21_32:
	global_load_b32 v1, v5, s[14:15]
	global_load_b32 v2, v6, s[2:3]
	s_mov_b32 s24, 0
	s_mov_b32 s16, exec_lo
	s_wait_loadcnt 0x1
	v_sub_nc_u32_e32 v3, 0, v1
	s_delay_alu instid0(VALU_DEP_1)
	v_max_i32_e32 v1, v1, v3
	s_wait_loadcnt 0x0
	v_cmpx_ne_u32_e32 0, v2
	s_cbranch_execz .LBB21_36
; %bb.33:
	v_sub_nc_u32_e32 v3, 0, v2
	s_delay_alu instid0(VALU_DEP_1)
	v_max_i32_e32 v3, v2, v3
.LBB21_34:                              ; =>This Inner Loop Header: Depth=1
	s_delay_alu instid0(VALU_DEP_1) | instskip(NEXT) | instid1(VALU_DEP_1)
	v_mov_b32_e32 v2, v3
	v_cvt_f32_u32_e32 v3, v2
	s_delay_alu instid0(VALU_DEP_1) | instskip(SKIP_1) | instid1(TRANS32_DEP_1)
	v_rcp_iflag_f32_e32 v3, v3
	v_nop
	v_mul_f32_e32 v3, 0x4f7ffffe, v3
	v_sub_nc_u32_e32 v5, 0, v2
	s_delay_alu instid0(VALU_DEP_2) | instskip(NEXT) | instid1(VALU_DEP_1)
	v_cvt_u32_f32_e32 v3, v3
	v_mul_lo_u32 v5, v5, v3
	s_delay_alu instid0(VALU_DEP_1) | instskip(NEXT) | instid1(VALU_DEP_1)
	v_mul_hi_u32 v5, v3, v5
	v_add_nc_u32_e32 v3, v3, v5
	s_delay_alu instid0(VALU_DEP_1) | instskip(NEXT) | instid1(VALU_DEP_1)
	v_mul_hi_u32 v3, v1, v3
	v_mul_lo_u32 v3, v3, v2
	s_delay_alu instid0(VALU_DEP_1) | instskip(NEXT) | instid1(VALU_DEP_1)
	v_sub_nc_u32_e32 v1, v1, v3
	v_sub_nc_u32_e32 v3, v1, v2
	v_cmp_ge_u32_e32 vcc_lo, v1, v2
	s_delay_alu instid0(VALU_DEP_2) | instskip(NEXT) | instid1(VALU_DEP_1)
	v_cndmask_b32_e32 v1, v1, v3, vcc_lo
	v_sub_nc_u32_e32 v3, v1, v2
	v_cmp_ge_u32_e32 vcc_lo, v1, v2
	s_delay_alu instid0(VALU_DEP_2) | instskip(NEXT) | instid1(VALU_DEP_1)
	v_dual_cndmask_b32 v3, v1, v3, vcc_lo :: v_dual_mov_b32 v1, v2
	v_cmp_eq_u32_e32 vcc_lo, 0, v3
	s_or_b32 s24, vcc_lo, s24
	s_delay_alu instid0(SALU_CYCLE_1)
	s_and_not1_b32 exec_lo, exec_lo, s24
	s_cbranch_execnz .LBB21_34
; %bb.35:
	s_or_b32 exec_lo, exec_lo, s24
	v_mov_b32_e32 v1, v2
.LBB21_36:
	s_or_b32 exec_lo, exec_lo, s16
	v_add_nc_u32_e32 v0, 0x80, v0
	global_store_b32 v4, v1, s[0:1]
	s_wait_xcnt 0x0
	s_or_b32 exec_lo, exec_lo, s5
	s_delay_alu instid0(SALU_CYCLE_1)
	s_mov_b32 s5, exec_lo
	v_cmpx_gt_i32_e64 s33, v0
	s_cbranch_execz .LBB21_4
.LBB21_37:
	s_and_not1_b32 vcc_lo, exec_lo, s28
	s_cbranch_vccnz .LBB21_43
; %bb.38:
	s_and_not1_b32 vcc_lo, exec_lo, s34
	s_cbranch_vccnz .LBB21_44
; %bb.39:
	v_dual_mov_b32 v4, 0 :: v_dual_mov_b32 v1, v0
	v_dual_mov_b32 v6, 0 :: v_dual_mov_b32 v5, 0
	s_add_co_i32 s16, s31, 1
	s_mov_b64 s[24:25], 0xffffffffffffffe8
	s_and_b32 s16, s16, 30
	s_add_nc_u64 s[24:25], s[12:13], s[24:25]
.LBB21_40:                              ; =>This Inner Loop Header: Depth=1
	s_clause 0x1
	s_load_b128 s[36:39], s[24:25], 0x1c
	s_load_b64 s[44:45], s[24:25], 0x2c
	s_add_co_i32 s16, s16, -2
	s_delay_alu instid0(SALU_CYCLE_1) | instskip(SKIP_2) | instid1(VALU_DEP_1)
	s_cmp_eq_u32 s16, 0
	s_wait_kmcnt 0x0
	v_mul_hi_u32 v2, s37, v1
	v_add_nc_u32_e32 v2, v1, v2
	s_delay_alu instid0(VALU_DEP_1) | instskip(NEXT) | instid1(VALU_DEP_1)
	v_lshrrev_b32_e32 v2, s38, v2
	v_mul_hi_u32 v3, s44, v2
	v_mul_lo_u32 v7, v2, s36
	s_clause 0x1
	s_load_b128 s[40:43], s[24:25], 0xdc
	s_load_b64 s[36:37], s[24:25], 0xec
	s_wait_xcnt 0x0
	s_add_nc_u64 s[24:25], s[24:25], 24
	s_delay_alu instid0(VALU_DEP_2) | instskip(NEXT) | instid1(VALU_DEP_2)
	v_add_nc_u32_e32 v3, v2, v3
	v_sub_nc_u32_e32 v7, v1, v7
	s_delay_alu instid0(VALU_DEP_2) | instskip(SKIP_1) | instid1(VALU_DEP_2)
	v_lshrrev_b32_e32 v1, s45, v3
	s_wait_kmcnt 0x0
	v_mad_u32 v4, v7, s40, v4
	s_delay_alu instid0(VALU_DEP_2) | instskip(SKIP_2) | instid1(VALU_DEP_3)
	v_mul_lo_u32 v3, v1, s39
	v_mad_u32 v5, v7, s42, v5
	v_mad_u32 v6, v7, s41, v6
	v_sub_nc_u32_e32 v2, v2, v3
	s_delay_alu instid0(VALU_DEP_1) | instskip(NEXT) | instid1(VALU_DEP_4)
	v_mad_u32 v4, v2, s43, v4
	v_mad_u32 v5, v2, s37, v5
	s_delay_alu instid0(VALU_DEP_4)
	v_mad_u32 v6, v2, s36, v6
	s_cbranch_scc0 .LBB21_40
; %bb.41:
	s_bitcmp1_b32 s31, 0
	s_cselect_b32 s16, -1, 0
	s_delay_alu instid0(SALU_CYCLE_1)
	s_and_b32 vcc_lo, exec_lo, s16
	s_cbranch_vccnz .LBB21_45
; %bb.42:
	s_clause 0x1
	s_load_b96 s[36:38], s[24:25], 0x1c
	s_load_b96 s[40:42], s[24:25], 0xdc
	s_wait_kmcnt 0x0
	v_mul_hi_u32 v2, s37, v1
	s_delay_alu instid0(VALU_DEP_1) | instskip(NEXT) | instid1(VALU_DEP_1)
	v_add_nc_u32_e32 v2, v1, v2
	v_lshrrev_b32_e32 v2, s38, v2
	s_delay_alu instid0(VALU_DEP_1) | instskip(NEXT) | instid1(VALU_DEP_1)
	v_mul_lo_u32 v2, v2, s36
	v_sub_nc_u32_e32 v1, v1, v2
	s_delay_alu instid0(VALU_DEP_1)
	v_mad_u32 v4, v1, s40, v4
	v_mad_u32 v6, v1, s41, v6
	;; [unrolled: 1-line block ×3, first 2 shown]
	s_branch .LBB21_45
.LBB21_43:
                                        ; implicit-def: $vgpr5
                                        ; implicit-def: $vgpr6
                                        ; implicit-def: $vgpr4
	s_branch .LBB21_46
.LBB21_44:
	v_dual_mov_b32 v5, 0 :: v_dual_mov_b32 v6, 0
	v_mov_b32_e32 v4, 0
.LBB21_45:
	s_cbranch_execnz .LBB21_48
.LBB21_46:
	v_mov_b32_e32 v1, 0
	s_and_not1_b32 vcc_lo, exec_lo, s30
	s_delay_alu instid0(VALU_DEP_1) | instskip(NEXT) | instid1(VALU_DEP_1)
	v_mul_u64_e32 v[2:3], s[20:21], v[0:1]
	v_add_nc_u32_e32 v2, v0, v3
	s_delay_alu instid0(VALU_DEP_1) | instskip(NEXT) | instid1(VALU_DEP_1)
	v_lshrrev_b32_e32 v2, s6, v2
	v_mul_lo_u32 v3, v2, s4
	s_delay_alu instid0(VALU_DEP_1) | instskip(NEXT) | instid1(VALU_DEP_1)
	v_sub_nc_u32_e32 v3, v0, v3
	v_mul_lo_u32 v4, v3, s8
	v_mul_lo_u32 v5, v3, s10
	;; [unrolled: 1-line block ×3, first 2 shown]
	s_cbranch_vccnz .LBB21_48
; %bb.47:
	v_mov_b32_e32 v3, v1
	s_delay_alu instid0(VALU_DEP_1) | instskip(NEXT) | instid1(VALU_DEP_1)
	v_mul_u64_e32 v[8:9], s[22:23], v[2:3]
	v_add_nc_u32_e32 v1, v2, v9
	s_delay_alu instid0(VALU_DEP_1) | instskip(NEXT) | instid1(VALU_DEP_1)
	v_lshrrev_b32_e32 v1, s17, v1
	v_mul_lo_u32 v1, v1, s7
	s_delay_alu instid0(VALU_DEP_1) | instskip(NEXT) | instid1(VALU_DEP_1)
	v_sub_nc_u32_e32 v1, v2, v1
	v_mad_u32 v4, v1, s11, v4
	v_mad_u32 v6, v1, s18, v6
	v_mad_u32 v5, v1, s19, v5
.LBB21_48:
	global_load_b32 v1, v5, s[14:15]
	global_load_b32 v2, v6, s[2:3]
	s_mov_b32 s24, 0
	s_mov_b32 s16, exec_lo
	s_wait_loadcnt 0x1
	v_sub_nc_u32_e32 v3, 0, v1
	s_delay_alu instid0(VALU_DEP_1)
	v_max_i32_e32 v1, v1, v3
	s_wait_loadcnt 0x0
	v_cmpx_ne_u32_e32 0, v2
	s_cbranch_execz .LBB21_52
; %bb.49:
	v_sub_nc_u32_e32 v3, 0, v2
	s_delay_alu instid0(VALU_DEP_1)
	v_max_i32_e32 v3, v2, v3
.LBB21_50:                              ; =>This Inner Loop Header: Depth=1
	s_delay_alu instid0(VALU_DEP_1) | instskip(NEXT) | instid1(VALU_DEP_1)
	v_mov_b32_e32 v2, v3
	v_cvt_f32_u32_e32 v3, v2
	s_delay_alu instid0(VALU_DEP_1) | instskip(SKIP_1) | instid1(TRANS32_DEP_1)
	v_rcp_iflag_f32_e32 v3, v3
	v_nop
	v_mul_f32_e32 v3, 0x4f7ffffe, v3
	v_sub_nc_u32_e32 v5, 0, v2
	s_delay_alu instid0(VALU_DEP_2) | instskip(NEXT) | instid1(VALU_DEP_1)
	v_cvt_u32_f32_e32 v3, v3
	v_mul_lo_u32 v5, v5, v3
	s_delay_alu instid0(VALU_DEP_1) | instskip(NEXT) | instid1(VALU_DEP_1)
	v_mul_hi_u32 v5, v3, v5
	v_add_nc_u32_e32 v3, v3, v5
	s_delay_alu instid0(VALU_DEP_1) | instskip(NEXT) | instid1(VALU_DEP_1)
	v_mul_hi_u32 v3, v1, v3
	v_mul_lo_u32 v3, v3, v2
	s_delay_alu instid0(VALU_DEP_1) | instskip(NEXT) | instid1(VALU_DEP_1)
	v_sub_nc_u32_e32 v1, v1, v3
	v_sub_nc_u32_e32 v3, v1, v2
	v_cmp_ge_u32_e32 vcc_lo, v1, v2
	s_delay_alu instid0(VALU_DEP_2) | instskip(NEXT) | instid1(VALU_DEP_1)
	v_cndmask_b32_e32 v1, v1, v3, vcc_lo
	v_sub_nc_u32_e32 v3, v1, v2
	v_cmp_ge_u32_e32 vcc_lo, v1, v2
	s_delay_alu instid0(VALU_DEP_2) | instskip(NEXT) | instid1(VALU_DEP_1)
	v_dual_cndmask_b32 v3, v1, v3, vcc_lo :: v_dual_mov_b32 v1, v2
	v_cmp_eq_u32_e32 vcc_lo, 0, v3
	s_or_b32 s24, vcc_lo, s24
	s_delay_alu instid0(SALU_CYCLE_1)
	s_and_not1_b32 exec_lo, exec_lo, s24
	s_cbranch_execnz .LBB21_50
; %bb.51:
	s_or_b32 exec_lo, exec_lo, s24
	v_mov_b32_e32 v1, v2
.LBB21_52:
	s_or_b32 exec_lo, exec_lo, s16
	v_add_nc_u32_e32 v0, 0x80, v0
	global_store_b32 v4, v1, s[0:1]
	s_wait_xcnt 0x0
	s_or_b32 exec_lo, exec_lo, s5
	s_delay_alu instid0(SALU_CYCLE_1)
	s_mov_b32 s5, exec_lo
	v_cmpx_gt_i32_e64 s33, v0
	s_cbranch_execz .LBB21_69
.LBB21_53:
	s_and_not1_b32 vcc_lo, exec_lo, s28
	s_cbranch_vccnz .LBB21_59
; %bb.54:
	s_and_not1_b32 vcc_lo, exec_lo, s34
	s_cbranch_vccnz .LBB21_60
; %bb.55:
	v_dual_mov_b32 v4, 0 :: v_dual_mov_b32 v1, v0
	v_dual_mov_b32 v6, 0 :: v_dual_mov_b32 v5, 0
	s_add_co_i32 s16, s31, 1
	s_mov_b64 s[24:25], 0xffffffffffffffe8
	s_and_b32 s16, s16, 30
	s_add_nc_u64 s[24:25], s[12:13], s[24:25]
.LBB21_56:                              ; =>This Inner Loop Header: Depth=1
	s_clause 0x1
	s_load_b128 s[36:39], s[24:25], 0x1c
	s_load_b64 s[34:35], s[24:25], 0x2c
	s_add_co_i32 s16, s16, -2
	s_delay_alu instid0(SALU_CYCLE_1) | instskip(SKIP_2) | instid1(VALU_DEP_1)
	s_cmp_eq_u32 s16, 0
	s_wait_kmcnt 0x0
	v_mul_hi_u32 v2, s37, v1
	v_add_nc_u32_e32 v2, v1, v2
	s_delay_alu instid0(VALU_DEP_1) | instskip(NEXT) | instid1(VALU_DEP_1)
	v_lshrrev_b32_e32 v2, s38, v2
	v_mul_hi_u32 v3, s34, v2
	v_mul_lo_u32 v7, v2, s36
	s_clause 0x1
	s_load_b128 s[40:43], s[24:25], 0xdc
	s_load_b64 s[36:37], s[24:25], 0xec
	s_wait_xcnt 0x0
	s_add_nc_u64 s[24:25], s[24:25], 24
	s_delay_alu instid0(VALU_DEP_2) | instskip(NEXT) | instid1(VALU_DEP_2)
	v_add_nc_u32_e32 v3, v2, v3
	v_sub_nc_u32_e32 v7, v1, v7
	s_delay_alu instid0(VALU_DEP_2) | instskip(SKIP_1) | instid1(VALU_DEP_2)
	v_lshrrev_b32_e32 v1, s35, v3
	s_wait_kmcnt 0x0
	v_mad_u32 v4, v7, s40, v4
	s_delay_alu instid0(VALU_DEP_2) | instskip(SKIP_2) | instid1(VALU_DEP_3)
	v_mul_lo_u32 v3, v1, s39
	v_mad_u32 v5, v7, s42, v5
	v_mad_u32 v6, v7, s41, v6
	v_sub_nc_u32_e32 v2, v2, v3
	s_delay_alu instid0(VALU_DEP_1) | instskip(NEXT) | instid1(VALU_DEP_4)
	v_mad_u32 v4, v2, s43, v4
	v_mad_u32 v5, v2, s37, v5
	s_delay_alu instid0(VALU_DEP_4)
	v_mad_u32 v6, v2, s36, v6
	s_cbranch_scc0 .LBB21_56
; %bb.57:
	s_bitcmp1_b32 s31, 0
	s_cselect_b32 s16, -1, 0
	s_delay_alu instid0(SALU_CYCLE_1)
	s_and_b32 vcc_lo, exec_lo, s16
	s_cbranch_vccnz .LBB21_61
; %bb.58:
	s_clause 0x1
	s_load_b96 s[36:38], s[24:25], 0x1c
	s_load_b96 s[40:42], s[24:25], 0xdc
	s_wait_kmcnt 0x0
	v_mul_hi_u32 v2, s37, v1
	s_delay_alu instid0(VALU_DEP_1) | instskip(NEXT) | instid1(VALU_DEP_1)
	v_add_nc_u32_e32 v2, v1, v2
	v_lshrrev_b32_e32 v2, s38, v2
	s_delay_alu instid0(VALU_DEP_1) | instskip(NEXT) | instid1(VALU_DEP_1)
	v_mul_lo_u32 v2, v2, s36
	v_sub_nc_u32_e32 v1, v1, v2
	s_delay_alu instid0(VALU_DEP_1)
	v_mad_u32 v4, v1, s40, v4
	v_mad_u32 v6, v1, s41, v6
	;; [unrolled: 1-line block ×3, first 2 shown]
	s_branch .LBB21_61
.LBB21_59:
                                        ; implicit-def: $vgpr5
                                        ; implicit-def: $vgpr6
                                        ; implicit-def: $vgpr4
	s_branch .LBB21_62
.LBB21_60:
	v_dual_mov_b32 v5, 0 :: v_dual_mov_b32 v6, 0
	v_mov_b32_e32 v4, 0
.LBB21_61:
	s_cbranch_execnz .LBB21_64
.LBB21_62:
	v_mov_b32_e32 v1, 0
	s_and_not1_b32 vcc_lo, exec_lo, s30
	s_delay_alu instid0(VALU_DEP_1) | instskip(NEXT) | instid1(VALU_DEP_1)
	v_mul_u64_e32 v[2:3], s[20:21], v[0:1]
	v_add_nc_u32_e32 v2, v0, v3
	s_delay_alu instid0(VALU_DEP_1) | instskip(NEXT) | instid1(VALU_DEP_1)
	v_lshrrev_b32_e32 v2, s6, v2
	v_mul_lo_u32 v3, v2, s4
	s_delay_alu instid0(VALU_DEP_1) | instskip(NEXT) | instid1(VALU_DEP_1)
	v_sub_nc_u32_e32 v0, v0, v3
	v_mul_lo_u32 v4, v0, s8
	v_mul_lo_u32 v5, v0, s10
	;; [unrolled: 1-line block ×3, first 2 shown]
	s_cbranch_vccnz .LBB21_64
; %bb.63:
	v_mov_b32_e32 v3, v1
	s_delay_alu instid0(VALU_DEP_1) | instskip(NEXT) | instid1(VALU_DEP_1)
	v_mul_u64_e32 v[0:1], s[22:23], v[2:3]
	v_add_nc_u32_e32 v0, v2, v1
	s_delay_alu instid0(VALU_DEP_1) | instskip(NEXT) | instid1(VALU_DEP_1)
	v_lshrrev_b32_e32 v0, s17, v0
	v_mul_lo_u32 v0, v0, s7
	s_delay_alu instid0(VALU_DEP_1) | instskip(NEXT) | instid1(VALU_DEP_1)
	v_sub_nc_u32_e32 v0, v2, v0
	v_mad_u32 v4, v0, s11, v4
	v_mad_u32 v6, v0, s18, v6
	v_mad_u32 v5, v0, s19, v5
.LBB21_64:
	global_load_b32 v0, v5, s[14:15]
	global_load_b32 v1, v6, s[2:3]
	s_wait_xcnt 0x0
	s_mov_b32 s3, 0
	s_mov_b32 s2, exec_lo
	s_wait_loadcnt 0x1
	v_sub_nc_u32_e32 v2, 0, v0
	s_delay_alu instid0(VALU_DEP_1)
	v_max_i32_e32 v0, v0, v2
	s_wait_loadcnt 0x0
	v_cmpx_ne_u32_e32 0, v1
	s_cbranch_execz .LBB21_68
; %bb.65:
	v_sub_nc_u32_e32 v2, 0, v1
	s_delay_alu instid0(VALU_DEP_1)
	v_max_i32_e32 v2, v1, v2
.LBB21_66:                              ; =>This Inner Loop Header: Depth=1
	s_delay_alu instid0(VALU_DEP_1) | instskip(NEXT) | instid1(VALU_DEP_1)
	v_mov_b32_e32 v1, v2
	v_cvt_f32_u32_e32 v2, v1
	s_delay_alu instid0(VALU_DEP_1) | instskip(SKIP_1) | instid1(TRANS32_DEP_1)
	v_rcp_iflag_f32_e32 v2, v2
	v_nop
	v_dual_mul_f32 v2, 0x4f7ffffe, v2 :: v_dual_sub_nc_u32 v3, 0, v1
	s_delay_alu instid0(VALU_DEP_1) | instskip(NEXT) | instid1(VALU_DEP_1)
	v_cvt_u32_f32_e32 v2, v2
	v_mul_lo_u32 v3, v3, v2
	s_delay_alu instid0(VALU_DEP_1) | instskip(NEXT) | instid1(VALU_DEP_1)
	v_mul_hi_u32 v3, v2, v3
	v_add_nc_u32_e32 v2, v2, v3
	s_delay_alu instid0(VALU_DEP_1) | instskip(NEXT) | instid1(VALU_DEP_1)
	v_mul_hi_u32 v2, v0, v2
	v_mul_lo_u32 v2, v2, v1
	s_delay_alu instid0(VALU_DEP_1) | instskip(NEXT) | instid1(VALU_DEP_1)
	v_sub_nc_u32_e32 v0, v0, v2
	v_sub_nc_u32_e32 v2, v0, v1
	v_cmp_ge_u32_e32 vcc_lo, v0, v1
	s_delay_alu instid0(VALU_DEP_2) | instskip(NEXT) | instid1(VALU_DEP_1)
	v_cndmask_b32_e32 v0, v0, v2, vcc_lo
	v_sub_nc_u32_e32 v2, v0, v1
	v_cmp_ge_u32_e32 vcc_lo, v0, v1
	s_delay_alu instid0(VALU_DEP_2) | instskip(NEXT) | instid1(VALU_DEP_1)
	v_dual_cndmask_b32 v2, v0, v2, vcc_lo :: v_dual_mov_b32 v0, v1
	v_cmp_eq_u32_e32 vcc_lo, 0, v2
	s_or_b32 s3, vcc_lo, s3
	s_delay_alu instid0(SALU_CYCLE_1)
	s_and_not1_b32 exec_lo, exec_lo, s3
	s_cbranch_execnz .LBB21_66
; %bb.67:
	s_or_b32 exec_lo, exec_lo, s3
	v_mov_b32_e32 v0, v1
.LBB21_68:
	s_or_b32 exec_lo, exec_lo, s2
	global_store_b32 v4, v0, s[0:1]
.LBB21_69:
	s_wait_xcnt 0x0
	s_or_b32 exec_lo, exec_lo, s5
                                        ; implicit-def: $vgpr3
                                        ; implicit-def: $vgpr0
.LBB21_70:
	s_and_not1_saveexec_b32 s0, s29
	s_cbranch_execz .LBB21_77
; %bb.71:
	v_cndmask_b32_e64 v8, 0, 1, s28
	s_and_not1_b32 vcc_lo, exec_lo, s28
	s_cbranch_vccnz .LBB21_78
; %bb.72:
	s_cmp_lg_u32 s26, 0
	s_mov_b32 s2, 0
	s_cbranch_scc0 .LBB21_82
; %bb.73:
	s_min_u32 s3, s27, 15
	v_dual_mov_b32 v1, 0 :: v_dual_mov_b32 v2, v0
	v_dual_mov_b32 v5, 0 :: v_dual_mov_b32 v4, 0
	s_add_co_i32 s4, s3, 1
	s_mov_b64 s[0:1], 0xffffffffffffffe8
	s_and_b32 s4, s4, 30
	s_add_nc_u64 s[0:1], s[12:13], s[0:1]
.LBB21_74:                              ; =>This Inner Loop Header: Depth=1
	s_clause 0x1
	s_load_b128 s[8:11], s[0:1], 0x1c
	s_load_b64 s[6:7], s[0:1], 0x2c
	s_add_co_i32 s4, s4, -2
	s_delay_alu instid0(SALU_CYCLE_1) | instskip(SKIP_2) | instid1(VALU_DEP_1)
	s_cmp_lg_u32 s4, 0
	s_wait_kmcnt 0x0
	v_mul_hi_u32 v6, s9, v2
	v_add_nc_u32_e32 v6, v2, v6
	s_delay_alu instid0(VALU_DEP_1) | instskip(NEXT) | instid1(VALU_DEP_1)
	v_lshrrev_b32_e32 v6, s10, v6
	v_mul_hi_u32 v7, s6, v6
	v_mul_lo_u32 v9, v6, s8
	s_clause 0x1
	s_load_b128 s[16:19], s[0:1], 0xdc
	s_load_b64 s[8:9], s[0:1], 0xec
	s_wait_xcnt 0x0
	s_add_nc_u64 s[0:1], s[0:1], 24
	s_delay_alu instid0(VALU_DEP_2) | instskip(NEXT) | instid1(VALU_DEP_1)
	v_add_nc_u32_e32 v7, v6, v7
	v_dual_sub_nc_u32 v9, v2, v9 :: v_dual_lshrrev_b32 v2, s7, v7
	s_wait_kmcnt 0x0
	s_delay_alu instid0(VALU_DEP_1) | instskip(NEXT) | instid1(VALU_DEP_2)
	v_mad_u32 v1, v9, s16, v1
	v_mul_lo_u32 v7, v2, s11
	v_mad_u32 v4, v9, s18, v4
	v_mad_u32 v5, v9, s17, v5
	s_delay_alu instid0(VALU_DEP_3) | instskip(NEXT) | instid1(VALU_DEP_1)
	v_sub_nc_u32_e32 v6, v6, v7
	v_mad_u32 v1, v6, s19, v1
	s_delay_alu instid0(VALU_DEP_4) | instskip(NEXT) | instid1(VALU_DEP_4)
	v_mad_u32 v4, v6, s9, v4
	v_mad_u32 v5, v6, s8, v5
	s_cbranch_scc1 .LBB21_74
; %bb.75:
	s_bitcmp1_b32 s3, 0
	s_cselect_b32 s3, -1, 0
	s_delay_alu instid0(SALU_CYCLE_1)
	s_and_b32 vcc_lo, exec_lo, s3
	s_cbranch_vccnz .LBB21_79
; %bb.76:
	s_clause 0x1
	s_load_b96 s[4:6], s[0:1], 0x1c
	s_load_b96 s[8:10], s[0:1], 0xdc
	s_wait_kmcnt 0x0
	v_mul_hi_u32 v6, s5, v2
	s_delay_alu instid0(VALU_DEP_1) | instskip(NEXT) | instid1(VALU_DEP_1)
	v_add_nc_u32_e32 v6, v2, v6
	v_lshrrev_b32_e32 v6, s6, v6
	s_delay_alu instid0(VALU_DEP_1) | instskip(NEXT) | instid1(VALU_DEP_1)
	v_mul_lo_u32 v6, v6, s4
	v_sub_nc_u32_e32 v2, v2, v6
	s_delay_alu instid0(VALU_DEP_1)
	v_mad_u32 v1, v2, s8, v1
	v_mad_u32 v5, v2, s9, v5
	;; [unrolled: 1-line block ×3, first 2 shown]
	s_and_not1_b32 vcc_lo, exec_lo, s2
	s_cbranch_vccz .LBB21_80
	s_branch .LBB21_83
.LBB21_77:
	s_endpgm
.LBB21_78:
	s_mov_b32 s2, -1
                                        ; implicit-def: $vgpr4
                                        ; implicit-def: $vgpr5
                                        ; implicit-def: $vgpr1
.LBB21_79:
	s_delay_alu instid0(SALU_CYCLE_1)
	s_and_not1_b32 vcc_lo, exec_lo, s2
	s_cbranch_vccnz .LBB21_83
.LBB21_80:
	s_clause 0x1
	s_load_b96 s[0:2], s[12:13], 0x4
	s_load_b96 s[4:6], s[12:13], 0xc4
	s_cmp_lt_u32 s26, 2
	s_wait_kmcnt 0x0
	v_mul_hi_u32 v1, s1, v0
	s_delay_alu instid0(VALU_DEP_1) | instskip(NEXT) | instid1(VALU_DEP_1)
	v_add_nc_u32_e32 v1, v0, v1
	v_lshrrev_b32_e32 v2, s2, v1
	s_delay_alu instid0(VALU_DEP_1) | instskip(NEXT) | instid1(VALU_DEP_1)
	v_mul_lo_u32 v1, v2, s0
	v_sub_nc_u32_e32 v5, v0, v1
	s_delay_alu instid0(VALU_DEP_1)
	v_mul_lo_u32 v1, v5, s4
	v_mul_lo_u32 v4, v5, s6
	;; [unrolled: 1-line block ×3, first 2 shown]
	s_cbranch_scc1 .LBB21_83
; %bb.81:
	s_clause 0x1
	s_load_b96 s[0:2], s[12:13], 0x10
	s_load_b96 s[4:6], s[12:13], 0xd0
	s_wait_kmcnt 0x0
	v_mul_hi_u32 v6, s1, v2
	s_delay_alu instid0(VALU_DEP_1) | instskip(NEXT) | instid1(VALU_DEP_1)
	v_add_nc_u32_e32 v6, v2, v6
	v_lshrrev_b32_e32 v6, s2, v6
	s_delay_alu instid0(VALU_DEP_1) | instskip(NEXT) | instid1(VALU_DEP_1)
	v_mul_lo_u32 v6, v6, s0
	v_sub_nc_u32_e32 v2, v2, v6
	s_delay_alu instid0(VALU_DEP_1)
	v_mad_u32 v1, v2, s4, v1
	v_mad_u32 v5, v2, s5, v5
	;; [unrolled: 1-line block ×3, first 2 shown]
	s_branch .LBB21_83
.LBB21_82:
	v_dual_mov_b32 v4, 0 :: v_dual_mov_b32 v5, 0
	v_mov_b32_e32 v1, 0
	s_and_not1_b32 vcc_lo, exec_lo, s2
	s_cbranch_vccz .LBB21_80
.LBB21_83:
	v_cmp_ne_u32_e32 vcc_lo, 1, v8
	v_add_nc_u32_e32 v9, 0x80, v0
	s_cbranch_vccnz .LBB21_89
; %bb.84:
	s_cmp_lg_u32 s26, 0
	s_mov_b32 s2, 0
	s_cbranch_scc0 .LBB21_93
; %bb.85:
	s_min_u32 s3, s27, 15
	v_dual_mov_b32 v2, 0 :: v_dual_mov_b32 v10, v9
	v_dual_mov_b32 v7, 0 :: v_dual_mov_b32 v6, 0
	s_add_co_i32 s4, s3, 1
	s_mov_b64 s[0:1], 0xffffffffffffffe8
	s_and_b32 s4, s4, 30
	s_add_nc_u64 s[0:1], s[12:13], s[0:1]
.LBB21_86:                              ; =>This Inner Loop Header: Depth=1
	s_clause 0x1
	s_load_b128 s[8:11], s[0:1], 0x1c
	s_load_b64 s[6:7], s[0:1], 0x2c
	s_add_co_i32 s4, s4, -2
	s_delay_alu instid0(SALU_CYCLE_1) | instskip(SKIP_2) | instid1(VALU_DEP_1)
	s_cmp_lg_u32 s4, 0
	s_wait_kmcnt 0x0
	v_mul_hi_u32 v11, s9, v10
	v_add_nc_u32_e32 v11, v10, v11
	s_delay_alu instid0(VALU_DEP_1) | instskip(NEXT) | instid1(VALU_DEP_1)
	v_lshrrev_b32_e32 v11, s10, v11
	v_mul_hi_u32 v12, s6, v11
	v_mul_lo_u32 v13, v11, s8
	s_clause 0x1
	s_load_b128 s[16:19], s[0:1], 0xdc
	s_load_b64 s[8:9], s[0:1], 0xec
	s_wait_xcnt 0x0
	s_add_nc_u64 s[0:1], s[0:1], 24
	s_delay_alu instid0(VALU_DEP_1) | instskip(NEXT) | instid1(VALU_DEP_1)
	v_dual_add_nc_u32 v12, v11, v12 :: v_dual_sub_nc_u32 v13, v10, v13
	v_lshrrev_b32_e32 v10, s7, v12
	s_wait_kmcnt 0x0
	s_delay_alu instid0(VALU_DEP_2) | instskip(NEXT) | instid1(VALU_DEP_2)
	v_mad_u32 v2, v13, s16, v2
	v_mul_lo_u32 v12, v10, s11
	v_mad_u32 v6, v13, s18, v6
	v_mad_u32 v7, v13, s17, v7
	s_delay_alu instid0(VALU_DEP_3) | instskip(NEXT) | instid1(VALU_DEP_1)
	v_sub_nc_u32_e32 v11, v11, v12
	v_mad_u32 v2, v11, s19, v2
	s_delay_alu instid0(VALU_DEP_4) | instskip(NEXT) | instid1(VALU_DEP_4)
	v_mad_u32 v6, v11, s9, v6
	v_mad_u32 v7, v11, s8, v7
	s_cbranch_scc1 .LBB21_86
; %bb.87:
	s_bitcmp1_b32 s3, 0
	s_cselect_b32 s3, -1, 0
	s_delay_alu instid0(SALU_CYCLE_1)
	s_and_b32 vcc_lo, exec_lo, s3
	s_cbranch_vccnz .LBB21_90
; %bb.88:
	s_clause 0x1
	s_load_b96 s[4:6], s[0:1], 0x1c
	s_load_b96 s[8:10], s[0:1], 0xdc
	s_wait_kmcnt 0x0
	v_mul_hi_u32 v11, s5, v10
	s_delay_alu instid0(VALU_DEP_1) | instskip(NEXT) | instid1(VALU_DEP_1)
	v_add_nc_u32_e32 v11, v10, v11
	v_lshrrev_b32_e32 v11, s6, v11
	s_delay_alu instid0(VALU_DEP_1) | instskip(NEXT) | instid1(VALU_DEP_1)
	v_mul_lo_u32 v11, v11, s4
	v_sub_nc_u32_e32 v10, v10, v11
	s_delay_alu instid0(VALU_DEP_1)
	v_mad_u32 v2, v10, s8, v2
	v_mad_u32 v7, v10, s9, v7
	;; [unrolled: 1-line block ×3, first 2 shown]
	s_and_not1_b32 vcc_lo, exec_lo, s2
	s_cbranch_vccz .LBB21_91
	s_branch .LBB21_94
.LBB21_89:
	s_mov_b32 s2, -1
                                        ; implicit-def: $vgpr6
                                        ; implicit-def: $vgpr7
                                        ; implicit-def: $vgpr2
.LBB21_90:
	s_delay_alu instid0(SALU_CYCLE_1)
	s_and_not1_b32 vcc_lo, exec_lo, s2
	s_cbranch_vccnz .LBB21_94
.LBB21_91:
	s_clause 0x1
	s_load_b96 s[0:2], s[12:13], 0x4
	s_load_b96 s[4:6], s[12:13], 0xc4
	s_cmp_lt_u32 s26, 2
	s_wait_kmcnt 0x0
	v_mul_hi_u32 v2, s1, v9
	s_delay_alu instid0(VALU_DEP_1) | instskip(NEXT) | instid1(VALU_DEP_1)
	v_add_nc_u32_e32 v2, v9, v2
	v_lshrrev_b32_e32 v10, s2, v2
	s_delay_alu instid0(VALU_DEP_1) | instskip(NEXT) | instid1(VALU_DEP_1)
	v_mul_lo_u32 v2, v10, s0
	v_sub_nc_u32_e32 v7, v9, v2
	s_delay_alu instid0(VALU_DEP_1)
	v_mul_lo_u32 v2, v7, s4
	v_mul_lo_u32 v6, v7, s6
	;; [unrolled: 1-line block ×3, first 2 shown]
	s_cbranch_scc1 .LBB21_94
; %bb.92:
	s_clause 0x1
	s_load_b96 s[0:2], s[12:13], 0x10
	s_load_b96 s[4:6], s[12:13], 0xd0
	s_wait_kmcnt 0x0
	v_mul_hi_u32 v9, s1, v10
	s_delay_alu instid0(VALU_DEP_1) | instskip(NEXT) | instid1(VALU_DEP_1)
	v_add_nc_u32_e32 v9, v10, v9
	v_lshrrev_b32_e32 v9, s2, v9
	s_delay_alu instid0(VALU_DEP_1) | instskip(NEXT) | instid1(VALU_DEP_1)
	v_mul_lo_u32 v9, v9, s0
	v_sub_nc_u32_e32 v9, v10, v9
	s_delay_alu instid0(VALU_DEP_1)
	v_mad_u32 v2, v9, s4, v2
	v_mad_u32 v7, v9, s5, v7
	;; [unrolled: 1-line block ×3, first 2 shown]
	s_branch .LBB21_94
.LBB21_93:
	v_dual_mov_b32 v6, 0 :: v_dual_mov_b32 v7, 0
	v_mov_b32_e32 v2, 0
	s_and_not1_b32 vcc_lo, exec_lo, s2
	s_cbranch_vccz .LBB21_91
.LBB21_94:
	v_cmp_ne_u32_e32 vcc_lo, 1, v8
	v_add_nc_u32_e32 v11, 0x100, v0
	s_cbranch_vccnz .LBB21_100
; %bb.95:
	s_cmp_lg_u32 s26, 0
	s_mov_b32 s2, 0
	s_cbranch_scc0 .LBB21_104
; %bb.96:
	s_min_u32 s3, s27, 15
	v_dual_mov_b32 v0, 0 :: v_dual_mov_b32 v12, v11
	v_dual_mov_b32 v10, 0 :: v_dual_mov_b32 v9, 0
	s_add_co_i32 s4, s3, 1
	s_mov_b64 s[0:1], 0xffffffffffffffe8
	s_and_b32 s4, s4, 30
	s_add_nc_u64 s[0:1], s[12:13], s[0:1]
.LBB21_97:                              ; =>This Inner Loop Header: Depth=1
	s_clause 0x1
	s_load_b128 s[8:11], s[0:1], 0x1c
	s_load_b64 s[6:7], s[0:1], 0x2c
	s_add_co_i32 s4, s4, -2
	s_delay_alu instid0(SALU_CYCLE_1) | instskip(SKIP_2) | instid1(VALU_DEP_1)
	s_cmp_lg_u32 s4, 0
	s_wait_kmcnt 0x0
	v_mul_hi_u32 v13, s9, v12
	v_add_nc_u32_e32 v13, v12, v13
	s_delay_alu instid0(VALU_DEP_1) | instskip(NEXT) | instid1(VALU_DEP_1)
	v_lshrrev_b32_e32 v13, s10, v13
	v_mul_hi_u32 v14, s6, v13
	v_mul_lo_u32 v15, v13, s8
	s_clause 0x1
	s_load_b128 s[16:19], s[0:1], 0xdc
	s_load_b64 s[8:9], s[0:1], 0xec
	s_wait_xcnt 0x0
	s_add_nc_u64 s[0:1], s[0:1], 24
	s_delay_alu instid0(VALU_DEP_1) | instskip(NEXT) | instid1(VALU_DEP_1)
	v_dual_add_nc_u32 v14, v13, v14 :: v_dual_sub_nc_u32 v15, v12, v15
	v_lshrrev_b32_e32 v12, s7, v14
	s_wait_kmcnt 0x0
	s_delay_alu instid0(VALU_DEP_2) | instskip(NEXT) | instid1(VALU_DEP_2)
	v_mad_u32 v0, v15, s16, v0
	v_mul_lo_u32 v14, v12, s11
	v_mad_u32 v9, v15, s18, v9
	v_mad_u32 v10, v15, s17, v10
	s_delay_alu instid0(VALU_DEP_3) | instskip(NEXT) | instid1(VALU_DEP_1)
	v_sub_nc_u32_e32 v13, v13, v14
	v_mad_u32 v0, v13, s19, v0
	s_delay_alu instid0(VALU_DEP_4) | instskip(NEXT) | instid1(VALU_DEP_4)
	v_mad_u32 v9, v13, s9, v9
	v_mad_u32 v10, v13, s8, v10
	s_cbranch_scc1 .LBB21_97
; %bb.98:
	s_bitcmp1_b32 s3, 0
	s_cselect_b32 s3, -1, 0
	s_delay_alu instid0(SALU_CYCLE_1)
	s_and_b32 vcc_lo, exec_lo, s3
	s_cbranch_vccnz .LBB21_101
; %bb.99:
	s_clause 0x1
	s_load_b96 s[4:6], s[0:1], 0x1c
	s_load_b96 s[8:10], s[0:1], 0xdc
	s_wait_kmcnt 0x0
	v_mul_hi_u32 v13, s5, v12
	s_delay_alu instid0(VALU_DEP_1) | instskip(NEXT) | instid1(VALU_DEP_1)
	v_add_nc_u32_e32 v13, v12, v13
	v_lshrrev_b32_e32 v13, s6, v13
	s_delay_alu instid0(VALU_DEP_1) | instskip(NEXT) | instid1(VALU_DEP_1)
	v_mul_lo_u32 v13, v13, s4
	v_sub_nc_u32_e32 v12, v12, v13
	s_delay_alu instid0(VALU_DEP_1)
	v_mad_u32 v0, v12, s8, v0
	v_mad_u32 v10, v12, s9, v10
	;; [unrolled: 1-line block ×3, first 2 shown]
	s_and_not1_b32 vcc_lo, exec_lo, s2
	s_cbranch_vccz .LBB21_102
	s_branch .LBB21_105
.LBB21_100:
	s_mov_b32 s2, -1
                                        ; implicit-def: $vgpr9
                                        ; implicit-def: $vgpr10
                                        ; implicit-def: $vgpr0
.LBB21_101:
	s_delay_alu instid0(SALU_CYCLE_1)
	s_and_not1_b32 vcc_lo, exec_lo, s2
	s_cbranch_vccnz .LBB21_105
.LBB21_102:
	s_clause 0x1
	s_load_b96 s[0:2], s[12:13], 0x4
	s_load_b96 s[4:6], s[12:13], 0xc4
	s_cmp_lt_u32 s26, 2
	s_wait_kmcnt 0x0
	v_mul_hi_u32 v0, s1, v11
	s_delay_alu instid0(VALU_DEP_1) | instskip(NEXT) | instid1(VALU_DEP_1)
	v_add_nc_u32_e32 v0, v11, v0
	v_lshrrev_b32_e32 v12, s2, v0
	s_delay_alu instid0(VALU_DEP_1) | instskip(NEXT) | instid1(VALU_DEP_1)
	v_mul_lo_u32 v0, v12, s0
	v_sub_nc_u32_e32 v10, v11, v0
	s_delay_alu instid0(VALU_DEP_1)
	v_mul_lo_u32 v0, v10, s4
	v_mul_lo_u32 v9, v10, s6
	;; [unrolled: 1-line block ×3, first 2 shown]
	s_cbranch_scc1 .LBB21_105
; %bb.103:
	s_clause 0x1
	s_load_b96 s[0:2], s[12:13], 0x10
	s_load_b96 s[4:6], s[12:13], 0xd0
	s_wait_kmcnt 0x0
	v_mul_hi_u32 v11, s1, v12
	s_delay_alu instid0(VALU_DEP_1) | instskip(NEXT) | instid1(VALU_DEP_1)
	v_add_nc_u32_e32 v11, v12, v11
	v_lshrrev_b32_e32 v11, s2, v11
	s_delay_alu instid0(VALU_DEP_1) | instskip(NEXT) | instid1(VALU_DEP_1)
	v_mul_lo_u32 v11, v11, s0
	v_sub_nc_u32_e32 v11, v12, v11
	s_delay_alu instid0(VALU_DEP_1)
	v_mad_u32 v0, v11, s4, v0
	v_mad_u32 v10, v11, s5, v10
	;; [unrolled: 1-line block ×3, first 2 shown]
	s_branch .LBB21_105
.LBB21_104:
	v_dual_mov_b32 v9, 0 :: v_dual_mov_b32 v10, 0
	v_mov_b32_e32 v0, 0
	s_and_not1_b32 vcc_lo, exec_lo, s2
	s_cbranch_vccz .LBB21_102
.LBB21_105:
	v_cmp_ne_u32_e32 vcc_lo, 1, v8
	s_cbranch_vccnz .LBB21_111
; %bb.106:
	s_cmp_lg_u32 s26, 0
	s_mov_b32 s2, 0
	s_cbranch_scc0 .LBB21_115
; %bb.107:
	s_min_u32 s3, s27, 15
	v_dual_mov_b32 v8, 0 :: v_dual_mov_b32 v13, v3
	v_dual_mov_b32 v12, 0 :: v_dual_mov_b32 v11, 0
	s_add_co_i32 s4, s3, 1
	s_mov_b64 s[0:1], 0xffffffffffffffe8
	s_and_b32 s4, s4, 30
	s_add_nc_u64 s[0:1], s[12:13], s[0:1]
.LBB21_108:                             ; =>This Inner Loop Header: Depth=1
	s_clause 0x1
	s_load_b128 s[8:11], s[0:1], 0x1c
	s_load_b64 s[6:7], s[0:1], 0x2c
	s_add_co_i32 s4, s4, -2
	s_delay_alu instid0(SALU_CYCLE_1) | instskip(SKIP_2) | instid1(VALU_DEP_1)
	s_cmp_lg_u32 s4, 0
	s_wait_kmcnt 0x0
	v_mul_hi_u32 v14, s9, v13
	v_add_nc_u32_e32 v14, v13, v14
	s_delay_alu instid0(VALU_DEP_1) | instskip(NEXT) | instid1(VALU_DEP_1)
	v_lshrrev_b32_e32 v14, s10, v14
	v_mul_hi_u32 v15, s6, v14
	v_mul_lo_u32 v16, v14, s8
	s_clause 0x1
	s_load_b128 s[16:19], s[0:1], 0xdc
	s_load_b64 s[8:9], s[0:1], 0xec
	s_wait_xcnt 0x0
	s_add_nc_u64 s[0:1], s[0:1], 24
	s_delay_alu instid0(VALU_DEP_1) | instskip(NEXT) | instid1(VALU_DEP_1)
	v_dual_add_nc_u32 v15, v14, v15 :: v_dual_sub_nc_u32 v16, v13, v16
	v_lshrrev_b32_e32 v13, s7, v15
	s_wait_kmcnt 0x0
	s_delay_alu instid0(VALU_DEP_2) | instskip(NEXT) | instid1(VALU_DEP_2)
	v_mad_u32 v8, v16, s16, v8
	v_mul_lo_u32 v15, v13, s11
	v_mad_u32 v11, v16, s18, v11
	v_mad_u32 v12, v16, s17, v12
	s_delay_alu instid0(VALU_DEP_3) | instskip(NEXT) | instid1(VALU_DEP_1)
	v_sub_nc_u32_e32 v14, v14, v15
	v_mad_u32 v8, v14, s19, v8
	s_delay_alu instid0(VALU_DEP_4) | instskip(NEXT) | instid1(VALU_DEP_4)
	v_mad_u32 v11, v14, s9, v11
	v_mad_u32 v12, v14, s8, v12
	s_cbranch_scc1 .LBB21_108
; %bb.109:
	s_bitcmp1_b32 s3, 0
	s_cselect_b32 s3, -1, 0
	s_delay_alu instid0(SALU_CYCLE_1)
	s_and_b32 vcc_lo, exec_lo, s3
	s_cbranch_vccnz .LBB21_112
; %bb.110:
	s_clause 0x1
	s_load_b96 s[4:6], s[0:1], 0x1c
	s_load_b96 s[8:10], s[0:1], 0xdc
	s_wait_kmcnt 0x0
	v_mul_hi_u32 v14, s5, v13
	s_delay_alu instid0(VALU_DEP_1) | instskip(NEXT) | instid1(VALU_DEP_1)
	v_add_nc_u32_e32 v14, v13, v14
	v_lshrrev_b32_e32 v14, s6, v14
	s_delay_alu instid0(VALU_DEP_1) | instskip(NEXT) | instid1(VALU_DEP_1)
	v_mul_lo_u32 v14, v14, s4
	v_sub_nc_u32_e32 v13, v13, v14
	s_delay_alu instid0(VALU_DEP_1)
	v_mad_u32 v8, v13, s8, v8
	v_mad_u32 v12, v13, s9, v12
	;; [unrolled: 1-line block ×3, first 2 shown]
	s_and_not1_b32 vcc_lo, exec_lo, s2
	s_cbranch_vccz .LBB21_113
	s_branch .LBB21_116
.LBB21_111:
	s_mov_b32 s2, -1
                                        ; implicit-def: $vgpr11
                                        ; implicit-def: $vgpr12
                                        ; implicit-def: $vgpr8
.LBB21_112:
	s_delay_alu instid0(SALU_CYCLE_1)
	s_and_not1_b32 vcc_lo, exec_lo, s2
	s_cbranch_vccnz .LBB21_116
.LBB21_113:
	s_clause 0x1
	s_load_b96 s[0:2], s[12:13], 0x4
	s_load_b96 s[4:6], s[12:13], 0xc4
	s_cmp_lt_u32 s26, 2
	s_wait_kmcnt 0x0
	v_mul_hi_u32 v8, s1, v3
	s_delay_alu instid0(VALU_DEP_1) | instskip(NEXT) | instid1(VALU_DEP_1)
	v_add_nc_u32_e32 v8, v3, v8
	v_lshrrev_b32_e32 v13, s2, v8
	s_delay_alu instid0(VALU_DEP_1) | instskip(NEXT) | instid1(VALU_DEP_1)
	v_mul_lo_u32 v8, v13, s0
	v_sub_nc_u32_e32 v3, v3, v8
	s_delay_alu instid0(VALU_DEP_1)
	v_mul_lo_u32 v8, v3, s4
	v_mul_lo_u32 v11, v3, s6
	;; [unrolled: 1-line block ×3, first 2 shown]
	s_cbranch_scc1 .LBB21_116
; %bb.114:
	s_clause 0x1
	s_load_b96 s[0:2], s[12:13], 0x10
	s_load_b96 s[4:6], s[12:13], 0xd0
	s_wait_kmcnt 0x0
	v_mul_hi_u32 v3, s1, v13
	s_delay_alu instid0(VALU_DEP_1) | instskip(NEXT) | instid1(VALU_DEP_1)
	v_add_nc_u32_e32 v3, v13, v3
	v_lshrrev_b32_e32 v3, s2, v3
	s_delay_alu instid0(VALU_DEP_1) | instskip(NEXT) | instid1(VALU_DEP_1)
	v_mul_lo_u32 v3, v3, s0
	v_sub_nc_u32_e32 v3, v13, v3
	s_delay_alu instid0(VALU_DEP_1)
	v_mad_u32 v8, v3, s4, v8
	v_mad_u32 v12, v3, s5, v12
	;; [unrolled: 1-line block ×3, first 2 shown]
	s_branch .LBB21_116
.LBB21_115:
	v_dual_mov_b32 v11, 0 :: v_dual_mov_b32 v12, 0
	v_mov_b32_e32 v8, 0
	s_and_not1_b32 vcc_lo, exec_lo, s2
	s_cbranch_vccz .LBB21_113
.LBB21_116:
	s_clause 0x1
	s_load_b64 s[4:5], s[12:13], 0x198
	s_load_b128 s[0:3], s[12:13], 0x188
	s_mov_b32 s7, 0
	s_mov_b32 s6, exec_lo
	s_wait_kmcnt 0x0
	global_load_b32 v3, v4, s[4:5]
	global_load_b32 v13, v5, s[2:3]
	s_wait_loadcnt 0x1
	s_wait_xcnt 0x1
	v_sub_nc_u32_e32 v4, 0, v3
	s_delay_alu instid0(VALU_DEP_1)
	v_max_i32_e32 v3, v3, v4
	s_wait_loadcnt 0x0
	v_cmpx_ne_u32_e32 0, v13
	s_cbranch_execz .LBB21_120
; %bb.117:
	v_sub_nc_u32_e32 v4, 0, v13
	s_delay_alu instid0(VALU_DEP_1)
	v_max_i32_e32 v5, v13, v4
.LBB21_118:                             ; =>This Inner Loop Header: Depth=1
	s_delay_alu instid0(VALU_DEP_1) | instskip(NEXT) | instid1(VALU_DEP_1)
	v_mov_b32_e32 v4, v5
	v_cvt_f32_u32_e32 v5, v4
	s_delay_alu instid0(VALU_DEP_1) | instskip(SKIP_1) | instid1(TRANS32_DEP_1)
	v_rcp_iflag_f32_e32 v5, v5
	v_nop
	v_mul_f32_e32 v5, 0x4f7ffffe, v5
	v_sub_nc_u32_e32 v13, 0, v4
	s_delay_alu instid0(VALU_DEP_2) | instskip(NEXT) | instid1(VALU_DEP_1)
	v_cvt_u32_f32_e32 v5, v5
	v_mul_lo_u32 v13, v13, v5
	s_delay_alu instid0(VALU_DEP_1) | instskip(NEXT) | instid1(VALU_DEP_1)
	v_mul_hi_u32 v13, v5, v13
	v_add_nc_u32_e32 v5, v5, v13
	s_delay_alu instid0(VALU_DEP_1) | instskip(NEXT) | instid1(VALU_DEP_1)
	v_mul_hi_u32 v5, v3, v5
	v_mul_lo_u32 v5, v5, v4
	s_delay_alu instid0(VALU_DEP_1) | instskip(NEXT) | instid1(VALU_DEP_1)
	v_sub_nc_u32_e32 v3, v3, v5
	v_sub_nc_u32_e32 v5, v3, v4
	v_cmp_ge_u32_e32 vcc_lo, v3, v4
	s_delay_alu instid0(VALU_DEP_2) | instskip(NEXT) | instid1(VALU_DEP_1)
	v_cndmask_b32_e32 v3, v3, v5, vcc_lo
	v_sub_nc_u32_e32 v5, v3, v4
	v_cmp_ge_u32_e32 vcc_lo, v3, v4
	s_delay_alu instid0(VALU_DEP_2) | instskip(NEXT) | instid1(VALU_DEP_1)
	v_dual_cndmask_b32 v5, v3, v5, vcc_lo :: v_dual_mov_b32 v3, v4
	v_cmp_eq_u32_e32 vcc_lo, 0, v5
	s_or_b32 s7, vcc_lo, s7
	s_delay_alu instid0(SALU_CYCLE_1)
	s_and_not1_b32 exec_lo, exec_lo, s7
	s_cbranch_execnz .LBB21_118
; %bb.119:
	s_or_b32 exec_lo, exec_lo, s7
	v_mov_b32_e32 v3, v4
.LBB21_120:
	s_or_b32 exec_lo, exec_lo, s6
	global_load_b32 v4, v6, s[4:5]
	global_load_b32 v5, v7, s[2:3]
	s_mov_b32 s7, 0
	s_mov_b32 s6, exec_lo
	s_wait_loadcnt 0x1
	s_wait_xcnt 0x1
	v_sub_nc_u32_e32 v6, 0, v4
	s_delay_alu instid0(VALU_DEP_1)
	v_max_i32_e32 v4, v4, v6
	s_wait_loadcnt 0x0
	v_cmpx_ne_u32_e32 0, v5
	s_cbranch_execz .LBB21_124
; %bb.121:
	v_sub_nc_u32_e32 v6, 0, v5
	s_delay_alu instid0(VALU_DEP_1)
	v_max_i32_e32 v6, v5, v6
.LBB21_122:                             ; =>This Inner Loop Header: Depth=1
	s_delay_alu instid0(VALU_DEP_1) | instskip(NEXT) | instid1(VALU_DEP_1)
	v_mov_b32_e32 v5, v6
	v_cvt_f32_u32_e32 v6, v5
	s_delay_alu instid0(VALU_DEP_1) | instskip(SKIP_1) | instid1(TRANS32_DEP_1)
	v_rcp_iflag_f32_e32 v6, v6
	v_nop
	v_dual_mul_f32 v6, 0x4f7ffffe, v6 :: v_dual_sub_nc_u32 v7, 0, v5
	s_delay_alu instid0(VALU_DEP_1) | instskip(NEXT) | instid1(VALU_DEP_1)
	v_cvt_u32_f32_e32 v6, v6
	v_mul_lo_u32 v7, v7, v6
	s_delay_alu instid0(VALU_DEP_1) | instskip(NEXT) | instid1(VALU_DEP_1)
	v_mul_hi_u32 v7, v6, v7
	v_add_nc_u32_e32 v6, v6, v7
	s_delay_alu instid0(VALU_DEP_1) | instskip(NEXT) | instid1(VALU_DEP_1)
	v_mul_hi_u32 v6, v4, v6
	v_mul_lo_u32 v6, v6, v5
	s_delay_alu instid0(VALU_DEP_1) | instskip(NEXT) | instid1(VALU_DEP_1)
	v_sub_nc_u32_e32 v4, v4, v6
	v_sub_nc_u32_e32 v6, v4, v5
	v_cmp_ge_u32_e32 vcc_lo, v4, v5
	s_delay_alu instid0(VALU_DEP_2) | instskip(NEXT) | instid1(VALU_DEP_1)
	v_cndmask_b32_e32 v4, v4, v6, vcc_lo
	v_sub_nc_u32_e32 v6, v4, v5
	v_cmp_ge_u32_e32 vcc_lo, v4, v5
	s_delay_alu instid0(VALU_DEP_2) | instskip(NEXT) | instid1(VALU_DEP_1)
	v_dual_cndmask_b32 v6, v4, v6, vcc_lo :: v_dual_mov_b32 v4, v5
	v_cmp_eq_u32_e32 vcc_lo, 0, v6
	s_or_b32 s7, vcc_lo, s7
	s_delay_alu instid0(SALU_CYCLE_1)
	s_and_not1_b32 exec_lo, exec_lo, s7
	s_cbranch_execnz .LBB21_122
; %bb.123:
	s_or_b32 exec_lo, exec_lo, s7
	v_mov_b32_e32 v4, v5
.LBB21_124:
	s_or_b32 exec_lo, exec_lo, s6
	global_load_b32 v5, v9, s[4:5]
	global_load_b32 v6, v10, s[2:3]
	s_mov_b32 s7, 0
	s_mov_b32 s6, exec_lo
	s_wait_loadcnt 0x1
	v_sub_nc_u32_e32 v7, 0, v5
	s_delay_alu instid0(VALU_DEP_1)
	v_max_i32_e32 v5, v5, v7
	s_wait_loadcnt 0x0
	v_cmpx_ne_u32_e32 0, v6
	s_cbranch_execz .LBB21_128
; %bb.125:
	v_sub_nc_u32_e32 v7, 0, v6
	s_delay_alu instid0(VALU_DEP_1)
	v_max_i32_e32 v7, v6, v7
.LBB21_126:                             ; =>This Inner Loop Header: Depth=1
	s_delay_alu instid0(VALU_DEP_1) | instskip(NEXT) | instid1(VALU_DEP_1)
	v_mov_b32_e32 v6, v7
	v_cvt_f32_u32_e32 v7, v6
	s_delay_alu instid0(VALU_DEP_1) | instskip(SKIP_1) | instid1(TRANS32_DEP_1)
	v_rcp_iflag_f32_e32 v7, v7
	v_nop
	v_mul_f32_e32 v7, 0x4f7ffffe, v7
	v_sub_nc_u32_e32 v9, 0, v6
	s_delay_alu instid0(VALU_DEP_2) | instskip(NEXT) | instid1(VALU_DEP_1)
	v_cvt_u32_f32_e32 v7, v7
	v_mul_lo_u32 v9, v9, v7
	s_delay_alu instid0(VALU_DEP_1) | instskip(NEXT) | instid1(VALU_DEP_1)
	v_mul_hi_u32 v9, v7, v9
	v_add_nc_u32_e32 v7, v7, v9
	s_delay_alu instid0(VALU_DEP_1) | instskip(NEXT) | instid1(VALU_DEP_1)
	v_mul_hi_u32 v7, v5, v7
	v_mul_lo_u32 v7, v7, v6
	s_delay_alu instid0(VALU_DEP_1) | instskip(NEXT) | instid1(VALU_DEP_1)
	v_sub_nc_u32_e32 v5, v5, v7
	v_sub_nc_u32_e32 v7, v5, v6
	v_cmp_ge_u32_e32 vcc_lo, v5, v6
	s_delay_alu instid0(VALU_DEP_2) | instskip(NEXT) | instid1(VALU_DEP_1)
	v_cndmask_b32_e32 v5, v5, v7, vcc_lo
	v_sub_nc_u32_e32 v7, v5, v6
	v_cmp_ge_u32_e32 vcc_lo, v5, v6
	s_delay_alu instid0(VALU_DEP_2) | instskip(NEXT) | instid1(VALU_DEP_1)
	v_dual_cndmask_b32 v7, v5, v7, vcc_lo :: v_dual_mov_b32 v5, v6
	v_cmp_eq_u32_e32 vcc_lo, 0, v7
	s_or_b32 s7, vcc_lo, s7
	s_delay_alu instid0(SALU_CYCLE_1)
	s_and_not1_b32 exec_lo, exec_lo, s7
	s_cbranch_execnz .LBB21_126
; %bb.127:
	s_or_b32 exec_lo, exec_lo, s7
	v_mov_b32_e32 v5, v6
.LBB21_128:
	s_or_b32 exec_lo, exec_lo, s6
	global_load_b32 v6, v11, s[4:5]
	global_load_b32 v7, v12, s[2:3]
	s_wait_xcnt 0x0
	s_mov_b32 s3, 0
	s_mov_b32 s2, exec_lo
	s_wait_loadcnt 0x1
	v_sub_nc_u32_e32 v9, 0, v6
	s_delay_alu instid0(VALU_DEP_1)
	v_max_i32_e32 v6, v6, v9
	s_wait_loadcnt 0x0
	v_cmpx_ne_u32_e32 0, v7
	s_cbranch_execz .LBB21_132
; %bb.129:
	v_sub_nc_u32_e32 v9, 0, v7
	s_delay_alu instid0(VALU_DEP_1)
	v_max_i32_e32 v9, v7, v9
.LBB21_130:                             ; =>This Inner Loop Header: Depth=1
	s_delay_alu instid0(VALU_DEP_1) | instskip(NEXT) | instid1(VALU_DEP_1)
	v_mov_b32_e32 v7, v9
	v_cvt_f32_u32_e32 v9, v7
	v_sub_nc_u32_e32 v10, 0, v7
	s_delay_alu instid0(VALU_DEP_2) | instskip(SKIP_1) | instid1(TRANS32_DEP_1)
	v_rcp_iflag_f32_e32 v9, v9
	v_nop
	v_mul_f32_e32 v9, 0x4f7ffffe, v9
	s_delay_alu instid0(VALU_DEP_1) | instskip(NEXT) | instid1(VALU_DEP_1)
	v_cvt_u32_f32_e32 v9, v9
	v_mul_lo_u32 v10, v10, v9
	s_delay_alu instid0(VALU_DEP_1) | instskip(NEXT) | instid1(VALU_DEP_1)
	v_mul_hi_u32 v10, v9, v10
	v_add_nc_u32_e32 v9, v9, v10
	s_delay_alu instid0(VALU_DEP_1) | instskip(NEXT) | instid1(VALU_DEP_1)
	v_mul_hi_u32 v9, v6, v9
	v_mul_lo_u32 v9, v9, v7
	s_delay_alu instid0(VALU_DEP_1) | instskip(NEXT) | instid1(VALU_DEP_1)
	v_sub_nc_u32_e32 v6, v6, v9
	v_sub_nc_u32_e32 v9, v6, v7
	v_cmp_ge_u32_e32 vcc_lo, v6, v7
	s_delay_alu instid0(VALU_DEP_2) | instskip(NEXT) | instid1(VALU_DEP_1)
	v_cndmask_b32_e32 v6, v6, v9, vcc_lo
	v_sub_nc_u32_e32 v9, v6, v7
	v_cmp_ge_u32_e32 vcc_lo, v6, v7
	s_delay_alu instid0(VALU_DEP_2) | instskip(NEXT) | instid1(VALU_DEP_1)
	v_dual_cndmask_b32 v9, v6, v9 :: v_dual_mov_b32 v6, v7
	v_cmp_eq_u32_e32 vcc_lo, 0, v9
	s_or_b32 s3, vcc_lo, s3
	s_delay_alu instid0(SALU_CYCLE_1)
	s_and_not1_b32 exec_lo, exec_lo, s3
	s_cbranch_execnz .LBB21_130
; %bb.131:
	s_or_b32 exec_lo, exec_lo, s3
	v_mov_b32_e32 v6, v7
.LBB21_132:
	s_or_b32 exec_lo, exec_lo, s2
	s_clause 0x3
	global_store_b32 v1, v3, s[0:1]
	global_store_b32 v2, v4, s[0:1]
	;; [unrolled: 1-line block ×4, first 2 shown]
	s_endpgm
	.section	.rodata,"a",@progbits
	.p2align	6, 0x0
	.amdhsa_kernel _ZN2at6native32elementwise_kernel_manual_unrollILi128ELi4EZNS0_22gpu_kernel_impl_nocastIZZZNS0_15gcd_kernel_cudaERNS_18TensorIteratorBaseEENKUlvE_clEvENKUlvE1_clEvEUliiE_EEvS4_RKT_EUlibE_EEviT1_
		.amdhsa_group_segment_fixed_size 0
		.amdhsa_private_segment_fixed_size 0
		.amdhsa_kernarg_size 432
		.amdhsa_user_sgpr_count 2
		.amdhsa_user_sgpr_dispatch_ptr 0
		.amdhsa_user_sgpr_queue_ptr 0
		.amdhsa_user_sgpr_kernarg_segment_ptr 1
		.amdhsa_user_sgpr_dispatch_id 0
		.amdhsa_user_sgpr_kernarg_preload_length 0
		.amdhsa_user_sgpr_kernarg_preload_offset 0
		.amdhsa_user_sgpr_private_segment_size 0
		.amdhsa_wavefront_size32 1
		.amdhsa_uses_dynamic_stack 0
		.amdhsa_enable_private_segment 0
		.amdhsa_system_sgpr_workgroup_id_x 1
		.amdhsa_system_sgpr_workgroup_id_y 0
		.amdhsa_system_sgpr_workgroup_id_z 0
		.amdhsa_system_sgpr_workgroup_info 0
		.amdhsa_system_vgpr_workitem_id 0
		.amdhsa_next_free_vgpr 17
		.amdhsa_next_free_sgpr 46
		.amdhsa_named_barrier_count 0
		.amdhsa_reserve_vcc 1
		.amdhsa_float_round_mode_32 0
		.amdhsa_float_round_mode_16_64 0
		.amdhsa_float_denorm_mode_32 3
		.amdhsa_float_denorm_mode_16_64 3
		.amdhsa_fp16_overflow 0
		.amdhsa_memory_ordered 1
		.amdhsa_forward_progress 1
		.amdhsa_inst_pref_size 55
		.amdhsa_round_robin_scheduling 0
		.amdhsa_exception_fp_ieee_invalid_op 0
		.amdhsa_exception_fp_denorm_src 0
		.amdhsa_exception_fp_ieee_div_zero 0
		.amdhsa_exception_fp_ieee_overflow 0
		.amdhsa_exception_fp_ieee_underflow 0
		.amdhsa_exception_fp_ieee_inexact 0
		.amdhsa_exception_int_div_zero 0
	.end_amdhsa_kernel
	.section	.text._ZN2at6native32elementwise_kernel_manual_unrollILi128ELi4EZNS0_22gpu_kernel_impl_nocastIZZZNS0_15gcd_kernel_cudaERNS_18TensorIteratorBaseEENKUlvE_clEvENKUlvE1_clEvEUliiE_EEvS4_RKT_EUlibE_EEviT1_,"axG",@progbits,_ZN2at6native32elementwise_kernel_manual_unrollILi128ELi4EZNS0_22gpu_kernel_impl_nocastIZZZNS0_15gcd_kernel_cudaERNS_18TensorIteratorBaseEENKUlvE_clEvENKUlvE1_clEvEUliiE_EEvS4_RKT_EUlibE_EEviT1_,comdat
.Lfunc_end21:
	.size	_ZN2at6native32elementwise_kernel_manual_unrollILi128ELi4EZNS0_22gpu_kernel_impl_nocastIZZZNS0_15gcd_kernel_cudaERNS_18TensorIteratorBaseEENKUlvE_clEvENKUlvE1_clEvEUliiE_EEvS4_RKT_EUlibE_EEviT1_, .Lfunc_end21-_ZN2at6native32elementwise_kernel_manual_unrollILi128ELi4EZNS0_22gpu_kernel_impl_nocastIZZZNS0_15gcd_kernel_cudaERNS_18TensorIteratorBaseEENKUlvE_clEvENKUlvE1_clEvEUliiE_EEvS4_RKT_EUlibE_EEviT1_
                                        ; -- End function
	.set _ZN2at6native32elementwise_kernel_manual_unrollILi128ELi4EZNS0_22gpu_kernel_impl_nocastIZZZNS0_15gcd_kernel_cudaERNS_18TensorIteratorBaseEENKUlvE_clEvENKUlvE1_clEvEUliiE_EEvS4_RKT_EUlibE_EEviT1_.num_vgpr, 17
	.set _ZN2at6native32elementwise_kernel_manual_unrollILi128ELi4EZNS0_22gpu_kernel_impl_nocastIZZZNS0_15gcd_kernel_cudaERNS_18TensorIteratorBaseEENKUlvE_clEvENKUlvE1_clEvEUliiE_EEvS4_RKT_EUlibE_EEviT1_.num_agpr, 0
	.set _ZN2at6native32elementwise_kernel_manual_unrollILi128ELi4EZNS0_22gpu_kernel_impl_nocastIZZZNS0_15gcd_kernel_cudaERNS_18TensorIteratorBaseEENKUlvE_clEvENKUlvE1_clEvEUliiE_EEvS4_RKT_EUlibE_EEviT1_.numbered_sgpr, 46
	.set _ZN2at6native32elementwise_kernel_manual_unrollILi128ELi4EZNS0_22gpu_kernel_impl_nocastIZZZNS0_15gcd_kernel_cudaERNS_18TensorIteratorBaseEENKUlvE_clEvENKUlvE1_clEvEUliiE_EEvS4_RKT_EUlibE_EEviT1_.num_named_barrier, 0
	.set _ZN2at6native32elementwise_kernel_manual_unrollILi128ELi4EZNS0_22gpu_kernel_impl_nocastIZZZNS0_15gcd_kernel_cudaERNS_18TensorIteratorBaseEENKUlvE_clEvENKUlvE1_clEvEUliiE_EEvS4_RKT_EUlibE_EEviT1_.private_seg_size, 0
	.set _ZN2at6native32elementwise_kernel_manual_unrollILi128ELi4EZNS0_22gpu_kernel_impl_nocastIZZZNS0_15gcd_kernel_cudaERNS_18TensorIteratorBaseEENKUlvE_clEvENKUlvE1_clEvEUliiE_EEvS4_RKT_EUlibE_EEviT1_.uses_vcc, 1
	.set _ZN2at6native32elementwise_kernel_manual_unrollILi128ELi4EZNS0_22gpu_kernel_impl_nocastIZZZNS0_15gcd_kernel_cudaERNS_18TensorIteratorBaseEENKUlvE_clEvENKUlvE1_clEvEUliiE_EEvS4_RKT_EUlibE_EEviT1_.uses_flat_scratch, 0
	.set _ZN2at6native32elementwise_kernel_manual_unrollILi128ELi4EZNS0_22gpu_kernel_impl_nocastIZZZNS0_15gcd_kernel_cudaERNS_18TensorIteratorBaseEENKUlvE_clEvENKUlvE1_clEvEUliiE_EEvS4_RKT_EUlibE_EEviT1_.has_dyn_sized_stack, 0
	.set _ZN2at6native32elementwise_kernel_manual_unrollILi128ELi4EZNS0_22gpu_kernel_impl_nocastIZZZNS0_15gcd_kernel_cudaERNS_18TensorIteratorBaseEENKUlvE_clEvENKUlvE1_clEvEUliiE_EEvS4_RKT_EUlibE_EEviT1_.has_recursion, 0
	.set _ZN2at6native32elementwise_kernel_manual_unrollILi128ELi4EZNS0_22gpu_kernel_impl_nocastIZZZNS0_15gcd_kernel_cudaERNS_18TensorIteratorBaseEENKUlvE_clEvENKUlvE1_clEvEUliiE_EEvS4_RKT_EUlibE_EEviT1_.has_indirect_call, 0
	.section	.AMDGPU.csdata,"",@progbits
; Kernel info:
; codeLenInByte = 7024
; TotalNumSgprs: 48
; NumVgprs: 17
; ScratchSize: 0
; MemoryBound: 0
; FloatMode: 240
; IeeeMode: 1
; LDSByteSize: 0 bytes/workgroup (compile time only)
; SGPRBlocks: 0
; VGPRBlocks: 1
; NumSGPRsForWavesPerEU: 48
; NumVGPRsForWavesPerEU: 17
; NamedBarCnt: 0
; Occupancy: 16
; WaveLimiterHint : 1
; COMPUTE_PGM_RSRC2:SCRATCH_EN: 0
; COMPUTE_PGM_RSRC2:USER_SGPR: 2
; COMPUTE_PGM_RSRC2:TRAP_HANDLER: 0
; COMPUTE_PGM_RSRC2:TGID_X_EN: 1
; COMPUTE_PGM_RSRC2:TGID_Y_EN: 0
; COMPUTE_PGM_RSRC2:TGID_Z_EN: 0
; COMPUTE_PGM_RSRC2:TIDIG_COMP_CNT: 0
	.section	.text._ZN2at6native32elementwise_kernel_manual_unrollILi128ELi4EZNS0_15gpu_kernel_implIZZZNS0_15gcd_kernel_cudaERNS_18TensorIteratorBaseEENKUlvE_clEvENKUlvE1_clEvEUliiE_EEvS4_RKT_EUlibE_EEviT1_,"axG",@progbits,_ZN2at6native32elementwise_kernel_manual_unrollILi128ELi4EZNS0_15gpu_kernel_implIZZZNS0_15gcd_kernel_cudaERNS_18TensorIteratorBaseEENKUlvE_clEvENKUlvE1_clEvEUliiE_EEvS4_RKT_EUlibE_EEviT1_,comdat
	.globl	_ZN2at6native32elementwise_kernel_manual_unrollILi128ELi4EZNS0_15gpu_kernel_implIZZZNS0_15gcd_kernel_cudaERNS_18TensorIteratorBaseEENKUlvE_clEvENKUlvE1_clEvEUliiE_EEvS4_RKT_EUlibE_EEviT1_ ; -- Begin function _ZN2at6native32elementwise_kernel_manual_unrollILi128ELi4EZNS0_15gpu_kernel_implIZZZNS0_15gcd_kernel_cudaERNS_18TensorIteratorBaseEENKUlvE_clEvENKUlvE1_clEvEUliiE_EEvS4_RKT_EUlibE_EEviT1_
	.p2align	8
	.type	_ZN2at6native32elementwise_kernel_manual_unrollILi128ELi4EZNS0_15gpu_kernel_implIZZZNS0_15gcd_kernel_cudaERNS_18TensorIteratorBaseEENKUlvE_clEvENKUlvE1_clEvEUliiE_EEvS4_RKT_EUlibE_EEviT1_,@function
_ZN2at6native32elementwise_kernel_manual_unrollILi128ELi4EZNS0_15gpu_kernel_implIZZZNS0_15gcd_kernel_cudaERNS_18TensorIteratorBaseEENKUlvE_clEvENKUlvE1_clEvEUliiE_EEvS4_RKT_EUlibE_EEviT1_: ; @_ZN2at6native32elementwise_kernel_manual_unrollILi128ELi4EZNS0_15gpu_kernel_implIZZZNS0_15gcd_kernel_cudaERNS_18TensorIteratorBaseEENKUlvE_clEvENKUlvE1_clEvEUliiE_EEvS4_RKT_EUlibE_EEviT1_
; %bb.0:
	v_mov_b32_e32 v1, 0
	s_bfe_u32 s4, ttmp6, 0x4000c
	s_load_b32 s16, s[0:1], 0x0
	s_add_co_i32 s13, s4, 1
	s_load_b128 s[4:7], s[0:1], 0x8
	s_clause 0x1
	global_load_u16 v2, v1, s[0:1] offset:45
	global_load_i8 v3, v1, s[0:1] offset:47
	s_clause 0x1
	s_load_b64 s[2:3], s[0:1], 0x18
	s_load_b96 s[8:10], s[0:1], 0x20
	s_and_b32 s12, ttmp6, 15
	s_wait_xcnt 0x0
	s_mul_i32 s0, ttmp9, s13
	s_getreg_b32 s14, hwreg(HW_REG_IB_STS2, 6, 4)
	s_add_co_i32 s12, s12, s0
	s_mov_b32 s15, 0
	s_wait_loadcnt 0x1
	v_readfirstlane_b32 s11, v2
	s_wait_loadcnt 0x0
	v_readfirstlane_b32 s1, v3
	s_lshr_b32 s13, s11, 8
	s_cmp_eq_u32 s14, 0
	s_cselect_b32 s0, ttmp9, s12
	s_mov_b32 s12, 0
	v_lshl_or_b32 v10, s0, 9, v0
	s_mov_b32 s0, exec_lo
	s_delay_alu instid0(VALU_DEP_1) | instskip(SKIP_1) | instid1(VALU_DEP_1)
	v_or_b32_e32 v0, 0x180, v10
	s_wait_kmcnt 0x0
	v_cmpx_le_i32_e64 s16, v0
	s_xor_b32 s14, exec_lo, s0
	s_cbranch_execz .LBB22_1531
; %bb.1:
	s_mov_b32 s23, -1
	s_mov_b32 s20, 0
	s_mov_b32 s18, 0
	;; [unrolled: 1-line block ×3, first 2 shown]
	s_mov_b32 s19, exec_lo
	v_cmpx_gt_i32_e64 s16, v10
	s_cbranch_execz .LBB22_378
; %bb.2:
	v_mul_lo_u32 v0, v10, s9
	s_and_b32 s0, s13, 0xff
	s_delay_alu instid0(SALU_CYCLE_1) | instskip(NEXT) | instid1(VALU_DEP_1)
	s_cmp_lt_i32 s0, 11
	v_ashrrev_i32_e32 v1, 31, v0
	s_delay_alu instid0(VALU_DEP_1)
	v_add_nc_u64_e32 v[0:1], s[6:7], v[0:1]
	s_cbranch_scc1 .LBB22_9
; %bb.3:
	s_and_b32 s15, 0xffff, s0
	s_delay_alu instid0(SALU_CYCLE_1)
	s_cmp_gt_i32 s15, 25
	s_cbranch_scc0 .LBB22_18
; %bb.4:
	s_cmp_gt_i32 s15, 28
	s_cbranch_scc0 .LBB22_32
; %bb.5:
	;; [unrolled: 3-line block ×4, first 2 shown]
	s_cmp_eq_u32 s15, 46
	s_mov_b32 s21, 0
	s_cbranch_scc0 .LBB22_41
; %bb.8:
	global_load_b32 v2, v[0:1], off
	s_mov_b32 s17, -1
	s_wait_loadcnt 0x0
	v_lshlrev_b32_e32 v2, 16, v2
	s_delay_alu instid0(VALU_DEP_1)
	v_cvt_i32_f32_e32 v2, v2
	s_branch .LBB22_43
.LBB22_9:
                                        ; implicit-def: $vgpr2
	s_cbranch_execnz .LBB22_105
.LBB22_10:
	s_and_not1_b32 vcc_lo, exec_lo, s17
	s_cbranch_vccnz .LBB22_152
.LBB22_11:
	s_wait_xcnt 0x0
	v_mul_lo_u32 v0, v10, s10
	s_and_b32 s0, s1, 0xff
	s_delay_alu instid0(SALU_CYCLE_1) | instskip(NEXT) | instid1(VALU_DEP_1)
	s_cmp_lt_i32 s0, 11
	v_ashrrev_i32_e32 v1, 31, v0
	s_delay_alu instid0(VALU_DEP_1)
	v_add_nc_u64_e32 v[0:1], s[2:3], v[0:1]
	s_cbranch_scc1 .LBB22_19
; %bb.12:
	s_and_b32 s15, 0xffff, s0
	s_delay_alu instid0(SALU_CYCLE_1)
	s_cmp_gt_i32 s15, 25
	s_cbranch_scc0 .LBB22_33
; %bb.13:
	s_cmp_gt_i32 s15, 28
	s_cbranch_scc0 .LBB22_36
; %bb.14:
	;; [unrolled: 3-line block ×4, first 2 shown]
	s_cmp_eq_u32 s15, 46
	s_mov_b32 s22, 0
	s_cbranch_scc0 .LBB22_153
; %bb.17:
	global_load_b32 v3, v[0:1], off
	s_mov_b32 s21, -1
	s_mov_b32 s17, 0
	s_wait_loadcnt 0x0
	v_lshlrev_b32_e32 v3, 16, v3
	s_delay_alu instid0(VALU_DEP_1)
	v_cvt_i32_f32_e32 v3, v3
	s_branch .LBB22_155
.LBB22_18:
                                        ; implicit-def: $vgpr2
	s_cbranch_execnz .LBB22_72
	s_branch .LBB22_104
.LBB22_19:
	s_mov_b32 s17, 0
	s_mov_b32 s21, 0
                                        ; implicit-def: $vgpr3
	s_cbranch_execnz .LBB22_327
.LBB22_20:
	s_and_not1_b32 vcc_lo, exec_lo, s21
	s_cbranch_vccnz .LBB22_375
.LBB22_21:
	s_wait_loadcnt 0x0
	s_delay_alu instid0(VALU_DEP_1) | instskip(SKIP_2) | instid1(VALU_DEP_1)
	v_sub_nc_u32_e32 v0, 0, v3
	s_mov_b32 s15, 0
	s_mov_b32 s0, exec_lo
	v_max_i32_e32 v0, v3, v0
	v_cmpx_ne_u32_e32 0, v2
	s_cbranch_execz .LBB22_25
; %bb.22:
	v_sub_nc_u32_e32 v1, 0, v2
	s_delay_alu instid0(VALU_DEP_1)
	v_max_i32_e32 v2, v2, v1
.LBB22_23:                              ; =>This Inner Loop Header: Depth=1
	s_delay_alu instid0(VALU_DEP_1) | instskip(NEXT) | instid1(VALU_DEP_1)
	v_mov_b32_e32 v1, v2
	v_cvt_f32_u32_e32 v2, v1
	s_delay_alu instid0(VALU_DEP_1) | instskip(SKIP_1) | instid1(TRANS32_DEP_1)
	v_rcp_iflag_f32_e32 v2, v2
	v_nop
	v_dual_mul_f32 v2, 0x4f7ffffe, v2 :: v_dual_sub_nc_u32 v3, 0, v1
	s_delay_alu instid0(VALU_DEP_1) | instskip(NEXT) | instid1(VALU_DEP_1)
	v_cvt_u32_f32_e32 v2, v2
	v_mul_lo_u32 v3, v3, v2
	s_delay_alu instid0(VALU_DEP_1) | instskip(NEXT) | instid1(VALU_DEP_1)
	v_mul_hi_u32 v3, v2, v3
	v_add_nc_u32_e32 v2, v2, v3
	s_delay_alu instid0(VALU_DEP_1) | instskip(NEXT) | instid1(VALU_DEP_1)
	v_mul_hi_u32 v2, v0, v2
	v_mul_lo_u32 v2, v2, v1
	s_delay_alu instid0(VALU_DEP_1) | instskip(NEXT) | instid1(VALU_DEP_1)
	v_sub_nc_u32_e32 v0, v0, v2
	v_sub_nc_u32_e32 v2, v0, v1
	v_cmp_ge_u32_e32 vcc_lo, v0, v1
	s_delay_alu instid0(VALU_DEP_2) | instskip(NEXT) | instid1(VALU_DEP_1)
	v_cndmask_b32_e32 v0, v0, v2, vcc_lo
	v_sub_nc_u32_e32 v2, v0, v1
	v_cmp_ge_u32_e32 vcc_lo, v0, v1
	s_delay_alu instid0(VALU_DEP_2) | instskip(NEXT) | instid1(VALU_DEP_1)
	v_dual_cndmask_b32 v2, v0, v2, vcc_lo :: v_dual_mov_b32 v0, v1
	v_cmp_eq_u32_e32 vcc_lo, 0, v2
	s_or_b32 s15, vcc_lo, s15
	s_delay_alu instid0(SALU_CYCLE_1)
	s_and_not1_b32 exec_lo, exec_lo, s15
	s_cbranch_execnz .LBB22_23
; %bb.24:
	s_or_b32 exec_lo, exec_lo, s15
	v_mov_b32_e32 v0, v1
.LBB22_25:
	s_or_b32 exec_lo, exec_lo, s0
	v_mul_lo_u32 v2, v10, s8
	s_and_b32 s15, s11, 0xff
	s_delay_alu instid0(SALU_CYCLE_1) | instskip(NEXT) | instid1(VALU_DEP_1)
	s_cmp_lt_i32 s15, 11
	v_ashrrev_i32_e32 v3, 31, v2
	s_delay_alu instid0(VALU_DEP_1)
	v_add_nc_u64_e32 v[2:3], s[4:5], v[2:3]
	s_cbranch_scc1 .LBB22_34
; %bb.26:
	s_and_b32 s21, 0xffff, s15
	s_delay_alu instid0(SALU_CYCLE_1)
	s_cmp_gt_i32 s21, 25
	s_cbranch_scc0 .LBB22_37
; %bb.27:
	s_cmp_gt_i32 s21, 28
	s_cbranch_scc0 .LBB22_40
; %bb.28:
	;; [unrolled: 3-line block ×4, first 2 shown]
	s_mov_b32 s23, 0
	s_mov_b32 s0, -1
	s_cmp_eq_u32 s21, 46
	s_mov_b32 s22, 0
	s_cbranch_scc0 .LBB22_159
; %bb.31:
	v_cvt_f32_u32_e32 v1, v0
	s_mov_b32 s22, -1
	s_mov_b32 s0, 0
	s_delay_alu instid0(VALU_DEP_1) | instskip(NEXT) | instid1(VALU_DEP_1)
	v_bfe_u32 v4, v1, 16, 1
	v_add3_u32 v1, v1, v4, 0x7fff
	s_delay_alu instid0(VALU_DEP_1)
	v_lshrrev_b32_e32 v1, 16, v1
	global_store_b32 v[2:3], v1, off
	s_branch .LBB22_159
.LBB22_32:
	s_mov_b32 s21, -1
                                        ; implicit-def: $vgpr2
	s_branch .LBB22_55
.LBB22_33:
	s_mov_b32 s22, -1
	s_mov_b32 s17, 0
	s_mov_b32 s21, 0
                                        ; implicit-def: $vgpr3
	s_branch .LBB22_293
.LBB22_34:
	s_mov_b32 s21, -1
	s_mov_b32 s0, 0
	s_mov_b32 s22, 0
	s_branch .LBB22_228
.LBB22_35:
	s_mov_b32 s21, -1
                                        ; implicit-def: $vgpr2
	s_branch .LBB22_50
.LBB22_36:
	s_mov_b32 s22, -1
	s_mov_b32 s17, 0
	s_mov_b32 s21, 0
                                        ; implicit-def: $vgpr3
	s_branch .LBB22_276
.LBB22_37:
	s_mov_b32 s23, -1
	s_mov_b32 s0, 0
	s_mov_b32 s22, 0
	s_branch .LBB22_186
.LBB22_38:
	s_mov_b32 s21, -1
	s_branch .LBB22_42
.LBB22_39:
	s_mov_b32 s22, -1
	s_mov_b32 s17, 0
	s_mov_b32 s21, 0
                                        ; implicit-def: $vgpr3
	s_branch .LBB22_271
.LBB22_40:
	s_mov_b32 s23, -1
	s_mov_b32 s0, 0
	s_mov_b32 s22, 0
	s_branch .LBB22_169
.LBB22_41:
	s_mov_b32 s18, -1
.LBB22_42:
                                        ; implicit-def: $vgpr2
.LBB22_43:
	s_and_b32 vcc_lo, exec_lo, s21
	s_cbranch_vccz .LBB22_49
; %bb.44:
	s_cmp_eq_u32 s15, 44
	s_cbranch_scc0 .LBB22_48
; %bb.45:
	global_load_u8 v2, v[0:1], off
	s_mov_b32 s18, 0
	s_mov_b32 s17, -1
	s_wait_loadcnt 0x0
	v_lshlrev_b32_e32 v3, 23, v2
	v_cmp_ne_u32_e32 vcc_lo, 0, v2
	s_delay_alu instid0(VALU_DEP_2) | instskip(NEXT) | instid1(VALU_DEP_1)
	v_cvt_i32_f32_e32 v3, v3
	v_cndmask_b32_e32 v2, 0, v3, vcc_lo
	s_branch .LBB22_49
.LBB22_46:
	s_mov_b32 s22, -1
	s_mov_b32 s17, 0
	s_branch .LBB22_154
.LBB22_47:
	s_mov_b32 s23, -1
	s_mov_b32 s0, 0
	s_mov_b32 s22, 0
	s_branch .LBB22_165
.LBB22_48:
	s_mov_b32 s18, -1
                                        ; implicit-def: $vgpr2
.LBB22_49:
	s_mov_b32 s21, 0
.LBB22_50:
	s_delay_alu instid0(SALU_CYCLE_1)
	s_and_b32 vcc_lo, exec_lo, s21
	s_cbranch_vccz .LBB22_54
; %bb.51:
	s_cmp_eq_u32 s15, 29
	s_cbranch_scc0 .LBB22_53
; %bb.52:
	global_load_b32 v2, v[0:1], off
	s_mov_b32 s17, -1
	s_mov_b32 s18, 0
	s_branch .LBB22_54
.LBB22_53:
	s_mov_b32 s18, -1
                                        ; implicit-def: $vgpr2
.LBB22_54:
	s_mov_b32 s21, 0
.LBB22_55:
	s_delay_alu instid0(SALU_CYCLE_1)
	s_and_b32 vcc_lo, exec_lo, s21
	s_cbranch_vccz .LBB22_71
; %bb.56:
	s_cmp_lt_i32 s15, 27
	s_cbranch_scc1 .LBB22_59
; %bb.57:
	s_cmp_gt_i32 s15, 27
	s_cbranch_scc0 .LBB22_60
; %bb.58:
	s_wait_loadcnt 0x0
	global_load_b32 v2, v[0:1], off
	s_mov_b32 s17, 0
	s_branch .LBB22_61
.LBB22_59:
	s_mov_b32 s17, -1
                                        ; implicit-def: $vgpr2
	s_branch .LBB22_64
.LBB22_60:
	s_mov_b32 s17, -1
                                        ; implicit-def: $vgpr2
.LBB22_61:
	s_delay_alu instid0(SALU_CYCLE_1)
	s_and_not1_b32 vcc_lo, exec_lo, s17
	s_cbranch_vccnz .LBB22_63
; %bb.62:
	s_wait_loadcnt 0x0
	global_load_u16 v2, v[0:1], off
.LBB22_63:
	s_mov_b32 s17, 0
.LBB22_64:
	s_delay_alu instid0(SALU_CYCLE_1)
	s_and_not1_b32 vcc_lo, exec_lo, s17
	s_cbranch_vccnz .LBB22_70
; %bb.65:
	global_load_u8 v3, v[0:1], off
	s_mov_b32 s21, 0
	s_mov_b32 s17, exec_lo
	s_wait_loadcnt 0x0
	v_cmpx_lt_i16_e32 0x7f, v3
	s_xor_b32 s17, exec_lo, s17
	s_cbranch_execz .LBB22_81
; %bb.66:
	v_cmp_ne_u16_e32 vcc_lo, 0x80, v3
	s_and_b32 s21, vcc_lo, exec_lo
	s_and_not1_saveexec_b32 s17, s17
	s_cbranch_execnz .LBB22_82
.LBB22_67:
	s_or_b32 exec_lo, exec_lo, s17
	v_mov_b32_e32 v2, 0
	s_and_saveexec_b32 s17, s21
	s_cbranch_execz .LBB22_69
.LBB22_68:
	v_and_b32_e32 v2, 0xffff, v3
	s_delay_alu instid0(VALU_DEP_1) | instskip(SKIP_1) | instid1(VALU_DEP_2)
	v_and_b32_e32 v4, 7, v2
	v_bfe_u32 v7, v2, 3, 4
	v_clz_i32_u32_e32 v5, v4
	s_delay_alu instid0(VALU_DEP_2) | instskip(NEXT) | instid1(VALU_DEP_2)
	v_cmp_eq_u32_e32 vcc_lo, 0, v7
	v_min_u32_e32 v5, 32, v5
	s_delay_alu instid0(VALU_DEP_1) | instskip(NEXT) | instid1(VALU_DEP_1)
	v_subrev_nc_u32_e32 v6, 28, v5
	v_dual_lshlrev_b32 v2, v6, v2 :: v_dual_sub_nc_u32 v5, 29, v5
	s_delay_alu instid0(VALU_DEP_1) | instskip(NEXT) | instid1(VALU_DEP_1)
	v_dual_lshlrev_b32 v3, 24, v3 :: v_dual_bitop2_b32 v2, 7, v2 bitop3:0x40
	v_dual_cndmask_b32 v5, v7, v5 :: v_dual_cndmask_b32 v2, v4, v2
	s_delay_alu instid0(VALU_DEP_2) | instskip(NEXT) | instid1(VALU_DEP_2)
	v_and_b32_e32 v3, 0x80000000, v3
	v_lshl_add_u32 v4, v5, 23, 0x3b800000
	s_delay_alu instid0(VALU_DEP_3) | instskip(NEXT) | instid1(VALU_DEP_1)
	v_lshlrev_b32_e32 v2, 20, v2
	v_or3_b32 v2, v3, v4, v2
	s_delay_alu instid0(VALU_DEP_1)
	v_cvt_i32_f32_e32 v2, v2
.LBB22_69:
	s_or_b32 exec_lo, exec_lo, s17
.LBB22_70:
	s_mov_b32 s17, -1
.LBB22_71:
	s_branch .LBB22_104
.LBB22_72:
	s_cmp_gt_i32 s15, 22
	s_cbranch_scc0 .LBB22_80
; %bb.73:
	s_cmp_lt_i32 s15, 24
	s_cbranch_scc1 .LBB22_83
; %bb.74:
	s_cmp_gt_i32 s15, 24
	s_cbranch_scc0 .LBB22_84
; %bb.75:
	global_load_u8 v3, v[0:1], off
	s_mov_b32 s21, 0
	s_mov_b32 s17, exec_lo
	s_wait_loadcnt 0x0
	v_cmpx_lt_i16_e32 0x7f, v3
	s_xor_b32 s17, exec_lo, s17
	s_cbranch_execz .LBB22_96
; %bb.76:
	v_cmp_ne_u16_e32 vcc_lo, 0x80, v3
	s_and_b32 s21, vcc_lo, exec_lo
	s_and_not1_saveexec_b32 s17, s17
	s_cbranch_execnz .LBB22_97
.LBB22_77:
	s_or_b32 exec_lo, exec_lo, s17
	v_mov_b32_e32 v2, 0
	s_and_saveexec_b32 s17, s21
	s_cbranch_execz .LBB22_79
.LBB22_78:
	v_and_b32_e32 v2, 0xffff, v3
	s_delay_alu instid0(VALU_DEP_1) | instskip(SKIP_1) | instid1(VALU_DEP_2)
	v_and_b32_e32 v4, 3, v2
	v_bfe_u32 v7, v2, 2, 5
	v_clz_i32_u32_e32 v5, v4
	s_delay_alu instid0(VALU_DEP_2) | instskip(NEXT) | instid1(VALU_DEP_2)
	v_cmp_eq_u32_e32 vcc_lo, 0, v7
	v_min_u32_e32 v5, 32, v5
	s_delay_alu instid0(VALU_DEP_1) | instskip(NEXT) | instid1(VALU_DEP_1)
	v_subrev_nc_u32_e32 v6, 29, v5
	v_dual_lshlrev_b32 v2, v6, v2 :: v_dual_sub_nc_u32 v5, 30, v5
	s_delay_alu instid0(VALU_DEP_1) | instskip(NEXT) | instid1(VALU_DEP_1)
	v_dual_lshlrev_b32 v3, 24, v3 :: v_dual_bitop2_b32 v2, 3, v2 bitop3:0x40
	v_dual_cndmask_b32 v5, v7, v5 :: v_dual_cndmask_b32 v2, v4, v2
	s_delay_alu instid0(VALU_DEP_2) | instskip(NEXT) | instid1(VALU_DEP_2)
	v_and_b32_e32 v3, 0x80000000, v3
	v_lshl_add_u32 v4, v5, 23, 0x37800000
	s_delay_alu instid0(VALU_DEP_3) | instskip(NEXT) | instid1(VALU_DEP_1)
	v_lshlrev_b32_e32 v2, 21, v2
	v_or3_b32 v2, v3, v4, v2
	s_delay_alu instid0(VALU_DEP_1)
	v_cvt_i32_f32_e32 v2, v2
.LBB22_79:
	s_or_b32 exec_lo, exec_lo, s17
	s_mov_b32 s17, 0
	s_branch .LBB22_85
.LBB22_80:
	s_mov_b32 s21, -1
                                        ; implicit-def: $vgpr2
	s_branch .LBB22_91
.LBB22_81:
	s_and_not1_saveexec_b32 s17, s17
	s_cbranch_execz .LBB22_67
.LBB22_82:
	v_cmp_ne_u16_e32 vcc_lo, 0, v3
	s_and_not1_b32 s21, s21, exec_lo
	s_and_b32 s22, vcc_lo, exec_lo
	s_delay_alu instid0(SALU_CYCLE_1)
	s_or_b32 s21, s21, s22
	s_or_b32 exec_lo, exec_lo, s17
	v_mov_b32_e32 v2, 0
	s_and_saveexec_b32 s17, s21
	s_cbranch_execnz .LBB22_68
	s_branch .LBB22_69
.LBB22_83:
	s_mov_b32 s17, -1
                                        ; implicit-def: $vgpr2
	s_branch .LBB22_88
.LBB22_84:
	s_mov_b32 s17, -1
                                        ; implicit-def: $vgpr2
.LBB22_85:
	s_delay_alu instid0(SALU_CYCLE_1)
	s_and_b32 vcc_lo, exec_lo, s17
	s_cbranch_vccz .LBB22_87
; %bb.86:
	s_wait_loadcnt 0x0
	global_load_u8 v2, v[0:1], off
	s_wait_loadcnt 0x0
	v_lshlrev_b32_e32 v2, 24, v2
	s_delay_alu instid0(VALU_DEP_1) | instskip(NEXT) | instid1(VALU_DEP_1)
	v_and_b32_e32 v3, 0x7f000000, v2
	v_clz_i32_u32_e32 v4, v3
	v_cmp_ne_u32_e32 vcc_lo, 0, v3
	v_add_nc_u32_e32 v6, 0x1000000, v3
	s_delay_alu instid0(VALU_DEP_3) | instskip(NEXT) | instid1(VALU_DEP_1)
	v_min_u32_e32 v4, 32, v4
	v_sub_nc_u32_e64 v4, v4, 4 clamp
	s_delay_alu instid0(VALU_DEP_1) | instskip(NEXT) | instid1(VALU_DEP_1)
	v_dual_lshlrev_b32 v5, v4, v3 :: v_dual_lshlrev_b32 v4, 23, v4
	v_lshrrev_b32_e32 v5, 4, v5
	s_delay_alu instid0(VALU_DEP_1) | instskip(NEXT) | instid1(VALU_DEP_1)
	v_dual_sub_nc_u32 v4, v5, v4 :: v_dual_ashrrev_i32 v5, 8, v6
	v_add_nc_u32_e32 v4, 0x3c000000, v4
	s_delay_alu instid0(VALU_DEP_1) | instskip(NEXT) | instid1(VALU_DEP_1)
	v_and_or_b32 v4, 0x7f800000, v5, v4
	v_cndmask_b32_e32 v3, 0, v4, vcc_lo
	s_delay_alu instid0(VALU_DEP_1) | instskip(NEXT) | instid1(VALU_DEP_1)
	v_and_or_b32 v2, 0x80000000, v2, v3
	v_cvt_i32_f32_e32 v2, v2
.LBB22_87:
	s_mov_b32 s17, 0
.LBB22_88:
	s_delay_alu instid0(SALU_CYCLE_1)
	s_and_not1_b32 vcc_lo, exec_lo, s17
	s_cbranch_vccnz .LBB22_90
; %bb.89:
	s_wait_loadcnt 0x0
	global_load_u8 v2, v[0:1], off
	s_wait_loadcnt 0x0
	v_lshlrev_b32_e32 v3, 25, v2
	v_lshlrev_b16 v2, 8, v2
	s_delay_alu instid0(VALU_DEP_1) | instskip(SKIP_1) | instid1(VALU_DEP_2)
	v_and_or_b32 v5, 0x7f00, v2, 0.5
	v_bfe_i32 v2, v2, 0, 16
	v_dual_add_f32 v5, -0.5, v5 :: v_dual_lshrrev_b32 v4, 4, v3
	v_cmp_gt_u32_e32 vcc_lo, 0x8000000, v3
	s_delay_alu instid0(VALU_DEP_2) | instskip(NEXT) | instid1(VALU_DEP_1)
	v_or_b32_e32 v4, 0x70000000, v4
	v_mul_f32_e32 v4, 0x7800000, v4
	s_delay_alu instid0(VALU_DEP_1) | instskip(NEXT) | instid1(VALU_DEP_1)
	v_cndmask_b32_e32 v3, v4, v5, vcc_lo
	v_and_or_b32 v2, 0x80000000, v2, v3
	s_delay_alu instid0(VALU_DEP_1)
	v_cvt_i32_f32_e32 v2, v2
.LBB22_90:
	s_mov_b32 s21, 0
	s_mov_b32 s17, -1
.LBB22_91:
	s_and_not1_b32 vcc_lo, exec_lo, s21
	s_cbranch_vccnz .LBB22_104
; %bb.92:
	s_cmp_gt_i32 s15, 14
	s_cbranch_scc0 .LBB22_95
; %bb.93:
	s_cmp_eq_u32 s15, 15
	s_cbranch_scc0 .LBB22_98
; %bb.94:
	s_wait_loadcnt 0x0
	global_load_u16 v2, v[0:1], off
	s_mov_b32 s17, -1
	s_mov_b32 s18, 0
	s_wait_loadcnt 0x0
	v_lshlrev_b32_e32 v2, 16, v2
	s_delay_alu instid0(VALU_DEP_1)
	v_cvt_i32_f32_e32 v2, v2
	s_branch .LBB22_99
.LBB22_95:
	s_mov_b32 s21, -1
                                        ; implicit-def: $vgpr2
	s_branch .LBB22_100
.LBB22_96:
	s_and_not1_saveexec_b32 s17, s17
	s_cbranch_execz .LBB22_77
.LBB22_97:
	v_cmp_ne_u16_e32 vcc_lo, 0, v3
	s_and_not1_b32 s21, s21, exec_lo
	s_and_b32 s22, vcc_lo, exec_lo
	s_delay_alu instid0(SALU_CYCLE_1)
	s_or_b32 s21, s21, s22
	s_or_b32 exec_lo, exec_lo, s17
	v_mov_b32_e32 v2, 0
	s_and_saveexec_b32 s17, s21
	s_cbranch_execnz .LBB22_78
	s_branch .LBB22_79
.LBB22_98:
	s_mov_b32 s18, -1
                                        ; implicit-def: $vgpr2
.LBB22_99:
	s_mov_b32 s21, 0
.LBB22_100:
	s_delay_alu instid0(SALU_CYCLE_1)
	s_and_b32 vcc_lo, exec_lo, s21
	s_cbranch_vccz .LBB22_104
; %bb.101:
	s_cmp_eq_u32 s15, 11
	s_cbranch_scc0 .LBB22_103
; %bb.102:
	s_wait_loadcnt 0x0
	global_load_u8 v2, v[0:1], off
	s_mov_b32 s18, 0
	s_mov_b32 s17, -1
	s_wait_loadcnt 0x0
	v_cmp_ne_u16_e32 vcc_lo, 0, v2
	v_cndmask_b32_e64 v2, 0, 1, vcc_lo
	s_branch .LBB22_104
.LBB22_103:
	s_mov_b32 s18, -1
                                        ; implicit-def: $vgpr2
.LBB22_104:
	s_branch .LBB22_10
.LBB22_105:
	s_and_b32 s0, 0xffff, s0
	s_delay_alu instid0(SALU_CYCLE_1)
	s_cmp_lt_i32 s0, 5
	s_cbranch_scc1 .LBB22_110
; %bb.106:
	s_cmp_lt_i32 s0, 8
	s_cbranch_scc1 .LBB22_111
; %bb.107:
	;; [unrolled: 3-line block ×3, first 2 shown]
	s_cmp_gt_i32 s0, 9
	s_cbranch_scc0 .LBB22_113
; %bb.109:
	s_wait_loadcnt 0x0
	global_load_b64 v[2:3], v[0:1], off
	s_mov_b32 s15, 0
	s_wait_loadcnt 0x0
	v_cvt_i32_f64_e32 v2, v[2:3]
	s_branch .LBB22_114
.LBB22_110:
                                        ; implicit-def: $vgpr2
	s_branch .LBB22_132
.LBB22_111:
	s_mov_b32 s15, -1
                                        ; implicit-def: $vgpr2
	s_branch .LBB22_120
.LBB22_112:
	s_mov_b32 s15, -1
                                        ; implicit-def: $vgpr2
	s_branch .LBB22_117
.LBB22_113:
	s_mov_b32 s15, -1
                                        ; implicit-def: $vgpr2
.LBB22_114:
	s_delay_alu instid0(SALU_CYCLE_1)
	s_and_not1_b32 vcc_lo, exec_lo, s15
	s_cbranch_vccnz .LBB22_116
; %bb.115:
	s_wait_loadcnt 0x0
	global_load_b32 v2, v[0:1], off
	s_wait_loadcnt 0x0
	v_cvt_i32_f32_e32 v2, v2
.LBB22_116:
	s_mov_b32 s15, 0
.LBB22_117:
	s_delay_alu instid0(SALU_CYCLE_1)
	s_and_not1_b32 vcc_lo, exec_lo, s15
	s_cbranch_vccnz .LBB22_119
; %bb.118:
	s_wait_loadcnt 0x0
	global_load_b32 v2, v[0:1], off
	s_wait_loadcnt 0x0
	v_cvt_f32_f16_e32 v2, v2
	s_delay_alu instid0(VALU_DEP_1)
	v_cvt_i32_f32_e32 v2, v2
.LBB22_119:
	s_mov_b32 s15, 0
.LBB22_120:
	s_delay_alu instid0(SALU_CYCLE_1)
	s_and_not1_b32 vcc_lo, exec_lo, s15
	s_cbranch_vccnz .LBB22_131
; %bb.121:
	s_cmp_lt_i32 s0, 6
	s_cbranch_scc1 .LBB22_124
; %bb.122:
	s_cmp_gt_i32 s0, 6
	s_cbranch_scc0 .LBB22_125
; %bb.123:
	s_wait_loadcnt 0x0
	global_load_b64 v[2:3], v[0:1], off
	s_mov_b32 s15, 0
	s_wait_loadcnt 0x0
	v_cvt_i32_f64_e32 v2, v[2:3]
	s_branch .LBB22_126
.LBB22_124:
	s_mov_b32 s15, -1
                                        ; implicit-def: $vgpr2
	s_branch .LBB22_129
.LBB22_125:
	s_mov_b32 s15, -1
                                        ; implicit-def: $vgpr2
.LBB22_126:
	s_delay_alu instid0(SALU_CYCLE_1)
	s_and_not1_b32 vcc_lo, exec_lo, s15
	s_cbranch_vccnz .LBB22_128
; %bb.127:
	s_wait_loadcnt 0x0
	global_load_b32 v2, v[0:1], off
	s_wait_loadcnt 0x0
	v_cvt_i32_f32_e32 v2, v2
.LBB22_128:
	s_mov_b32 s15, 0
.LBB22_129:
	s_delay_alu instid0(SALU_CYCLE_1)
	s_and_not1_b32 vcc_lo, exec_lo, s15
	s_cbranch_vccnz .LBB22_131
; %bb.130:
	s_wait_loadcnt 0x0
	global_load_u16 v2, v[0:1], off
	s_wait_loadcnt 0x0
	v_cvt_f32_f16_e32 v2, v2
	s_delay_alu instid0(VALU_DEP_1)
	v_cvt_i32_f32_e32 v2, v2
.LBB22_131:
	s_cbranch_execnz .LBB22_151
.LBB22_132:
	s_cmp_lt_i32 s0, 2
	s_cbranch_scc1 .LBB22_136
; %bb.133:
	s_cmp_lt_i32 s0, 3
	s_cbranch_scc1 .LBB22_137
; %bb.134:
	s_cmp_gt_i32 s0, 3
	s_cbranch_scc0 .LBB22_138
; %bb.135:
	s_wait_loadcnt 0x0
	global_load_b32 v2, v[0:1], off
	s_mov_b32 s15, 0
	s_branch .LBB22_139
.LBB22_136:
	s_mov_b32 s15, -1
                                        ; implicit-def: $vgpr2
	s_branch .LBB22_145
.LBB22_137:
	s_mov_b32 s15, -1
                                        ; implicit-def: $vgpr2
	s_branch .LBB22_142
.LBB22_138:
	s_mov_b32 s15, -1
                                        ; implicit-def: $vgpr2
.LBB22_139:
	s_delay_alu instid0(SALU_CYCLE_1)
	s_and_not1_b32 vcc_lo, exec_lo, s15
	s_cbranch_vccnz .LBB22_141
; %bb.140:
	s_wait_loadcnt 0x0
	global_load_b32 v2, v[0:1], off
.LBB22_141:
	s_mov_b32 s15, 0
.LBB22_142:
	s_delay_alu instid0(SALU_CYCLE_1)
	s_and_not1_b32 vcc_lo, exec_lo, s15
	s_cbranch_vccnz .LBB22_144
; %bb.143:
	s_wait_loadcnt 0x0
	global_load_i16 v2, v[0:1], off
.LBB22_144:
	s_mov_b32 s15, 0
.LBB22_145:
	s_delay_alu instid0(SALU_CYCLE_1)
	s_and_not1_b32 vcc_lo, exec_lo, s15
	s_cbranch_vccnz .LBB22_151
; %bb.146:
	s_cmp_gt_i32 s0, 0
	s_mov_b32 s0, 0
	s_cbranch_scc0 .LBB22_148
; %bb.147:
	s_wait_loadcnt 0x0
	global_load_i8 v2, v[0:1], off
	s_branch .LBB22_149
.LBB22_148:
	s_mov_b32 s0, -1
                                        ; implicit-def: $vgpr2
.LBB22_149:
	s_delay_alu instid0(SALU_CYCLE_1)
	s_and_not1_b32 vcc_lo, exec_lo, s0
	s_cbranch_vccnz .LBB22_151
; %bb.150:
	s_wait_loadcnt 0x0
	global_load_u8 v2, v[0:1], off
.LBB22_151:
	s_branch .LBB22_11
.LBB22_152:
	s_mov_b32 s0, 0
	s_mov_b32 s17, 0
	s_branch .LBB22_376
.LBB22_153:
	s_mov_b32 s17, -1
.LBB22_154:
	s_mov_b32 s21, 0
                                        ; implicit-def: $vgpr3
.LBB22_155:
	s_and_b32 vcc_lo, exec_lo, s22
	s_cbranch_vccz .LBB22_270
; %bb.156:
	s_cmp_eq_u32 s15, 44
	s_cbranch_scc0 .LBB22_269
; %bb.157:
	global_load_u8 v3, v[0:1], off
	s_mov_b32 s17, 0
	s_mov_b32 s21, -1
	s_wait_loadcnt 0x0
	v_lshlrev_b32_e32 v4, 23, v3
	v_cmp_ne_u32_e32 vcc_lo, 0, v3
	s_delay_alu instid0(VALU_DEP_2) | instskip(NEXT) | instid1(VALU_DEP_1)
	v_cvt_i32_f32_e32 v4, v4
	v_cndmask_b32_e32 v3, 0, v4, vcc_lo
	s_branch .LBB22_270
.LBB22_158:
	s_mov_b32 s23, -1
	s_mov_b32 s0, 0
	s_mov_b32 s22, 0
.LBB22_159:
	s_and_b32 vcc_lo, exec_lo, s23
	s_cbranch_vccz .LBB22_164
; %bb.160:
	s_cmp_eq_u32 s21, 44
	s_mov_b32 s0, -1
	s_cbranch_scc0 .LBB22_164
; %bb.161:
	v_cvt_f32_u32_e32 v5, v0
	s_mov_b32 s22, exec_lo
	s_wait_xcnt 0x0
	s_delay_alu instid0(VALU_DEP_1) | instskip(NEXT) | instid1(VALU_DEP_1)
	v_dual_mov_b32 v4, 0xff :: v_dual_lshrrev_b32 v1, 23, v5
	v_cmpx_ne_u32_e32 0xff, v1
; %bb.162:
	v_and_b32_e32 v4, 0x400000, v5
	v_and_or_b32 v5, 0x3fffff, v5, v1
	s_delay_alu instid0(VALU_DEP_2) | instskip(NEXT) | instid1(VALU_DEP_2)
	v_cmp_ne_u32_e32 vcc_lo, 0, v4
	v_cmp_ne_u32_e64 s0, 0, v5
	s_and_b32 s0, vcc_lo, s0
	s_delay_alu instid0(SALU_CYCLE_1) | instskip(NEXT) | instid1(VALU_DEP_1)
	v_cndmask_b32_e64 v4, 0, 1, s0
	v_add_nc_u32_e32 v4, v1, v4
; %bb.163:
	s_or_b32 exec_lo, exec_lo, s22
	s_mov_b32 s22, -1
	s_mov_b32 s0, 0
	global_store_b8 v[2:3], v4, off
.LBB22_164:
	s_mov_b32 s23, 0
.LBB22_165:
	s_delay_alu instid0(SALU_CYCLE_1)
	s_and_b32 vcc_lo, exec_lo, s23
	s_cbranch_vccz .LBB22_168
; %bb.166:
	s_cmp_eq_u32 s21, 29
	s_mov_b32 s0, -1
	s_cbranch_scc0 .LBB22_168
; %bb.167:
	s_wait_xcnt 0x0
	v_mov_b32_e32 v1, 0
	s_mov_b32 s22, -1
	s_mov_b32 s0, 0
	s_mov_b32 s23, 0
	global_store_b64 v[2:3], v[0:1], off
	s_branch .LBB22_169
.LBB22_168:
	s_mov_b32 s23, 0
.LBB22_169:
	s_delay_alu instid0(SALU_CYCLE_1)
	s_and_b32 vcc_lo, exec_lo, s23
	s_cbranch_vccz .LBB22_185
; %bb.170:
	s_cmp_lt_i32 s21, 27
	s_mov_b32 s22, -1
	s_cbranch_scc1 .LBB22_176
; %bb.171:
	s_cmp_gt_i32 s21, 27
	s_cbranch_scc0 .LBB22_173
; %bb.172:
	s_mov_b32 s22, 0
	global_store_b32 v[2:3], v0, off
.LBB22_173:
	s_and_not1_b32 vcc_lo, exec_lo, s22
	s_cbranch_vccnz .LBB22_175
; %bb.174:
	global_store_b16 v[2:3], v0, off
.LBB22_175:
	s_mov_b32 s22, 0
.LBB22_176:
	s_delay_alu instid0(SALU_CYCLE_1)
	s_and_not1_b32 vcc_lo, exec_lo, s22
	s_cbranch_vccnz .LBB22_184
; %bb.177:
	s_wait_xcnt 0x0
	v_cvt_f32_u32_e32 v4, v0
	v_mov_b32_e32 v5, 0x80
	s_mov_b32 s22, exec_lo
	s_delay_alu instid0(VALU_DEP_2)
	v_cmpx_gt_u32_e32 0x43800000, v4
	s_cbranch_execz .LBB22_183
; %bb.178:
	s_mov_b32 s23, 0
	s_mov_b32 s24, exec_lo
                                        ; implicit-def: $vgpr1
	v_cmpx_lt_u32_e32 0x3bffffff, v4
	s_xor_b32 s24, exec_lo, s24
	s_cbranch_execz .LBB22_407
; %bb.179:
	v_bfe_u32 v1, v4, 20, 1
	s_mov_b32 s23, exec_lo
	s_delay_alu instid0(VALU_DEP_1) | instskip(NEXT) | instid1(VALU_DEP_1)
	v_add3_u32 v1, v4, v1, 0x487ffff
                                        ; implicit-def: $vgpr4
	v_lshrrev_b32_e32 v1, 20, v1
	s_and_not1_saveexec_b32 s24, s24
	s_cbranch_execnz .LBB22_408
.LBB22_180:
	s_or_b32 exec_lo, exec_lo, s24
	v_mov_b32_e32 v5, 0
	s_and_saveexec_b32 s24, s23
.LBB22_181:
	v_mov_b32_e32 v5, v1
.LBB22_182:
	s_or_b32 exec_lo, exec_lo, s24
.LBB22_183:
	s_delay_alu instid0(SALU_CYCLE_1)
	s_or_b32 exec_lo, exec_lo, s22
	global_store_b8 v[2:3], v5, off
.LBB22_184:
	s_mov_b32 s22, -1
.LBB22_185:
	s_mov_b32 s23, 0
.LBB22_186:
	s_delay_alu instid0(SALU_CYCLE_1)
	s_and_b32 vcc_lo, exec_lo, s23
	s_cbranch_vccz .LBB22_227
; %bb.187:
	s_cmp_gt_i32 s21, 22
	s_mov_b32 s23, -1
	s_cbranch_scc0 .LBB22_219
; %bb.188:
	s_cmp_lt_i32 s21, 24
	s_mov_b32 s22, -1
	s_cbranch_scc1 .LBB22_208
; %bb.189:
	s_cmp_gt_i32 s21, 24
	s_cbranch_scc0 .LBB22_197
; %bb.190:
	s_wait_xcnt 0x0
	v_cvt_f32_u32_e32 v4, v0
	v_mov_b32_e32 v5, 0x80
	s_mov_b32 s22, exec_lo
	s_delay_alu instid0(VALU_DEP_2)
	v_cmpx_gt_u32_e32 0x47800000, v4
	s_cbranch_execz .LBB22_196
; %bb.191:
	s_mov_b32 s23, 0
	s_mov_b32 s24, exec_lo
                                        ; implicit-def: $vgpr1
	v_cmpx_lt_u32_e32 0x37ffffff, v4
	s_xor_b32 s24, exec_lo, s24
	s_cbranch_execz .LBB22_522
; %bb.192:
	v_bfe_u32 v1, v4, 21, 1
	s_mov_b32 s23, exec_lo
	s_delay_alu instid0(VALU_DEP_1) | instskip(NEXT) | instid1(VALU_DEP_1)
	v_add3_u32 v1, v4, v1, 0x88fffff
                                        ; implicit-def: $vgpr4
	v_lshrrev_b32_e32 v1, 21, v1
	s_and_not1_saveexec_b32 s24, s24
	s_cbranch_execnz .LBB22_523
.LBB22_193:
	s_or_b32 exec_lo, exec_lo, s24
	v_mov_b32_e32 v5, 0
	s_and_saveexec_b32 s24, s23
.LBB22_194:
	v_mov_b32_e32 v5, v1
.LBB22_195:
	s_or_b32 exec_lo, exec_lo, s24
.LBB22_196:
	s_delay_alu instid0(SALU_CYCLE_1)
	s_or_b32 exec_lo, exec_lo, s22
	s_mov_b32 s22, 0
	global_store_b8 v[2:3], v5, off
.LBB22_197:
	s_and_b32 vcc_lo, exec_lo, s22
	s_cbranch_vccz .LBB22_207
; %bb.198:
	s_wait_xcnt 0x0
	v_cvt_f32_u32_e32 v4, v0
	s_mov_b32 s22, exec_lo
                                        ; implicit-def: $vgpr1
	s_delay_alu instid0(VALU_DEP_1)
	v_cmpx_gt_u32_e32 0x43f00000, v4
	s_xor_b32 s22, exec_lo, s22
	s_cbranch_execz .LBB22_204
; %bb.199:
	s_mov_b32 s23, exec_lo
                                        ; implicit-def: $vgpr1
	v_cmpx_lt_u32_e32 0x3c7fffff, v4
	s_xor_b32 s23, exec_lo, s23
; %bb.200:
	v_bfe_u32 v1, v4, 20, 1
	s_delay_alu instid0(VALU_DEP_1) | instskip(NEXT) | instid1(VALU_DEP_1)
	v_add3_u32 v1, v4, v1, 0x407ffff
	v_and_b32_e32 v4, 0xff00000, v1
	v_lshrrev_b32_e32 v1, 20, v1
	s_delay_alu instid0(VALU_DEP_2) | instskip(NEXT) | instid1(VALU_DEP_2)
	v_cmp_ne_u32_e32 vcc_lo, 0x7f00000, v4
                                        ; implicit-def: $vgpr4
	v_cndmask_b32_e32 v1, 0x7e, v1, vcc_lo
; %bb.201:
	s_and_not1_saveexec_b32 s23, s23
; %bb.202:
	v_add_f32_e32 v1, 0x46800000, v4
; %bb.203:
	s_or_b32 exec_lo, exec_lo, s23
                                        ; implicit-def: $vgpr4
.LBB22_204:
	s_and_not1_saveexec_b32 s22, s22
; %bb.205:
	v_mov_b32_e32 v1, 0x7f
	v_cmp_lt_u32_e32 vcc_lo, 0x7f800000, v4
	s_delay_alu instid0(VALU_DEP_2)
	v_cndmask_b32_e32 v1, 0x7e, v1, vcc_lo
; %bb.206:
	s_or_b32 exec_lo, exec_lo, s22
	global_store_b8 v[2:3], v1, off
.LBB22_207:
	s_mov_b32 s22, 0
.LBB22_208:
	s_delay_alu instid0(SALU_CYCLE_1)
	s_and_not1_b32 vcc_lo, exec_lo, s22
	s_cbranch_vccnz .LBB22_218
; %bb.209:
	s_wait_xcnt 0x0
	v_cvt_f32_u32_e32 v4, v0
	s_mov_b32 s22, exec_lo
                                        ; implicit-def: $vgpr1
	s_delay_alu instid0(VALU_DEP_1)
	v_cmpx_gt_u32_e32 0x47800000, v4
	s_xor_b32 s22, exec_lo, s22
	s_cbranch_execz .LBB22_215
; %bb.210:
	s_mov_b32 s23, exec_lo
                                        ; implicit-def: $vgpr1
	v_cmpx_lt_u32_e32 0x387fffff, v4
	s_xor_b32 s23, exec_lo, s23
; %bb.211:
	v_bfe_u32 v1, v4, 21, 1
	s_delay_alu instid0(VALU_DEP_1) | instskip(NEXT) | instid1(VALU_DEP_1)
	v_add3_u32 v1, v4, v1, 0x80fffff
                                        ; implicit-def: $vgpr4
	v_lshrrev_b32_e32 v1, 21, v1
; %bb.212:
	s_and_not1_saveexec_b32 s23, s23
; %bb.213:
	v_add_f32_e32 v1, 0x43000000, v4
; %bb.214:
	s_or_b32 exec_lo, exec_lo, s23
                                        ; implicit-def: $vgpr4
.LBB22_215:
	s_and_not1_saveexec_b32 s22, s22
; %bb.216:
	v_mov_b32_e32 v1, 0x7f
	v_cmp_lt_u32_e32 vcc_lo, 0x7f800000, v4
	s_delay_alu instid0(VALU_DEP_2)
	v_cndmask_b32_e32 v1, 0x7c, v1, vcc_lo
; %bb.217:
	s_or_b32 exec_lo, exec_lo, s22
	global_store_b8 v[2:3], v1, off
.LBB22_218:
	s_mov_b32 s23, 0
	s_mov_b32 s22, -1
.LBB22_219:
	s_and_not1_b32 vcc_lo, exec_lo, s23
	s_cbranch_vccnz .LBB22_227
; %bb.220:
	s_cmp_gt_i32 s21, 14
	s_mov_b32 s23, -1
	s_cbranch_scc0 .LBB22_224
; %bb.221:
	s_cmp_eq_u32 s21, 15
	s_mov_b32 s0, -1
	s_cbranch_scc0 .LBB22_223
; %bb.222:
	s_wait_xcnt 0x0
	v_cvt_f32_u32_e32 v1, v0
	s_mov_b32 s22, -1
	s_mov_b32 s0, 0
	s_delay_alu instid0(VALU_DEP_1) | instskip(NEXT) | instid1(VALU_DEP_1)
	v_bfe_u32 v4, v1, 16, 1
	v_add3_u32 v1, v1, v4, 0x7fff
	global_store_d16_hi_b16 v[2:3], v1, off
.LBB22_223:
	s_mov_b32 s23, 0
.LBB22_224:
	s_delay_alu instid0(SALU_CYCLE_1)
	s_and_b32 vcc_lo, exec_lo, s23
	s_cbranch_vccz .LBB22_227
; %bb.225:
	s_cmp_eq_u32 s21, 11
	s_mov_b32 s0, -1
	s_cbranch_scc0 .LBB22_227
; %bb.226:
	v_cmp_ne_u32_e32 vcc_lo, 0, v0
	s_mov_b32 s0, 0
	s_mov_b32 s22, -1
	s_wait_xcnt 0x0
	v_cndmask_b32_e64 v1, 0, 1, vcc_lo
	global_store_b8 v[2:3], v1, off
.LBB22_227:
	s_mov_b32 s21, 0
.LBB22_228:
	s_delay_alu instid0(SALU_CYCLE_1)
	s_and_b32 vcc_lo, exec_lo, s21
	s_cbranch_vccz .LBB22_267
; %bb.229:
	s_and_b32 s15, 0xffff, s15
	s_mov_b32 s21, -1
	s_cmp_lt_i32 s15, 5
	s_cbranch_scc1 .LBB22_250
; %bb.230:
	s_cmp_lt_i32 s15, 8
	s_cbranch_scc1 .LBB22_240
; %bb.231:
	;; [unrolled: 3-line block ×3, first 2 shown]
	s_cmp_gt_i32 s15, 9
	s_cbranch_scc0 .LBB22_234
; %bb.233:
	s_wait_xcnt 0x0
	v_cvt_f64_u32_e32 v[4:5], v0
	v_mov_b32_e32 v6, 0
	s_mov_b32 s21, 0
	s_delay_alu instid0(VALU_DEP_1)
	v_mov_b32_e32 v7, v6
	global_store_b128 v[2:3], v[4:7], off
.LBB22_234:
	s_and_not1_b32 vcc_lo, exec_lo, s21
	s_cbranch_vccnz .LBB22_236
; %bb.235:
	s_wait_xcnt 0x0
	v_cvt_f32_u32_e32 v4, v0
	v_mov_b32_e32 v5, 0
	global_store_b64 v[2:3], v[4:5], off
.LBB22_236:
	s_mov_b32 s21, 0
.LBB22_237:
	s_delay_alu instid0(SALU_CYCLE_1)
	s_and_not1_b32 vcc_lo, exec_lo, s21
	s_cbranch_vccnz .LBB22_239
; %bb.238:
	s_wait_xcnt 0x0
	v_cvt_f32_u32_e32 v1, v0
	s_delay_alu instid0(VALU_DEP_1) | instskip(NEXT) | instid1(VALU_DEP_1)
	v_cvt_f16_f32_e32 v1, v1
	v_and_b32_e32 v1, 0xffff, v1
	global_store_b32 v[2:3], v1, off
.LBB22_239:
	s_mov_b32 s21, 0
.LBB22_240:
	s_delay_alu instid0(SALU_CYCLE_1)
	s_and_not1_b32 vcc_lo, exec_lo, s21
	s_cbranch_vccnz .LBB22_249
; %bb.241:
	s_cmp_lt_i32 s15, 6
	s_mov_b32 s21, -1
	s_cbranch_scc1 .LBB22_247
; %bb.242:
	s_cmp_gt_i32 s15, 6
	s_cbranch_scc0 .LBB22_244
; %bb.243:
	s_wait_xcnt 0x0
	v_cvt_f64_u32_e32 v[4:5], v0
	s_mov_b32 s21, 0
	global_store_b64 v[2:3], v[4:5], off
.LBB22_244:
	s_and_not1_b32 vcc_lo, exec_lo, s21
	s_cbranch_vccnz .LBB22_246
; %bb.245:
	s_wait_xcnt 0x0
	v_cvt_f32_u32_e32 v1, v0
	global_store_b32 v[2:3], v1, off
.LBB22_246:
	s_mov_b32 s21, 0
.LBB22_247:
	s_delay_alu instid0(SALU_CYCLE_1)
	s_and_not1_b32 vcc_lo, exec_lo, s21
	s_cbranch_vccnz .LBB22_249
; %bb.248:
	s_wait_xcnt 0x0
	v_cvt_f32_u32_e32 v1, v0
	s_delay_alu instid0(VALU_DEP_1)
	v_cvt_f16_f32_e32 v1, v1
	global_store_b16 v[2:3], v1, off
.LBB22_249:
	s_mov_b32 s21, 0
.LBB22_250:
	s_delay_alu instid0(SALU_CYCLE_1)
	s_and_not1_b32 vcc_lo, exec_lo, s21
	s_cbranch_vccnz .LBB22_266
; %bb.251:
	s_cmp_lt_i32 s15, 2
	s_mov_b32 s21, -1
	s_cbranch_scc1 .LBB22_261
; %bb.252:
	s_cmp_lt_i32 s15, 3
	s_cbranch_scc1 .LBB22_258
; %bb.253:
	s_cmp_gt_i32 s15, 3
	s_cbranch_scc0 .LBB22_255
; %bb.254:
	s_wait_xcnt 0x0
	v_mov_b32_e32 v1, 0
	s_mov_b32 s21, 0
	global_store_b64 v[2:3], v[0:1], off
.LBB22_255:
	s_and_not1_b32 vcc_lo, exec_lo, s21
	s_cbranch_vccnz .LBB22_257
; %bb.256:
	global_store_b32 v[2:3], v0, off
.LBB22_257:
	s_mov_b32 s21, 0
.LBB22_258:
	s_delay_alu instid0(SALU_CYCLE_1)
	s_and_not1_b32 vcc_lo, exec_lo, s21
	s_cbranch_vccnz .LBB22_260
; %bb.259:
	global_store_b16 v[2:3], v0, off
.LBB22_260:
	s_mov_b32 s21, 0
.LBB22_261:
	s_delay_alu instid0(SALU_CYCLE_1)
	s_and_not1_b32 vcc_lo, exec_lo, s21
	s_cbranch_vccnz .LBB22_266
; %bb.262:
	s_cmp_gt_i32 s15, 0
	s_mov_b32 s15, -1
	s_cbranch_scc0 .LBB22_264
; %bb.263:
	s_mov_b32 s15, 0
	global_store_b8 v[2:3], v0, off
.LBB22_264:
	s_and_not1_b32 vcc_lo, exec_lo, s15
	s_cbranch_vccnz .LBB22_266
; %bb.265:
	global_store_b8 v[2:3], v0, off
.LBB22_266:
	s_mov_b32 s22, -1
.LBB22_267:
	s_delay_alu instid0(SALU_CYCLE_1)
	s_and_not1_b32 vcc_lo, exec_lo, s22
	s_cbranch_vccnz .LBB22_376
; %bb.268:
	v_add_nc_u32_e32 v10, 0x80, v10
	s_mov_b32 s21, -1
	s_branch .LBB22_377
.LBB22_269:
	s_mov_b32 s17, -1
                                        ; implicit-def: $vgpr3
.LBB22_270:
	s_mov_b32 s22, 0
.LBB22_271:
	s_delay_alu instid0(SALU_CYCLE_1)
	s_and_b32 vcc_lo, exec_lo, s22
	s_cbranch_vccz .LBB22_275
; %bb.272:
	s_cmp_eq_u32 s15, 29
	s_cbranch_scc0 .LBB22_274
; %bb.273:
	global_load_b32 v3, v[0:1], off
	s_mov_b32 s21, -1
	s_mov_b32 s17, 0
	s_branch .LBB22_275
.LBB22_274:
	s_mov_b32 s17, -1
                                        ; implicit-def: $vgpr3
.LBB22_275:
	s_mov_b32 s22, 0
.LBB22_276:
	s_delay_alu instid0(SALU_CYCLE_1)
	s_and_b32 vcc_lo, exec_lo, s22
	s_cbranch_vccz .LBB22_292
; %bb.277:
	s_cmp_lt_i32 s15, 27
	s_cbranch_scc1 .LBB22_280
; %bb.278:
	s_cmp_gt_i32 s15, 27
	s_cbranch_scc0 .LBB22_281
; %bb.279:
	s_wait_loadcnt 0x0
	global_load_b32 v3, v[0:1], off
	s_mov_b32 s21, 0
	s_branch .LBB22_282
.LBB22_280:
	s_mov_b32 s21, -1
                                        ; implicit-def: $vgpr3
	s_branch .LBB22_285
.LBB22_281:
	s_mov_b32 s21, -1
                                        ; implicit-def: $vgpr3
.LBB22_282:
	s_delay_alu instid0(SALU_CYCLE_1)
	s_and_not1_b32 vcc_lo, exec_lo, s21
	s_cbranch_vccnz .LBB22_284
; %bb.283:
	s_wait_loadcnt 0x0
	global_load_u16 v3, v[0:1], off
.LBB22_284:
	s_mov_b32 s21, 0
.LBB22_285:
	s_delay_alu instid0(SALU_CYCLE_1)
	s_and_not1_b32 vcc_lo, exec_lo, s21
	s_cbranch_vccnz .LBB22_291
; %bb.286:
	global_load_u8 v4, v[0:1], off
	s_mov_b32 s22, 0
	s_mov_b32 s21, exec_lo
	s_wait_loadcnt 0x0
	v_cmpx_lt_i16_e32 0x7f, v4
	s_xor_b32 s21, exec_lo, s21
	s_cbranch_execz .LBB22_303
; %bb.287:
	v_cmp_ne_u16_e32 vcc_lo, 0x80, v4
	s_and_b32 s22, vcc_lo, exec_lo
	s_and_not1_saveexec_b32 s21, s21
	s_cbranch_execnz .LBB22_304
.LBB22_288:
	s_or_b32 exec_lo, exec_lo, s21
	v_mov_b32_e32 v3, 0
	s_and_saveexec_b32 s21, s22
	s_cbranch_execz .LBB22_290
.LBB22_289:
	v_and_b32_e32 v3, 0xffff, v4
	s_delay_alu instid0(VALU_DEP_1) | instskip(SKIP_1) | instid1(VALU_DEP_2)
	v_and_b32_e32 v5, 7, v3
	v_bfe_u32 v8, v3, 3, 4
	v_clz_i32_u32_e32 v6, v5
	s_delay_alu instid0(VALU_DEP_2) | instskip(NEXT) | instid1(VALU_DEP_2)
	v_cmp_eq_u32_e32 vcc_lo, 0, v8
	v_min_u32_e32 v6, 32, v6
	s_delay_alu instid0(VALU_DEP_1) | instskip(NEXT) | instid1(VALU_DEP_1)
	v_subrev_nc_u32_e32 v7, 28, v6
	v_dual_lshlrev_b32 v3, v7, v3 :: v_dual_sub_nc_u32 v6, 29, v6
	s_delay_alu instid0(VALU_DEP_1) | instskip(NEXT) | instid1(VALU_DEP_1)
	v_dual_lshlrev_b32 v4, 24, v4 :: v_dual_bitop2_b32 v3, 7, v3 bitop3:0x40
	v_dual_cndmask_b32 v6, v8, v6 :: v_dual_cndmask_b32 v3, v5, v3
	s_delay_alu instid0(VALU_DEP_2) | instskip(NEXT) | instid1(VALU_DEP_2)
	v_and_b32_e32 v4, 0x80000000, v4
	v_lshl_add_u32 v5, v6, 23, 0x3b800000
	s_delay_alu instid0(VALU_DEP_3) | instskip(NEXT) | instid1(VALU_DEP_1)
	v_lshlrev_b32_e32 v3, 20, v3
	v_or3_b32 v3, v4, v5, v3
	s_delay_alu instid0(VALU_DEP_1)
	v_cvt_i32_f32_e32 v3, v3
.LBB22_290:
	s_or_b32 exec_lo, exec_lo, s21
.LBB22_291:
	s_mov_b32 s21, -1
.LBB22_292:
	s_mov_b32 s22, 0
.LBB22_293:
	s_delay_alu instid0(SALU_CYCLE_1)
	s_and_b32 vcc_lo, exec_lo, s22
	s_cbranch_vccz .LBB22_326
; %bb.294:
	s_cmp_gt_i32 s15, 22
	s_cbranch_scc0 .LBB22_302
; %bb.295:
	s_cmp_lt_i32 s15, 24
	s_cbranch_scc1 .LBB22_305
; %bb.296:
	s_cmp_gt_i32 s15, 24
	s_cbranch_scc0 .LBB22_306
; %bb.297:
	global_load_u8 v4, v[0:1], off
	s_mov_b32 s22, 0
	s_mov_b32 s21, exec_lo
	s_wait_loadcnt 0x0
	v_cmpx_lt_i16_e32 0x7f, v4
	s_xor_b32 s21, exec_lo, s21
	s_cbranch_execz .LBB22_318
; %bb.298:
	v_cmp_ne_u16_e32 vcc_lo, 0x80, v4
	s_and_b32 s22, vcc_lo, exec_lo
	s_and_not1_saveexec_b32 s21, s21
	s_cbranch_execnz .LBB22_319
.LBB22_299:
	s_or_b32 exec_lo, exec_lo, s21
	v_mov_b32_e32 v3, 0
	s_and_saveexec_b32 s21, s22
	s_cbranch_execz .LBB22_301
.LBB22_300:
	v_and_b32_e32 v3, 0xffff, v4
	s_delay_alu instid0(VALU_DEP_1) | instskip(SKIP_1) | instid1(VALU_DEP_2)
	v_and_b32_e32 v5, 3, v3
	v_bfe_u32 v8, v3, 2, 5
	v_clz_i32_u32_e32 v6, v5
	s_delay_alu instid0(VALU_DEP_2) | instskip(NEXT) | instid1(VALU_DEP_2)
	v_cmp_eq_u32_e32 vcc_lo, 0, v8
	v_min_u32_e32 v6, 32, v6
	s_delay_alu instid0(VALU_DEP_1) | instskip(NEXT) | instid1(VALU_DEP_1)
	v_subrev_nc_u32_e32 v7, 29, v6
	v_dual_lshlrev_b32 v3, v7, v3 :: v_dual_sub_nc_u32 v6, 30, v6
	s_delay_alu instid0(VALU_DEP_1) | instskip(NEXT) | instid1(VALU_DEP_1)
	v_dual_lshlrev_b32 v4, 24, v4 :: v_dual_bitop2_b32 v3, 3, v3 bitop3:0x40
	v_dual_cndmask_b32 v6, v8, v6 :: v_dual_cndmask_b32 v3, v5, v3
	s_delay_alu instid0(VALU_DEP_2) | instskip(NEXT) | instid1(VALU_DEP_2)
	v_and_b32_e32 v4, 0x80000000, v4
	v_lshl_add_u32 v5, v6, 23, 0x37800000
	s_delay_alu instid0(VALU_DEP_3) | instskip(NEXT) | instid1(VALU_DEP_1)
	v_lshlrev_b32_e32 v3, 21, v3
	v_or3_b32 v3, v4, v5, v3
	s_delay_alu instid0(VALU_DEP_1)
	v_cvt_i32_f32_e32 v3, v3
.LBB22_301:
	s_or_b32 exec_lo, exec_lo, s21
	s_mov_b32 s21, 0
	s_branch .LBB22_307
.LBB22_302:
	s_mov_b32 s22, -1
                                        ; implicit-def: $vgpr3
	s_branch .LBB22_313
.LBB22_303:
	s_and_not1_saveexec_b32 s21, s21
	s_cbranch_execz .LBB22_288
.LBB22_304:
	v_cmp_ne_u16_e32 vcc_lo, 0, v4
	s_and_not1_b32 s22, s22, exec_lo
	s_and_b32 s23, vcc_lo, exec_lo
	s_delay_alu instid0(SALU_CYCLE_1)
	s_or_b32 s22, s22, s23
	s_or_b32 exec_lo, exec_lo, s21
	v_mov_b32_e32 v3, 0
	s_and_saveexec_b32 s21, s22
	s_cbranch_execnz .LBB22_289
	s_branch .LBB22_290
.LBB22_305:
	s_mov_b32 s21, -1
                                        ; implicit-def: $vgpr3
	s_branch .LBB22_310
.LBB22_306:
	s_mov_b32 s21, -1
                                        ; implicit-def: $vgpr3
.LBB22_307:
	s_delay_alu instid0(SALU_CYCLE_1)
	s_and_b32 vcc_lo, exec_lo, s21
	s_cbranch_vccz .LBB22_309
; %bb.308:
	s_wait_loadcnt 0x0
	global_load_u8 v3, v[0:1], off
	s_wait_loadcnt 0x0
	v_lshlrev_b32_e32 v3, 24, v3
	s_delay_alu instid0(VALU_DEP_1) | instskip(NEXT) | instid1(VALU_DEP_1)
	v_and_b32_e32 v4, 0x7f000000, v3
	v_clz_i32_u32_e32 v5, v4
	v_cmp_ne_u32_e32 vcc_lo, 0, v4
	v_add_nc_u32_e32 v7, 0x1000000, v4
	s_delay_alu instid0(VALU_DEP_3) | instskip(NEXT) | instid1(VALU_DEP_1)
	v_min_u32_e32 v5, 32, v5
	v_sub_nc_u32_e64 v5, v5, 4 clamp
	s_delay_alu instid0(VALU_DEP_1) | instskip(NEXT) | instid1(VALU_DEP_1)
	v_dual_lshlrev_b32 v6, v5, v4 :: v_dual_lshlrev_b32 v5, 23, v5
	v_lshrrev_b32_e32 v6, 4, v6
	s_delay_alu instid0(VALU_DEP_1) | instskip(NEXT) | instid1(VALU_DEP_1)
	v_dual_sub_nc_u32 v5, v6, v5 :: v_dual_ashrrev_i32 v6, 8, v7
	v_add_nc_u32_e32 v5, 0x3c000000, v5
	s_delay_alu instid0(VALU_DEP_1) | instskip(NEXT) | instid1(VALU_DEP_1)
	v_and_or_b32 v5, 0x7f800000, v6, v5
	v_cndmask_b32_e32 v4, 0, v5, vcc_lo
	s_delay_alu instid0(VALU_DEP_1) | instskip(NEXT) | instid1(VALU_DEP_1)
	v_and_or_b32 v3, 0x80000000, v3, v4
	v_cvt_i32_f32_e32 v3, v3
.LBB22_309:
	s_mov_b32 s21, 0
.LBB22_310:
	s_delay_alu instid0(SALU_CYCLE_1)
	s_and_not1_b32 vcc_lo, exec_lo, s21
	s_cbranch_vccnz .LBB22_312
; %bb.311:
	s_wait_loadcnt 0x0
	global_load_u8 v3, v[0:1], off
	s_wait_loadcnt 0x0
	v_lshlrev_b32_e32 v4, 25, v3
	v_lshlrev_b16 v3, 8, v3
	s_delay_alu instid0(VALU_DEP_1) | instskip(SKIP_1) | instid1(VALU_DEP_2)
	v_and_or_b32 v6, 0x7f00, v3, 0.5
	v_bfe_i32 v3, v3, 0, 16
	v_dual_add_f32 v6, -0.5, v6 :: v_dual_lshrrev_b32 v5, 4, v4
	v_cmp_gt_u32_e32 vcc_lo, 0x8000000, v4
	s_delay_alu instid0(VALU_DEP_2) | instskip(NEXT) | instid1(VALU_DEP_1)
	v_or_b32_e32 v5, 0x70000000, v5
	v_mul_f32_e32 v5, 0x7800000, v5
	s_delay_alu instid0(VALU_DEP_1) | instskip(NEXT) | instid1(VALU_DEP_1)
	v_cndmask_b32_e32 v4, v5, v6, vcc_lo
	v_and_or_b32 v3, 0x80000000, v3, v4
	s_delay_alu instid0(VALU_DEP_1)
	v_cvt_i32_f32_e32 v3, v3
.LBB22_312:
	s_mov_b32 s22, 0
	s_mov_b32 s21, -1
.LBB22_313:
	s_and_not1_b32 vcc_lo, exec_lo, s22
	s_cbranch_vccnz .LBB22_326
; %bb.314:
	s_cmp_gt_i32 s15, 14
	s_cbranch_scc0 .LBB22_317
; %bb.315:
	s_cmp_eq_u32 s15, 15
	s_cbranch_scc0 .LBB22_320
; %bb.316:
	s_wait_loadcnt 0x0
	global_load_u16 v3, v[0:1], off
	s_mov_b32 s21, -1
	s_mov_b32 s17, 0
	s_wait_loadcnt 0x0
	v_lshlrev_b32_e32 v3, 16, v3
	s_delay_alu instid0(VALU_DEP_1)
	v_cvt_i32_f32_e32 v3, v3
	s_branch .LBB22_321
.LBB22_317:
	s_mov_b32 s22, -1
                                        ; implicit-def: $vgpr3
	s_branch .LBB22_322
.LBB22_318:
	s_and_not1_saveexec_b32 s21, s21
	s_cbranch_execz .LBB22_299
.LBB22_319:
	v_cmp_ne_u16_e32 vcc_lo, 0, v4
	s_and_not1_b32 s22, s22, exec_lo
	s_and_b32 s23, vcc_lo, exec_lo
	s_delay_alu instid0(SALU_CYCLE_1)
	s_or_b32 s22, s22, s23
	s_or_b32 exec_lo, exec_lo, s21
	v_mov_b32_e32 v3, 0
	s_and_saveexec_b32 s21, s22
	s_cbranch_execnz .LBB22_300
	s_branch .LBB22_301
.LBB22_320:
	s_mov_b32 s17, -1
                                        ; implicit-def: $vgpr3
.LBB22_321:
	s_mov_b32 s22, 0
.LBB22_322:
	s_delay_alu instid0(SALU_CYCLE_1)
	s_and_b32 vcc_lo, exec_lo, s22
	s_cbranch_vccz .LBB22_326
; %bb.323:
	s_cmp_eq_u32 s15, 11
	s_cbranch_scc0 .LBB22_325
; %bb.324:
	s_wait_loadcnt 0x0
	global_load_u8 v3, v[0:1], off
	s_mov_b32 s17, 0
	s_mov_b32 s21, -1
	s_wait_loadcnt 0x0
	v_cmp_ne_u16_e32 vcc_lo, 0, v3
	v_cndmask_b32_e64 v3, 0, 1, vcc_lo
	s_branch .LBB22_326
.LBB22_325:
	s_mov_b32 s17, -1
                                        ; implicit-def: $vgpr3
.LBB22_326:
	s_branch .LBB22_20
.LBB22_327:
	s_and_b32 s0, 0xffff, s0
	s_delay_alu instid0(SALU_CYCLE_1)
	s_cmp_lt_i32 s0, 5
	s_cbranch_scc1 .LBB22_332
; %bb.328:
	s_cmp_lt_i32 s0, 8
	s_cbranch_scc1 .LBB22_333
; %bb.329:
	s_cmp_lt_i32 s0, 9
	s_cbranch_scc1 .LBB22_334
; %bb.330:
	s_cmp_gt_i32 s0, 9
	s_cbranch_scc0 .LBB22_335
; %bb.331:
	global_load_b64 v[4:5], v[0:1], off
	s_mov_b32 s15, 0
	s_wait_loadcnt 0x0
	v_cvt_i32_f64_e32 v3, v[4:5]
	s_branch .LBB22_336
.LBB22_332:
	s_mov_b32 s15, -1
                                        ; implicit-def: $vgpr3
	s_branch .LBB22_354
.LBB22_333:
	s_mov_b32 s15, -1
                                        ; implicit-def: $vgpr3
	s_branch .LBB22_342
.LBB22_334:
	s_mov_b32 s15, -1
                                        ; implicit-def: $vgpr3
	s_branch .LBB22_339
.LBB22_335:
	s_mov_b32 s15, -1
                                        ; implicit-def: $vgpr3
.LBB22_336:
	s_delay_alu instid0(SALU_CYCLE_1)
	s_and_not1_b32 vcc_lo, exec_lo, s15
	s_cbranch_vccnz .LBB22_338
; %bb.337:
	s_wait_loadcnt 0x0
	global_load_b32 v3, v[0:1], off
	s_wait_loadcnt 0x0
	v_cvt_i32_f32_e32 v3, v3
.LBB22_338:
	s_mov_b32 s15, 0
.LBB22_339:
	s_delay_alu instid0(SALU_CYCLE_1)
	s_and_not1_b32 vcc_lo, exec_lo, s15
	s_cbranch_vccnz .LBB22_341
; %bb.340:
	s_wait_loadcnt 0x0
	global_load_b32 v3, v[0:1], off
	s_wait_loadcnt 0x0
	v_cvt_f32_f16_e32 v3, v3
	s_delay_alu instid0(VALU_DEP_1)
	v_cvt_i32_f32_e32 v3, v3
.LBB22_341:
	s_mov_b32 s15, 0
.LBB22_342:
	s_delay_alu instid0(SALU_CYCLE_1)
	s_and_not1_b32 vcc_lo, exec_lo, s15
	s_cbranch_vccnz .LBB22_353
; %bb.343:
	s_cmp_lt_i32 s0, 6
	s_cbranch_scc1 .LBB22_346
; %bb.344:
	s_cmp_gt_i32 s0, 6
	s_cbranch_scc0 .LBB22_347
; %bb.345:
	global_load_b64 v[4:5], v[0:1], off
	s_mov_b32 s15, 0
	s_wait_loadcnt 0x0
	v_cvt_i32_f64_e32 v3, v[4:5]
	s_branch .LBB22_348
.LBB22_346:
	s_mov_b32 s15, -1
                                        ; implicit-def: $vgpr3
	s_branch .LBB22_351
.LBB22_347:
	s_mov_b32 s15, -1
                                        ; implicit-def: $vgpr3
.LBB22_348:
	s_delay_alu instid0(SALU_CYCLE_1)
	s_and_not1_b32 vcc_lo, exec_lo, s15
	s_cbranch_vccnz .LBB22_350
; %bb.349:
	s_wait_loadcnt 0x0
	global_load_b32 v3, v[0:1], off
	s_wait_loadcnt 0x0
	v_cvt_i32_f32_e32 v3, v3
.LBB22_350:
	s_mov_b32 s15, 0
.LBB22_351:
	s_delay_alu instid0(SALU_CYCLE_1)
	s_and_not1_b32 vcc_lo, exec_lo, s15
	s_cbranch_vccnz .LBB22_353
; %bb.352:
	s_wait_loadcnt 0x0
	global_load_u16 v3, v[0:1], off
	s_wait_loadcnt 0x0
	v_cvt_f32_f16_e32 v3, v3
	s_delay_alu instid0(VALU_DEP_1)
	v_cvt_i32_f32_e32 v3, v3
.LBB22_353:
	s_mov_b32 s15, 0
.LBB22_354:
	s_delay_alu instid0(SALU_CYCLE_1)
	s_and_not1_b32 vcc_lo, exec_lo, s15
	s_cbranch_vccnz .LBB22_374
; %bb.355:
	s_cmp_lt_i32 s0, 2
	s_cbranch_scc1 .LBB22_359
; %bb.356:
	s_cmp_lt_i32 s0, 3
	s_cbranch_scc1 .LBB22_360
; %bb.357:
	s_cmp_gt_i32 s0, 3
	s_cbranch_scc0 .LBB22_361
; %bb.358:
	s_wait_loadcnt 0x0
	global_load_b32 v3, v[0:1], off
	s_mov_b32 s15, 0
	s_branch .LBB22_362
.LBB22_359:
	s_mov_b32 s15, -1
                                        ; implicit-def: $vgpr3
	s_branch .LBB22_368
.LBB22_360:
	s_mov_b32 s15, -1
                                        ; implicit-def: $vgpr3
	s_branch .LBB22_365
.LBB22_361:
	s_mov_b32 s15, -1
                                        ; implicit-def: $vgpr3
.LBB22_362:
	s_delay_alu instid0(SALU_CYCLE_1)
	s_and_not1_b32 vcc_lo, exec_lo, s15
	s_cbranch_vccnz .LBB22_364
; %bb.363:
	s_wait_loadcnt 0x0
	global_load_b32 v3, v[0:1], off
.LBB22_364:
	s_mov_b32 s15, 0
.LBB22_365:
	s_delay_alu instid0(SALU_CYCLE_1)
	s_and_not1_b32 vcc_lo, exec_lo, s15
	s_cbranch_vccnz .LBB22_367
; %bb.366:
	s_wait_loadcnt 0x0
	global_load_i16 v3, v[0:1], off
.LBB22_367:
	s_mov_b32 s15, 0
.LBB22_368:
	s_delay_alu instid0(SALU_CYCLE_1)
	s_and_not1_b32 vcc_lo, exec_lo, s15
	s_cbranch_vccnz .LBB22_374
; %bb.369:
	s_cmp_gt_i32 s0, 0
	s_mov_b32 s0, 0
	s_cbranch_scc0 .LBB22_371
; %bb.370:
	s_wait_loadcnt 0x0
	global_load_i8 v3, v[0:1], off
	s_branch .LBB22_372
.LBB22_371:
	s_mov_b32 s0, -1
                                        ; implicit-def: $vgpr3
.LBB22_372:
	s_delay_alu instid0(SALU_CYCLE_1)
	s_and_not1_b32 vcc_lo, exec_lo, s0
	s_cbranch_vccnz .LBB22_374
; %bb.373:
	s_wait_loadcnt 0x0
	global_load_u8 v3, v[0:1], off
.LBB22_374:
	s_branch .LBB22_21
.LBB22_375:
	s_mov_b32 s0, 0
.LBB22_376:
	s_mov_b32 s21, 0
                                        ; implicit-def: $vgpr10
.LBB22_377:
	s_and_b32 s15, s0, exec_lo
	s_and_b32 s17, s17, exec_lo
	;; [unrolled: 1-line block ×3, first 2 shown]
	s_or_not1_b32 s23, s21, exec_lo
.LBB22_378:
	s_wait_xcnt 0x0
	s_or_b32 exec_lo, exec_lo, s19
	s_mov_b32 s22, 0
	s_mov_b32 s21, 0
                                        ; implicit-def: $sgpr0
                                        ; implicit-def: $vgpr0_vgpr1
                                        ; implicit-def: $vgpr4
	s_and_saveexec_b32 s19, s23
	s_cbranch_execz .LBB22_387
; %bb.379:
	s_mov_b32 s25, -1
	s_mov_b32 s20, s18
	s_mov_b32 s22, s17
	;; [unrolled: 1-line block ×3, first 2 shown]
	s_mov_b32 s23, exec_lo
	v_cmpx_gt_i32_e64 s16, v10
	s_cbranch_execz .LBB22_767
; %bb.380:
	v_mul_lo_u32 v0, v10, s9
	s_and_b32 s0, s13, 0xff
	s_delay_alu instid0(SALU_CYCLE_1) | instskip(NEXT) | instid1(VALU_DEP_1)
	s_cmp_lt_i32 s0, 11
	v_ashrrev_i32_e32 v1, 31, v0
	s_delay_alu instid0(VALU_DEP_1)
	v_add_nc_u64_e32 v[0:1], s[6:7], v[0:1]
	s_cbranch_scc1 .LBB22_390
; %bb.381:
	s_and_b32 s21, 0xffff, s0
	s_delay_alu instid0(SALU_CYCLE_1)
	s_cmp_gt_i32 s21, 25
	s_cbranch_scc0 .LBB22_399
; %bb.382:
	s_cmp_gt_i32 s21, 28
	s_cbranch_scc0 .LBB22_401
; %bb.383:
	;; [unrolled: 3-line block ×4, first 2 shown]
	s_cmp_eq_u32 s21, 46
	s_mov_b32 s24, 0
	s_cbranch_scc0 .LBB22_409
; %bb.386:
	s_wait_loadcnt 0x0
	global_load_b32 v2, v[0:1], off
	s_mov_b32 s22, -1
	s_mov_b32 s20, 0
	s_wait_loadcnt 0x0
	v_lshlrev_b32_e32 v2, 16, v2
	s_delay_alu instid0(VALU_DEP_1)
	v_cvt_i32_f32_e32 v2, v2
	s_branch .LBB22_411
.LBB22_387:
	s_or_b32 exec_lo, exec_lo, s19
	s_mov_b32 s16, 0
	s_and_saveexec_b32 s19, s18
	s_cbranch_execnz .LBB22_1235
.LBB22_388:
	s_or_b32 exec_lo, exec_lo, s19
	s_and_saveexec_b32 s18, s20
	s_delay_alu instid0(SALU_CYCLE_1)
	s_xor_b32 s18, exec_lo, s18
	s_cbranch_execz .LBB22_1236
.LBB22_389:
	s_wait_loadcnt 0x0
	global_load_u8 v2, v[0:1], off
	s_or_b32 s21, s21, exec_lo
	s_wait_loadcnt 0x0
	v_cmp_ne_u16_e32 vcc_lo, 0, v2
	v_cndmask_b32_e64 v4, 0, 1, vcc_lo
	s_wait_xcnt 0x0
	s_or_b32 exec_lo, exec_lo, s18
	s_and_saveexec_b32 s18, s22
	s_cbranch_execz .LBB22_1282
	s_branch .LBB22_1237
.LBB22_390:
	s_mov_b32 s22, 0
	s_mov_b32 s20, s18
                                        ; implicit-def: $vgpr2
	s_cbranch_execnz .LBB22_473
.LBB22_391:
	s_and_not1_b32 vcc_lo, exec_lo, s22
	s_cbranch_vccnz .LBB22_521
.LBB22_392:
	s_wait_xcnt 0x0
	v_mul_lo_u32 v0, v10, s10
	s_and_b32 s0, s1, 0xff
	s_delay_alu instid0(SALU_CYCLE_1) | instskip(NEXT) | instid1(VALU_DEP_1)
	s_cmp_lt_i32 s0, 11
	v_ashrrev_i32_e32 v1, 31, v0
	s_delay_alu instid0(VALU_DEP_1)
	v_add_nc_u64_e32 v[0:1], s[2:3], v[0:1]
	s_cbranch_scc1 .LBB22_400
; %bb.393:
	s_and_b32 s21, 0xffff, s0
	s_delay_alu instid0(SALU_CYCLE_1)
	s_cmp_gt_i32 s21, 25
	s_cbranch_scc0 .LBB22_402
; %bb.394:
	s_cmp_gt_i32 s21, 28
	s_cbranch_scc0 .LBB22_404
; %bb.395:
	;; [unrolled: 3-line block ×4, first 2 shown]
	s_cmp_eq_u32 s21, 46
	s_mov_b32 s25, 0
	s_cbranch_scc0 .LBB22_524
; %bb.398:
	s_wait_loadcnt 0x0
	global_load_b32 v3, v[0:1], off
	s_mov_b32 s24, -1
	s_mov_b32 s22, 0
	s_wait_loadcnt 0x0
	v_lshlrev_b32_e32 v3, 16, v3
	s_delay_alu instid0(VALU_DEP_1)
	v_cvt_i32_f32_e32 v3, v3
	s_branch .LBB22_526
.LBB22_399:
	s_mov_b32 s24, -1
	s_mov_b32 s22, 0
	s_mov_b32 s20, s18
                                        ; implicit-def: $vgpr2
	s_branch .LBB22_439
.LBB22_400:
	s_mov_b32 s21, -1
	s_mov_b32 s24, 0
	s_mov_b32 s22, s17
                                        ; implicit-def: $vgpr3
	s_branch .LBB22_587
.LBB22_401:
	s_mov_b32 s24, -1
	s_mov_b32 s22, 0
	s_mov_b32 s20, s18
                                        ; implicit-def: $vgpr2
	s_branch .LBB22_422
.LBB22_402:
	s_mov_b32 s25, -1
	s_mov_b32 s24, 0
	s_mov_b32 s22, s17
                                        ; implicit-def: $vgpr3
	s_branch .LBB22_553
.LBB22_403:
	s_mov_b32 s24, -1
	s_mov_b32 s22, 0
	s_mov_b32 s20, s18
                                        ; implicit-def: $vgpr2
	s_branch .LBB22_417
.LBB22_404:
	s_mov_b32 s25, -1
	s_mov_b32 s24, 0
	s_mov_b32 s22, s17
                                        ; implicit-def: $vgpr3
	s_branch .LBB22_536
.LBB22_405:
	s_mov_b32 s24, -1
	s_mov_b32 s22, 0
	s_mov_b32 s20, s18
	s_branch .LBB22_410
.LBB22_406:
	s_mov_b32 s25, -1
	s_mov_b32 s24, 0
	s_mov_b32 s22, s17
                                        ; implicit-def: $vgpr3
	s_branch .LBB22_531
.LBB22_407:
	s_and_not1_saveexec_b32 s24, s24
	s_cbranch_execz .LBB22_180
.LBB22_408:
	v_add_f32_e32 v1, 0x46000000, v4
	s_and_not1_b32 s23, s23, exec_lo
	s_delay_alu instid0(VALU_DEP_1) | instskip(NEXT) | instid1(VALU_DEP_1)
	v_and_b32_e32 v1, 0xff, v1
	v_cmp_ne_u32_e32 vcc_lo, 0, v1
	s_and_b32 s25, vcc_lo, exec_lo
	s_delay_alu instid0(SALU_CYCLE_1)
	s_or_b32 s23, s23, s25
	s_or_b32 exec_lo, exec_lo, s24
	v_mov_b32_e32 v5, 0
	s_and_saveexec_b32 s24, s23
	s_cbranch_execnz .LBB22_181
	s_branch .LBB22_182
.LBB22_409:
	s_mov_b32 s20, -1
	s_mov_b32 s22, 0
.LBB22_410:
                                        ; implicit-def: $vgpr2
.LBB22_411:
	s_and_b32 vcc_lo, exec_lo, s24
	s_cbranch_vccz .LBB22_416
; %bb.412:
	s_cmp_eq_u32 s21, 44
	s_cbranch_scc0 .LBB22_415
; %bb.413:
	s_wait_loadcnt 0x0
	global_load_u8 v2, v[0:1], off
	s_mov_b32 s20, 0
	s_mov_b32 s22, -1
	s_wait_loadcnt 0x0
	v_lshlrev_b32_e32 v3, 23, v2
	v_cmp_ne_u32_e32 vcc_lo, 0, v2
	s_delay_alu instid0(VALU_DEP_2) | instskip(NEXT) | instid1(VALU_DEP_1)
	v_cvt_i32_f32_e32 v3, v3
	v_cndmask_b32_e32 v2, 0, v3, vcc_lo
	s_branch .LBB22_416
.LBB22_414:
	s_mov_b32 s25, -1
	s_mov_b32 s24, 0
	s_mov_b32 s22, s17
	s_branch .LBB22_525
.LBB22_415:
	s_mov_b32 s20, -1
                                        ; implicit-def: $vgpr2
.LBB22_416:
	s_mov_b32 s24, 0
.LBB22_417:
	s_delay_alu instid0(SALU_CYCLE_1)
	s_and_b32 vcc_lo, exec_lo, s24
	s_cbranch_vccz .LBB22_421
; %bb.418:
	s_cmp_eq_u32 s21, 29
	s_cbranch_scc0 .LBB22_420
; %bb.419:
	s_wait_loadcnt 0x0
	global_load_b32 v2, v[0:1], off
	s_mov_b32 s22, -1
	s_mov_b32 s20, 0
	s_branch .LBB22_421
.LBB22_420:
	s_mov_b32 s20, -1
                                        ; implicit-def: $vgpr2
.LBB22_421:
	s_mov_b32 s24, 0
.LBB22_422:
	s_delay_alu instid0(SALU_CYCLE_1)
	s_and_b32 vcc_lo, exec_lo, s24
	s_cbranch_vccz .LBB22_438
; %bb.423:
	s_cmp_lt_i32 s21, 27
	s_cbranch_scc1 .LBB22_426
; %bb.424:
	s_cmp_gt_i32 s21, 27
	s_cbranch_scc0 .LBB22_427
; %bb.425:
	s_wait_loadcnt 0x0
	global_load_b32 v2, v[0:1], off
	s_mov_b32 s22, 0
	s_branch .LBB22_428
.LBB22_426:
	s_mov_b32 s22, -1
                                        ; implicit-def: $vgpr2
	s_branch .LBB22_431
.LBB22_427:
	s_mov_b32 s22, -1
                                        ; implicit-def: $vgpr2
.LBB22_428:
	s_delay_alu instid0(SALU_CYCLE_1)
	s_and_not1_b32 vcc_lo, exec_lo, s22
	s_cbranch_vccnz .LBB22_430
; %bb.429:
	s_wait_loadcnt 0x0
	global_load_u16 v2, v[0:1], off
.LBB22_430:
	s_mov_b32 s22, 0
.LBB22_431:
	s_delay_alu instid0(SALU_CYCLE_1)
	s_and_not1_b32 vcc_lo, exec_lo, s22
	s_cbranch_vccnz .LBB22_437
; %bb.432:
	s_wait_loadcnt 0x0
	global_load_u8 v3, v[0:1], off
	s_mov_b32 s24, 0
	s_mov_b32 s22, exec_lo
	s_wait_loadcnt 0x0
	v_cmpx_lt_i16_e32 0x7f, v3
	s_xor_b32 s22, exec_lo, s22
	s_cbranch_execz .LBB22_449
; %bb.433:
	v_cmp_ne_u16_e32 vcc_lo, 0x80, v3
	s_and_b32 s24, vcc_lo, exec_lo
	s_and_not1_saveexec_b32 s22, s22
	s_cbranch_execnz .LBB22_450
.LBB22_434:
	s_or_b32 exec_lo, exec_lo, s22
	v_mov_b32_e32 v2, 0
	s_and_saveexec_b32 s22, s24
	s_cbranch_execz .LBB22_436
.LBB22_435:
	v_and_b32_e32 v2, 0xffff, v3
	s_delay_alu instid0(VALU_DEP_1) | instskip(SKIP_1) | instid1(VALU_DEP_2)
	v_and_b32_e32 v4, 7, v2
	v_bfe_u32 v7, v2, 3, 4
	v_clz_i32_u32_e32 v5, v4
	s_delay_alu instid0(VALU_DEP_2) | instskip(NEXT) | instid1(VALU_DEP_2)
	v_cmp_eq_u32_e32 vcc_lo, 0, v7
	v_min_u32_e32 v5, 32, v5
	s_delay_alu instid0(VALU_DEP_1) | instskip(NEXT) | instid1(VALU_DEP_1)
	v_subrev_nc_u32_e32 v6, 28, v5
	v_dual_lshlrev_b32 v2, v6, v2 :: v_dual_sub_nc_u32 v5, 29, v5
	s_delay_alu instid0(VALU_DEP_1) | instskip(NEXT) | instid1(VALU_DEP_1)
	v_dual_lshlrev_b32 v3, 24, v3 :: v_dual_bitop2_b32 v2, 7, v2 bitop3:0x40
	v_dual_cndmask_b32 v5, v7, v5 :: v_dual_cndmask_b32 v2, v4, v2
	s_delay_alu instid0(VALU_DEP_2) | instskip(NEXT) | instid1(VALU_DEP_2)
	v_and_b32_e32 v3, 0x80000000, v3
	v_lshl_add_u32 v4, v5, 23, 0x3b800000
	s_delay_alu instid0(VALU_DEP_3) | instskip(NEXT) | instid1(VALU_DEP_1)
	v_lshlrev_b32_e32 v2, 20, v2
	v_or3_b32 v2, v3, v4, v2
	s_delay_alu instid0(VALU_DEP_1)
	v_cvt_i32_f32_e32 v2, v2
.LBB22_436:
	s_or_b32 exec_lo, exec_lo, s22
.LBB22_437:
	s_mov_b32 s22, -1
.LBB22_438:
	s_mov_b32 s24, 0
.LBB22_439:
	s_delay_alu instid0(SALU_CYCLE_1)
	s_and_b32 vcc_lo, exec_lo, s24
	s_cbranch_vccz .LBB22_472
; %bb.440:
	s_cmp_gt_i32 s21, 22
	s_cbranch_scc0 .LBB22_448
; %bb.441:
	s_cmp_lt_i32 s21, 24
	s_cbranch_scc1 .LBB22_451
; %bb.442:
	s_cmp_gt_i32 s21, 24
	s_cbranch_scc0 .LBB22_452
; %bb.443:
	s_wait_loadcnt 0x0
	global_load_u8 v3, v[0:1], off
	s_mov_b32 s24, 0
	s_mov_b32 s22, exec_lo
	s_wait_loadcnt 0x0
	v_cmpx_lt_i16_e32 0x7f, v3
	s_xor_b32 s22, exec_lo, s22
	s_cbranch_execz .LBB22_464
; %bb.444:
	v_cmp_ne_u16_e32 vcc_lo, 0x80, v3
	s_and_b32 s24, vcc_lo, exec_lo
	s_and_not1_saveexec_b32 s22, s22
	s_cbranch_execnz .LBB22_465
.LBB22_445:
	s_or_b32 exec_lo, exec_lo, s22
	v_mov_b32_e32 v2, 0
	s_and_saveexec_b32 s22, s24
	s_cbranch_execz .LBB22_447
.LBB22_446:
	v_and_b32_e32 v2, 0xffff, v3
	s_delay_alu instid0(VALU_DEP_1) | instskip(SKIP_1) | instid1(VALU_DEP_2)
	v_and_b32_e32 v4, 3, v2
	v_bfe_u32 v7, v2, 2, 5
	v_clz_i32_u32_e32 v5, v4
	s_delay_alu instid0(VALU_DEP_2) | instskip(NEXT) | instid1(VALU_DEP_2)
	v_cmp_eq_u32_e32 vcc_lo, 0, v7
	v_min_u32_e32 v5, 32, v5
	s_delay_alu instid0(VALU_DEP_1) | instskip(NEXT) | instid1(VALU_DEP_1)
	v_subrev_nc_u32_e32 v6, 29, v5
	v_dual_lshlrev_b32 v2, v6, v2 :: v_dual_sub_nc_u32 v5, 30, v5
	s_delay_alu instid0(VALU_DEP_1) | instskip(NEXT) | instid1(VALU_DEP_1)
	v_dual_lshlrev_b32 v3, 24, v3 :: v_dual_bitop2_b32 v2, 3, v2 bitop3:0x40
	v_dual_cndmask_b32 v5, v7, v5 :: v_dual_cndmask_b32 v2, v4, v2
	s_delay_alu instid0(VALU_DEP_2) | instskip(NEXT) | instid1(VALU_DEP_2)
	v_and_b32_e32 v3, 0x80000000, v3
	v_lshl_add_u32 v4, v5, 23, 0x37800000
	s_delay_alu instid0(VALU_DEP_3) | instskip(NEXT) | instid1(VALU_DEP_1)
	v_lshlrev_b32_e32 v2, 21, v2
	v_or3_b32 v2, v3, v4, v2
	s_delay_alu instid0(VALU_DEP_1)
	v_cvt_i32_f32_e32 v2, v2
.LBB22_447:
	s_or_b32 exec_lo, exec_lo, s22
	s_mov_b32 s22, 0
	s_branch .LBB22_453
.LBB22_448:
	s_mov_b32 s24, -1
                                        ; implicit-def: $vgpr2
	s_branch .LBB22_459
.LBB22_449:
	s_and_not1_saveexec_b32 s22, s22
	s_cbranch_execz .LBB22_434
.LBB22_450:
	v_cmp_ne_u16_e32 vcc_lo, 0, v3
	s_and_not1_b32 s24, s24, exec_lo
	s_and_b32 s25, vcc_lo, exec_lo
	s_delay_alu instid0(SALU_CYCLE_1)
	s_or_b32 s24, s24, s25
	s_or_b32 exec_lo, exec_lo, s22
	v_mov_b32_e32 v2, 0
	s_and_saveexec_b32 s22, s24
	s_cbranch_execnz .LBB22_435
	s_branch .LBB22_436
.LBB22_451:
	s_mov_b32 s22, -1
                                        ; implicit-def: $vgpr2
	s_branch .LBB22_456
.LBB22_452:
	s_mov_b32 s22, -1
                                        ; implicit-def: $vgpr2
.LBB22_453:
	s_delay_alu instid0(SALU_CYCLE_1)
	s_and_b32 vcc_lo, exec_lo, s22
	s_cbranch_vccz .LBB22_455
; %bb.454:
	s_wait_loadcnt 0x0
	global_load_u8 v2, v[0:1], off
	s_wait_loadcnt 0x0
	v_lshlrev_b32_e32 v2, 24, v2
	s_delay_alu instid0(VALU_DEP_1) | instskip(NEXT) | instid1(VALU_DEP_1)
	v_and_b32_e32 v3, 0x7f000000, v2
	v_clz_i32_u32_e32 v4, v3
	v_cmp_ne_u32_e32 vcc_lo, 0, v3
	v_add_nc_u32_e32 v6, 0x1000000, v3
	s_delay_alu instid0(VALU_DEP_3) | instskip(NEXT) | instid1(VALU_DEP_1)
	v_min_u32_e32 v4, 32, v4
	v_sub_nc_u32_e64 v4, v4, 4 clamp
	s_delay_alu instid0(VALU_DEP_1) | instskip(NEXT) | instid1(VALU_DEP_1)
	v_dual_lshlrev_b32 v5, v4, v3 :: v_dual_lshlrev_b32 v4, 23, v4
	v_lshrrev_b32_e32 v5, 4, v5
	s_delay_alu instid0(VALU_DEP_1) | instskip(NEXT) | instid1(VALU_DEP_1)
	v_dual_sub_nc_u32 v4, v5, v4 :: v_dual_ashrrev_i32 v5, 8, v6
	v_add_nc_u32_e32 v4, 0x3c000000, v4
	s_delay_alu instid0(VALU_DEP_1) | instskip(NEXT) | instid1(VALU_DEP_1)
	v_and_or_b32 v4, 0x7f800000, v5, v4
	v_cndmask_b32_e32 v3, 0, v4, vcc_lo
	s_delay_alu instid0(VALU_DEP_1) | instskip(NEXT) | instid1(VALU_DEP_1)
	v_and_or_b32 v2, 0x80000000, v2, v3
	v_cvt_i32_f32_e32 v2, v2
.LBB22_455:
	s_mov_b32 s22, 0
.LBB22_456:
	s_delay_alu instid0(SALU_CYCLE_1)
	s_and_not1_b32 vcc_lo, exec_lo, s22
	s_cbranch_vccnz .LBB22_458
; %bb.457:
	s_wait_loadcnt 0x0
	global_load_u8 v2, v[0:1], off
	s_wait_loadcnt 0x0
	v_lshlrev_b32_e32 v3, 25, v2
	v_lshlrev_b16 v2, 8, v2
	s_delay_alu instid0(VALU_DEP_1) | instskip(SKIP_1) | instid1(VALU_DEP_2)
	v_and_or_b32 v5, 0x7f00, v2, 0.5
	v_bfe_i32 v2, v2, 0, 16
	v_dual_add_f32 v5, -0.5, v5 :: v_dual_lshrrev_b32 v4, 4, v3
	v_cmp_gt_u32_e32 vcc_lo, 0x8000000, v3
	s_delay_alu instid0(VALU_DEP_2) | instskip(NEXT) | instid1(VALU_DEP_1)
	v_or_b32_e32 v4, 0x70000000, v4
	v_mul_f32_e32 v4, 0x7800000, v4
	s_delay_alu instid0(VALU_DEP_1) | instskip(NEXT) | instid1(VALU_DEP_1)
	v_cndmask_b32_e32 v3, v4, v5, vcc_lo
	v_and_or_b32 v2, 0x80000000, v2, v3
	s_delay_alu instid0(VALU_DEP_1)
	v_cvt_i32_f32_e32 v2, v2
.LBB22_458:
	s_mov_b32 s24, 0
	s_mov_b32 s22, -1
.LBB22_459:
	s_and_not1_b32 vcc_lo, exec_lo, s24
	s_cbranch_vccnz .LBB22_472
; %bb.460:
	s_cmp_gt_i32 s21, 14
	s_cbranch_scc0 .LBB22_463
; %bb.461:
	s_cmp_eq_u32 s21, 15
	s_cbranch_scc0 .LBB22_466
; %bb.462:
	s_wait_loadcnt 0x0
	global_load_u16 v2, v[0:1], off
	s_mov_b32 s22, -1
	s_mov_b32 s20, 0
	s_wait_loadcnt 0x0
	v_lshlrev_b32_e32 v2, 16, v2
	s_delay_alu instid0(VALU_DEP_1)
	v_cvt_i32_f32_e32 v2, v2
	s_branch .LBB22_467
.LBB22_463:
	s_mov_b32 s24, -1
                                        ; implicit-def: $vgpr2
	s_branch .LBB22_468
.LBB22_464:
	s_and_not1_saveexec_b32 s22, s22
	s_cbranch_execz .LBB22_445
.LBB22_465:
	v_cmp_ne_u16_e32 vcc_lo, 0, v3
	s_and_not1_b32 s24, s24, exec_lo
	s_and_b32 s25, vcc_lo, exec_lo
	s_delay_alu instid0(SALU_CYCLE_1)
	s_or_b32 s24, s24, s25
	s_or_b32 exec_lo, exec_lo, s22
	v_mov_b32_e32 v2, 0
	s_and_saveexec_b32 s22, s24
	s_cbranch_execnz .LBB22_446
	s_branch .LBB22_447
.LBB22_466:
	s_mov_b32 s20, -1
                                        ; implicit-def: $vgpr2
.LBB22_467:
	s_mov_b32 s24, 0
.LBB22_468:
	s_delay_alu instid0(SALU_CYCLE_1)
	s_and_b32 vcc_lo, exec_lo, s24
	s_cbranch_vccz .LBB22_472
; %bb.469:
	s_cmp_eq_u32 s21, 11
	s_cbranch_scc0 .LBB22_471
; %bb.470:
	s_wait_loadcnt 0x0
	global_load_u8 v2, v[0:1], off
	s_mov_b32 s20, 0
	s_mov_b32 s22, -1
	s_wait_loadcnt 0x0
	v_cmp_ne_u16_e32 vcc_lo, 0, v2
	v_cndmask_b32_e64 v2, 0, 1, vcc_lo
	s_branch .LBB22_472
.LBB22_471:
	s_mov_b32 s20, -1
                                        ; implicit-def: $vgpr2
.LBB22_472:
	s_branch .LBB22_391
.LBB22_473:
	s_and_b32 s0, 0xffff, s0
	s_delay_alu instid0(SALU_CYCLE_1)
	s_cmp_lt_i32 s0, 5
	s_cbranch_scc1 .LBB22_478
; %bb.474:
	s_cmp_lt_i32 s0, 8
	s_cbranch_scc1 .LBB22_479
; %bb.475:
	;; [unrolled: 3-line block ×3, first 2 shown]
	s_cmp_gt_i32 s0, 9
	s_cbranch_scc0 .LBB22_481
; %bb.477:
	s_wait_loadcnt 0x0
	global_load_b64 v[2:3], v[0:1], off
	s_mov_b32 s21, 0
	s_wait_loadcnt 0x0
	v_cvt_i32_f64_e32 v2, v[2:3]
	s_branch .LBB22_482
.LBB22_478:
	s_mov_b32 s21, -1
                                        ; implicit-def: $vgpr2
	s_branch .LBB22_500
.LBB22_479:
	s_mov_b32 s21, -1
                                        ; implicit-def: $vgpr2
	s_branch .LBB22_488
.LBB22_480:
	s_mov_b32 s21, -1
                                        ; implicit-def: $vgpr2
	s_branch .LBB22_485
.LBB22_481:
	s_mov_b32 s21, -1
                                        ; implicit-def: $vgpr2
.LBB22_482:
	s_delay_alu instid0(SALU_CYCLE_1)
	s_and_not1_b32 vcc_lo, exec_lo, s21
	s_cbranch_vccnz .LBB22_484
; %bb.483:
	s_wait_loadcnt 0x0
	global_load_b32 v2, v[0:1], off
	s_wait_loadcnt 0x0
	v_cvt_i32_f32_e32 v2, v2
.LBB22_484:
	s_mov_b32 s21, 0
.LBB22_485:
	s_delay_alu instid0(SALU_CYCLE_1)
	s_and_not1_b32 vcc_lo, exec_lo, s21
	s_cbranch_vccnz .LBB22_487
; %bb.486:
	s_wait_loadcnt 0x0
	global_load_b32 v2, v[0:1], off
	s_wait_loadcnt 0x0
	v_cvt_f32_f16_e32 v2, v2
	s_delay_alu instid0(VALU_DEP_1)
	v_cvt_i32_f32_e32 v2, v2
.LBB22_487:
	s_mov_b32 s21, 0
.LBB22_488:
	s_delay_alu instid0(SALU_CYCLE_1)
	s_and_not1_b32 vcc_lo, exec_lo, s21
	s_cbranch_vccnz .LBB22_499
; %bb.489:
	s_cmp_lt_i32 s0, 6
	s_cbranch_scc1 .LBB22_492
; %bb.490:
	s_cmp_gt_i32 s0, 6
	s_cbranch_scc0 .LBB22_493
; %bb.491:
	s_wait_loadcnt 0x0
	global_load_b64 v[2:3], v[0:1], off
	s_mov_b32 s21, 0
	s_wait_loadcnt 0x0
	v_cvt_i32_f64_e32 v2, v[2:3]
	s_branch .LBB22_494
.LBB22_492:
	s_mov_b32 s21, -1
                                        ; implicit-def: $vgpr2
	s_branch .LBB22_497
.LBB22_493:
	s_mov_b32 s21, -1
                                        ; implicit-def: $vgpr2
.LBB22_494:
	s_delay_alu instid0(SALU_CYCLE_1)
	s_and_not1_b32 vcc_lo, exec_lo, s21
	s_cbranch_vccnz .LBB22_496
; %bb.495:
	s_wait_loadcnt 0x0
	global_load_b32 v2, v[0:1], off
	s_wait_loadcnt 0x0
	v_cvt_i32_f32_e32 v2, v2
.LBB22_496:
	s_mov_b32 s21, 0
.LBB22_497:
	s_delay_alu instid0(SALU_CYCLE_1)
	s_and_not1_b32 vcc_lo, exec_lo, s21
	s_cbranch_vccnz .LBB22_499
; %bb.498:
	s_wait_loadcnt 0x0
	global_load_u16 v2, v[0:1], off
	s_wait_loadcnt 0x0
	v_cvt_f32_f16_e32 v2, v2
	s_delay_alu instid0(VALU_DEP_1)
	v_cvt_i32_f32_e32 v2, v2
.LBB22_499:
	s_mov_b32 s21, 0
.LBB22_500:
	s_delay_alu instid0(SALU_CYCLE_1)
	s_and_not1_b32 vcc_lo, exec_lo, s21
	s_cbranch_vccnz .LBB22_520
; %bb.501:
	s_cmp_lt_i32 s0, 2
	s_cbranch_scc1 .LBB22_505
; %bb.502:
	s_cmp_lt_i32 s0, 3
	s_cbranch_scc1 .LBB22_506
; %bb.503:
	s_cmp_gt_i32 s0, 3
	s_cbranch_scc0 .LBB22_507
; %bb.504:
	s_wait_loadcnt 0x0
	global_load_b32 v2, v[0:1], off
	s_mov_b32 s21, 0
	s_branch .LBB22_508
.LBB22_505:
	s_mov_b32 s21, -1
                                        ; implicit-def: $vgpr2
	s_branch .LBB22_514
.LBB22_506:
	s_mov_b32 s21, -1
                                        ; implicit-def: $vgpr2
	s_branch .LBB22_511
.LBB22_507:
	s_mov_b32 s21, -1
                                        ; implicit-def: $vgpr2
.LBB22_508:
	s_delay_alu instid0(SALU_CYCLE_1)
	s_and_not1_b32 vcc_lo, exec_lo, s21
	s_cbranch_vccnz .LBB22_510
; %bb.509:
	s_wait_loadcnt 0x0
	global_load_b32 v2, v[0:1], off
.LBB22_510:
	s_mov_b32 s21, 0
.LBB22_511:
	s_delay_alu instid0(SALU_CYCLE_1)
	s_and_not1_b32 vcc_lo, exec_lo, s21
	s_cbranch_vccnz .LBB22_513
; %bb.512:
	s_wait_loadcnt 0x0
	global_load_i16 v2, v[0:1], off
.LBB22_513:
	s_mov_b32 s21, 0
.LBB22_514:
	s_delay_alu instid0(SALU_CYCLE_1)
	s_and_not1_b32 vcc_lo, exec_lo, s21
	s_cbranch_vccnz .LBB22_520
; %bb.515:
	s_cmp_gt_i32 s0, 0
	s_mov_b32 s0, 0
	s_cbranch_scc0 .LBB22_517
; %bb.516:
	s_wait_loadcnt 0x0
	global_load_i8 v2, v[0:1], off
	s_branch .LBB22_518
.LBB22_517:
	s_mov_b32 s0, -1
                                        ; implicit-def: $vgpr2
.LBB22_518:
	s_delay_alu instid0(SALU_CYCLE_1)
	s_and_not1_b32 vcc_lo, exec_lo, s0
	s_cbranch_vccnz .LBB22_520
; %bb.519:
	s_wait_loadcnt 0x0
	global_load_u8 v2, v[0:1], off
.LBB22_520:
	s_branch .LBB22_392
.LBB22_521:
	s_mov_b32 s24, 0
	s_mov_b32 s0, s15
	;; [unrolled: 1-line block ×3, first 2 shown]
	s_branch .LBB22_765
.LBB22_522:
	s_and_not1_saveexec_b32 s24, s24
	s_cbranch_execz .LBB22_193
.LBB22_523:
	v_add_f32_e32 v1, 0x42800000, v4
	s_and_not1_b32 s23, s23, exec_lo
	s_delay_alu instid0(VALU_DEP_1) | instskip(NEXT) | instid1(VALU_DEP_1)
	v_and_b32_e32 v1, 0xff, v1
	v_cmp_ne_u32_e32 vcc_lo, 0, v1
	s_and_b32 s25, vcc_lo, exec_lo
	s_delay_alu instid0(SALU_CYCLE_1)
	s_or_b32 s23, s23, s25
	s_or_b32 exec_lo, exec_lo, s24
	v_mov_b32_e32 v5, 0
	s_and_saveexec_b32 s24, s23
	s_cbranch_execnz .LBB22_194
	s_branch .LBB22_195
.LBB22_524:
	s_mov_b32 s22, -1
	s_mov_b32 s24, 0
.LBB22_525:
                                        ; implicit-def: $vgpr3
.LBB22_526:
	s_and_b32 vcc_lo, exec_lo, s25
	s_cbranch_vccz .LBB22_530
; %bb.527:
	s_cmp_eq_u32 s21, 44
	s_cbranch_scc0 .LBB22_529
; %bb.528:
	s_wait_loadcnt 0x0
	global_load_u8 v3, v[0:1], off
	s_mov_b32 s22, 0
	s_mov_b32 s24, -1
	s_wait_loadcnt 0x0
	v_lshlrev_b32_e32 v4, 23, v3
	v_cmp_ne_u32_e32 vcc_lo, 0, v3
	s_delay_alu instid0(VALU_DEP_2) | instskip(NEXT) | instid1(VALU_DEP_1)
	v_cvt_i32_f32_e32 v4, v4
	v_cndmask_b32_e32 v3, 0, v4, vcc_lo
	s_branch .LBB22_530
.LBB22_529:
	s_mov_b32 s22, -1
                                        ; implicit-def: $vgpr3
.LBB22_530:
	s_mov_b32 s25, 0
.LBB22_531:
	s_delay_alu instid0(SALU_CYCLE_1)
	s_and_b32 vcc_lo, exec_lo, s25
	s_cbranch_vccz .LBB22_535
; %bb.532:
	s_cmp_eq_u32 s21, 29
	s_cbranch_scc0 .LBB22_534
; %bb.533:
	s_wait_loadcnt 0x0
	global_load_b32 v3, v[0:1], off
	s_mov_b32 s24, -1
	s_mov_b32 s22, 0
	s_branch .LBB22_535
.LBB22_534:
	s_mov_b32 s22, -1
                                        ; implicit-def: $vgpr3
.LBB22_535:
	s_mov_b32 s25, 0
.LBB22_536:
	s_delay_alu instid0(SALU_CYCLE_1)
	s_and_b32 vcc_lo, exec_lo, s25
	s_cbranch_vccz .LBB22_552
; %bb.537:
	s_cmp_lt_i32 s21, 27
	s_cbranch_scc1 .LBB22_540
; %bb.538:
	s_cmp_gt_i32 s21, 27
	s_cbranch_scc0 .LBB22_541
; %bb.539:
	s_wait_loadcnt 0x0
	global_load_b32 v3, v[0:1], off
	s_mov_b32 s24, 0
	s_branch .LBB22_542
.LBB22_540:
	s_mov_b32 s24, -1
                                        ; implicit-def: $vgpr3
	s_branch .LBB22_545
.LBB22_541:
	s_mov_b32 s24, -1
                                        ; implicit-def: $vgpr3
.LBB22_542:
	s_delay_alu instid0(SALU_CYCLE_1)
	s_and_not1_b32 vcc_lo, exec_lo, s24
	s_cbranch_vccnz .LBB22_544
; %bb.543:
	s_wait_loadcnt 0x0
	global_load_u16 v3, v[0:1], off
.LBB22_544:
	s_mov_b32 s24, 0
.LBB22_545:
	s_delay_alu instid0(SALU_CYCLE_1)
	s_and_not1_b32 vcc_lo, exec_lo, s24
	s_cbranch_vccnz .LBB22_551
; %bb.546:
	global_load_u8 v4, v[0:1], off
	s_mov_b32 s25, 0
	s_mov_b32 s24, exec_lo
	s_wait_loadcnt 0x0
	v_cmpx_lt_i16_e32 0x7f, v4
	s_xor_b32 s24, exec_lo, s24
	s_cbranch_execz .LBB22_563
; %bb.547:
	v_cmp_ne_u16_e32 vcc_lo, 0x80, v4
	s_and_b32 s25, vcc_lo, exec_lo
	s_and_not1_saveexec_b32 s24, s24
	s_cbranch_execnz .LBB22_564
.LBB22_548:
	s_or_b32 exec_lo, exec_lo, s24
	v_mov_b32_e32 v3, 0
	s_and_saveexec_b32 s24, s25
	s_cbranch_execz .LBB22_550
.LBB22_549:
	v_and_b32_e32 v3, 0xffff, v4
	s_delay_alu instid0(VALU_DEP_1) | instskip(SKIP_1) | instid1(VALU_DEP_2)
	v_and_b32_e32 v5, 7, v3
	v_bfe_u32 v8, v3, 3, 4
	v_clz_i32_u32_e32 v6, v5
	s_delay_alu instid0(VALU_DEP_2) | instskip(NEXT) | instid1(VALU_DEP_2)
	v_cmp_eq_u32_e32 vcc_lo, 0, v8
	v_min_u32_e32 v6, 32, v6
	s_delay_alu instid0(VALU_DEP_1) | instskip(NEXT) | instid1(VALU_DEP_1)
	v_subrev_nc_u32_e32 v7, 28, v6
	v_dual_lshlrev_b32 v3, v7, v3 :: v_dual_sub_nc_u32 v6, 29, v6
	s_delay_alu instid0(VALU_DEP_1) | instskip(NEXT) | instid1(VALU_DEP_1)
	v_dual_lshlrev_b32 v4, 24, v4 :: v_dual_bitop2_b32 v3, 7, v3 bitop3:0x40
	v_dual_cndmask_b32 v6, v8, v6 :: v_dual_cndmask_b32 v3, v5, v3
	s_delay_alu instid0(VALU_DEP_2) | instskip(NEXT) | instid1(VALU_DEP_2)
	v_and_b32_e32 v4, 0x80000000, v4
	v_lshl_add_u32 v5, v6, 23, 0x3b800000
	s_delay_alu instid0(VALU_DEP_3) | instskip(NEXT) | instid1(VALU_DEP_1)
	v_lshlrev_b32_e32 v3, 20, v3
	v_or3_b32 v3, v4, v5, v3
	s_delay_alu instid0(VALU_DEP_1)
	v_cvt_i32_f32_e32 v3, v3
.LBB22_550:
	s_or_b32 exec_lo, exec_lo, s24
.LBB22_551:
	s_mov_b32 s24, -1
.LBB22_552:
	s_mov_b32 s25, 0
.LBB22_553:
	s_delay_alu instid0(SALU_CYCLE_1)
	s_and_b32 vcc_lo, exec_lo, s25
	s_cbranch_vccz .LBB22_586
; %bb.554:
	s_cmp_gt_i32 s21, 22
	s_cbranch_scc0 .LBB22_562
; %bb.555:
	s_cmp_lt_i32 s21, 24
	s_cbranch_scc1 .LBB22_565
; %bb.556:
	s_cmp_gt_i32 s21, 24
	s_cbranch_scc0 .LBB22_566
; %bb.557:
	global_load_u8 v4, v[0:1], off
	s_mov_b32 s25, 0
	s_mov_b32 s24, exec_lo
	s_wait_loadcnt 0x0
	v_cmpx_lt_i16_e32 0x7f, v4
	s_xor_b32 s24, exec_lo, s24
	s_cbranch_execz .LBB22_578
; %bb.558:
	v_cmp_ne_u16_e32 vcc_lo, 0x80, v4
	s_and_b32 s25, vcc_lo, exec_lo
	s_and_not1_saveexec_b32 s24, s24
	s_cbranch_execnz .LBB22_579
.LBB22_559:
	s_or_b32 exec_lo, exec_lo, s24
	v_mov_b32_e32 v3, 0
	s_and_saveexec_b32 s24, s25
	s_cbranch_execz .LBB22_561
.LBB22_560:
	v_and_b32_e32 v3, 0xffff, v4
	s_delay_alu instid0(VALU_DEP_1) | instskip(SKIP_1) | instid1(VALU_DEP_2)
	v_and_b32_e32 v5, 3, v3
	v_bfe_u32 v8, v3, 2, 5
	v_clz_i32_u32_e32 v6, v5
	s_delay_alu instid0(VALU_DEP_2) | instskip(NEXT) | instid1(VALU_DEP_2)
	v_cmp_eq_u32_e32 vcc_lo, 0, v8
	v_min_u32_e32 v6, 32, v6
	s_delay_alu instid0(VALU_DEP_1) | instskip(NEXT) | instid1(VALU_DEP_1)
	v_subrev_nc_u32_e32 v7, 29, v6
	v_dual_lshlrev_b32 v3, v7, v3 :: v_dual_sub_nc_u32 v6, 30, v6
	s_delay_alu instid0(VALU_DEP_1) | instskip(NEXT) | instid1(VALU_DEP_1)
	v_dual_lshlrev_b32 v4, 24, v4 :: v_dual_bitop2_b32 v3, 3, v3 bitop3:0x40
	v_dual_cndmask_b32 v6, v8, v6 :: v_dual_cndmask_b32 v3, v5, v3
	s_delay_alu instid0(VALU_DEP_2) | instskip(NEXT) | instid1(VALU_DEP_2)
	v_and_b32_e32 v4, 0x80000000, v4
	v_lshl_add_u32 v5, v6, 23, 0x37800000
	s_delay_alu instid0(VALU_DEP_3) | instskip(NEXT) | instid1(VALU_DEP_1)
	v_lshlrev_b32_e32 v3, 21, v3
	v_or3_b32 v3, v4, v5, v3
	s_delay_alu instid0(VALU_DEP_1)
	v_cvt_i32_f32_e32 v3, v3
.LBB22_561:
	s_or_b32 exec_lo, exec_lo, s24
	s_mov_b32 s24, 0
	s_branch .LBB22_567
.LBB22_562:
	s_mov_b32 s25, -1
                                        ; implicit-def: $vgpr3
	s_branch .LBB22_573
.LBB22_563:
	s_and_not1_saveexec_b32 s24, s24
	s_cbranch_execz .LBB22_548
.LBB22_564:
	v_cmp_ne_u16_e32 vcc_lo, 0, v4
	s_and_not1_b32 s25, s25, exec_lo
	s_and_b32 s26, vcc_lo, exec_lo
	s_delay_alu instid0(SALU_CYCLE_1)
	s_or_b32 s25, s25, s26
	s_or_b32 exec_lo, exec_lo, s24
	v_mov_b32_e32 v3, 0
	s_and_saveexec_b32 s24, s25
	s_cbranch_execnz .LBB22_549
	s_branch .LBB22_550
.LBB22_565:
	s_mov_b32 s24, -1
                                        ; implicit-def: $vgpr3
	s_branch .LBB22_570
.LBB22_566:
	s_mov_b32 s24, -1
                                        ; implicit-def: $vgpr3
.LBB22_567:
	s_delay_alu instid0(SALU_CYCLE_1)
	s_and_b32 vcc_lo, exec_lo, s24
	s_cbranch_vccz .LBB22_569
; %bb.568:
	s_wait_loadcnt 0x0
	global_load_u8 v3, v[0:1], off
	s_wait_loadcnt 0x0
	v_lshlrev_b32_e32 v3, 24, v3
	s_delay_alu instid0(VALU_DEP_1) | instskip(NEXT) | instid1(VALU_DEP_1)
	v_and_b32_e32 v4, 0x7f000000, v3
	v_clz_i32_u32_e32 v5, v4
	v_cmp_ne_u32_e32 vcc_lo, 0, v4
	v_add_nc_u32_e32 v7, 0x1000000, v4
	s_delay_alu instid0(VALU_DEP_3) | instskip(NEXT) | instid1(VALU_DEP_1)
	v_min_u32_e32 v5, 32, v5
	v_sub_nc_u32_e64 v5, v5, 4 clamp
	s_delay_alu instid0(VALU_DEP_1) | instskip(NEXT) | instid1(VALU_DEP_1)
	v_dual_lshlrev_b32 v6, v5, v4 :: v_dual_lshlrev_b32 v5, 23, v5
	v_lshrrev_b32_e32 v6, 4, v6
	s_delay_alu instid0(VALU_DEP_1) | instskip(NEXT) | instid1(VALU_DEP_1)
	v_dual_sub_nc_u32 v5, v6, v5 :: v_dual_ashrrev_i32 v6, 8, v7
	v_add_nc_u32_e32 v5, 0x3c000000, v5
	s_delay_alu instid0(VALU_DEP_1) | instskip(NEXT) | instid1(VALU_DEP_1)
	v_and_or_b32 v5, 0x7f800000, v6, v5
	v_cndmask_b32_e32 v4, 0, v5, vcc_lo
	s_delay_alu instid0(VALU_DEP_1) | instskip(NEXT) | instid1(VALU_DEP_1)
	v_and_or_b32 v3, 0x80000000, v3, v4
	v_cvt_i32_f32_e32 v3, v3
.LBB22_569:
	s_mov_b32 s24, 0
.LBB22_570:
	s_delay_alu instid0(SALU_CYCLE_1)
	s_and_not1_b32 vcc_lo, exec_lo, s24
	s_cbranch_vccnz .LBB22_572
; %bb.571:
	s_wait_loadcnt 0x0
	global_load_u8 v3, v[0:1], off
	s_wait_loadcnt 0x0
	v_lshlrev_b32_e32 v4, 25, v3
	v_lshlrev_b16 v3, 8, v3
	s_delay_alu instid0(VALU_DEP_1) | instskip(SKIP_1) | instid1(VALU_DEP_2)
	v_and_or_b32 v6, 0x7f00, v3, 0.5
	v_bfe_i32 v3, v3, 0, 16
	v_dual_add_f32 v6, -0.5, v6 :: v_dual_lshrrev_b32 v5, 4, v4
	v_cmp_gt_u32_e32 vcc_lo, 0x8000000, v4
	s_delay_alu instid0(VALU_DEP_2) | instskip(NEXT) | instid1(VALU_DEP_1)
	v_or_b32_e32 v5, 0x70000000, v5
	v_mul_f32_e32 v5, 0x7800000, v5
	s_delay_alu instid0(VALU_DEP_1) | instskip(NEXT) | instid1(VALU_DEP_1)
	v_cndmask_b32_e32 v4, v5, v6, vcc_lo
	v_and_or_b32 v3, 0x80000000, v3, v4
	s_delay_alu instid0(VALU_DEP_1)
	v_cvt_i32_f32_e32 v3, v3
.LBB22_572:
	s_mov_b32 s25, 0
	s_mov_b32 s24, -1
.LBB22_573:
	s_and_not1_b32 vcc_lo, exec_lo, s25
	s_cbranch_vccnz .LBB22_586
; %bb.574:
	s_cmp_gt_i32 s21, 14
	s_cbranch_scc0 .LBB22_577
; %bb.575:
	s_cmp_eq_u32 s21, 15
	s_cbranch_scc0 .LBB22_580
; %bb.576:
	s_wait_loadcnt 0x0
	global_load_u16 v3, v[0:1], off
	s_mov_b32 s24, -1
	s_mov_b32 s22, 0
	s_wait_loadcnt 0x0
	v_lshlrev_b32_e32 v3, 16, v3
	s_delay_alu instid0(VALU_DEP_1)
	v_cvt_i32_f32_e32 v3, v3
	s_branch .LBB22_581
.LBB22_577:
	s_mov_b32 s25, -1
                                        ; implicit-def: $vgpr3
	s_branch .LBB22_582
.LBB22_578:
	s_and_not1_saveexec_b32 s24, s24
	s_cbranch_execz .LBB22_559
.LBB22_579:
	v_cmp_ne_u16_e32 vcc_lo, 0, v4
	s_and_not1_b32 s25, s25, exec_lo
	s_and_b32 s26, vcc_lo, exec_lo
	s_delay_alu instid0(SALU_CYCLE_1)
	s_or_b32 s25, s25, s26
	s_or_b32 exec_lo, exec_lo, s24
	v_mov_b32_e32 v3, 0
	s_and_saveexec_b32 s24, s25
	s_cbranch_execnz .LBB22_560
	s_branch .LBB22_561
.LBB22_580:
	s_mov_b32 s22, -1
                                        ; implicit-def: $vgpr3
.LBB22_581:
	s_mov_b32 s25, 0
.LBB22_582:
	s_delay_alu instid0(SALU_CYCLE_1)
	s_and_b32 vcc_lo, exec_lo, s25
	s_cbranch_vccz .LBB22_586
; %bb.583:
	s_cmp_eq_u32 s21, 11
	s_cbranch_scc0 .LBB22_585
; %bb.584:
	s_wait_loadcnt 0x0
	global_load_u8 v3, v[0:1], off
	s_mov_b32 s22, 0
	s_mov_b32 s24, -1
	s_wait_loadcnt 0x0
	v_cmp_ne_u16_e32 vcc_lo, 0, v3
	v_cndmask_b32_e64 v3, 0, 1, vcc_lo
	s_branch .LBB22_586
.LBB22_585:
	s_mov_b32 s22, -1
                                        ; implicit-def: $vgpr3
.LBB22_586:
	s_mov_b32 s21, 0
.LBB22_587:
	s_delay_alu instid0(SALU_CYCLE_1)
	s_and_b32 vcc_lo, exec_lo, s21
	s_cbranch_vccz .LBB22_636
; %bb.588:
	s_and_b32 s0, 0xffff, s0
	s_delay_alu instid0(SALU_CYCLE_1)
	s_cmp_lt_i32 s0, 5
	s_cbranch_scc1 .LBB22_593
; %bb.589:
	s_cmp_lt_i32 s0, 8
	s_cbranch_scc1 .LBB22_594
; %bb.590:
	;; [unrolled: 3-line block ×3, first 2 shown]
	s_cmp_gt_i32 s0, 9
	s_cbranch_scc0 .LBB22_596
; %bb.592:
	global_load_b64 v[4:5], v[0:1], off
	s_mov_b32 s21, 0
	s_wait_loadcnt 0x0
	v_cvt_i32_f64_e32 v3, v[4:5]
	s_branch .LBB22_597
.LBB22_593:
	s_mov_b32 s21, -1
                                        ; implicit-def: $vgpr3
	s_branch .LBB22_615
.LBB22_594:
	s_mov_b32 s21, -1
                                        ; implicit-def: $vgpr3
	s_branch .LBB22_603
.LBB22_595:
	s_mov_b32 s21, -1
                                        ; implicit-def: $vgpr3
	s_branch .LBB22_600
.LBB22_596:
	s_mov_b32 s21, -1
                                        ; implicit-def: $vgpr3
.LBB22_597:
	s_delay_alu instid0(SALU_CYCLE_1)
	s_and_not1_b32 vcc_lo, exec_lo, s21
	s_cbranch_vccnz .LBB22_599
; %bb.598:
	s_wait_loadcnt 0x0
	global_load_b32 v3, v[0:1], off
	s_wait_loadcnt 0x0
	v_cvt_i32_f32_e32 v3, v3
.LBB22_599:
	s_mov_b32 s21, 0
.LBB22_600:
	s_delay_alu instid0(SALU_CYCLE_1)
	s_and_not1_b32 vcc_lo, exec_lo, s21
	s_cbranch_vccnz .LBB22_602
; %bb.601:
	s_wait_loadcnt 0x0
	global_load_b32 v3, v[0:1], off
	s_wait_loadcnt 0x0
	v_cvt_f32_f16_e32 v3, v3
	s_delay_alu instid0(VALU_DEP_1)
	v_cvt_i32_f32_e32 v3, v3
.LBB22_602:
	s_mov_b32 s21, 0
.LBB22_603:
	s_delay_alu instid0(SALU_CYCLE_1)
	s_and_not1_b32 vcc_lo, exec_lo, s21
	s_cbranch_vccnz .LBB22_614
; %bb.604:
	s_cmp_lt_i32 s0, 6
	s_cbranch_scc1 .LBB22_607
; %bb.605:
	s_cmp_gt_i32 s0, 6
	s_cbranch_scc0 .LBB22_608
; %bb.606:
	global_load_b64 v[4:5], v[0:1], off
	s_mov_b32 s21, 0
	s_wait_loadcnt 0x0
	v_cvt_i32_f64_e32 v3, v[4:5]
	s_branch .LBB22_609
.LBB22_607:
	s_mov_b32 s21, -1
                                        ; implicit-def: $vgpr3
	s_branch .LBB22_612
.LBB22_608:
	s_mov_b32 s21, -1
                                        ; implicit-def: $vgpr3
.LBB22_609:
	s_delay_alu instid0(SALU_CYCLE_1)
	s_and_not1_b32 vcc_lo, exec_lo, s21
	s_cbranch_vccnz .LBB22_611
; %bb.610:
	s_wait_loadcnt 0x0
	global_load_b32 v3, v[0:1], off
	s_wait_loadcnt 0x0
	v_cvt_i32_f32_e32 v3, v3
.LBB22_611:
	s_mov_b32 s21, 0
.LBB22_612:
	s_delay_alu instid0(SALU_CYCLE_1)
	s_and_not1_b32 vcc_lo, exec_lo, s21
	s_cbranch_vccnz .LBB22_614
; %bb.613:
	s_wait_loadcnt 0x0
	global_load_u16 v3, v[0:1], off
	s_wait_loadcnt 0x0
	v_cvt_f32_f16_e32 v3, v3
	s_delay_alu instid0(VALU_DEP_1)
	v_cvt_i32_f32_e32 v3, v3
.LBB22_614:
	s_mov_b32 s21, 0
.LBB22_615:
	s_delay_alu instid0(SALU_CYCLE_1)
	s_and_not1_b32 vcc_lo, exec_lo, s21
	s_cbranch_vccnz .LBB22_635
; %bb.616:
	s_cmp_lt_i32 s0, 2
	s_cbranch_scc1 .LBB22_620
; %bb.617:
	s_cmp_lt_i32 s0, 3
	s_cbranch_scc1 .LBB22_621
; %bb.618:
	s_cmp_gt_i32 s0, 3
	s_cbranch_scc0 .LBB22_622
; %bb.619:
	s_wait_loadcnt 0x0
	global_load_b32 v3, v[0:1], off
	s_mov_b32 s21, 0
	s_branch .LBB22_623
.LBB22_620:
	s_mov_b32 s21, -1
                                        ; implicit-def: $vgpr3
	s_branch .LBB22_629
.LBB22_621:
	s_mov_b32 s21, -1
                                        ; implicit-def: $vgpr3
	s_branch .LBB22_626
.LBB22_622:
	s_mov_b32 s21, -1
                                        ; implicit-def: $vgpr3
.LBB22_623:
	s_delay_alu instid0(SALU_CYCLE_1)
	s_and_not1_b32 vcc_lo, exec_lo, s21
	s_cbranch_vccnz .LBB22_625
; %bb.624:
	s_wait_loadcnt 0x0
	global_load_b32 v3, v[0:1], off
.LBB22_625:
	s_mov_b32 s21, 0
.LBB22_626:
	s_delay_alu instid0(SALU_CYCLE_1)
	s_and_not1_b32 vcc_lo, exec_lo, s21
	s_cbranch_vccnz .LBB22_628
; %bb.627:
	s_wait_loadcnt 0x0
	global_load_i16 v3, v[0:1], off
.LBB22_628:
	s_mov_b32 s21, 0
.LBB22_629:
	s_delay_alu instid0(SALU_CYCLE_1)
	s_and_not1_b32 vcc_lo, exec_lo, s21
	s_cbranch_vccnz .LBB22_635
; %bb.630:
	s_cmp_gt_i32 s0, 0
	s_mov_b32 s0, 0
	s_cbranch_scc0 .LBB22_632
; %bb.631:
	s_wait_loadcnt 0x0
	global_load_i8 v3, v[0:1], off
	s_branch .LBB22_633
.LBB22_632:
	s_mov_b32 s0, -1
                                        ; implicit-def: $vgpr3
.LBB22_633:
	s_delay_alu instid0(SALU_CYCLE_1)
	s_and_not1_b32 vcc_lo, exec_lo, s0
	s_cbranch_vccnz .LBB22_635
; %bb.634:
	s_wait_loadcnt 0x0
	global_load_u8 v3, v[0:1], off
.LBB22_635:
	s_mov_b32 s24, -1
.LBB22_636:
	s_delay_alu instid0(SALU_CYCLE_1)
	s_and_not1_b32 vcc_lo, exec_lo, s24
	s_cbranch_vccnz .LBB22_648
; %bb.637:
	s_wait_loadcnt 0x0
	s_delay_alu instid0(VALU_DEP_1) | instskip(SKIP_2) | instid1(VALU_DEP_1)
	v_sub_nc_u32_e32 v0, 0, v3
	s_mov_b32 s21, 0
	s_mov_b32 s0, exec_lo
	v_max_i32_e32 v0, v3, v0
	v_cmpx_ne_u32_e32 0, v2
	s_cbranch_execz .LBB22_641
; %bb.638:
	v_sub_nc_u32_e32 v1, 0, v2
	s_delay_alu instid0(VALU_DEP_1)
	v_max_i32_e32 v2, v2, v1
.LBB22_639:                             ; =>This Inner Loop Header: Depth=1
	s_delay_alu instid0(VALU_DEP_1) | instskip(NEXT) | instid1(VALU_DEP_1)
	v_mov_b32_e32 v1, v2
	v_cvt_f32_u32_e32 v2, v1
	s_delay_alu instid0(VALU_DEP_1) | instskip(SKIP_1) | instid1(TRANS32_DEP_1)
	v_rcp_iflag_f32_e32 v2, v2
	v_nop
	v_dual_mul_f32 v2, 0x4f7ffffe, v2 :: v_dual_sub_nc_u32 v3, 0, v1
	s_delay_alu instid0(VALU_DEP_1) | instskip(NEXT) | instid1(VALU_DEP_1)
	v_cvt_u32_f32_e32 v2, v2
	v_mul_lo_u32 v3, v3, v2
	s_delay_alu instid0(VALU_DEP_1) | instskip(NEXT) | instid1(VALU_DEP_1)
	v_mul_hi_u32 v3, v2, v3
	v_add_nc_u32_e32 v2, v2, v3
	s_delay_alu instid0(VALU_DEP_1) | instskip(NEXT) | instid1(VALU_DEP_1)
	v_mul_hi_u32 v2, v0, v2
	v_mul_lo_u32 v2, v2, v1
	s_delay_alu instid0(VALU_DEP_1) | instskip(NEXT) | instid1(VALU_DEP_1)
	v_sub_nc_u32_e32 v0, v0, v2
	v_sub_nc_u32_e32 v2, v0, v1
	v_cmp_ge_u32_e32 vcc_lo, v0, v1
	s_delay_alu instid0(VALU_DEP_2) | instskip(NEXT) | instid1(VALU_DEP_1)
	v_cndmask_b32_e32 v0, v0, v2, vcc_lo
	v_sub_nc_u32_e32 v2, v0, v1
	v_cmp_ge_u32_e32 vcc_lo, v0, v1
	s_delay_alu instid0(VALU_DEP_2) | instskip(NEXT) | instid1(VALU_DEP_1)
	v_dual_cndmask_b32 v2, v0, v2, vcc_lo :: v_dual_mov_b32 v0, v1
	v_cmp_eq_u32_e32 vcc_lo, 0, v2
	s_or_b32 s21, vcc_lo, s21
	s_delay_alu instid0(SALU_CYCLE_1)
	s_and_not1_b32 exec_lo, exec_lo, s21
	s_cbranch_execnz .LBB22_639
; %bb.640:
	s_or_b32 exec_lo, exec_lo, s21
	v_mov_b32_e32 v0, v1
.LBB22_641:
	s_or_b32 exec_lo, exec_lo, s0
	v_mul_lo_u32 v2, v10, s8
	s_and_b32 s21, s11, 0xff
	s_delay_alu instid0(SALU_CYCLE_1) | instskip(NEXT) | instid1(VALU_DEP_1)
	s_cmp_lt_i32 s21, 11
	v_ashrrev_i32_e32 v3, 31, v2
	s_delay_alu instid0(VALU_DEP_1)
	v_add_nc_u64_e32 v[2:3], s[4:5], v[2:3]
	s_cbranch_scc1 .LBB22_649
; %bb.642:
	s_and_b32 s24, 0xffff, s21
	s_delay_alu instid0(SALU_CYCLE_1)
	s_cmp_gt_i32 s24, 25
	s_cbranch_scc0 .LBB22_650
; %bb.643:
	s_cmp_gt_i32 s24, 28
	s_cbranch_scc0 .LBB22_651
; %bb.644:
	;; [unrolled: 3-line block ×4, first 2 shown]
	s_mov_b32 s26, 0
	s_mov_b32 s0, -1
	s_cmp_eq_u32 s24, 46
	s_mov_b32 s25, 0
	s_cbranch_scc0 .LBB22_654
; %bb.647:
	v_cvt_f32_u32_e32 v1, v0
	s_mov_b32 s25, -1
	s_mov_b32 s0, 0
	s_delay_alu instid0(VALU_DEP_1) | instskip(NEXT) | instid1(VALU_DEP_1)
	v_bfe_u32 v4, v1, 16, 1
	v_add3_u32 v1, v1, v4, 0x7fff
	s_delay_alu instid0(VALU_DEP_1)
	v_lshrrev_b32_e32 v1, 16, v1
	global_store_b32 v[2:3], v1, off
	s_branch .LBB22_654
.LBB22_648:
	s_mov_b32 s24, 0
	s_mov_b32 s0, s15
	s_branch .LBB22_765
.LBB22_649:
	s_mov_b32 s24, -1
	s_mov_b32 s25, 0
	s_mov_b32 s0, s15
	s_branch .LBB22_723
.LBB22_650:
	s_mov_b32 s26, -1
	s_mov_b32 s25, 0
	s_mov_b32 s0, s15
	s_branch .LBB22_681
.LBB22_651:
	s_mov_b32 s26, -1
	s_mov_b32 s25, 0
	s_mov_b32 s0, s15
	s_branch .LBB22_664
.LBB22_652:
	s_mov_b32 s26, -1
	s_mov_b32 s25, 0
	s_mov_b32 s0, s15
	s_branch .LBB22_660
.LBB22_653:
	s_mov_b32 s26, -1
	s_mov_b32 s25, 0
	s_mov_b32 s0, s15
.LBB22_654:
	s_and_b32 vcc_lo, exec_lo, s26
	s_cbranch_vccz .LBB22_659
; %bb.655:
	s_cmp_eq_u32 s24, 44
	s_mov_b32 s0, -1
	s_cbranch_scc0 .LBB22_659
; %bb.656:
	v_cvt_f32_u32_e32 v5, v0
	s_mov_b32 s25, exec_lo
	s_wait_xcnt 0x0
	s_delay_alu instid0(VALU_DEP_1) | instskip(NEXT) | instid1(VALU_DEP_1)
	v_dual_mov_b32 v4, 0xff :: v_dual_lshrrev_b32 v1, 23, v5
	v_cmpx_ne_u32_e32 0xff, v1
; %bb.657:
	v_and_b32_e32 v4, 0x400000, v5
	v_and_or_b32 v5, 0x3fffff, v5, v1
	s_delay_alu instid0(VALU_DEP_2) | instskip(NEXT) | instid1(VALU_DEP_2)
	v_cmp_ne_u32_e32 vcc_lo, 0, v4
	v_cmp_ne_u32_e64 s0, 0, v5
	s_and_b32 s0, vcc_lo, s0
	s_delay_alu instid0(SALU_CYCLE_1) | instskip(NEXT) | instid1(VALU_DEP_1)
	v_cndmask_b32_e64 v4, 0, 1, s0
	v_add_nc_u32_e32 v4, v1, v4
; %bb.658:
	s_or_b32 exec_lo, exec_lo, s25
	s_mov_b32 s25, -1
	s_mov_b32 s0, 0
	global_store_b8 v[2:3], v4, off
.LBB22_659:
	s_mov_b32 s26, 0
.LBB22_660:
	s_delay_alu instid0(SALU_CYCLE_1)
	s_and_b32 vcc_lo, exec_lo, s26
	s_cbranch_vccz .LBB22_663
; %bb.661:
	s_cmp_eq_u32 s24, 29
	s_mov_b32 s0, -1
	s_cbranch_scc0 .LBB22_663
; %bb.662:
	s_wait_xcnt 0x0
	v_mov_b32_e32 v1, 0
	s_mov_b32 s25, -1
	s_mov_b32 s0, 0
	s_mov_b32 s26, 0
	global_store_b64 v[2:3], v[0:1], off
	s_branch .LBB22_664
.LBB22_663:
	s_mov_b32 s26, 0
.LBB22_664:
	s_delay_alu instid0(SALU_CYCLE_1)
	s_and_b32 vcc_lo, exec_lo, s26
	s_cbranch_vccz .LBB22_680
; %bb.665:
	s_cmp_lt_i32 s24, 27
	s_mov_b32 s25, -1
	s_cbranch_scc1 .LBB22_671
; %bb.666:
	s_cmp_gt_i32 s24, 27
	s_cbranch_scc0 .LBB22_668
; %bb.667:
	s_mov_b32 s25, 0
	global_store_b32 v[2:3], v0, off
.LBB22_668:
	s_and_not1_b32 vcc_lo, exec_lo, s25
	s_cbranch_vccnz .LBB22_670
; %bb.669:
	global_store_b16 v[2:3], v0, off
.LBB22_670:
	s_mov_b32 s25, 0
.LBB22_671:
	s_delay_alu instid0(SALU_CYCLE_1)
	s_and_not1_b32 vcc_lo, exec_lo, s25
	s_cbranch_vccnz .LBB22_679
; %bb.672:
	s_wait_xcnt 0x0
	v_cvt_f32_u32_e32 v4, v0
	v_mov_b32_e32 v5, 0x80
	s_mov_b32 s25, exec_lo
	s_delay_alu instid0(VALU_DEP_2)
	v_cmpx_gt_u32_e32 0x43800000, v4
	s_cbranch_execz .LBB22_678
; %bb.673:
	s_mov_b32 s26, 0
	s_mov_b32 s27, exec_lo
                                        ; implicit-def: $vgpr1
	v_cmpx_lt_u32_e32 0x3bffffff, v4
	s_xor_b32 s27, exec_lo, s27
	s_cbranch_execz .LBB22_781
; %bb.674:
	v_bfe_u32 v1, v4, 20, 1
	s_mov_b32 s26, exec_lo
	s_delay_alu instid0(VALU_DEP_1) | instskip(NEXT) | instid1(VALU_DEP_1)
	v_add3_u32 v1, v4, v1, 0x487ffff
                                        ; implicit-def: $vgpr4
	v_lshrrev_b32_e32 v1, 20, v1
	s_and_not1_saveexec_b32 s27, s27
	s_cbranch_execnz .LBB22_782
.LBB22_675:
	s_or_b32 exec_lo, exec_lo, s27
	v_mov_b32_e32 v5, 0
	s_and_saveexec_b32 s27, s26
.LBB22_676:
	v_mov_b32_e32 v5, v1
.LBB22_677:
	s_or_b32 exec_lo, exec_lo, s27
.LBB22_678:
	s_delay_alu instid0(SALU_CYCLE_1)
	s_or_b32 exec_lo, exec_lo, s25
	global_store_b8 v[2:3], v5, off
.LBB22_679:
	s_mov_b32 s25, -1
.LBB22_680:
	s_mov_b32 s26, 0
.LBB22_681:
	s_delay_alu instid0(SALU_CYCLE_1)
	s_and_b32 vcc_lo, exec_lo, s26
	s_cbranch_vccz .LBB22_722
; %bb.682:
	s_cmp_gt_i32 s24, 22
	s_mov_b32 s26, -1
	s_cbranch_scc0 .LBB22_714
; %bb.683:
	s_cmp_lt_i32 s24, 24
	s_mov_b32 s25, -1
	s_cbranch_scc1 .LBB22_703
; %bb.684:
	s_cmp_gt_i32 s24, 24
	s_cbranch_scc0 .LBB22_692
; %bb.685:
	s_wait_xcnt 0x0
	v_cvt_f32_u32_e32 v4, v0
	v_mov_b32_e32 v5, 0x80
	s_mov_b32 s25, exec_lo
	s_delay_alu instid0(VALU_DEP_2)
	v_cmpx_gt_u32_e32 0x47800000, v4
	s_cbranch_execz .LBB22_691
; %bb.686:
	s_mov_b32 s26, 0
	s_mov_b32 s27, exec_lo
                                        ; implicit-def: $vgpr1
	v_cmpx_lt_u32_e32 0x37ffffff, v4
	s_xor_b32 s27, exec_lo, s27
	s_cbranch_execz .LBB22_909
; %bb.687:
	v_bfe_u32 v1, v4, 21, 1
	s_mov_b32 s26, exec_lo
	s_delay_alu instid0(VALU_DEP_1) | instskip(NEXT) | instid1(VALU_DEP_1)
	v_add3_u32 v1, v4, v1, 0x88fffff
                                        ; implicit-def: $vgpr4
	v_lshrrev_b32_e32 v1, 21, v1
	s_and_not1_saveexec_b32 s27, s27
	s_cbranch_execnz .LBB22_910
.LBB22_688:
	s_or_b32 exec_lo, exec_lo, s27
	v_mov_b32_e32 v5, 0
	s_and_saveexec_b32 s27, s26
.LBB22_689:
	v_mov_b32_e32 v5, v1
.LBB22_690:
	s_or_b32 exec_lo, exec_lo, s27
.LBB22_691:
	s_delay_alu instid0(SALU_CYCLE_1)
	s_or_b32 exec_lo, exec_lo, s25
	s_mov_b32 s25, 0
	global_store_b8 v[2:3], v5, off
.LBB22_692:
	s_and_b32 vcc_lo, exec_lo, s25
	s_cbranch_vccz .LBB22_702
; %bb.693:
	s_wait_xcnt 0x0
	v_cvt_f32_u32_e32 v4, v0
	s_mov_b32 s25, exec_lo
                                        ; implicit-def: $vgpr1
	s_delay_alu instid0(VALU_DEP_1)
	v_cmpx_gt_u32_e32 0x43f00000, v4
	s_xor_b32 s25, exec_lo, s25
	s_cbranch_execz .LBB22_699
; %bb.694:
	s_mov_b32 s26, exec_lo
                                        ; implicit-def: $vgpr1
	v_cmpx_lt_u32_e32 0x3c7fffff, v4
	s_xor_b32 s26, exec_lo, s26
; %bb.695:
	v_bfe_u32 v1, v4, 20, 1
	s_delay_alu instid0(VALU_DEP_1) | instskip(NEXT) | instid1(VALU_DEP_1)
	v_add3_u32 v1, v4, v1, 0x407ffff
	v_and_b32_e32 v4, 0xff00000, v1
	v_lshrrev_b32_e32 v1, 20, v1
	s_delay_alu instid0(VALU_DEP_2) | instskip(NEXT) | instid1(VALU_DEP_2)
	v_cmp_ne_u32_e32 vcc_lo, 0x7f00000, v4
                                        ; implicit-def: $vgpr4
	v_cndmask_b32_e32 v1, 0x7e, v1, vcc_lo
; %bb.696:
	s_and_not1_saveexec_b32 s26, s26
; %bb.697:
	v_add_f32_e32 v1, 0x46800000, v4
; %bb.698:
	s_or_b32 exec_lo, exec_lo, s26
                                        ; implicit-def: $vgpr4
.LBB22_699:
	s_and_not1_saveexec_b32 s25, s25
; %bb.700:
	v_mov_b32_e32 v1, 0x7f
	v_cmp_lt_u32_e32 vcc_lo, 0x7f800000, v4
	s_delay_alu instid0(VALU_DEP_2)
	v_cndmask_b32_e32 v1, 0x7e, v1, vcc_lo
; %bb.701:
	s_or_b32 exec_lo, exec_lo, s25
	global_store_b8 v[2:3], v1, off
.LBB22_702:
	s_mov_b32 s25, 0
.LBB22_703:
	s_delay_alu instid0(SALU_CYCLE_1)
	s_and_not1_b32 vcc_lo, exec_lo, s25
	s_cbranch_vccnz .LBB22_713
; %bb.704:
	s_wait_xcnt 0x0
	v_cvt_f32_u32_e32 v4, v0
	s_mov_b32 s25, exec_lo
                                        ; implicit-def: $vgpr1
	s_delay_alu instid0(VALU_DEP_1)
	v_cmpx_gt_u32_e32 0x47800000, v4
	s_xor_b32 s25, exec_lo, s25
	s_cbranch_execz .LBB22_710
; %bb.705:
	s_mov_b32 s26, exec_lo
                                        ; implicit-def: $vgpr1
	v_cmpx_lt_u32_e32 0x387fffff, v4
	s_xor_b32 s26, exec_lo, s26
; %bb.706:
	v_bfe_u32 v1, v4, 21, 1
	s_delay_alu instid0(VALU_DEP_1) | instskip(NEXT) | instid1(VALU_DEP_1)
	v_add3_u32 v1, v4, v1, 0x80fffff
                                        ; implicit-def: $vgpr4
	v_lshrrev_b32_e32 v1, 21, v1
; %bb.707:
	s_and_not1_saveexec_b32 s26, s26
; %bb.708:
	v_add_f32_e32 v1, 0x43000000, v4
; %bb.709:
	s_or_b32 exec_lo, exec_lo, s26
                                        ; implicit-def: $vgpr4
.LBB22_710:
	s_and_not1_saveexec_b32 s25, s25
; %bb.711:
	v_mov_b32_e32 v1, 0x7f
	v_cmp_lt_u32_e32 vcc_lo, 0x7f800000, v4
	s_delay_alu instid0(VALU_DEP_2)
	v_cndmask_b32_e32 v1, 0x7c, v1, vcc_lo
; %bb.712:
	s_or_b32 exec_lo, exec_lo, s25
	global_store_b8 v[2:3], v1, off
.LBB22_713:
	s_mov_b32 s26, 0
	s_mov_b32 s25, -1
.LBB22_714:
	s_and_not1_b32 vcc_lo, exec_lo, s26
	s_cbranch_vccnz .LBB22_722
; %bb.715:
	s_cmp_gt_i32 s24, 14
	s_mov_b32 s26, -1
	s_cbranch_scc0 .LBB22_719
; %bb.716:
	s_cmp_eq_u32 s24, 15
	s_mov_b32 s0, -1
	s_cbranch_scc0 .LBB22_718
; %bb.717:
	s_wait_xcnt 0x0
	v_cvt_f32_u32_e32 v1, v0
	s_mov_b32 s25, -1
	s_mov_b32 s0, 0
	s_delay_alu instid0(VALU_DEP_1) | instskip(NEXT) | instid1(VALU_DEP_1)
	v_bfe_u32 v4, v1, 16, 1
	v_add3_u32 v1, v1, v4, 0x7fff
	global_store_d16_hi_b16 v[2:3], v1, off
.LBB22_718:
	s_mov_b32 s26, 0
.LBB22_719:
	s_delay_alu instid0(SALU_CYCLE_1)
	s_and_b32 vcc_lo, exec_lo, s26
	s_cbranch_vccz .LBB22_722
; %bb.720:
	s_cmp_eq_u32 s24, 11
	s_mov_b32 s0, -1
	s_cbranch_scc0 .LBB22_722
; %bb.721:
	v_cmp_ne_u32_e32 vcc_lo, 0, v0
	s_mov_b32 s0, 0
	s_mov_b32 s25, -1
	s_wait_xcnt 0x0
	v_cndmask_b32_e64 v1, 0, 1, vcc_lo
	global_store_b8 v[2:3], v1, off
.LBB22_722:
	s_mov_b32 s24, 0
.LBB22_723:
	s_delay_alu instid0(SALU_CYCLE_1)
	s_and_b32 vcc_lo, exec_lo, s24
	s_cbranch_vccz .LBB22_762
; %bb.724:
	s_and_b32 s21, 0xffff, s21
	s_mov_b32 s24, -1
	s_cmp_lt_i32 s21, 5
	s_cbranch_scc1 .LBB22_745
; %bb.725:
	s_cmp_lt_i32 s21, 8
	s_cbranch_scc1 .LBB22_735
; %bb.726:
	;; [unrolled: 3-line block ×3, first 2 shown]
	s_cmp_gt_i32 s21, 9
	s_cbranch_scc0 .LBB22_729
; %bb.728:
	s_wait_xcnt 0x0
	v_cvt_f64_u32_e32 v[4:5], v0
	v_mov_b32_e32 v6, 0
	s_mov_b32 s24, 0
	s_delay_alu instid0(VALU_DEP_1)
	v_mov_b32_e32 v7, v6
	global_store_b128 v[2:3], v[4:7], off
.LBB22_729:
	s_and_not1_b32 vcc_lo, exec_lo, s24
	s_cbranch_vccnz .LBB22_731
; %bb.730:
	s_wait_xcnt 0x0
	v_cvt_f32_u32_e32 v4, v0
	v_mov_b32_e32 v5, 0
	global_store_b64 v[2:3], v[4:5], off
.LBB22_731:
	s_mov_b32 s24, 0
.LBB22_732:
	s_delay_alu instid0(SALU_CYCLE_1)
	s_and_not1_b32 vcc_lo, exec_lo, s24
	s_cbranch_vccnz .LBB22_734
; %bb.733:
	s_wait_xcnt 0x0
	v_cvt_f32_u32_e32 v1, v0
	s_delay_alu instid0(VALU_DEP_1) | instskip(NEXT) | instid1(VALU_DEP_1)
	v_cvt_f16_f32_e32 v1, v1
	v_and_b32_e32 v1, 0xffff, v1
	global_store_b32 v[2:3], v1, off
.LBB22_734:
	s_mov_b32 s24, 0
.LBB22_735:
	s_delay_alu instid0(SALU_CYCLE_1)
	s_and_not1_b32 vcc_lo, exec_lo, s24
	s_cbranch_vccnz .LBB22_744
; %bb.736:
	s_cmp_lt_i32 s21, 6
	s_mov_b32 s24, -1
	s_cbranch_scc1 .LBB22_742
; %bb.737:
	s_cmp_gt_i32 s21, 6
	s_cbranch_scc0 .LBB22_739
; %bb.738:
	s_wait_xcnt 0x0
	v_cvt_f64_u32_e32 v[4:5], v0
	s_mov_b32 s24, 0
	global_store_b64 v[2:3], v[4:5], off
.LBB22_739:
	s_and_not1_b32 vcc_lo, exec_lo, s24
	s_cbranch_vccnz .LBB22_741
; %bb.740:
	s_wait_xcnt 0x0
	v_cvt_f32_u32_e32 v1, v0
	global_store_b32 v[2:3], v1, off
.LBB22_741:
	s_mov_b32 s24, 0
.LBB22_742:
	s_delay_alu instid0(SALU_CYCLE_1)
	s_and_not1_b32 vcc_lo, exec_lo, s24
	s_cbranch_vccnz .LBB22_744
; %bb.743:
	s_wait_xcnt 0x0
	v_cvt_f32_u32_e32 v1, v0
	s_delay_alu instid0(VALU_DEP_1)
	v_cvt_f16_f32_e32 v1, v1
	global_store_b16 v[2:3], v1, off
.LBB22_744:
	s_mov_b32 s24, 0
.LBB22_745:
	s_delay_alu instid0(SALU_CYCLE_1)
	s_and_not1_b32 vcc_lo, exec_lo, s24
	s_cbranch_vccnz .LBB22_761
; %bb.746:
	s_cmp_lt_i32 s21, 2
	s_mov_b32 s24, -1
	s_cbranch_scc1 .LBB22_756
; %bb.747:
	s_cmp_lt_i32 s21, 3
	s_cbranch_scc1 .LBB22_753
; %bb.748:
	s_cmp_gt_i32 s21, 3
	s_cbranch_scc0 .LBB22_750
; %bb.749:
	s_wait_xcnt 0x0
	v_mov_b32_e32 v1, 0
	s_mov_b32 s24, 0
	global_store_b64 v[2:3], v[0:1], off
.LBB22_750:
	s_and_not1_b32 vcc_lo, exec_lo, s24
	s_cbranch_vccnz .LBB22_752
; %bb.751:
	global_store_b32 v[2:3], v0, off
.LBB22_752:
	s_mov_b32 s24, 0
.LBB22_753:
	s_delay_alu instid0(SALU_CYCLE_1)
	s_and_not1_b32 vcc_lo, exec_lo, s24
	s_cbranch_vccnz .LBB22_755
; %bb.754:
	global_store_b16 v[2:3], v0, off
.LBB22_755:
	s_mov_b32 s24, 0
.LBB22_756:
	s_delay_alu instid0(SALU_CYCLE_1)
	s_and_not1_b32 vcc_lo, exec_lo, s24
	s_cbranch_vccnz .LBB22_761
; %bb.757:
	s_cmp_gt_i32 s21, 0
	s_mov_b32 s21, -1
	s_cbranch_scc0 .LBB22_759
; %bb.758:
	s_mov_b32 s21, 0
	global_store_b8 v[2:3], v0, off
.LBB22_759:
	s_and_not1_b32 vcc_lo, exec_lo, s21
	s_cbranch_vccnz .LBB22_761
; %bb.760:
	global_store_b8 v[2:3], v0, off
.LBB22_761:
	s_mov_b32 s25, -1
.LBB22_762:
	s_delay_alu instid0(SALU_CYCLE_1)
	s_and_not1_b32 vcc_lo, exec_lo, s25
	s_cbranch_vccnz .LBB22_764
; %bb.763:
	v_add_nc_u32_e32 v10, 0x80, v10
	s_mov_b32 s24, -1
	s_branch .LBB22_766
.LBB22_764:
	s_mov_b32 s24, 0
.LBB22_765:
                                        ; implicit-def: $vgpr10
.LBB22_766:
	s_and_not1_b32 s21, s15, exec_lo
	s_and_b32 s0, s0, exec_lo
	s_and_b32 s22, s22, exec_lo
	s_or_b32 s21, s21, s0
	s_and_not1_b32 s0, s17, exec_lo
	s_and_not1_b32 s25, s18, exec_lo
	s_and_b32 s20, s20, exec_lo
	s_or_b32 s22, s0, s22
	s_or_b32 s20, s25, s20
	s_or_not1_b32 s25, s24, exec_lo
.LBB22_767:
	s_wait_xcnt 0x0
	s_or_b32 exec_lo, exec_lo, s23
	s_mov_b32 s24, 0
	s_mov_b32 s26, 0
	;; [unrolled: 1-line block ×3, first 2 shown]
                                        ; implicit-def: $sgpr0
                                        ; implicit-def: $vgpr0_vgpr1
                                        ; implicit-def: $vgpr4
	s_and_saveexec_b32 s23, s25
	s_cbranch_execz .LBB22_1234
; %bb.768:
	s_mov_b32 s31, -1
	s_mov_b32 s25, s20
	s_mov_b32 s26, s22
	;; [unrolled: 1-line block ×3, first 2 shown]
	s_mov_b32 s24, exec_lo
	v_cmpx_gt_i32_e64 s16, v10
	s_cbranch_execz .LBB22_1154
; %bb.769:
	v_mul_lo_u32 v0, v10, s9
	s_and_b32 s0, s13, 0xff
	s_delay_alu instid0(SALU_CYCLE_1) | instskip(NEXT) | instid1(VALU_DEP_1)
	s_cmp_lt_i32 s0, 11
	v_ashrrev_i32_e32 v1, 31, v0
	s_delay_alu instid0(VALU_DEP_1)
	v_add_nc_u64_e32 v[0:1], s[6:7], v[0:1]
	s_cbranch_scc1 .LBB22_776
; %bb.770:
	s_and_b32 s26, 0xffff, s0
	s_delay_alu instid0(SALU_CYCLE_1)
	s_cmp_gt_i32 s26, 25
	s_cbranch_scc0 .LBB22_777
; %bb.771:
	s_cmp_gt_i32 s26, 28
	s_cbranch_scc0 .LBB22_778
; %bb.772:
	;; [unrolled: 3-line block ×4, first 2 shown]
	s_cmp_eq_u32 s26, 46
	s_mov_b32 s28, 0
	s_cbranch_scc0 .LBB22_783
; %bb.775:
	s_wait_loadcnt 0x0
	global_load_b32 v2, v[0:1], off
	s_mov_b32 s27, -1
	s_mov_b32 s25, 0
	s_wait_loadcnt 0x0
	v_lshlrev_b32_e32 v2, 16, v2
	s_delay_alu instid0(VALU_DEP_1)
	v_cvt_i32_f32_e32 v2, v2
	s_branch .LBB22_785
.LBB22_776:
	s_mov_b32 s26, -1
	s_mov_b32 s27, 0
	s_mov_b32 s25, s20
                                        ; implicit-def: $vgpr2
	s_branch .LBB22_846
.LBB22_777:
	s_mov_b32 s28, -1
	s_mov_b32 s27, 0
	s_mov_b32 s25, s20
                                        ; implicit-def: $vgpr2
	s_branch .LBB22_812
.LBB22_778:
	s_mov_b32 s28, -1
	s_mov_b32 s27, 0
	s_mov_b32 s25, s20
                                        ; implicit-def: $vgpr2
	s_branch .LBB22_795
.LBB22_779:
	s_mov_b32 s28, -1
	s_mov_b32 s27, 0
	s_mov_b32 s25, s20
                                        ; implicit-def: $vgpr2
	s_branch .LBB22_790
.LBB22_780:
	s_mov_b32 s28, -1
	s_mov_b32 s27, 0
	s_mov_b32 s25, s20
	s_branch .LBB22_784
.LBB22_781:
	s_and_not1_saveexec_b32 s27, s27
	s_cbranch_execz .LBB22_675
.LBB22_782:
	v_add_f32_e32 v1, 0x46000000, v4
	s_and_not1_b32 s26, s26, exec_lo
	s_delay_alu instid0(VALU_DEP_1) | instskip(NEXT) | instid1(VALU_DEP_1)
	v_and_b32_e32 v1, 0xff, v1
	v_cmp_ne_u32_e32 vcc_lo, 0, v1
	s_and_b32 s28, vcc_lo, exec_lo
	s_delay_alu instid0(SALU_CYCLE_1)
	s_or_b32 s26, s26, s28
	s_or_b32 exec_lo, exec_lo, s27
	v_mov_b32_e32 v5, 0
	s_and_saveexec_b32 s27, s26
	s_cbranch_execnz .LBB22_676
	s_branch .LBB22_677
.LBB22_783:
	s_mov_b32 s25, -1
	s_mov_b32 s27, 0
.LBB22_784:
                                        ; implicit-def: $vgpr2
.LBB22_785:
	s_and_b32 vcc_lo, exec_lo, s28
	s_cbranch_vccz .LBB22_789
; %bb.786:
	s_cmp_eq_u32 s26, 44
	s_cbranch_scc0 .LBB22_788
; %bb.787:
	s_wait_loadcnt 0x0
	global_load_u8 v2, v[0:1], off
	s_mov_b32 s25, 0
	s_mov_b32 s27, -1
	s_wait_loadcnt 0x0
	v_lshlrev_b32_e32 v3, 23, v2
	v_cmp_ne_u32_e32 vcc_lo, 0, v2
	s_delay_alu instid0(VALU_DEP_2) | instskip(NEXT) | instid1(VALU_DEP_1)
	v_cvt_i32_f32_e32 v3, v3
	v_cndmask_b32_e32 v2, 0, v3, vcc_lo
	s_branch .LBB22_789
.LBB22_788:
	s_mov_b32 s25, -1
                                        ; implicit-def: $vgpr2
.LBB22_789:
	s_mov_b32 s28, 0
.LBB22_790:
	s_delay_alu instid0(SALU_CYCLE_1)
	s_and_b32 vcc_lo, exec_lo, s28
	s_cbranch_vccz .LBB22_794
; %bb.791:
	s_cmp_eq_u32 s26, 29
	s_cbranch_scc0 .LBB22_793
; %bb.792:
	s_wait_loadcnt 0x0
	global_load_b32 v2, v[0:1], off
	s_mov_b32 s27, -1
	s_mov_b32 s25, 0
	s_branch .LBB22_794
.LBB22_793:
	s_mov_b32 s25, -1
                                        ; implicit-def: $vgpr2
.LBB22_794:
	s_mov_b32 s28, 0
.LBB22_795:
	s_delay_alu instid0(SALU_CYCLE_1)
	s_and_b32 vcc_lo, exec_lo, s28
	s_cbranch_vccz .LBB22_811
; %bb.796:
	s_cmp_lt_i32 s26, 27
	s_cbranch_scc1 .LBB22_799
; %bb.797:
	s_cmp_gt_i32 s26, 27
	s_cbranch_scc0 .LBB22_800
; %bb.798:
	s_wait_loadcnt 0x0
	global_load_b32 v2, v[0:1], off
	s_mov_b32 s27, 0
	s_branch .LBB22_801
.LBB22_799:
	s_mov_b32 s27, -1
                                        ; implicit-def: $vgpr2
	s_branch .LBB22_804
.LBB22_800:
	s_mov_b32 s27, -1
                                        ; implicit-def: $vgpr2
.LBB22_801:
	s_delay_alu instid0(SALU_CYCLE_1)
	s_and_not1_b32 vcc_lo, exec_lo, s27
	s_cbranch_vccnz .LBB22_803
; %bb.802:
	s_wait_loadcnt 0x0
	global_load_u16 v2, v[0:1], off
.LBB22_803:
	s_mov_b32 s27, 0
.LBB22_804:
	s_delay_alu instid0(SALU_CYCLE_1)
	s_and_not1_b32 vcc_lo, exec_lo, s27
	s_cbranch_vccnz .LBB22_810
; %bb.805:
	s_wait_loadcnt 0x0
	global_load_u8 v3, v[0:1], off
	s_mov_b32 s28, 0
	s_mov_b32 s27, exec_lo
	s_wait_loadcnt 0x0
	v_cmpx_lt_i16_e32 0x7f, v3
	s_xor_b32 s27, exec_lo, s27
	s_cbranch_execz .LBB22_822
; %bb.806:
	v_cmp_ne_u16_e32 vcc_lo, 0x80, v3
	s_and_b32 s28, vcc_lo, exec_lo
	s_and_not1_saveexec_b32 s27, s27
	s_cbranch_execnz .LBB22_823
.LBB22_807:
	s_or_b32 exec_lo, exec_lo, s27
	v_mov_b32_e32 v2, 0
	s_and_saveexec_b32 s27, s28
	s_cbranch_execz .LBB22_809
.LBB22_808:
	v_and_b32_e32 v2, 0xffff, v3
	s_delay_alu instid0(VALU_DEP_1) | instskip(SKIP_1) | instid1(VALU_DEP_2)
	v_and_b32_e32 v4, 7, v2
	v_bfe_u32 v7, v2, 3, 4
	v_clz_i32_u32_e32 v5, v4
	s_delay_alu instid0(VALU_DEP_2) | instskip(NEXT) | instid1(VALU_DEP_2)
	v_cmp_eq_u32_e32 vcc_lo, 0, v7
	v_min_u32_e32 v5, 32, v5
	s_delay_alu instid0(VALU_DEP_1) | instskip(NEXT) | instid1(VALU_DEP_1)
	v_subrev_nc_u32_e32 v6, 28, v5
	v_dual_lshlrev_b32 v2, v6, v2 :: v_dual_sub_nc_u32 v5, 29, v5
	s_delay_alu instid0(VALU_DEP_1) | instskip(NEXT) | instid1(VALU_DEP_1)
	v_dual_lshlrev_b32 v3, 24, v3 :: v_dual_bitop2_b32 v2, 7, v2 bitop3:0x40
	v_dual_cndmask_b32 v5, v7, v5 :: v_dual_cndmask_b32 v2, v4, v2
	s_delay_alu instid0(VALU_DEP_2) | instskip(NEXT) | instid1(VALU_DEP_2)
	v_and_b32_e32 v3, 0x80000000, v3
	v_lshl_add_u32 v4, v5, 23, 0x3b800000
	s_delay_alu instid0(VALU_DEP_3) | instskip(NEXT) | instid1(VALU_DEP_1)
	v_lshlrev_b32_e32 v2, 20, v2
	v_or3_b32 v2, v3, v4, v2
	s_delay_alu instid0(VALU_DEP_1)
	v_cvt_i32_f32_e32 v2, v2
.LBB22_809:
	s_or_b32 exec_lo, exec_lo, s27
.LBB22_810:
	s_mov_b32 s27, -1
.LBB22_811:
	s_mov_b32 s28, 0
.LBB22_812:
	s_delay_alu instid0(SALU_CYCLE_1)
	s_and_b32 vcc_lo, exec_lo, s28
	s_cbranch_vccz .LBB22_845
; %bb.813:
	s_cmp_gt_i32 s26, 22
	s_cbranch_scc0 .LBB22_821
; %bb.814:
	s_cmp_lt_i32 s26, 24
	s_cbranch_scc1 .LBB22_824
; %bb.815:
	s_cmp_gt_i32 s26, 24
	s_cbranch_scc0 .LBB22_825
; %bb.816:
	s_wait_loadcnt 0x0
	global_load_u8 v3, v[0:1], off
	s_mov_b32 s28, 0
	s_mov_b32 s27, exec_lo
	s_wait_loadcnt 0x0
	v_cmpx_lt_i16_e32 0x7f, v3
	s_xor_b32 s27, exec_lo, s27
	s_cbranch_execz .LBB22_837
; %bb.817:
	v_cmp_ne_u16_e32 vcc_lo, 0x80, v3
	s_and_b32 s28, vcc_lo, exec_lo
	s_and_not1_saveexec_b32 s27, s27
	s_cbranch_execnz .LBB22_838
.LBB22_818:
	s_or_b32 exec_lo, exec_lo, s27
	v_mov_b32_e32 v2, 0
	s_and_saveexec_b32 s27, s28
	s_cbranch_execz .LBB22_820
.LBB22_819:
	v_and_b32_e32 v2, 0xffff, v3
	s_delay_alu instid0(VALU_DEP_1) | instskip(SKIP_1) | instid1(VALU_DEP_2)
	v_and_b32_e32 v4, 3, v2
	v_bfe_u32 v7, v2, 2, 5
	v_clz_i32_u32_e32 v5, v4
	s_delay_alu instid0(VALU_DEP_2) | instskip(NEXT) | instid1(VALU_DEP_2)
	v_cmp_eq_u32_e32 vcc_lo, 0, v7
	v_min_u32_e32 v5, 32, v5
	s_delay_alu instid0(VALU_DEP_1) | instskip(NEXT) | instid1(VALU_DEP_1)
	v_subrev_nc_u32_e32 v6, 29, v5
	v_dual_lshlrev_b32 v2, v6, v2 :: v_dual_sub_nc_u32 v5, 30, v5
	s_delay_alu instid0(VALU_DEP_1) | instskip(NEXT) | instid1(VALU_DEP_1)
	v_dual_lshlrev_b32 v3, 24, v3 :: v_dual_bitop2_b32 v2, 3, v2 bitop3:0x40
	v_dual_cndmask_b32 v5, v7, v5 :: v_dual_cndmask_b32 v2, v4, v2
	s_delay_alu instid0(VALU_DEP_2) | instskip(NEXT) | instid1(VALU_DEP_2)
	v_and_b32_e32 v3, 0x80000000, v3
	v_lshl_add_u32 v4, v5, 23, 0x37800000
	s_delay_alu instid0(VALU_DEP_3) | instskip(NEXT) | instid1(VALU_DEP_1)
	v_lshlrev_b32_e32 v2, 21, v2
	v_or3_b32 v2, v3, v4, v2
	s_delay_alu instid0(VALU_DEP_1)
	v_cvt_i32_f32_e32 v2, v2
.LBB22_820:
	s_or_b32 exec_lo, exec_lo, s27
	s_mov_b32 s27, 0
	s_branch .LBB22_826
.LBB22_821:
	s_mov_b32 s28, -1
                                        ; implicit-def: $vgpr2
	s_branch .LBB22_832
.LBB22_822:
	s_and_not1_saveexec_b32 s27, s27
	s_cbranch_execz .LBB22_807
.LBB22_823:
	v_cmp_ne_u16_e32 vcc_lo, 0, v3
	s_and_not1_b32 s28, s28, exec_lo
	s_and_b32 s29, vcc_lo, exec_lo
	s_delay_alu instid0(SALU_CYCLE_1)
	s_or_b32 s28, s28, s29
	s_or_b32 exec_lo, exec_lo, s27
	v_mov_b32_e32 v2, 0
	s_and_saveexec_b32 s27, s28
	s_cbranch_execnz .LBB22_808
	s_branch .LBB22_809
.LBB22_824:
	s_mov_b32 s27, -1
                                        ; implicit-def: $vgpr2
	s_branch .LBB22_829
.LBB22_825:
	s_mov_b32 s27, -1
                                        ; implicit-def: $vgpr2
.LBB22_826:
	s_delay_alu instid0(SALU_CYCLE_1)
	s_and_b32 vcc_lo, exec_lo, s27
	s_cbranch_vccz .LBB22_828
; %bb.827:
	s_wait_loadcnt 0x0
	global_load_u8 v2, v[0:1], off
	s_wait_loadcnt 0x0
	v_lshlrev_b32_e32 v2, 24, v2
	s_delay_alu instid0(VALU_DEP_1) | instskip(NEXT) | instid1(VALU_DEP_1)
	v_and_b32_e32 v3, 0x7f000000, v2
	v_clz_i32_u32_e32 v4, v3
	v_cmp_ne_u32_e32 vcc_lo, 0, v3
	v_add_nc_u32_e32 v6, 0x1000000, v3
	s_delay_alu instid0(VALU_DEP_3) | instskip(NEXT) | instid1(VALU_DEP_1)
	v_min_u32_e32 v4, 32, v4
	v_sub_nc_u32_e64 v4, v4, 4 clamp
	s_delay_alu instid0(VALU_DEP_1) | instskip(NEXT) | instid1(VALU_DEP_1)
	v_dual_lshlrev_b32 v5, v4, v3 :: v_dual_lshlrev_b32 v4, 23, v4
	v_lshrrev_b32_e32 v5, 4, v5
	s_delay_alu instid0(VALU_DEP_1) | instskip(NEXT) | instid1(VALU_DEP_1)
	v_dual_sub_nc_u32 v4, v5, v4 :: v_dual_ashrrev_i32 v5, 8, v6
	v_add_nc_u32_e32 v4, 0x3c000000, v4
	s_delay_alu instid0(VALU_DEP_1) | instskip(NEXT) | instid1(VALU_DEP_1)
	v_and_or_b32 v4, 0x7f800000, v5, v4
	v_cndmask_b32_e32 v3, 0, v4, vcc_lo
	s_delay_alu instid0(VALU_DEP_1) | instskip(NEXT) | instid1(VALU_DEP_1)
	v_and_or_b32 v2, 0x80000000, v2, v3
	v_cvt_i32_f32_e32 v2, v2
.LBB22_828:
	s_mov_b32 s27, 0
.LBB22_829:
	s_delay_alu instid0(SALU_CYCLE_1)
	s_and_not1_b32 vcc_lo, exec_lo, s27
	s_cbranch_vccnz .LBB22_831
; %bb.830:
	s_wait_loadcnt 0x0
	global_load_u8 v2, v[0:1], off
	s_wait_loadcnt 0x0
	v_lshlrev_b32_e32 v3, 25, v2
	v_lshlrev_b16 v2, 8, v2
	s_delay_alu instid0(VALU_DEP_1) | instskip(SKIP_1) | instid1(VALU_DEP_2)
	v_and_or_b32 v5, 0x7f00, v2, 0.5
	v_bfe_i32 v2, v2, 0, 16
	v_dual_add_f32 v5, -0.5, v5 :: v_dual_lshrrev_b32 v4, 4, v3
	v_cmp_gt_u32_e32 vcc_lo, 0x8000000, v3
	s_delay_alu instid0(VALU_DEP_2) | instskip(NEXT) | instid1(VALU_DEP_1)
	v_or_b32_e32 v4, 0x70000000, v4
	v_mul_f32_e32 v4, 0x7800000, v4
	s_delay_alu instid0(VALU_DEP_1) | instskip(NEXT) | instid1(VALU_DEP_1)
	v_cndmask_b32_e32 v3, v4, v5, vcc_lo
	v_and_or_b32 v2, 0x80000000, v2, v3
	s_delay_alu instid0(VALU_DEP_1)
	v_cvt_i32_f32_e32 v2, v2
.LBB22_831:
	s_mov_b32 s28, 0
	s_mov_b32 s27, -1
.LBB22_832:
	s_and_not1_b32 vcc_lo, exec_lo, s28
	s_cbranch_vccnz .LBB22_845
; %bb.833:
	s_cmp_gt_i32 s26, 14
	s_cbranch_scc0 .LBB22_836
; %bb.834:
	s_cmp_eq_u32 s26, 15
	s_cbranch_scc0 .LBB22_839
; %bb.835:
	s_wait_loadcnt 0x0
	global_load_u16 v2, v[0:1], off
	s_mov_b32 s27, -1
	s_mov_b32 s25, 0
	s_wait_loadcnt 0x0
	v_lshlrev_b32_e32 v2, 16, v2
	s_delay_alu instid0(VALU_DEP_1)
	v_cvt_i32_f32_e32 v2, v2
	s_branch .LBB22_840
.LBB22_836:
	s_mov_b32 s28, -1
                                        ; implicit-def: $vgpr2
	s_branch .LBB22_841
.LBB22_837:
	s_and_not1_saveexec_b32 s27, s27
	s_cbranch_execz .LBB22_818
.LBB22_838:
	v_cmp_ne_u16_e32 vcc_lo, 0, v3
	s_and_not1_b32 s28, s28, exec_lo
	s_and_b32 s29, vcc_lo, exec_lo
	s_delay_alu instid0(SALU_CYCLE_1)
	s_or_b32 s28, s28, s29
	s_or_b32 exec_lo, exec_lo, s27
	v_mov_b32_e32 v2, 0
	s_and_saveexec_b32 s27, s28
	s_cbranch_execnz .LBB22_819
	s_branch .LBB22_820
.LBB22_839:
	s_mov_b32 s25, -1
                                        ; implicit-def: $vgpr2
.LBB22_840:
	s_mov_b32 s28, 0
.LBB22_841:
	s_delay_alu instid0(SALU_CYCLE_1)
	s_and_b32 vcc_lo, exec_lo, s28
	s_cbranch_vccz .LBB22_845
; %bb.842:
	s_cmp_eq_u32 s26, 11
	s_cbranch_scc0 .LBB22_844
; %bb.843:
	s_wait_loadcnt 0x0
	global_load_u8 v2, v[0:1], off
	s_mov_b32 s25, 0
	s_mov_b32 s27, -1
	s_wait_loadcnt 0x0
	v_cmp_ne_u16_e32 vcc_lo, 0, v2
	v_cndmask_b32_e64 v2, 0, 1, vcc_lo
	s_branch .LBB22_845
.LBB22_844:
	s_mov_b32 s25, -1
                                        ; implicit-def: $vgpr2
.LBB22_845:
	s_mov_b32 s26, 0
.LBB22_846:
	s_delay_alu instid0(SALU_CYCLE_1)
	s_and_b32 vcc_lo, exec_lo, s26
	s_cbranch_vccz .LBB22_895
; %bb.847:
	s_and_b32 s0, 0xffff, s0
	s_delay_alu instid0(SALU_CYCLE_1)
	s_cmp_lt_i32 s0, 5
	s_cbranch_scc1 .LBB22_852
; %bb.848:
	s_cmp_lt_i32 s0, 8
	s_cbranch_scc1 .LBB22_853
; %bb.849:
	;; [unrolled: 3-line block ×3, first 2 shown]
	s_cmp_gt_i32 s0, 9
	s_cbranch_scc0 .LBB22_855
; %bb.851:
	s_wait_loadcnt 0x0
	global_load_b64 v[2:3], v[0:1], off
	s_mov_b32 s26, 0
	s_wait_loadcnt 0x0
	v_cvt_i32_f64_e32 v2, v[2:3]
	s_branch .LBB22_856
.LBB22_852:
	s_mov_b32 s26, -1
                                        ; implicit-def: $vgpr2
	s_branch .LBB22_874
.LBB22_853:
	s_mov_b32 s26, -1
                                        ; implicit-def: $vgpr2
	s_branch .LBB22_862
.LBB22_854:
	s_mov_b32 s26, -1
                                        ; implicit-def: $vgpr2
	s_branch .LBB22_859
.LBB22_855:
	s_mov_b32 s26, -1
                                        ; implicit-def: $vgpr2
.LBB22_856:
	s_delay_alu instid0(SALU_CYCLE_1)
	s_and_not1_b32 vcc_lo, exec_lo, s26
	s_cbranch_vccnz .LBB22_858
; %bb.857:
	s_wait_loadcnt 0x0
	global_load_b32 v2, v[0:1], off
	s_wait_loadcnt 0x0
	v_cvt_i32_f32_e32 v2, v2
.LBB22_858:
	s_mov_b32 s26, 0
.LBB22_859:
	s_delay_alu instid0(SALU_CYCLE_1)
	s_and_not1_b32 vcc_lo, exec_lo, s26
	s_cbranch_vccnz .LBB22_861
; %bb.860:
	s_wait_loadcnt 0x0
	global_load_b32 v2, v[0:1], off
	s_wait_loadcnt 0x0
	v_cvt_f32_f16_e32 v2, v2
	s_delay_alu instid0(VALU_DEP_1)
	v_cvt_i32_f32_e32 v2, v2
.LBB22_861:
	s_mov_b32 s26, 0
.LBB22_862:
	s_delay_alu instid0(SALU_CYCLE_1)
	s_and_not1_b32 vcc_lo, exec_lo, s26
	s_cbranch_vccnz .LBB22_873
; %bb.863:
	s_cmp_lt_i32 s0, 6
	s_cbranch_scc1 .LBB22_866
; %bb.864:
	s_cmp_gt_i32 s0, 6
	s_cbranch_scc0 .LBB22_867
; %bb.865:
	s_wait_loadcnt 0x0
	global_load_b64 v[2:3], v[0:1], off
	s_mov_b32 s26, 0
	s_wait_loadcnt 0x0
	v_cvt_i32_f64_e32 v2, v[2:3]
	s_branch .LBB22_868
.LBB22_866:
	s_mov_b32 s26, -1
                                        ; implicit-def: $vgpr2
	s_branch .LBB22_871
.LBB22_867:
	s_mov_b32 s26, -1
                                        ; implicit-def: $vgpr2
.LBB22_868:
	s_delay_alu instid0(SALU_CYCLE_1)
	s_and_not1_b32 vcc_lo, exec_lo, s26
	s_cbranch_vccnz .LBB22_870
; %bb.869:
	s_wait_loadcnt 0x0
	global_load_b32 v2, v[0:1], off
	s_wait_loadcnt 0x0
	v_cvt_i32_f32_e32 v2, v2
.LBB22_870:
	s_mov_b32 s26, 0
.LBB22_871:
	s_delay_alu instid0(SALU_CYCLE_1)
	s_and_not1_b32 vcc_lo, exec_lo, s26
	s_cbranch_vccnz .LBB22_873
; %bb.872:
	s_wait_loadcnt 0x0
	global_load_u16 v2, v[0:1], off
	s_wait_loadcnt 0x0
	v_cvt_f32_f16_e32 v2, v2
	s_delay_alu instid0(VALU_DEP_1)
	v_cvt_i32_f32_e32 v2, v2
.LBB22_873:
	s_mov_b32 s26, 0
.LBB22_874:
	s_delay_alu instid0(SALU_CYCLE_1)
	s_and_not1_b32 vcc_lo, exec_lo, s26
	s_cbranch_vccnz .LBB22_894
; %bb.875:
	s_cmp_lt_i32 s0, 2
	s_cbranch_scc1 .LBB22_879
; %bb.876:
	s_cmp_lt_i32 s0, 3
	s_cbranch_scc1 .LBB22_880
; %bb.877:
	s_cmp_gt_i32 s0, 3
	s_cbranch_scc0 .LBB22_881
; %bb.878:
	s_wait_loadcnt 0x0
	global_load_b32 v2, v[0:1], off
	s_mov_b32 s26, 0
	s_branch .LBB22_882
.LBB22_879:
	s_mov_b32 s26, -1
                                        ; implicit-def: $vgpr2
	s_branch .LBB22_888
.LBB22_880:
	s_mov_b32 s26, -1
                                        ; implicit-def: $vgpr2
	s_branch .LBB22_885
.LBB22_881:
	s_mov_b32 s26, -1
                                        ; implicit-def: $vgpr2
.LBB22_882:
	s_delay_alu instid0(SALU_CYCLE_1)
	s_and_not1_b32 vcc_lo, exec_lo, s26
	s_cbranch_vccnz .LBB22_884
; %bb.883:
	s_wait_loadcnt 0x0
	global_load_b32 v2, v[0:1], off
.LBB22_884:
	s_mov_b32 s26, 0
.LBB22_885:
	s_delay_alu instid0(SALU_CYCLE_1)
	s_and_not1_b32 vcc_lo, exec_lo, s26
	s_cbranch_vccnz .LBB22_887
; %bb.886:
	s_wait_loadcnt 0x0
	global_load_i16 v2, v[0:1], off
.LBB22_887:
	s_mov_b32 s26, 0
.LBB22_888:
	s_delay_alu instid0(SALU_CYCLE_1)
	s_and_not1_b32 vcc_lo, exec_lo, s26
	s_cbranch_vccnz .LBB22_894
; %bb.889:
	s_cmp_gt_i32 s0, 0
	s_mov_b32 s0, 0
	s_cbranch_scc0 .LBB22_891
; %bb.890:
	s_wait_loadcnt 0x0
	global_load_i8 v2, v[0:1], off
	s_branch .LBB22_892
.LBB22_891:
	s_mov_b32 s0, -1
                                        ; implicit-def: $vgpr2
.LBB22_892:
	s_delay_alu instid0(SALU_CYCLE_1)
	s_and_not1_b32 vcc_lo, exec_lo, s0
	s_cbranch_vccnz .LBB22_894
; %bb.893:
	s_wait_loadcnt 0x0
	global_load_u8 v2, v[0:1], off
.LBB22_894:
	s_mov_b32 s27, -1
.LBB22_895:
	s_delay_alu instid0(SALU_CYCLE_1)
	s_and_not1_b32 vcc_lo, exec_lo, s27
	s_cbranch_vccnz .LBB22_903
; %bb.896:
	s_wait_xcnt 0x0
	v_mul_lo_u32 v0, v10, s10
	s_and_b32 s0, s1, 0xff
	s_delay_alu instid0(SALU_CYCLE_1) | instskip(NEXT) | instid1(VALU_DEP_1)
	s_cmp_lt_i32 s0, 11
	v_ashrrev_i32_e32 v1, 31, v0
	s_delay_alu instid0(VALU_DEP_1)
	v_add_nc_u64_e32 v[0:1], s[2:3], v[0:1]
	s_cbranch_scc1 .LBB22_904
; %bb.897:
	s_and_b32 s27, 0xffff, s0
	s_delay_alu instid0(SALU_CYCLE_1)
	s_cmp_gt_i32 s27, 25
	s_cbranch_scc0 .LBB22_905
; %bb.898:
	s_cmp_gt_i32 s27, 28
	s_cbranch_scc0 .LBB22_906
; %bb.899:
	;; [unrolled: 3-line block ×4, first 2 shown]
	s_cmp_eq_u32 s27, 46
	s_mov_b32 s29, 0
	s_cbranch_scc0 .LBB22_911
; %bb.902:
	s_wait_loadcnt 0x0
	global_load_b32 v3, v[0:1], off
	s_mov_b32 s28, -1
	s_mov_b32 s26, 0
	s_wait_loadcnt 0x0
	v_lshlrev_b32_e32 v3, 16, v3
	s_delay_alu instid0(VALU_DEP_1)
	v_cvt_i32_f32_e32 v3, v3
	s_branch .LBB22_913
.LBB22_903:
	s_mov_b32 s28, 0
	s_mov_b32 s0, s21
	s_mov_b32 s26, s22
	s_branch .LBB22_1152
.LBB22_904:
	s_mov_b32 s27, -1
	s_mov_b32 s28, 0
	s_mov_b32 s26, s22
                                        ; implicit-def: $vgpr3
	s_branch .LBB22_974
.LBB22_905:
	s_mov_b32 s29, -1
	s_mov_b32 s28, 0
	s_mov_b32 s26, s22
                                        ; implicit-def: $vgpr3
	s_branch .LBB22_940
.LBB22_906:
	s_mov_b32 s29, -1
	s_mov_b32 s28, 0
	s_mov_b32 s26, s22
                                        ; implicit-def: $vgpr3
	s_branch .LBB22_923
.LBB22_907:
	s_mov_b32 s29, -1
	s_mov_b32 s28, 0
	s_mov_b32 s26, s22
                                        ; implicit-def: $vgpr3
	s_branch .LBB22_918
.LBB22_908:
	s_mov_b32 s29, -1
	s_mov_b32 s28, 0
	s_mov_b32 s26, s22
	s_branch .LBB22_912
.LBB22_909:
	s_and_not1_saveexec_b32 s27, s27
	s_cbranch_execz .LBB22_688
.LBB22_910:
	v_add_f32_e32 v1, 0x42800000, v4
	s_and_not1_b32 s26, s26, exec_lo
	s_delay_alu instid0(VALU_DEP_1) | instskip(NEXT) | instid1(VALU_DEP_1)
	v_and_b32_e32 v1, 0xff, v1
	v_cmp_ne_u32_e32 vcc_lo, 0, v1
	s_and_b32 s28, vcc_lo, exec_lo
	s_delay_alu instid0(SALU_CYCLE_1)
	s_or_b32 s26, s26, s28
	s_or_b32 exec_lo, exec_lo, s27
	v_mov_b32_e32 v5, 0
	s_and_saveexec_b32 s27, s26
	s_cbranch_execnz .LBB22_689
	s_branch .LBB22_690
.LBB22_911:
	s_mov_b32 s26, -1
	s_mov_b32 s28, 0
.LBB22_912:
                                        ; implicit-def: $vgpr3
.LBB22_913:
	s_and_b32 vcc_lo, exec_lo, s29
	s_cbranch_vccz .LBB22_917
; %bb.914:
	s_cmp_eq_u32 s27, 44
	s_cbranch_scc0 .LBB22_916
; %bb.915:
	s_wait_loadcnt 0x0
	global_load_u8 v3, v[0:1], off
	s_mov_b32 s26, 0
	s_mov_b32 s28, -1
	s_wait_loadcnt 0x0
	v_lshlrev_b32_e32 v4, 23, v3
	v_cmp_ne_u32_e32 vcc_lo, 0, v3
	s_delay_alu instid0(VALU_DEP_2) | instskip(NEXT) | instid1(VALU_DEP_1)
	v_cvt_i32_f32_e32 v4, v4
	v_cndmask_b32_e32 v3, 0, v4, vcc_lo
	s_branch .LBB22_917
.LBB22_916:
	s_mov_b32 s26, -1
                                        ; implicit-def: $vgpr3
.LBB22_917:
	s_mov_b32 s29, 0
.LBB22_918:
	s_delay_alu instid0(SALU_CYCLE_1)
	s_and_b32 vcc_lo, exec_lo, s29
	s_cbranch_vccz .LBB22_922
; %bb.919:
	s_cmp_eq_u32 s27, 29
	s_cbranch_scc0 .LBB22_921
; %bb.920:
	s_wait_loadcnt 0x0
	global_load_b32 v3, v[0:1], off
	s_mov_b32 s28, -1
	s_mov_b32 s26, 0
	s_branch .LBB22_922
.LBB22_921:
	s_mov_b32 s26, -1
                                        ; implicit-def: $vgpr3
.LBB22_922:
	s_mov_b32 s29, 0
.LBB22_923:
	s_delay_alu instid0(SALU_CYCLE_1)
	s_and_b32 vcc_lo, exec_lo, s29
	s_cbranch_vccz .LBB22_939
; %bb.924:
	s_cmp_lt_i32 s27, 27
	s_cbranch_scc1 .LBB22_927
; %bb.925:
	s_cmp_gt_i32 s27, 27
	s_cbranch_scc0 .LBB22_928
; %bb.926:
	s_wait_loadcnt 0x0
	global_load_b32 v3, v[0:1], off
	s_mov_b32 s28, 0
	s_branch .LBB22_929
.LBB22_927:
	s_mov_b32 s28, -1
                                        ; implicit-def: $vgpr3
	s_branch .LBB22_932
.LBB22_928:
	s_mov_b32 s28, -1
                                        ; implicit-def: $vgpr3
.LBB22_929:
	s_delay_alu instid0(SALU_CYCLE_1)
	s_and_not1_b32 vcc_lo, exec_lo, s28
	s_cbranch_vccnz .LBB22_931
; %bb.930:
	s_wait_loadcnt 0x0
	global_load_u16 v3, v[0:1], off
.LBB22_931:
	s_mov_b32 s28, 0
.LBB22_932:
	s_delay_alu instid0(SALU_CYCLE_1)
	s_and_not1_b32 vcc_lo, exec_lo, s28
	s_cbranch_vccnz .LBB22_938
; %bb.933:
	global_load_u8 v4, v[0:1], off
	s_mov_b32 s29, 0
	s_mov_b32 s28, exec_lo
	s_wait_loadcnt 0x0
	v_cmpx_lt_i16_e32 0x7f, v4
	s_xor_b32 s28, exec_lo, s28
	s_cbranch_execz .LBB22_950
; %bb.934:
	v_cmp_ne_u16_e32 vcc_lo, 0x80, v4
	s_and_b32 s29, vcc_lo, exec_lo
	s_and_not1_saveexec_b32 s28, s28
	s_cbranch_execnz .LBB22_951
.LBB22_935:
	s_or_b32 exec_lo, exec_lo, s28
	v_mov_b32_e32 v3, 0
	s_and_saveexec_b32 s28, s29
	s_cbranch_execz .LBB22_937
.LBB22_936:
	v_and_b32_e32 v3, 0xffff, v4
	s_delay_alu instid0(VALU_DEP_1) | instskip(SKIP_1) | instid1(VALU_DEP_2)
	v_and_b32_e32 v5, 7, v3
	v_bfe_u32 v8, v3, 3, 4
	v_clz_i32_u32_e32 v6, v5
	s_delay_alu instid0(VALU_DEP_2) | instskip(NEXT) | instid1(VALU_DEP_2)
	v_cmp_eq_u32_e32 vcc_lo, 0, v8
	v_min_u32_e32 v6, 32, v6
	s_delay_alu instid0(VALU_DEP_1) | instskip(NEXT) | instid1(VALU_DEP_1)
	v_subrev_nc_u32_e32 v7, 28, v6
	v_dual_lshlrev_b32 v3, v7, v3 :: v_dual_sub_nc_u32 v6, 29, v6
	s_delay_alu instid0(VALU_DEP_1) | instskip(NEXT) | instid1(VALU_DEP_1)
	v_dual_lshlrev_b32 v4, 24, v4 :: v_dual_bitop2_b32 v3, 7, v3 bitop3:0x40
	v_dual_cndmask_b32 v6, v8, v6 :: v_dual_cndmask_b32 v3, v5, v3
	s_delay_alu instid0(VALU_DEP_2) | instskip(NEXT) | instid1(VALU_DEP_2)
	v_and_b32_e32 v4, 0x80000000, v4
	v_lshl_add_u32 v5, v6, 23, 0x3b800000
	s_delay_alu instid0(VALU_DEP_3) | instskip(NEXT) | instid1(VALU_DEP_1)
	v_lshlrev_b32_e32 v3, 20, v3
	v_or3_b32 v3, v4, v5, v3
	s_delay_alu instid0(VALU_DEP_1)
	v_cvt_i32_f32_e32 v3, v3
.LBB22_937:
	s_or_b32 exec_lo, exec_lo, s28
.LBB22_938:
	s_mov_b32 s28, -1
.LBB22_939:
	s_mov_b32 s29, 0
.LBB22_940:
	s_delay_alu instid0(SALU_CYCLE_1)
	s_and_b32 vcc_lo, exec_lo, s29
	s_cbranch_vccz .LBB22_973
; %bb.941:
	s_cmp_gt_i32 s27, 22
	s_cbranch_scc0 .LBB22_949
; %bb.942:
	s_cmp_lt_i32 s27, 24
	s_cbranch_scc1 .LBB22_952
; %bb.943:
	s_cmp_gt_i32 s27, 24
	s_cbranch_scc0 .LBB22_953
; %bb.944:
	global_load_u8 v4, v[0:1], off
	s_mov_b32 s29, 0
	s_mov_b32 s28, exec_lo
	s_wait_loadcnt 0x0
	v_cmpx_lt_i16_e32 0x7f, v4
	s_xor_b32 s28, exec_lo, s28
	s_cbranch_execz .LBB22_965
; %bb.945:
	v_cmp_ne_u16_e32 vcc_lo, 0x80, v4
	s_and_b32 s29, vcc_lo, exec_lo
	s_and_not1_saveexec_b32 s28, s28
	s_cbranch_execnz .LBB22_966
.LBB22_946:
	s_or_b32 exec_lo, exec_lo, s28
	v_mov_b32_e32 v3, 0
	s_and_saveexec_b32 s28, s29
	s_cbranch_execz .LBB22_948
.LBB22_947:
	v_and_b32_e32 v3, 0xffff, v4
	s_delay_alu instid0(VALU_DEP_1) | instskip(SKIP_1) | instid1(VALU_DEP_2)
	v_and_b32_e32 v5, 3, v3
	v_bfe_u32 v8, v3, 2, 5
	v_clz_i32_u32_e32 v6, v5
	s_delay_alu instid0(VALU_DEP_2) | instskip(NEXT) | instid1(VALU_DEP_2)
	v_cmp_eq_u32_e32 vcc_lo, 0, v8
	v_min_u32_e32 v6, 32, v6
	s_delay_alu instid0(VALU_DEP_1) | instskip(NEXT) | instid1(VALU_DEP_1)
	v_subrev_nc_u32_e32 v7, 29, v6
	v_dual_lshlrev_b32 v3, v7, v3 :: v_dual_sub_nc_u32 v6, 30, v6
	s_delay_alu instid0(VALU_DEP_1) | instskip(NEXT) | instid1(VALU_DEP_1)
	v_dual_lshlrev_b32 v4, 24, v4 :: v_dual_bitop2_b32 v3, 3, v3 bitop3:0x40
	v_dual_cndmask_b32 v6, v8, v6 :: v_dual_cndmask_b32 v3, v5, v3
	s_delay_alu instid0(VALU_DEP_2) | instskip(NEXT) | instid1(VALU_DEP_2)
	v_and_b32_e32 v4, 0x80000000, v4
	v_lshl_add_u32 v5, v6, 23, 0x37800000
	s_delay_alu instid0(VALU_DEP_3) | instskip(NEXT) | instid1(VALU_DEP_1)
	v_lshlrev_b32_e32 v3, 21, v3
	v_or3_b32 v3, v4, v5, v3
	s_delay_alu instid0(VALU_DEP_1)
	v_cvt_i32_f32_e32 v3, v3
.LBB22_948:
	s_or_b32 exec_lo, exec_lo, s28
	s_mov_b32 s28, 0
	s_branch .LBB22_954
.LBB22_949:
	s_mov_b32 s29, -1
                                        ; implicit-def: $vgpr3
	s_branch .LBB22_960
.LBB22_950:
	s_and_not1_saveexec_b32 s28, s28
	s_cbranch_execz .LBB22_935
.LBB22_951:
	v_cmp_ne_u16_e32 vcc_lo, 0, v4
	s_and_not1_b32 s29, s29, exec_lo
	s_and_b32 s30, vcc_lo, exec_lo
	s_delay_alu instid0(SALU_CYCLE_1)
	s_or_b32 s29, s29, s30
	s_or_b32 exec_lo, exec_lo, s28
	v_mov_b32_e32 v3, 0
	s_and_saveexec_b32 s28, s29
	s_cbranch_execnz .LBB22_936
	s_branch .LBB22_937
.LBB22_952:
	s_mov_b32 s28, -1
                                        ; implicit-def: $vgpr3
	s_branch .LBB22_957
.LBB22_953:
	s_mov_b32 s28, -1
                                        ; implicit-def: $vgpr3
.LBB22_954:
	s_delay_alu instid0(SALU_CYCLE_1)
	s_and_b32 vcc_lo, exec_lo, s28
	s_cbranch_vccz .LBB22_956
; %bb.955:
	s_wait_loadcnt 0x0
	global_load_u8 v3, v[0:1], off
	s_wait_loadcnt 0x0
	v_lshlrev_b32_e32 v3, 24, v3
	s_delay_alu instid0(VALU_DEP_1) | instskip(NEXT) | instid1(VALU_DEP_1)
	v_and_b32_e32 v4, 0x7f000000, v3
	v_clz_i32_u32_e32 v5, v4
	v_cmp_ne_u32_e32 vcc_lo, 0, v4
	v_add_nc_u32_e32 v7, 0x1000000, v4
	s_delay_alu instid0(VALU_DEP_3) | instskip(NEXT) | instid1(VALU_DEP_1)
	v_min_u32_e32 v5, 32, v5
	v_sub_nc_u32_e64 v5, v5, 4 clamp
	s_delay_alu instid0(VALU_DEP_1) | instskip(NEXT) | instid1(VALU_DEP_1)
	v_dual_lshlrev_b32 v6, v5, v4 :: v_dual_lshlrev_b32 v5, 23, v5
	v_lshrrev_b32_e32 v6, 4, v6
	s_delay_alu instid0(VALU_DEP_1) | instskip(NEXT) | instid1(VALU_DEP_1)
	v_dual_sub_nc_u32 v5, v6, v5 :: v_dual_ashrrev_i32 v6, 8, v7
	v_add_nc_u32_e32 v5, 0x3c000000, v5
	s_delay_alu instid0(VALU_DEP_1) | instskip(NEXT) | instid1(VALU_DEP_1)
	v_and_or_b32 v5, 0x7f800000, v6, v5
	v_cndmask_b32_e32 v4, 0, v5, vcc_lo
	s_delay_alu instid0(VALU_DEP_1) | instskip(NEXT) | instid1(VALU_DEP_1)
	v_and_or_b32 v3, 0x80000000, v3, v4
	v_cvt_i32_f32_e32 v3, v3
.LBB22_956:
	s_mov_b32 s28, 0
.LBB22_957:
	s_delay_alu instid0(SALU_CYCLE_1)
	s_and_not1_b32 vcc_lo, exec_lo, s28
	s_cbranch_vccnz .LBB22_959
; %bb.958:
	s_wait_loadcnt 0x0
	global_load_u8 v3, v[0:1], off
	s_wait_loadcnt 0x0
	v_lshlrev_b32_e32 v4, 25, v3
	v_lshlrev_b16 v3, 8, v3
	s_delay_alu instid0(VALU_DEP_1) | instskip(SKIP_1) | instid1(VALU_DEP_2)
	v_and_or_b32 v6, 0x7f00, v3, 0.5
	v_bfe_i32 v3, v3, 0, 16
	v_dual_add_f32 v6, -0.5, v6 :: v_dual_lshrrev_b32 v5, 4, v4
	v_cmp_gt_u32_e32 vcc_lo, 0x8000000, v4
	s_delay_alu instid0(VALU_DEP_2) | instskip(NEXT) | instid1(VALU_DEP_1)
	v_or_b32_e32 v5, 0x70000000, v5
	v_mul_f32_e32 v5, 0x7800000, v5
	s_delay_alu instid0(VALU_DEP_1) | instskip(NEXT) | instid1(VALU_DEP_1)
	v_cndmask_b32_e32 v4, v5, v6, vcc_lo
	v_and_or_b32 v3, 0x80000000, v3, v4
	s_delay_alu instid0(VALU_DEP_1)
	v_cvt_i32_f32_e32 v3, v3
.LBB22_959:
	s_mov_b32 s29, 0
	s_mov_b32 s28, -1
.LBB22_960:
	s_and_not1_b32 vcc_lo, exec_lo, s29
	s_cbranch_vccnz .LBB22_973
; %bb.961:
	s_cmp_gt_i32 s27, 14
	s_cbranch_scc0 .LBB22_964
; %bb.962:
	s_cmp_eq_u32 s27, 15
	s_cbranch_scc0 .LBB22_967
; %bb.963:
	s_wait_loadcnt 0x0
	global_load_u16 v3, v[0:1], off
	s_mov_b32 s28, -1
	s_mov_b32 s26, 0
	s_wait_loadcnt 0x0
	v_lshlrev_b32_e32 v3, 16, v3
	s_delay_alu instid0(VALU_DEP_1)
	v_cvt_i32_f32_e32 v3, v3
	s_branch .LBB22_968
.LBB22_964:
	s_mov_b32 s29, -1
                                        ; implicit-def: $vgpr3
	s_branch .LBB22_969
.LBB22_965:
	s_and_not1_saveexec_b32 s28, s28
	s_cbranch_execz .LBB22_946
.LBB22_966:
	v_cmp_ne_u16_e32 vcc_lo, 0, v4
	s_and_not1_b32 s29, s29, exec_lo
	s_and_b32 s30, vcc_lo, exec_lo
	s_delay_alu instid0(SALU_CYCLE_1)
	s_or_b32 s29, s29, s30
	s_or_b32 exec_lo, exec_lo, s28
	v_mov_b32_e32 v3, 0
	s_and_saveexec_b32 s28, s29
	s_cbranch_execnz .LBB22_947
	s_branch .LBB22_948
.LBB22_967:
	s_mov_b32 s26, -1
                                        ; implicit-def: $vgpr3
.LBB22_968:
	s_mov_b32 s29, 0
.LBB22_969:
	s_delay_alu instid0(SALU_CYCLE_1)
	s_and_b32 vcc_lo, exec_lo, s29
	s_cbranch_vccz .LBB22_973
; %bb.970:
	s_cmp_eq_u32 s27, 11
	s_cbranch_scc0 .LBB22_972
; %bb.971:
	s_wait_loadcnt 0x0
	global_load_u8 v3, v[0:1], off
	s_mov_b32 s26, 0
	s_mov_b32 s28, -1
	s_wait_loadcnt 0x0
	v_cmp_ne_u16_e32 vcc_lo, 0, v3
	v_cndmask_b32_e64 v3, 0, 1, vcc_lo
	s_branch .LBB22_973
.LBB22_972:
	s_mov_b32 s26, -1
                                        ; implicit-def: $vgpr3
.LBB22_973:
	s_mov_b32 s27, 0
.LBB22_974:
	s_delay_alu instid0(SALU_CYCLE_1)
	s_and_b32 vcc_lo, exec_lo, s27
	s_cbranch_vccz .LBB22_1023
; %bb.975:
	s_and_b32 s0, 0xffff, s0
	s_delay_alu instid0(SALU_CYCLE_1)
	s_cmp_lt_i32 s0, 5
	s_cbranch_scc1 .LBB22_980
; %bb.976:
	s_cmp_lt_i32 s0, 8
	s_cbranch_scc1 .LBB22_981
; %bb.977:
	;; [unrolled: 3-line block ×3, first 2 shown]
	s_cmp_gt_i32 s0, 9
	s_cbranch_scc0 .LBB22_983
; %bb.979:
	global_load_b64 v[4:5], v[0:1], off
	s_mov_b32 s27, 0
	s_wait_loadcnt 0x0
	v_cvt_i32_f64_e32 v3, v[4:5]
	s_branch .LBB22_984
.LBB22_980:
	s_mov_b32 s27, -1
                                        ; implicit-def: $vgpr3
	s_branch .LBB22_1002
.LBB22_981:
	s_mov_b32 s27, -1
                                        ; implicit-def: $vgpr3
	s_branch .LBB22_990
.LBB22_982:
	s_mov_b32 s27, -1
                                        ; implicit-def: $vgpr3
	s_branch .LBB22_987
.LBB22_983:
	s_mov_b32 s27, -1
                                        ; implicit-def: $vgpr3
.LBB22_984:
	s_delay_alu instid0(SALU_CYCLE_1)
	s_and_not1_b32 vcc_lo, exec_lo, s27
	s_cbranch_vccnz .LBB22_986
; %bb.985:
	s_wait_loadcnt 0x0
	global_load_b32 v3, v[0:1], off
	s_wait_loadcnt 0x0
	v_cvt_i32_f32_e32 v3, v3
.LBB22_986:
	s_mov_b32 s27, 0
.LBB22_987:
	s_delay_alu instid0(SALU_CYCLE_1)
	s_and_not1_b32 vcc_lo, exec_lo, s27
	s_cbranch_vccnz .LBB22_989
; %bb.988:
	s_wait_loadcnt 0x0
	global_load_b32 v3, v[0:1], off
	s_wait_loadcnt 0x0
	v_cvt_f32_f16_e32 v3, v3
	s_delay_alu instid0(VALU_DEP_1)
	v_cvt_i32_f32_e32 v3, v3
.LBB22_989:
	s_mov_b32 s27, 0
.LBB22_990:
	s_delay_alu instid0(SALU_CYCLE_1)
	s_and_not1_b32 vcc_lo, exec_lo, s27
	s_cbranch_vccnz .LBB22_1001
; %bb.991:
	s_cmp_lt_i32 s0, 6
	s_cbranch_scc1 .LBB22_994
; %bb.992:
	s_cmp_gt_i32 s0, 6
	s_cbranch_scc0 .LBB22_995
; %bb.993:
	global_load_b64 v[4:5], v[0:1], off
	s_mov_b32 s27, 0
	s_wait_loadcnt 0x0
	v_cvt_i32_f64_e32 v3, v[4:5]
	s_branch .LBB22_996
.LBB22_994:
	s_mov_b32 s27, -1
                                        ; implicit-def: $vgpr3
	s_branch .LBB22_999
.LBB22_995:
	s_mov_b32 s27, -1
                                        ; implicit-def: $vgpr3
.LBB22_996:
	s_delay_alu instid0(SALU_CYCLE_1)
	s_and_not1_b32 vcc_lo, exec_lo, s27
	s_cbranch_vccnz .LBB22_998
; %bb.997:
	s_wait_loadcnt 0x0
	global_load_b32 v3, v[0:1], off
	s_wait_loadcnt 0x0
	v_cvt_i32_f32_e32 v3, v3
.LBB22_998:
	s_mov_b32 s27, 0
.LBB22_999:
	s_delay_alu instid0(SALU_CYCLE_1)
	s_and_not1_b32 vcc_lo, exec_lo, s27
	s_cbranch_vccnz .LBB22_1001
; %bb.1000:
	s_wait_loadcnt 0x0
	global_load_u16 v3, v[0:1], off
	s_wait_loadcnt 0x0
	v_cvt_f32_f16_e32 v3, v3
	s_delay_alu instid0(VALU_DEP_1)
	v_cvt_i32_f32_e32 v3, v3
.LBB22_1001:
	s_mov_b32 s27, 0
.LBB22_1002:
	s_delay_alu instid0(SALU_CYCLE_1)
	s_and_not1_b32 vcc_lo, exec_lo, s27
	s_cbranch_vccnz .LBB22_1022
; %bb.1003:
	s_cmp_lt_i32 s0, 2
	s_cbranch_scc1 .LBB22_1007
; %bb.1004:
	s_cmp_lt_i32 s0, 3
	s_cbranch_scc1 .LBB22_1008
; %bb.1005:
	s_cmp_gt_i32 s0, 3
	s_cbranch_scc0 .LBB22_1009
; %bb.1006:
	s_wait_loadcnt 0x0
	global_load_b32 v3, v[0:1], off
	s_mov_b32 s27, 0
	s_branch .LBB22_1010
.LBB22_1007:
	s_mov_b32 s27, -1
                                        ; implicit-def: $vgpr3
	s_branch .LBB22_1016
.LBB22_1008:
	s_mov_b32 s27, -1
                                        ; implicit-def: $vgpr3
	s_branch .LBB22_1013
.LBB22_1009:
	s_mov_b32 s27, -1
                                        ; implicit-def: $vgpr3
.LBB22_1010:
	s_delay_alu instid0(SALU_CYCLE_1)
	s_and_not1_b32 vcc_lo, exec_lo, s27
	s_cbranch_vccnz .LBB22_1012
; %bb.1011:
	s_wait_loadcnt 0x0
	global_load_b32 v3, v[0:1], off
.LBB22_1012:
	s_mov_b32 s27, 0
.LBB22_1013:
	s_delay_alu instid0(SALU_CYCLE_1)
	s_and_not1_b32 vcc_lo, exec_lo, s27
	s_cbranch_vccnz .LBB22_1015
; %bb.1014:
	s_wait_loadcnt 0x0
	global_load_i16 v3, v[0:1], off
.LBB22_1015:
	s_mov_b32 s27, 0
.LBB22_1016:
	s_delay_alu instid0(SALU_CYCLE_1)
	s_and_not1_b32 vcc_lo, exec_lo, s27
	s_cbranch_vccnz .LBB22_1022
; %bb.1017:
	s_cmp_gt_i32 s0, 0
	s_mov_b32 s0, 0
	s_cbranch_scc0 .LBB22_1019
; %bb.1018:
	s_wait_loadcnt 0x0
	global_load_i8 v3, v[0:1], off
	s_branch .LBB22_1020
.LBB22_1019:
	s_mov_b32 s0, -1
                                        ; implicit-def: $vgpr3
.LBB22_1020:
	s_delay_alu instid0(SALU_CYCLE_1)
	s_and_not1_b32 vcc_lo, exec_lo, s0
	s_cbranch_vccnz .LBB22_1022
; %bb.1021:
	s_wait_loadcnt 0x0
	global_load_u8 v3, v[0:1], off
.LBB22_1022:
	s_mov_b32 s28, -1
.LBB22_1023:
	s_delay_alu instid0(SALU_CYCLE_1)
	s_and_not1_b32 vcc_lo, exec_lo, s28
	s_cbranch_vccnz .LBB22_1035
; %bb.1024:
	s_wait_loadcnt 0x0
	s_delay_alu instid0(VALU_DEP_1) | instskip(SKIP_2) | instid1(VALU_DEP_1)
	v_sub_nc_u32_e32 v0, 0, v3
	s_mov_b32 s27, 0
	s_mov_b32 s0, exec_lo
	v_max_i32_e32 v0, v3, v0
	v_cmpx_ne_u32_e32 0, v2
	s_cbranch_execz .LBB22_1028
; %bb.1025:
	v_sub_nc_u32_e32 v1, 0, v2
	s_delay_alu instid0(VALU_DEP_1)
	v_max_i32_e32 v2, v2, v1
.LBB22_1026:                            ; =>This Inner Loop Header: Depth=1
	s_delay_alu instid0(VALU_DEP_1) | instskip(NEXT) | instid1(VALU_DEP_1)
	v_mov_b32_e32 v1, v2
	v_cvt_f32_u32_e32 v2, v1
	s_delay_alu instid0(VALU_DEP_1) | instskip(SKIP_1) | instid1(TRANS32_DEP_1)
	v_rcp_iflag_f32_e32 v2, v2
	v_nop
	v_dual_mul_f32 v2, 0x4f7ffffe, v2 :: v_dual_sub_nc_u32 v3, 0, v1
	s_delay_alu instid0(VALU_DEP_1) | instskip(NEXT) | instid1(VALU_DEP_1)
	v_cvt_u32_f32_e32 v2, v2
	v_mul_lo_u32 v3, v3, v2
	s_delay_alu instid0(VALU_DEP_1) | instskip(NEXT) | instid1(VALU_DEP_1)
	v_mul_hi_u32 v3, v2, v3
	v_add_nc_u32_e32 v2, v2, v3
	s_delay_alu instid0(VALU_DEP_1) | instskip(NEXT) | instid1(VALU_DEP_1)
	v_mul_hi_u32 v2, v0, v2
	v_mul_lo_u32 v2, v2, v1
	s_delay_alu instid0(VALU_DEP_1) | instskip(NEXT) | instid1(VALU_DEP_1)
	v_sub_nc_u32_e32 v0, v0, v2
	v_sub_nc_u32_e32 v2, v0, v1
	v_cmp_ge_u32_e32 vcc_lo, v0, v1
	s_delay_alu instid0(VALU_DEP_2) | instskip(NEXT) | instid1(VALU_DEP_1)
	v_cndmask_b32_e32 v0, v0, v2, vcc_lo
	v_sub_nc_u32_e32 v2, v0, v1
	v_cmp_ge_u32_e32 vcc_lo, v0, v1
	s_delay_alu instid0(VALU_DEP_2) | instskip(NEXT) | instid1(VALU_DEP_1)
	v_dual_cndmask_b32 v2, v0, v2, vcc_lo :: v_dual_mov_b32 v0, v1
	v_cmp_eq_u32_e32 vcc_lo, 0, v2
	s_or_b32 s27, vcc_lo, s27
	s_delay_alu instid0(SALU_CYCLE_1)
	s_and_not1_b32 exec_lo, exec_lo, s27
	s_cbranch_execnz .LBB22_1026
; %bb.1027:
	s_or_b32 exec_lo, exec_lo, s27
	v_mov_b32_e32 v0, v1
.LBB22_1028:
	s_or_b32 exec_lo, exec_lo, s0
	v_mul_lo_u32 v2, v10, s8
	s_and_b32 s27, s11, 0xff
	s_delay_alu instid0(SALU_CYCLE_1) | instskip(NEXT) | instid1(VALU_DEP_1)
	s_cmp_lt_i32 s27, 11
	v_ashrrev_i32_e32 v3, 31, v2
	s_delay_alu instid0(VALU_DEP_1)
	v_add_nc_u64_e32 v[2:3], s[4:5], v[2:3]
	s_cbranch_scc1 .LBB22_1036
; %bb.1029:
	s_and_b32 s28, 0xffff, s27
	s_delay_alu instid0(SALU_CYCLE_1)
	s_cmp_gt_i32 s28, 25
	s_cbranch_scc0 .LBB22_1037
; %bb.1030:
	s_cmp_gt_i32 s28, 28
	s_cbranch_scc0 .LBB22_1038
; %bb.1031:
	;; [unrolled: 3-line block ×4, first 2 shown]
	s_mov_b32 s30, 0
	s_mov_b32 s0, -1
	s_cmp_eq_u32 s28, 46
	s_mov_b32 s29, 0
	s_cbranch_scc0 .LBB22_1041
; %bb.1034:
	v_cvt_f32_u32_e32 v1, v0
	s_mov_b32 s29, -1
	s_mov_b32 s0, 0
	s_delay_alu instid0(VALU_DEP_1) | instskip(NEXT) | instid1(VALU_DEP_1)
	v_bfe_u32 v4, v1, 16, 1
	v_add3_u32 v1, v1, v4, 0x7fff
	s_delay_alu instid0(VALU_DEP_1)
	v_lshrrev_b32_e32 v1, 16, v1
	global_store_b32 v[2:3], v1, off
	s_branch .LBB22_1041
.LBB22_1035:
	s_mov_b32 s28, 0
	s_mov_b32 s0, s21
	s_branch .LBB22_1152
.LBB22_1036:
	s_mov_b32 s28, -1
	s_mov_b32 s29, 0
	s_mov_b32 s0, s21
	s_branch .LBB22_1110
.LBB22_1037:
	s_mov_b32 s30, -1
	s_mov_b32 s29, 0
	s_mov_b32 s0, s21
	s_branch .LBB22_1068
.LBB22_1038:
	s_mov_b32 s30, -1
	s_mov_b32 s29, 0
	s_mov_b32 s0, s21
	s_branch .LBB22_1051
.LBB22_1039:
	s_mov_b32 s30, -1
	s_mov_b32 s29, 0
	s_mov_b32 s0, s21
	s_branch .LBB22_1047
.LBB22_1040:
	s_mov_b32 s30, -1
	s_mov_b32 s29, 0
	s_mov_b32 s0, s21
.LBB22_1041:
	s_and_b32 vcc_lo, exec_lo, s30
	s_cbranch_vccz .LBB22_1046
; %bb.1042:
	s_cmp_eq_u32 s28, 44
	s_mov_b32 s0, -1
	s_cbranch_scc0 .LBB22_1046
; %bb.1043:
	v_cvt_f32_u32_e32 v5, v0
	s_mov_b32 s29, exec_lo
	s_wait_xcnt 0x0
	s_delay_alu instid0(VALU_DEP_1) | instskip(NEXT) | instid1(VALU_DEP_1)
	v_dual_mov_b32 v4, 0xff :: v_dual_lshrrev_b32 v1, 23, v5
	v_cmpx_ne_u32_e32 0xff, v1
; %bb.1044:
	v_and_b32_e32 v4, 0x400000, v5
	v_and_or_b32 v5, 0x3fffff, v5, v1
	s_delay_alu instid0(VALU_DEP_2) | instskip(NEXT) | instid1(VALU_DEP_2)
	v_cmp_ne_u32_e32 vcc_lo, 0, v4
	v_cmp_ne_u32_e64 s0, 0, v5
	s_and_b32 s0, vcc_lo, s0
	s_delay_alu instid0(SALU_CYCLE_1) | instskip(NEXT) | instid1(VALU_DEP_1)
	v_cndmask_b32_e64 v4, 0, 1, s0
	v_add_nc_u32_e32 v4, v1, v4
; %bb.1045:
	s_or_b32 exec_lo, exec_lo, s29
	s_mov_b32 s29, -1
	s_mov_b32 s0, 0
	global_store_b8 v[2:3], v4, off
.LBB22_1046:
	s_mov_b32 s30, 0
.LBB22_1047:
	s_delay_alu instid0(SALU_CYCLE_1)
	s_and_b32 vcc_lo, exec_lo, s30
	s_cbranch_vccz .LBB22_1050
; %bb.1048:
	s_cmp_eq_u32 s28, 29
	s_mov_b32 s0, -1
	s_cbranch_scc0 .LBB22_1050
; %bb.1049:
	s_wait_xcnt 0x0
	v_mov_b32_e32 v1, 0
	s_mov_b32 s29, -1
	s_mov_b32 s0, 0
	s_mov_b32 s30, 0
	global_store_b64 v[2:3], v[0:1], off
	s_branch .LBB22_1051
.LBB22_1050:
	s_mov_b32 s30, 0
.LBB22_1051:
	s_delay_alu instid0(SALU_CYCLE_1)
	s_and_b32 vcc_lo, exec_lo, s30
	s_cbranch_vccz .LBB22_1067
; %bb.1052:
	s_cmp_lt_i32 s28, 27
	s_mov_b32 s29, -1
	s_cbranch_scc1 .LBB22_1058
; %bb.1053:
	s_cmp_gt_i32 s28, 27
	s_cbranch_scc0 .LBB22_1055
; %bb.1054:
	s_mov_b32 s29, 0
	global_store_b32 v[2:3], v0, off
.LBB22_1055:
	s_and_not1_b32 vcc_lo, exec_lo, s29
	s_cbranch_vccnz .LBB22_1057
; %bb.1056:
	global_store_b16 v[2:3], v0, off
.LBB22_1057:
	s_mov_b32 s29, 0
.LBB22_1058:
	s_delay_alu instid0(SALU_CYCLE_1)
	s_and_not1_b32 vcc_lo, exec_lo, s29
	s_cbranch_vccnz .LBB22_1066
; %bb.1059:
	s_wait_xcnt 0x0
	v_cvt_f32_u32_e32 v4, v0
	v_mov_b32_e32 v5, 0x80
	s_mov_b32 s29, exec_lo
	s_delay_alu instid0(VALU_DEP_2)
	v_cmpx_gt_u32_e32 0x43800000, v4
	s_cbranch_execz .LBB22_1065
; %bb.1060:
	s_mov_b32 s30, 0
	s_mov_b32 s31, exec_lo
                                        ; implicit-def: $vgpr1
	v_cmpx_lt_u32_e32 0x3bffffff, v4
	s_xor_b32 s31, exec_lo, s31
	s_cbranch_execz .LBB22_1168
; %bb.1061:
	v_bfe_u32 v1, v4, 20, 1
	s_mov_b32 s30, exec_lo
	s_delay_alu instid0(VALU_DEP_1) | instskip(NEXT) | instid1(VALU_DEP_1)
	v_add3_u32 v1, v4, v1, 0x487ffff
                                        ; implicit-def: $vgpr4
	v_lshrrev_b32_e32 v1, 20, v1
	s_and_not1_saveexec_b32 s31, s31
	s_cbranch_execnz .LBB22_1169
.LBB22_1062:
	s_or_b32 exec_lo, exec_lo, s31
	v_mov_b32_e32 v5, 0
	s_and_saveexec_b32 s31, s30
.LBB22_1063:
	v_mov_b32_e32 v5, v1
.LBB22_1064:
	s_or_b32 exec_lo, exec_lo, s31
.LBB22_1065:
	s_delay_alu instid0(SALU_CYCLE_1)
	s_or_b32 exec_lo, exec_lo, s29
	global_store_b8 v[2:3], v5, off
.LBB22_1066:
	s_mov_b32 s29, -1
.LBB22_1067:
	s_mov_b32 s30, 0
.LBB22_1068:
	s_delay_alu instid0(SALU_CYCLE_1)
	s_and_b32 vcc_lo, exec_lo, s30
	s_cbranch_vccz .LBB22_1109
; %bb.1069:
	s_cmp_gt_i32 s28, 22
	s_mov_b32 s30, -1
	s_cbranch_scc0 .LBB22_1101
; %bb.1070:
	s_cmp_lt_i32 s28, 24
	s_mov_b32 s29, -1
	s_cbranch_scc1 .LBB22_1090
; %bb.1071:
	s_cmp_gt_i32 s28, 24
	s_cbranch_scc0 .LBB22_1079
; %bb.1072:
	s_wait_xcnt 0x0
	v_cvt_f32_u32_e32 v4, v0
	v_mov_b32_e32 v5, 0x80
	s_mov_b32 s29, exec_lo
	s_delay_alu instid0(VALU_DEP_2)
	v_cmpx_gt_u32_e32 0x47800000, v4
	s_cbranch_execz .LBB22_1078
; %bb.1073:
	s_mov_b32 s30, 0
	s_mov_b32 s31, exec_lo
                                        ; implicit-def: $vgpr1
	v_cmpx_lt_u32_e32 0x37ffffff, v4
	s_xor_b32 s31, exec_lo, s31
	s_cbranch_execz .LBB22_2179
; %bb.1074:
	v_bfe_u32 v1, v4, 21, 1
	s_mov_b32 s30, exec_lo
	s_delay_alu instid0(VALU_DEP_1) | instskip(NEXT) | instid1(VALU_DEP_1)
	v_add3_u32 v1, v4, v1, 0x88fffff
                                        ; implicit-def: $vgpr4
	v_lshrrev_b32_e32 v1, 21, v1
	s_and_not1_saveexec_b32 s31, s31
	s_cbranch_execnz .LBB22_2180
.LBB22_1075:
	s_or_b32 exec_lo, exec_lo, s31
	v_mov_b32_e32 v5, 0
	s_and_saveexec_b32 s31, s30
.LBB22_1076:
	v_mov_b32_e32 v5, v1
.LBB22_1077:
	s_or_b32 exec_lo, exec_lo, s31
.LBB22_1078:
	s_delay_alu instid0(SALU_CYCLE_1)
	s_or_b32 exec_lo, exec_lo, s29
	s_mov_b32 s29, 0
	global_store_b8 v[2:3], v5, off
.LBB22_1079:
	s_and_b32 vcc_lo, exec_lo, s29
	s_cbranch_vccz .LBB22_1089
; %bb.1080:
	s_wait_xcnt 0x0
	v_cvt_f32_u32_e32 v4, v0
	s_mov_b32 s29, exec_lo
                                        ; implicit-def: $vgpr1
	s_delay_alu instid0(VALU_DEP_1)
	v_cmpx_gt_u32_e32 0x43f00000, v4
	s_xor_b32 s29, exec_lo, s29
	s_cbranch_execz .LBB22_1086
; %bb.1081:
	s_mov_b32 s30, exec_lo
                                        ; implicit-def: $vgpr1
	v_cmpx_lt_u32_e32 0x3c7fffff, v4
	s_xor_b32 s30, exec_lo, s30
; %bb.1082:
	v_bfe_u32 v1, v4, 20, 1
	s_delay_alu instid0(VALU_DEP_1) | instskip(NEXT) | instid1(VALU_DEP_1)
	v_add3_u32 v1, v4, v1, 0x407ffff
	v_and_b32_e32 v4, 0xff00000, v1
	v_lshrrev_b32_e32 v1, 20, v1
	s_delay_alu instid0(VALU_DEP_2) | instskip(NEXT) | instid1(VALU_DEP_2)
	v_cmp_ne_u32_e32 vcc_lo, 0x7f00000, v4
                                        ; implicit-def: $vgpr4
	v_cndmask_b32_e32 v1, 0x7e, v1, vcc_lo
; %bb.1083:
	s_and_not1_saveexec_b32 s30, s30
; %bb.1084:
	v_add_f32_e32 v1, 0x46800000, v4
; %bb.1085:
	s_or_b32 exec_lo, exec_lo, s30
                                        ; implicit-def: $vgpr4
.LBB22_1086:
	s_and_not1_saveexec_b32 s29, s29
; %bb.1087:
	v_mov_b32_e32 v1, 0x7f
	v_cmp_lt_u32_e32 vcc_lo, 0x7f800000, v4
	s_delay_alu instid0(VALU_DEP_2)
	v_cndmask_b32_e32 v1, 0x7e, v1, vcc_lo
; %bb.1088:
	s_or_b32 exec_lo, exec_lo, s29
	global_store_b8 v[2:3], v1, off
.LBB22_1089:
	s_mov_b32 s29, 0
.LBB22_1090:
	s_delay_alu instid0(SALU_CYCLE_1)
	s_and_not1_b32 vcc_lo, exec_lo, s29
	s_cbranch_vccnz .LBB22_1100
; %bb.1091:
	s_wait_xcnt 0x0
	v_cvt_f32_u32_e32 v4, v0
	s_mov_b32 s29, exec_lo
                                        ; implicit-def: $vgpr1
	s_delay_alu instid0(VALU_DEP_1)
	v_cmpx_gt_u32_e32 0x47800000, v4
	s_xor_b32 s29, exec_lo, s29
	s_cbranch_execz .LBB22_1097
; %bb.1092:
	s_mov_b32 s30, exec_lo
                                        ; implicit-def: $vgpr1
	v_cmpx_lt_u32_e32 0x387fffff, v4
	s_xor_b32 s30, exec_lo, s30
; %bb.1093:
	v_bfe_u32 v1, v4, 21, 1
	s_delay_alu instid0(VALU_DEP_1) | instskip(NEXT) | instid1(VALU_DEP_1)
	v_add3_u32 v1, v4, v1, 0x80fffff
                                        ; implicit-def: $vgpr4
	v_lshrrev_b32_e32 v1, 21, v1
; %bb.1094:
	s_and_not1_saveexec_b32 s30, s30
; %bb.1095:
	v_add_f32_e32 v1, 0x43000000, v4
; %bb.1096:
	s_or_b32 exec_lo, exec_lo, s30
                                        ; implicit-def: $vgpr4
.LBB22_1097:
	s_and_not1_saveexec_b32 s29, s29
; %bb.1098:
	v_mov_b32_e32 v1, 0x7f
	v_cmp_lt_u32_e32 vcc_lo, 0x7f800000, v4
	s_delay_alu instid0(VALU_DEP_2)
	v_cndmask_b32_e32 v1, 0x7c, v1, vcc_lo
; %bb.1099:
	s_or_b32 exec_lo, exec_lo, s29
	global_store_b8 v[2:3], v1, off
.LBB22_1100:
	s_mov_b32 s30, 0
	s_mov_b32 s29, -1
.LBB22_1101:
	s_and_not1_b32 vcc_lo, exec_lo, s30
	s_cbranch_vccnz .LBB22_1109
; %bb.1102:
	s_cmp_gt_i32 s28, 14
	s_mov_b32 s30, -1
	s_cbranch_scc0 .LBB22_1106
; %bb.1103:
	s_cmp_eq_u32 s28, 15
	s_mov_b32 s0, -1
	s_cbranch_scc0 .LBB22_1105
; %bb.1104:
	s_wait_xcnt 0x0
	v_cvt_f32_u32_e32 v1, v0
	s_mov_b32 s29, -1
	s_mov_b32 s0, 0
	s_delay_alu instid0(VALU_DEP_1) | instskip(NEXT) | instid1(VALU_DEP_1)
	v_bfe_u32 v4, v1, 16, 1
	v_add3_u32 v1, v1, v4, 0x7fff
	global_store_d16_hi_b16 v[2:3], v1, off
.LBB22_1105:
	s_mov_b32 s30, 0
.LBB22_1106:
	s_delay_alu instid0(SALU_CYCLE_1)
	s_and_b32 vcc_lo, exec_lo, s30
	s_cbranch_vccz .LBB22_1109
; %bb.1107:
	s_cmp_eq_u32 s28, 11
	s_mov_b32 s0, -1
	s_cbranch_scc0 .LBB22_1109
; %bb.1108:
	v_cmp_ne_u32_e32 vcc_lo, 0, v0
	s_mov_b32 s0, 0
	s_mov_b32 s29, -1
	s_wait_xcnt 0x0
	v_cndmask_b32_e64 v1, 0, 1, vcc_lo
	global_store_b8 v[2:3], v1, off
.LBB22_1109:
	s_mov_b32 s28, 0
.LBB22_1110:
	s_delay_alu instid0(SALU_CYCLE_1)
	s_and_b32 vcc_lo, exec_lo, s28
	s_cbranch_vccz .LBB22_1149
; %bb.1111:
	s_and_b32 s27, 0xffff, s27
	s_mov_b32 s28, -1
	s_cmp_lt_i32 s27, 5
	s_cbranch_scc1 .LBB22_1132
; %bb.1112:
	s_cmp_lt_i32 s27, 8
	s_cbranch_scc1 .LBB22_1122
; %bb.1113:
	;; [unrolled: 3-line block ×3, first 2 shown]
	s_cmp_gt_i32 s27, 9
	s_cbranch_scc0 .LBB22_1116
; %bb.1115:
	s_wait_xcnt 0x0
	v_cvt_f64_u32_e32 v[4:5], v0
	v_mov_b32_e32 v6, 0
	s_mov_b32 s28, 0
	s_delay_alu instid0(VALU_DEP_1)
	v_mov_b32_e32 v7, v6
	global_store_b128 v[2:3], v[4:7], off
.LBB22_1116:
	s_and_not1_b32 vcc_lo, exec_lo, s28
	s_cbranch_vccnz .LBB22_1118
; %bb.1117:
	s_wait_xcnt 0x0
	v_cvt_f32_u32_e32 v4, v0
	v_mov_b32_e32 v5, 0
	global_store_b64 v[2:3], v[4:5], off
.LBB22_1118:
	s_mov_b32 s28, 0
.LBB22_1119:
	s_delay_alu instid0(SALU_CYCLE_1)
	s_and_not1_b32 vcc_lo, exec_lo, s28
	s_cbranch_vccnz .LBB22_1121
; %bb.1120:
	s_wait_xcnt 0x0
	v_cvt_f32_u32_e32 v1, v0
	s_delay_alu instid0(VALU_DEP_1) | instskip(NEXT) | instid1(VALU_DEP_1)
	v_cvt_f16_f32_e32 v1, v1
	v_and_b32_e32 v1, 0xffff, v1
	global_store_b32 v[2:3], v1, off
.LBB22_1121:
	s_mov_b32 s28, 0
.LBB22_1122:
	s_delay_alu instid0(SALU_CYCLE_1)
	s_and_not1_b32 vcc_lo, exec_lo, s28
	s_cbranch_vccnz .LBB22_1131
; %bb.1123:
	s_cmp_lt_i32 s27, 6
	s_mov_b32 s28, -1
	s_cbranch_scc1 .LBB22_1129
; %bb.1124:
	s_cmp_gt_i32 s27, 6
	s_cbranch_scc0 .LBB22_1126
; %bb.1125:
	s_wait_xcnt 0x0
	v_cvt_f64_u32_e32 v[4:5], v0
	s_mov_b32 s28, 0
	global_store_b64 v[2:3], v[4:5], off
.LBB22_1126:
	s_and_not1_b32 vcc_lo, exec_lo, s28
	s_cbranch_vccnz .LBB22_1128
; %bb.1127:
	s_wait_xcnt 0x0
	v_cvt_f32_u32_e32 v1, v0
	global_store_b32 v[2:3], v1, off
.LBB22_1128:
	s_mov_b32 s28, 0
.LBB22_1129:
	s_delay_alu instid0(SALU_CYCLE_1)
	s_and_not1_b32 vcc_lo, exec_lo, s28
	s_cbranch_vccnz .LBB22_1131
; %bb.1130:
	s_wait_xcnt 0x0
	v_cvt_f32_u32_e32 v1, v0
	s_delay_alu instid0(VALU_DEP_1)
	v_cvt_f16_f32_e32 v1, v1
	global_store_b16 v[2:3], v1, off
.LBB22_1131:
	s_mov_b32 s28, 0
.LBB22_1132:
	s_delay_alu instid0(SALU_CYCLE_1)
	s_and_not1_b32 vcc_lo, exec_lo, s28
	s_cbranch_vccnz .LBB22_1148
; %bb.1133:
	s_cmp_lt_i32 s27, 2
	s_mov_b32 s28, -1
	s_cbranch_scc1 .LBB22_1143
; %bb.1134:
	s_cmp_lt_i32 s27, 3
	s_cbranch_scc1 .LBB22_1140
; %bb.1135:
	s_cmp_gt_i32 s27, 3
	s_cbranch_scc0 .LBB22_1137
; %bb.1136:
	s_wait_xcnt 0x0
	v_mov_b32_e32 v1, 0
	s_mov_b32 s28, 0
	global_store_b64 v[2:3], v[0:1], off
.LBB22_1137:
	s_and_not1_b32 vcc_lo, exec_lo, s28
	s_cbranch_vccnz .LBB22_1139
; %bb.1138:
	global_store_b32 v[2:3], v0, off
.LBB22_1139:
	s_mov_b32 s28, 0
.LBB22_1140:
	s_delay_alu instid0(SALU_CYCLE_1)
	s_and_not1_b32 vcc_lo, exec_lo, s28
	s_cbranch_vccnz .LBB22_1142
; %bb.1141:
	global_store_b16 v[2:3], v0, off
.LBB22_1142:
	s_mov_b32 s28, 0
.LBB22_1143:
	s_delay_alu instid0(SALU_CYCLE_1)
	s_and_not1_b32 vcc_lo, exec_lo, s28
	s_cbranch_vccnz .LBB22_1148
; %bb.1144:
	s_cmp_gt_i32 s27, 0
	s_mov_b32 s27, -1
	s_cbranch_scc0 .LBB22_1146
; %bb.1145:
	s_mov_b32 s27, 0
	global_store_b8 v[2:3], v0, off
.LBB22_1146:
	s_and_not1_b32 vcc_lo, exec_lo, s27
	s_cbranch_vccnz .LBB22_1148
; %bb.1147:
	global_store_b8 v[2:3], v0, off
.LBB22_1148:
	s_mov_b32 s29, -1
.LBB22_1149:
	s_delay_alu instid0(SALU_CYCLE_1)
	s_and_not1_b32 vcc_lo, exec_lo, s29
	s_cbranch_vccnz .LBB22_1151
; %bb.1150:
	v_add_nc_u32_e32 v10, 0x80, v10
	s_mov_b32 s28, -1
	s_branch .LBB22_1153
.LBB22_1151:
	s_mov_b32 s28, 0
.LBB22_1152:
                                        ; implicit-def: $vgpr10
.LBB22_1153:
	s_and_not1_b32 s27, s21, exec_lo
	s_and_b32 s0, s0, exec_lo
	s_and_b32 s26, s26, exec_lo
	s_or_b32 s27, s27, s0
	s_and_not1_b32 s0, s22, exec_lo
	s_and_not1_b32 s29, s20, exec_lo
	s_and_b32 s25, s25, exec_lo
	s_or_b32 s26, s0, s26
	s_or_b32 s25, s29, s25
	s_or_not1_b32 s31, s28, exec_lo
.LBB22_1154:
	s_wait_xcnt 0x0
	s_or_b32 exec_lo, exec_lo, s24
	s_mov_b32 s28, 0
	s_mov_b32 s29, 0
	;; [unrolled: 1-line block ×3, first 2 shown]
                                        ; implicit-def: $sgpr0
                                        ; implicit-def: $vgpr0_vgpr1
                                        ; implicit-def: $vgpr4
	s_and_saveexec_b32 s24, s31
	s_cbranch_execz .LBB22_1233
; %bb.1155:
	v_cmp_gt_i32_e32 vcc_lo, s16, v10
	s_mov_b32 s31, s25
	s_mov_b32 s33, 0
                                        ; implicit-def: $sgpr0
                                        ; implicit-def: $vgpr0_vgpr1
                                        ; implicit-def: $vgpr4
	s_and_saveexec_b32 s16, vcc_lo
	s_cbranch_execz .LBB22_1232
; %bb.1156:
	v_mul_lo_u32 v0, v10, s9
	s_and_b32 s0, s13, 0xff
	s_delay_alu instid0(SALU_CYCLE_1) | instskip(NEXT) | instid1(VALU_DEP_1)
	s_cmp_lt_i32 s0, 11
	v_ashrrev_i32_e32 v1, 31, v0
	s_delay_alu instid0(VALU_DEP_1)
	v_add_nc_u64_e32 v[0:1], s[6:7], v[0:1]
	s_cbranch_scc1 .LBB22_1163
; %bb.1157:
	s_and_b32 s29, 0xffff, s0
	s_delay_alu instid0(SALU_CYCLE_1)
	s_cmp_gt_i32 s29, 25
	s_cbranch_scc0 .LBB22_1164
; %bb.1158:
	s_cmp_gt_i32 s29, 28
	s_cbranch_scc0 .LBB22_1165
; %bb.1159:
	;; [unrolled: 3-line block ×4, first 2 shown]
	s_cmp_eq_u32 s29, 46
	s_cbranch_scc0 .LBB22_1170
; %bb.1162:
	s_wait_loadcnt 0x0
	global_load_b32 v2, v[0:1], off
	s_mov_b32 s31, -1
	s_wait_loadcnt 0x0
	v_lshlrev_b32_e32 v2, 16, v2
	s_delay_alu instid0(VALU_DEP_1)
	v_cvt_i32_f32_e32 v4, v2
	s_branch .LBB22_1172
.LBB22_1163:
	s_mov_b32 s29, -1
	s_mov_b32 s31, 0
	s_mov_b32 s28, s25
                                        ; implicit-def: $vgpr4
	s_branch .LBB22_1231
.LBB22_1164:
	s_mov_b32 s33, -1
	s_mov_b32 s31, 0
	s_mov_b32 s28, s25
                                        ; implicit-def: $vgpr4
	s_branch .LBB22_1199
.LBB22_1165:
	s_mov_b32 s33, -1
	s_mov_b32 s31, 0
	s_mov_b32 s28, s25
                                        ; implicit-def: $vgpr4
	s_branch .LBB22_1182
.LBB22_1166:
	s_mov_b32 s33, -1
	s_mov_b32 s31, 0
	s_mov_b32 s28, s25
                                        ; implicit-def: $vgpr4
	s_branch .LBB22_1177
.LBB22_1167:
	s_mov_b32 s33, -1
	s_mov_b32 s31, 0
	s_mov_b32 s28, s25
	s_branch .LBB22_1171
.LBB22_1168:
	s_and_not1_saveexec_b32 s31, s31
	s_cbranch_execz .LBB22_1062
.LBB22_1169:
	v_add_f32_e32 v1, 0x46000000, v4
	s_and_not1_b32 s30, s30, exec_lo
	s_delay_alu instid0(VALU_DEP_1) | instskip(NEXT) | instid1(VALU_DEP_1)
	v_and_b32_e32 v1, 0xff, v1
	v_cmp_ne_u32_e32 vcc_lo, 0, v1
	s_and_b32 s33, vcc_lo, exec_lo
	s_delay_alu instid0(SALU_CYCLE_1)
	s_or_b32 s30, s30, s33
	s_or_b32 exec_lo, exec_lo, s31
	v_mov_b32_e32 v5, 0
	s_and_saveexec_b32 s31, s30
	s_cbranch_execnz .LBB22_1063
	s_branch .LBB22_1064
.LBB22_1170:
	s_mov_b32 s28, -1
	s_mov_b32 s31, 0
.LBB22_1171:
                                        ; implicit-def: $vgpr4
.LBB22_1172:
	s_and_b32 vcc_lo, exec_lo, s33
	s_cbranch_vccz .LBB22_1176
; %bb.1173:
	s_cmp_eq_u32 s29, 44
	s_cbranch_scc0 .LBB22_1175
; %bb.1174:
	s_wait_loadcnt 0x0
	global_load_u8 v2, v[0:1], off
	s_mov_b32 s28, 0
	s_mov_b32 s31, -1
	s_wait_loadcnt 0x0
	v_lshlrev_b32_e32 v3, 23, v2
	v_cmp_ne_u32_e32 vcc_lo, 0, v2
	s_delay_alu instid0(VALU_DEP_2) | instskip(NEXT) | instid1(VALU_DEP_1)
	v_cvt_i32_f32_e32 v3, v3
	v_cndmask_b32_e32 v4, 0, v3, vcc_lo
	s_branch .LBB22_1176
.LBB22_1175:
	s_mov_b32 s28, -1
                                        ; implicit-def: $vgpr4
.LBB22_1176:
	s_mov_b32 s33, 0
.LBB22_1177:
	s_delay_alu instid0(SALU_CYCLE_1)
	s_and_b32 vcc_lo, exec_lo, s33
	s_cbranch_vccz .LBB22_1181
; %bb.1178:
	s_cmp_eq_u32 s29, 29
	s_cbranch_scc0 .LBB22_1180
; %bb.1179:
	global_load_b32 v4, v[0:1], off
	s_mov_b32 s28, 0
	s_mov_b32 s31, -1
	s_branch .LBB22_1181
.LBB22_1180:
	s_mov_b32 s28, -1
                                        ; implicit-def: $vgpr4
.LBB22_1181:
	s_mov_b32 s33, 0
.LBB22_1182:
	s_delay_alu instid0(SALU_CYCLE_1)
	s_and_b32 vcc_lo, exec_lo, s33
	s_cbranch_vccz .LBB22_1198
; %bb.1183:
	s_cmp_lt_i32 s29, 27
	s_cbranch_scc1 .LBB22_1186
; %bb.1184:
	s_cmp_gt_i32 s29, 27
	s_cbranch_scc0 .LBB22_1187
; %bb.1185:
	s_wait_loadcnt 0x0
	global_load_b32 v4, v[0:1], off
	s_mov_b32 s31, 0
	s_branch .LBB22_1188
.LBB22_1186:
	s_mov_b32 s31, -1
                                        ; implicit-def: $vgpr4
	s_branch .LBB22_1191
.LBB22_1187:
	s_mov_b32 s31, -1
                                        ; implicit-def: $vgpr4
.LBB22_1188:
	s_delay_alu instid0(SALU_CYCLE_1)
	s_and_not1_b32 vcc_lo, exec_lo, s31
	s_cbranch_vccnz .LBB22_1190
; %bb.1189:
	s_wait_loadcnt 0x0
	global_load_u16 v4, v[0:1], off
.LBB22_1190:
	s_mov_b32 s31, 0
.LBB22_1191:
	s_delay_alu instid0(SALU_CYCLE_1)
	s_and_not1_b32 vcc_lo, exec_lo, s31
	s_cbranch_vccnz .LBB22_1197
; %bb.1192:
	s_wait_loadcnt 0x0
	global_load_u8 v2, v[0:1], off
	s_mov_b32 s33, 0
	s_mov_b32 s31, exec_lo
	s_wait_loadcnt 0x0
	v_cmpx_lt_i16_e32 0x7f, v2
	s_xor_b32 s31, exec_lo, s31
	s_cbranch_execz .LBB22_1209
; %bb.1193:
	v_cmp_ne_u16_e32 vcc_lo, 0x80, v2
	s_and_b32 s33, vcc_lo, exec_lo
	s_and_not1_saveexec_b32 s31, s31
	s_cbranch_execnz .LBB22_1210
.LBB22_1194:
	s_or_b32 exec_lo, exec_lo, s31
	v_mov_b32_e32 v4, 0
	s_and_saveexec_b32 s31, s33
	s_cbranch_execz .LBB22_1196
.LBB22_1195:
	v_and_b32_e32 v3, 0xffff, v2
	s_delay_alu instid0(VALU_DEP_1) | instskip(SKIP_1) | instid1(VALU_DEP_2)
	v_and_b32_e32 v4, 7, v3
	v_bfe_u32 v7, v3, 3, 4
	v_clz_i32_u32_e32 v5, v4
	s_delay_alu instid0(VALU_DEP_2) | instskip(NEXT) | instid1(VALU_DEP_2)
	v_cmp_eq_u32_e32 vcc_lo, 0, v7
	v_min_u32_e32 v5, 32, v5
	s_delay_alu instid0(VALU_DEP_1) | instskip(NEXT) | instid1(VALU_DEP_1)
	v_subrev_nc_u32_e32 v6, 28, v5
	v_dual_lshlrev_b32 v3, v6, v3 :: v_dual_sub_nc_u32 v5, 29, v5
	s_delay_alu instid0(VALU_DEP_1) | instskip(NEXT) | instid1(VALU_DEP_1)
	v_dual_lshlrev_b32 v2, 24, v2 :: v_dual_bitop2_b32 v3, 7, v3 bitop3:0x40
	v_dual_cndmask_b32 v5, v7, v5, vcc_lo :: v_dual_cndmask_b32 v3, v4, v3, vcc_lo
	s_delay_alu instid0(VALU_DEP_2) | instskip(NEXT) | instid1(VALU_DEP_2)
	v_and_b32_e32 v2, 0x80000000, v2
	v_lshl_add_u32 v4, v5, 23, 0x3b800000
	s_delay_alu instid0(VALU_DEP_3) | instskip(NEXT) | instid1(VALU_DEP_1)
	v_lshlrev_b32_e32 v3, 20, v3
	v_or3_b32 v2, v2, v4, v3
	s_delay_alu instid0(VALU_DEP_1)
	v_cvt_i32_f32_e32 v4, v2
.LBB22_1196:
	s_or_b32 exec_lo, exec_lo, s31
.LBB22_1197:
	s_mov_b32 s31, -1
.LBB22_1198:
	s_mov_b32 s33, 0
.LBB22_1199:
	s_delay_alu instid0(SALU_CYCLE_1)
	s_and_b32 vcc_lo, exec_lo, s33
	s_cbranch_vccz .LBB22_1230
; %bb.1200:
	s_cmp_gt_i32 s29, 22
	s_cbranch_scc0 .LBB22_1208
; %bb.1201:
	s_cmp_lt_i32 s29, 24
	s_cbranch_scc1 .LBB22_1211
; %bb.1202:
	s_cmp_gt_i32 s29, 24
	s_cbranch_scc0 .LBB22_1212
; %bb.1203:
	s_wait_loadcnt 0x0
	global_load_u8 v2, v[0:1], off
	s_mov_b32 s31, 0
	s_mov_b32 s30, exec_lo
	s_wait_loadcnt 0x0
	v_cmpx_lt_i16_e32 0x7f, v2
	s_xor_b32 s30, exec_lo, s30
	s_cbranch_execz .LBB22_1224
; %bb.1204:
	v_cmp_ne_u16_e32 vcc_lo, 0x80, v2
	s_and_b32 s31, vcc_lo, exec_lo
	s_and_not1_saveexec_b32 s30, s30
	s_cbranch_execnz .LBB22_1225
.LBB22_1205:
	s_or_b32 exec_lo, exec_lo, s30
	v_mov_b32_e32 v4, 0
	s_and_saveexec_b32 s30, s31
	s_cbranch_execz .LBB22_1207
.LBB22_1206:
	v_and_b32_e32 v3, 0xffff, v2
	s_delay_alu instid0(VALU_DEP_1) | instskip(SKIP_1) | instid1(VALU_DEP_2)
	v_and_b32_e32 v4, 3, v3
	v_bfe_u32 v7, v3, 2, 5
	v_clz_i32_u32_e32 v5, v4
	s_delay_alu instid0(VALU_DEP_2) | instskip(NEXT) | instid1(VALU_DEP_2)
	v_cmp_eq_u32_e32 vcc_lo, 0, v7
	v_min_u32_e32 v5, 32, v5
	s_delay_alu instid0(VALU_DEP_1) | instskip(NEXT) | instid1(VALU_DEP_1)
	v_subrev_nc_u32_e32 v6, 29, v5
	v_dual_lshlrev_b32 v3, v6, v3 :: v_dual_sub_nc_u32 v5, 30, v5
	s_delay_alu instid0(VALU_DEP_1) | instskip(NEXT) | instid1(VALU_DEP_1)
	v_dual_lshlrev_b32 v2, 24, v2 :: v_dual_bitop2_b32 v3, 3, v3 bitop3:0x40
	v_dual_cndmask_b32 v5, v7, v5, vcc_lo :: v_dual_cndmask_b32 v3, v4, v3, vcc_lo
	s_delay_alu instid0(VALU_DEP_2) | instskip(NEXT) | instid1(VALU_DEP_2)
	v_and_b32_e32 v2, 0x80000000, v2
	v_lshl_add_u32 v4, v5, 23, 0x37800000
	s_delay_alu instid0(VALU_DEP_3) | instskip(NEXT) | instid1(VALU_DEP_1)
	v_lshlrev_b32_e32 v3, 21, v3
	v_or3_b32 v2, v2, v4, v3
	s_delay_alu instid0(VALU_DEP_1)
	v_cvt_i32_f32_e32 v4, v2
.LBB22_1207:
	s_or_b32 exec_lo, exec_lo, s30
	s_mov_b32 s30, 0
	s_branch .LBB22_1213
.LBB22_1208:
	s_mov_b32 s30, -1
                                        ; implicit-def: $vgpr4
	s_branch .LBB22_1219
.LBB22_1209:
	s_and_not1_saveexec_b32 s31, s31
	s_cbranch_execz .LBB22_1194
.LBB22_1210:
	v_cmp_ne_u16_e32 vcc_lo, 0, v2
	s_and_not1_b32 s33, s33, exec_lo
	s_and_b32 s34, vcc_lo, exec_lo
	s_delay_alu instid0(SALU_CYCLE_1)
	s_or_b32 s33, s33, s34
	s_or_b32 exec_lo, exec_lo, s31
	v_mov_b32_e32 v4, 0
	s_and_saveexec_b32 s31, s33
	s_cbranch_execnz .LBB22_1195
	s_branch .LBB22_1196
.LBB22_1211:
	s_mov_b32 s30, -1
                                        ; implicit-def: $vgpr4
	s_branch .LBB22_1216
.LBB22_1212:
	s_mov_b32 s30, -1
                                        ; implicit-def: $vgpr4
.LBB22_1213:
	s_delay_alu instid0(SALU_CYCLE_1)
	s_and_b32 vcc_lo, exec_lo, s30
	s_cbranch_vccz .LBB22_1215
; %bb.1214:
	s_wait_loadcnt 0x0
	global_load_u8 v2, v[0:1], off
	s_wait_loadcnt 0x0
	v_lshlrev_b32_e32 v2, 24, v2
	s_delay_alu instid0(VALU_DEP_1) | instskip(NEXT) | instid1(VALU_DEP_1)
	v_and_b32_e32 v3, 0x7f000000, v2
	v_clz_i32_u32_e32 v4, v3
	v_cmp_ne_u32_e32 vcc_lo, 0, v3
	v_add_nc_u32_e32 v6, 0x1000000, v3
	s_delay_alu instid0(VALU_DEP_3) | instskip(NEXT) | instid1(VALU_DEP_1)
	v_min_u32_e32 v4, 32, v4
	v_sub_nc_u32_e64 v4, v4, 4 clamp
	s_delay_alu instid0(VALU_DEP_1) | instskip(NEXT) | instid1(VALU_DEP_1)
	v_dual_lshlrev_b32 v5, v4, v3 :: v_dual_lshlrev_b32 v4, 23, v4
	v_lshrrev_b32_e32 v5, 4, v5
	s_delay_alu instid0(VALU_DEP_1) | instskip(NEXT) | instid1(VALU_DEP_1)
	v_dual_sub_nc_u32 v4, v5, v4 :: v_dual_ashrrev_i32 v5, 8, v6
	v_add_nc_u32_e32 v4, 0x3c000000, v4
	s_delay_alu instid0(VALU_DEP_1) | instskip(NEXT) | instid1(VALU_DEP_1)
	v_and_or_b32 v4, 0x7f800000, v5, v4
	v_cndmask_b32_e32 v3, 0, v4, vcc_lo
	s_delay_alu instid0(VALU_DEP_1) | instskip(NEXT) | instid1(VALU_DEP_1)
	v_and_or_b32 v2, 0x80000000, v2, v3
	v_cvt_i32_f32_e32 v4, v2
.LBB22_1215:
	s_mov_b32 s30, 0
.LBB22_1216:
	s_delay_alu instid0(SALU_CYCLE_1)
	s_and_not1_b32 vcc_lo, exec_lo, s30
	s_cbranch_vccnz .LBB22_1218
; %bb.1217:
	s_wait_loadcnt 0x0
	global_load_u8 v2, v[0:1], off
	s_wait_loadcnt 0x0
	v_lshlrev_b32_e32 v3, 25, v2
	v_lshlrev_b16 v2, 8, v2
	s_delay_alu instid0(VALU_DEP_1) | instskip(SKIP_1) | instid1(VALU_DEP_2)
	v_and_or_b32 v5, 0x7f00, v2, 0.5
	v_bfe_i32 v2, v2, 0, 16
	v_dual_add_f32 v5, -0.5, v5 :: v_dual_lshrrev_b32 v4, 4, v3
	v_cmp_gt_u32_e32 vcc_lo, 0x8000000, v3
	s_delay_alu instid0(VALU_DEP_2) | instskip(NEXT) | instid1(VALU_DEP_1)
	v_or_b32_e32 v4, 0x70000000, v4
	v_mul_f32_e32 v4, 0x7800000, v4
	s_delay_alu instid0(VALU_DEP_1) | instskip(NEXT) | instid1(VALU_DEP_1)
	v_cndmask_b32_e32 v3, v4, v5, vcc_lo
	v_and_or_b32 v2, 0x80000000, v2, v3
	s_delay_alu instid0(VALU_DEP_1)
	v_cvt_i32_f32_e32 v4, v2
.LBB22_1218:
	s_mov_b32 s30, 0
	s_mov_b32 s31, -1
.LBB22_1219:
	s_and_not1_b32 vcc_lo, exec_lo, s30
	s_mov_b32 s30, 0
	s_cbranch_vccnz .LBB22_1230
; %bb.1220:
	s_cmp_gt_i32 s29, 14
	s_cbranch_scc0 .LBB22_1223
; %bb.1221:
	s_cmp_eq_u32 s29, 15
	s_cbranch_scc0 .LBB22_1226
; %bb.1222:
	s_wait_loadcnt 0x0
	global_load_u16 v2, v[0:1], off
	s_mov_b32 s28, 0
	s_mov_b32 s31, -1
	s_wait_loadcnt 0x0
	v_lshlrev_b32_e32 v2, 16, v2
	s_delay_alu instid0(VALU_DEP_1)
	v_cvt_i32_f32_e32 v4, v2
	s_branch .LBB22_1228
.LBB22_1223:
	s_mov_b32 s30, -1
	s_branch .LBB22_1227
.LBB22_1224:
	s_and_not1_saveexec_b32 s30, s30
	s_cbranch_execz .LBB22_1205
.LBB22_1225:
	v_cmp_ne_u16_e32 vcc_lo, 0, v2
	s_and_not1_b32 s31, s31, exec_lo
	s_and_b32 s33, vcc_lo, exec_lo
	s_delay_alu instid0(SALU_CYCLE_1)
	s_or_b32 s31, s31, s33
	s_or_b32 exec_lo, exec_lo, s30
	v_mov_b32_e32 v4, 0
	s_and_saveexec_b32 s30, s31
	s_cbranch_execnz .LBB22_1206
	s_branch .LBB22_1207
.LBB22_1226:
	s_mov_b32 s28, -1
.LBB22_1227:
                                        ; implicit-def: $vgpr4
.LBB22_1228:
	s_and_b32 vcc_lo, exec_lo, s30
	s_mov_b32 s30, 0
	s_cbranch_vccz .LBB22_1230
; %bb.1229:
	s_cmp_lg_u32 s29, 11
	s_mov_b32 s30, -1
	s_cselect_b32 s29, -1, 0
	s_and_not1_b32 s28, s28, exec_lo
	s_and_b32 s29, s29, exec_lo
	s_delay_alu instid0(SALU_CYCLE_1)
	s_or_b32 s28, s28, s29
.LBB22_1230:
	s_mov_b32 s29, 0
.LBB22_1231:
	s_and_b32 s33, s31, exec_lo
	s_and_not1_b32 s31, s25, exec_lo
	s_and_b32 s34, s28, exec_lo
	s_and_b32 s29, s29, exec_lo
	;; [unrolled: 1-line block ×3, first 2 shown]
	s_or_b32 s31, s31, s34
.LBB22_1232:
	s_wait_xcnt 0x0
	s_or_b32 exec_lo, exec_lo, s16
	s_delay_alu instid0(SALU_CYCLE_1)
	s_and_not1_b32 s16, s25, exec_lo
	s_and_b32 s25, s31, exec_lo
	s_and_b32 s30, s33, exec_lo
	;; [unrolled: 1-line block ×4, first 2 shown]
	s_or_b32 s25, s16, s25
.LBB22_1233:
	s_or_b32 exec_lo, exec_lo, s24
	s_delay_alu instid0(SALU_CYCLE_1)
	s_and_not1_b32 s16, s21, exec_lo
	s_and_b32 s21, s27, exec_lo
	s_and_not1_b32 s22, s22, exec_lo
	s_and_b32 s24, s26, exec_lo
	s_or_b32 s21, s16, s21
	s_and_not1_b32 s16, s20, exec_lo
	s_and_b32 s20, s25, exec_lo
	s_or_b32 s22, s22, s24
	s_and_b32 s27, s30, exec_lo
	s_and_b32 s26, s29, exec_lo
	;; [unrolled: 1-line block ×3, first 2 shown]
	s_or_b32 s20, s16, s20
.LBB22_1234:
	s_or_b32 exec_lo, exec_lo, s23
	s_delay_alu instid0(SALU_CYCLE_1)
	s_and_not1_b32 s15, s15, exec_lo
	s_and_b32 s16, s21, exec_lo
	s_and_not1_b32 s17, s17, exec_lo
	s_and_b32 s21, s22, exec_lo
	s_or_b32 s15, s15, s16
	s_and_not1_b32 s16, s18, exec_lo
	s_and_b32 s18, s20, exec_lo
	s_or_b32 s17, s17, s21
	s_and_b32 s21, s27, exec_lo
	s_and_b32 s22, s26, exec_lo
	;; [unrolled: 1-line block ×3, first 2 shown]
	s_or_b32 s18, s16, s18
	s_or_b32 exec_lo, exec_lo, s19
	s_mov_b32 s16, 0
	s_and_saveexec_b32 s19, s18
	s_cbranch_execz .LBB22_388
.LBB22_1235:
	s_mov_b32 s16, exec_lo
	s_and_not1_b32 s20, s20, exec_lo
	s_trap 2
	s_or_b32 exec_lo, exec_lo, s19
	s_and_saveexec_b32 s18, s20
	s_delay_alu instid0(SALU_CYCLE_1)
	s_xor_b32 s18, exec_lo, s18
	s_cbranch_execnz .LBB22_389
.LBB22_1236:
	s_or_b32 exec_lo, exec_lo, s18
	s_and_saveexec_b32 s18, s22
	s_cbranch_execz .LBB22_1282
.LBB22_1237:
	s_sext_i32_i16 s19, s0
	s_delay_alu instid0(SALU_CYCLE_1)
	s_cmp_lt_i32 s19, 5
	s_cbranch_scc1 .LBB22_1242
; %bb.1238:
	s_cmp_lt_i32 s19, 8
	s_cbranch_scc1 .LBB22_1243
; %bb.1239:
	;; [unrolled: 3-line block ×3, first 2 shown]
	s_cmp_gt_i32 s19, 9
	s_cbranch_scc0 .LBB22_1245
; %bb.1241:
	s_wait_loadcnt 0x0
	global_load_b64 v[2:3], v[0:1], off
	s_mov_b32 s19, 0
	s_wait_loadcnt 0x0
	v_cvt_i32_f64_e32 v4, v[2:3]
	s_branch .LBB22_1246
.LBB22_1242:
                                        ; implicit-def: $vgpr4
	s_branch .LBB22_1263
.LBB22_1243:
                                        ; implicit-def: $vgpr4
	s_branch .LBB22_1252
.LBB22_1244:
	s_mov_b32 s19, -1
                                        ; implicit-def: $vgpr4
	s_branch .LBB22_1249
.LBB22_1245:
	s_mov_b32 s19, -1
                                        ; implicit-def: $vgpr4
.LBB22_1246:
	s_delay_alu instid0(SALU_CYCLE_1)
	s_and_not1_b32 vcc_lo, exec_lo, s19
	s_cbranch_vccnz .LBB22_1248
; %bb.1247:
	s_wait_loadcnt 0x0
	global_load_b32 v2, v[0:1], off
	s_wait_loadcnt 0x0
	v_cvt_i32_f32_e32 v4, v2
.LBB22_1248:
	s_mov_b32 s19, 0
.LBB22_1249:
	s_delay_alu instid0(SALU_CYCLE_1)
	s_and_not1_b32 vcc_lo, exec_lo, s19
	s_cbranch_vccnz .LBB22_1251
; %bb.1250:
	s_wait_loadcnt 0x0
	global_load_b32 v2, v[0:1], off
	s_wait_loadcnt 0x0
	v_cvt_f32_f16_e32 v2, v2
	s_delay_alu instid0(VALU_DEP_1)
	v_cvt_i32_f32_e32 v4, v2
.LBB22_1251:
	s_cbranch_execnz .LBB22_1262
.LBB22_1252:
	s_sext_i32_i16 s19, s0
	s_delay_alu instid0(SALU_CYCLE_1)
	s_cmp_lt_i32 s19, 6
	s_cbranch_scc1 .LBB22_1255
; %bb.1253:
	s_cmp_gt_i32 s19, 6
	s_cbranch_scc0 .LBB22_1256
; %bb.1254:
	s_wait_loadcnt 0x0
	global_load_b64 v[2:3], v[0:1], off
	s_mov_b32 s19, 0
	s_wait_loadcnt 0x0
	v_cvt_i32_f64_e32 v4, v[2:3]
	s_branch .LBB22_1257
.LBB22_1255:
	s_mov_b32 s19, -1
                                        ; implicit-def: $vgpr4
	s_branch .LBB22_1260
.LBB22_1256:
	s_mov_b32 s19, -1
                                        ; implicit-def: $vgpr4
.LBB22_1257:
	s_delay_alu instid0(SALU_CYCLE_1)
	s_and_not1_b32 vcc_lo, exec_lo, s19
	s_cbranch_vccnz .LBB22_1259
; %bb.1258:
	s_wait_loadcnt 0x0
	global_load_b32 v2, v[0:1], off
	s_wait_loadcnt 0x0
	v_cvt_i32_f32_e32 v4, v2
.LBB22_1259:
	s_mov_b32 s19, 0
.LBB22_1260:
	s_delay_alu instid0(SALU_CYCLE_1)
	s_and_not1_b32 vcc_lo, exec_lo, s19
	s_cbranch_vccnz .LBB22_1262
; %bb.1261:
	s_wait_loadcnt 0x0
	global_load_u16 v2, v[0:1], off
	s_wait_loadcnt 0x0
	v_cvt_f32_f16_e32 v2, v2
	s_delay_alu instid0(VALU_DEP_1)
	v_cvt_i32_f32_e32 v4, v2
.LBB22_1262:
	s_cbranch_execnz .LBB22_1281
.LBB22_1263:
	s_sext_i32_i16 s19, s0
	s_delay_alu instid0(SALU_CYCLE_1)
	s_cmp_lt_i32 s19, 2
	s_cbranch_scc1 .LBB22_1267
; %bb.1264:
	s_cmp_lt_i32 s19, 3
	s_cbranch_scc1 .LBB22_1268
; %bb.1265:
	s_cmp_gt_i32 s19, 3
	s_cbranch_scc0 .LBB22_1269
; %bb.1266:
	s_wait_loadcnt 0x0
	global_load_b32 v4, v[0:1], off
	s_mov_b32 s19, 0
	s_branch .LBB22_1270
.LBB22_1267:
                                        ; implicit-def: $vgpr4
	s_branch .LBB22_1276
.LBB22_1268:
	s_mov_b32 s19, -1
                                        ; implicit-def: $vgpr4
	s_branch .LBB22_1273
.LBB22_1269:
	s_mov_b32 s19, -1
                                        ; implicit-def: $vgpr4
.LBB22_1270:
	s_delay_alu instid0(SALU_CYCLE_1)
	s_and_not1_b32 vcc_lo, exec_lo, s19
	s_cbranch_vccnz .LBB22_1272
; %bb.1271:
	s_wait_loadcnt 0x0
	global_load_b32 v4, v[0:1], off
.LBB22_1272:
	s_mov_b32 s19, 0
.LBB22_1273:
	s_delay_alu instid0(SALU_CYCLE_1)
	s_and_not1_b32 vcc_lo, exec_lo, s19
	s_cbranch_vccnz .LBB22_1275
; %bb.1274:
	s_wait_loadcnt 0x0
	global_load_i16 v4, v[0:1], off
.LBB22_1275:
	s_cbranch_execnz .LBB22_1281
.LBB22_1276:
	s_sext_i32_i16 s0, s0
	s_delay_alu instid0(SALU_CYCLE_1)
	s_cmp_gt_i32 s0, 0
	s_mov_b32 s0, 0
	s_cbranch_scc0 .LBB22_1278
; %bb.1277:
	s_wait_loadcnt 0x0
	global_load_i8 v4, v[0:1], off
	s_branch .LBB22_1279
.LBB22_1278:
	s_mov_b32 s0, -1
                                        ; implicit-def: $vgpr4
.LBB22_1279:
	s_delay_alu instid0(SALU_CYCLE_1)
	s_and_not1_b32 vcc_lo, exec_lo, s0
	s_cbranch_vccnz .LBB22_1281
; %bb.1280:
	s_wait_loadcnt 0x0
	global_load_u8 v4, v[0:1], off
.LBB22_1281:
	s_or_b32 s21, s21, exec_lo
.LBB22_1282:
	s_wait_xcnt 0x0
	s_or_b32 exec_lo, exec_lo, s18
	s_mov_b32 s19, 0
	s_mov_b32 s22, 0
	;; [unrolled: 1-line block ×3, first 2 shown]
                                        ; implicit-def: $sgpr0
                                        ; implicit-def: $vgpr0_vgpr1
                                        ; implicit-def: $vgpr5
	s_and_saveexec_b32 s18, s21
	s_cbranch_execz .LBB22_1290
; %bb.1283:
	v_mul_lo_u32 v0, v10, s10
	s_and_b32 s0, s1, 0xff
	s_delay_alu instid0(SALU_CYCLE_1) | instskip(NEXT) | instid1(VALU_DEP_1)
	s_cmp_lt_i32 s0, 11
	v_ashrrev_i32_e32 v1, 31, v0
	s_delay_alu instid0(VALU_DEP_1)
	v_add_nc_u64_e32 v[0:1], s[2:3], v[0:1]
	s_cbranch_scc1 .LBB22_1293
; %bb.1284:
	s_and_b32 s20, 0xffff, s0
	s_mov_b32 s21, 0
	s_cmp_gt_i32 s20, 25
	s_cbranch_scc0 .LBB22_1294
; %bb.1285:
	s_cmp_gt_i32 s20, 28
	s_cbranch_scc0 .LBB22_1295
; %bb.1286:
	;; [unrolled: 3-line block ×4, first 2 shown]
	s_cmp_eq_u32 s20, 46
	s_mov_b32 s23, 0
	s_cbranch_scc0 .LBB22_1298
; %bb.1289:
	s_wait_loadcnt 0x0
	global_load_b32 v2, v[0:1], off
	s_mov_b32 s22, -1
	s_wait_loadcnt 0x0
	v_lshlrev_b32_e32 v2, 16, v2
	s_delay_alu instid0(VALU_DEP_1)
	v_cvt_i32_f32_e32 v5, v2
	s_branch .LBB22_1300
.LBB22_1290:
	s_or_b32 exec_lo, exec_lo, s18
	s_and_saveexec_b32 s18, s17
	s_cbranch_execnz .LBB22_1359
.LBB22_1291:
	s_or_b32 exec_lo, exec_lo, s18
	s_and_saveexec_b32 s17, s19
	s_delay_alu instid0(SALU_CYCLE_1)
	s_xor_b32 s17, exec_lo, s17
	s_cbranch_execz .LBB22_1360
.LBB22_1292:
	s_wait_loadcnt 0x0
	global_load_u8 v2, v[0:1], off
	s_or_b32 s20, s20, exec_lo
	s_wait_loadcnt 0x0
	v_cmp_ne_u16_e32 vcc_lo, 0, v2
	v_cndmask_b32_e64 v5, 0, 1, vcc_lo
	s_wait_xcnt 0x0
	s_or_b32 exec_lo, exec_lo, s17
	s_and_saveexec_b32 s17, s22
	s_cbranch_execz .LBB22_1406
	s_branch .LBB22_1361
.LBB22_1293:
	s_mov_b32 s23, -1
	s_mov_b32 s21, 0
	s_mov_b32 s19, s17
                                        ; implicit-def: $vgpr5
	s_branch .LBB22_1358
.LBB22_1294:
	s_mov_b32 s19, s17
                                        ; implicit-def: $vgpr5
	s_cbranch_execnz .LBB22_1327
	s_branch .LBB22_1357
.LBB22_1295:
	s_mov_b32 s23, -1
	s_mov_b32 s19, s17
                                        ; implicit-def: $vgpr5
	s_branch .LBB22_1310
.LBB22_1296:
	s_mov_b32 s23, -1
	s_mov_b32 s19, s17
                                        ; implicit-def: $vgpr5
	s_branch .LBB22_1305
.LBB22_1297:
	s_mov_b32 s23, -1
	s_mov_b32 s19, s17
	s_branch .LBB22_1299
.LBB22_1298:
	s_mov_b32 s19, -1
.LBB22_1299:
                                        ; implicit-def: $vgpr5
.LBB22_1300:
	s_and_b32 vcc_lo, exec_lo, s23
	s_cbranch_vccz .LBB22_1304
; %bb.1301:
	s_cmp_eq_u32 s20, 44
	s_cbranch_scc0 .LBB22_1303
; %bb.1302:
	s_wait_loadcnt 0x0
	global_load_u8 v2, v[0:1], off
	s_mov_b32 s19, 0
	s_mov_b32 s22, -1
	s_wait_loadcnt 0x0
	v_lshlrev_b32_e32 v3, 23, v2
	v_cmp_ne_u32_e32 vcc_lo, 0, v2
	s_delay_alu instid0(VALU_DEP_2) | instskip(NEXT) | instid1(VALU_DEP_1)
	v_cvt_i32_f32_e32 v3, v3
	v_cndmask_b32_e32 v5, 0, v3, vcc_lo
	s_branch .LBB22_1304
.LBB22_1303:
	s_mov_b32 s19, -1
                                        ; implicit-def: $vgpr5
.LBB22_1304:
	s_mov_b32 s23, 0
.LBB22_1305:
	s_delay_alu instid0(SALU_CYCLE_1)
	s_and_b32 vcc_lo, exec_lo, s23
	s_cbranch_vccz .LBB22_1309
; %bb.1306:
	s_cmp_eq_u32 s20, 29
	s_cbranch_scc0 .LBB22_1308
; %bb.1307:
	global_load_b32 v5, v[0:1], off
	s_mov_b32 s19, 0
	s_mov_b32 s22, -1
	s_branch .LBB22_1309
.LBB22_1308:
	s_mov_b32 s19, -1
                                        ; implicit-def: $vgpr5
.LBB22_1309:
	s_mov_b32 s23, 0
.LBB22_1310:
	s_delay_alu instid0(SALU_CYCLE_1)
	s_and_b32 vcc_lo, exec_lo, s23
	s_cbranch_vccz .LBB22_1326
; %bb.1311:
	s_cmp_lt_i32 s20, 27
	s_cbranch_scc1 .LBB22_1314
; %bb.1312:
	s_cmp_gt_i32 s20, 27
	s_cbranch_scc0 .LBB22_1315
; %bb.1313:
	s_wait_loadcnt 0x0
	global_load_b32 v5, v[0:1], off
	s_mov_b32 s22, 0
	s_branch .LBB22_1316
.LBB22_1314:
	s_mov_b32 s22, -1
                                        ; implicit-def: $vgpr5
	s_branch .LBB22_1319
.LBB22_1315:
	s_mov_b32 s22, -1
                                        ; implicit-def: $vgpr5
.LBB22_1316:
	s_delay_alu instid0(SALU_CYCLE_1)
	s_and_not1_b32 vcc_lo, exec_lo, s22
	s_cbranch_vccnz .LBB22_1318
; %bb.1317:
	s_wait_loadcnt 0x0
	global_load_u16 v5, v[0:1], off
.LBB22_1318:
	s_mov_b32 s22, 0
.LBB22_1319:
	s_delay_alu instid0(SALU_CYCLE_1)
	s_and_not1_b32 vcc_lo, exec_lo, s22
	s_cbranch_vccnz .LBB22_1325
; %bb.1320:
	s_wait_loadcnt 0x0
	global_load_u8 v2, v[0:1], off
	s_mov_b32 s23, 0
	s_mov_b32 s22, exec_lo
	s_wait_loadcnt 0x0
	v_cmpx_lt_i16_e32 0x7f, v2
	s_xor_b32 s22, exec_lo, s22
	s_cbranch_execz .LBB22_1336
; %bb.1321:
	v_cmp_ne_u16_e32 vcc_lo, 0x80, v2
	s_and_b32 s23, vcc_lo, exec_lo
	s_and_not1_saveexec_b32 s22, s22
	s_cbranch_execnz .LBB22_1337
.LBB22_1322:
	s_or_b32 exec_lo, exec_lo, s22
	v_mov_b32_e32 v5, 0
	s_and_saveexec_b32 s22, s23
	s_cbranch_execz .LBB22_1324
.LBB22_1323:
	v_and_b32_e32 v3, 0xffff, v2
	s_delay_alu instid0(VALU_DEP_1) | instskip(SKIP_1) | instid1(VALU_DEP_2)
	v_and_b32_e32 v5, 7, v3
	v_bfe_u32 v8, v3, 3, 4
	v_clz_i32_u32_e32 v6, v5
	s_delay_alu instid0(VALU_DEP_2) | instskip(NEXT) | instid1(VALU_DEP_2)
	v_cmp_eq_u32_e32 vcc_lo, 0, v8
	v_min_u32_e32 v6, 32, v6
	s_delay_alu instid0(VALU_DEP_1) | instskip(NEXT) | instid1(VALU_DEP_1)
	v_subrev_nc_u32_e32 v7, 28, v6
	v_dual_lshlrev_b32 v3, v7, v3 :: v_dual_sub_nc_u32 v6, 29, v6
	s_delay_alu instid0(VALU_DEP_1) | instskip(NEXT) | instid1(VALU_DEP_1)
	v_dual_lshlrev_b32 v2, 24, v2 :: v_dual_bitop2_b32 v3, 7, v3 bitop3:0x40
	v_dual_cndmask_b32 v3, v5, v3 :: v_dual_cndmask_b32 v6, v8, v6
	s_delay_alu instid0(VALU_DEP_2) | instskip(NEXT) | instid1(VALU_DEP_2)
	v_and_b32_e32 v2, 0x80000000, v2
	v_lshlrev_b32_e32 v3, 20, v3
	s_delay_alu instid0(VALU_DEP_3) | instskip(NEXT) | instid1(VALU_DEP_1)
	v_lshl_add_u32 v5, v6, 23, 0x3b800000
	v_or3_b32 v2, v2, v5, v3
	s_delay_alu instid0(VALU_DEP_1)
	v_cvt_i32_f32_e32 v5, v2
.LBB22_1324:
	s_or_b32 exec_lo, exec_lo, s22
.LBB22_1325:
	s_mov_b32 s22, -1
.LBB22_1326:
	s_branch .LBB22_1357
.LBB22_1327:
	s_cmp_gt_i32 s20, 22
	s_cbranch_scc0 .LBB22_1335
; %bb.1328:
	s_cmp_lt_i32 s20, 24
	s_cbranch_scc1 .LBB22_1338
; %bb.1329:
	s_cmp_gt_i32 s20, 24
	s_cbranch_scc0 .LBB22_1339
; %bb.1330:
	s_wait_loadcnt 0x0
	global_load_u8 v2, v[0:1], off
	s_mov_b32 s22, 0
	s_mov_b32 s21, exec_lo
	s_wait_loadcnt 0x0
	v_cmpx_lt_i16_e32 0x7f, v2
	s_xor_b32 s21, exec_lo, s21
	s_cbranch_execz .LBB22_1351
; %bb.1331:
	v_cmp_ne_u16_e32 vcc_lo, 0x80, v2
	s_and_b32 s22, vcc_lo, exec_lo
	s_and_not1_saveexec_b32 s21, s21
	s_cbranch_execnz .LBB22_1352
.LBB22_1332:
	s_or_b32 exec_lo, exec_lo, s21
	v_mov_b32_e32 v5, 0
	s_and_saveexec_b32 s21, s22
	s_cbranch_execz .LBB22_1334
.LBB22_1333:
	v_and_b32_e32 v3, 0xffff, v2
	s_delay_alu instid0(VALU_DEP_1) | instskip(SKIP_1) | instid1(VALU_DEP_2)
	v_and_b32_e32 v5, 3, v3
	v_bfe_u32 v8, v3, 2, 5
	v_clz_i32_u32_e32 v6, v5
	s_delay_alu instid0(VALU_DEP_2) | instskip(NEXT) | instid1(VALU_DEP_2)
	v_cmp_eq_u32_e32 vcc_lo, 0, v8
	v_min_u32_e32 v6, 32, v6
	s_delay_alu instid0(VALU_DEP_1) | instskip(NEXT) | instid1(VALU_DEP_1)
	v_subrev_nc_u32_e32 v7, 29, v6
	v_dual_lshlrev_b32 v3, v7, v3 :: v_dual_sub_nc_u32 v6, 30, v6
	s_delay_alu instid0(VALU_DEP_1) | instskip(NEXT) | instid1(VALU_DEP_1)
	v_dual_lshlrev_b32 v2, 24, v2 :: v_dual_bitop2_b32 v3, 3, v3 bitop3:0x40
	v_dual_cndmask_b32 v3, v5, v3 :: v_dual_cndmask_b32 v6, v8, v6
	s_delay_alu instid0(VALU_DEP_2) | instskip(NEXT) | instid1(VALU_DEP_2)
	v_and_b32_e32 v2, 0x80000000, v2
	v_lshlrev_b32_e32 v3, 21, v3
	s_delay_alu instid0(VALU_DEP_3) | instskip(NEXT) | instid1(VALU_DEP_1)
	v_lshl_add_u32 v5, v6, 23, 0x37800000
	v_or3_b32 v2, v2, v5, v3
	s_delay_alu instid0(VALU_DEP_1)
	v_cvt_i32_f32_e32 v5, v2
.LBB22_1334:
	s_or_b32 exec_lo, exec_lo, s21
	s_mov_b32 s21, 0
	s_branch .LBB22_1340
.LBB22_1335:
	s_mov_b32 s21, -1
                                        ; implicit-def: $vgpr5
	s_branch .LBB22_1346
.LBB22_1336:
	s_and_not1_saveexec_b32 s22, s22
	s_cbranch_execz .LBB22_1322
.LBB22_1337:
	v_cmp_ne_u16_e32 vcc_lo, 0, v2
	s_and_not1_b32 s23, s23, exec_lo
	s_and_b32 s24, vcc_lo, exec_lo
	s_delay_alu instid0(SALU_CYCLE_1)
	s_or_b32 s23, s23, s24
	s_or_b32 exec_lo, exec_lo, s22
	v_mov_b32_e32 v5, 0
	s_and_saveexec_b32 s22, s23
	s_cbranch_execnz .LBB22_1323
	s_branch .LBB22_1324
.LBB22_1338:
	s_mov_b32 s21, -1
                                        ; implicit-def: $vgpr5
	s_branch .LBB22_1343
.LBB22_1339:
	s_mov_b32 s21, -1
                                        ; implicit-def: $vgpr5
.LBB22_1340:
	s_delay_alu instid0(SALU_CYCLE_1)
	s_and_b32 vcc_lo, exec_lo, s21
	s_cbranch_vccz .LBB22_1342
; %bb.1341:
	s_wait_loadcnt 0x0
	global_load_u8 v2, v[0:1], off
	s_wait_loadcnt 0x0
	v_lshlrev_b32_e32 v2, 24, v2
	s_delay_alu instid0(VALU_DEP_1) | instskip(NEXT) | instid1(VALU_DEP_1)
	v_and_b32_e32 v3, 0x7f000000, v2
	v_clz_i32_u32_e32 v5, v3
	v_add_nc_u32_e32 v7, 0x1000000, v3
	v_cmp_ne_u32_e32 vcc_lo, 0, v3
	s_delay_alu instid0(VALU_DEP_3) | instskip(NEXT) | instid1(VALU_DEP_1)
	v_min_u32_e32 v5, 32, v5
	v_sub_nc_u32_e64 v5, v5, 4 clamp
	s_delay_alu instid0(VALU_DEP_1) | instskip(NEXT) | instid1(VALU_DEP_1)
	v_dual_lshlrev_b32 v6, v5, v3 :: v_dual_lshlrev_b32 v5, 23, v5
	v_lshrrev_b32_e32 v6, 4, v6
	s_delay_alu instid0(VALU_DEP_1) | instskip(NEXT) | instid1(VALU_DEP_1)
	v_dual_sub_nc_u32 v5, v6, v5 :: v_dual_ashrrev_i32 v6, 8, v7
	v_add_nc_u32_e32 v5, 0x3c000000, v5
	s_delay_alu instid0(VALU_DEP_1) | instskip(NEXT) | instid1(VALU_DEP_1)
	v_and_or_b32 v5, 0x7f800000, v6, v5
	v_cndmask_b32_e32 v3, 0, v5, vcc_lo
	s_delay_alu instid0(VALU_DEP_1) | instskip(NEXT) | instid1(VALU_DEP_1)
	v_and_or_b32 v2, 0x80000000, v2, v3
	v_cvt_i32_f32_e32 v5, v2
.LBB22_1342:
	s_mov_b32 s21, 0
.LBB22_1343:
	s_delay_alu instid0(SALU_CYCLE_1)
	s_and_not1_b32 vcc_lo, exec_lo, s21
	s_cbranch_vccnz .LBB22_1345
; %bb.1344:
	s_wait_loadcnt 0x0
	global_load_u8 v2, v[0:1], off
	s_wait_loadcnt 0x0
	v_lshlrev_b32_e32 v3, 25, v2
	v_lshlrev_b16 v2, 8, v2
	s_delay_alu instid0(VALU_DEP_2) | instskip(NEXT) | instid1(VALU_DEP_2)
	v_cmp_gt_u32_e32 vcc_lo, 0x8000000, v3
	v_and_or_b32 v6, 0x7f00, v2, 0.5
	v_lshrrev_b32_e32 v5, 4, v3
	v_bfe_i32 v2, v2, 0, 16
	s_delay_alu instid0(VALU_DEP_3) | instskip(NEXT) | instid1(VALU_DEP_3)
	v_add_f32_e32 v6, -0.5, v6
	v_or_b32_e32 v5, 0x70000000, v5
	s_delay_alu instid0(VALU_DEP_1) | instskip(NEXT) | instid1(VALU_DEP_1)
	v_mul_f32_e32 v5, 0x7800000, v5
	v_cndmask_b32_e32 v3, v5, v6, vcc_lo
	s_delay_alu instid0(VALU_DEP_1) | instskip(NEXT) | instid1(VALU_DEP_1)
	v_and_or_b32 v2, 0x80000000, v2, v3
	v_cvt_i32_f32_e32 v5, v2
.LBB22_1345:
	s_mov_b32 s21, 0
	s_mov_b32 s22, -1
.LBB22_1346:
	s_and_not1_b32 vcc_lo, exec_lo, s21
	s_mov_b32 s21, 0
	s_cbranch_vccnz .LBB22_1357
; %bb.1347:
	s_cmp_gt_i32 s20, 14
	s_cbranch_scc0 .LBB22_1350
; %bb.1348:
	s_cmp_eq_u32 s20, 15
	s_cbranch_scc0 .LBB22_1353
; %bb.1349:
	s_wait_loadcnt 0x0
	global_load_u16 v2, v[0:1], off
	s_mov_b32 s19, 0
	s_mov_b32 s22, -1
	s_wait_loadcnt 0x0
	v_lshlrev_b32_e32 v2, 16, v2
	s_delay_alu instid0(VALU_DEP_1)
	v_cvt_i32_f32_e32 v5, v2
	s_branch .LBB22_1355
.LBB22_1350:
	s_mov_b32 s21, -1
	s_branch .LBB22_1354
.LBB22_1351:
	s_and_not1_saveexec_b32 s21, s21
	s_cbranch_execz .LBB22_1332
.LBB22_1352:
	v_cmp_ne_u16_e32 vcc_lo, 0, v2
	s_and_not1_b32 s22, s22, exec_lo
	s_and_b32 s23, vcc_lo, exec_lo
	s_delay_alu instid0(SALU_CYCLE_1)
	s_or_b32 s22, s22, s23
	s_or_b32 exec_lo, exec_lo, s21
	v_mov_b32_e32 v5, 0
	s_and_saveexec_b32 s21, s22
	s_cbranch_execnz .LBB22_1333
	s_branch .LBB22_1334
.LBB22_1353:
	s_mov_b32 s19, -1
.LBB22_1354:
                                        ; implicit-def: $vgpr5
.LBB22_1355:
	s_and_b32 vcc_lo, exec_lo, s21
	s_mov_b32 s21, 0
	s_cbranch_vccz .LBB22_1357
; %bb.1356:
	s_cmp_lg_u32 s20, 11
	s_mov_b32 s21, -1
	s_cselect_b32 s20, -1, 0
	s_and_not1_b32 s19, s19, exec_lo
	s_and_b32 s20, s20, exec_lo
	s_delay_alu instid0(SALU_CYCLE_1)
	s_or_b32 s19, s19, s20
.LBB22_1357:
	s_mov_b32 s23, 0
.LBB22_1358:
	s_and_b32 s20, s22, exec_lo
	s_and_b32 s22, s23, exec_lo
	s_and_not1_b32 s17, s17, exec_lo
	s_and_b32 s23, s19, exec_lo
	s_and_b32 s19, s21, exec_lo
	s_or_b32 s17, s17, s23
	s_wait_xcnt 0x0
	s_or_b32 exec_lo, exec_lo, s18
	s_and_saveexec_b32 s18, s17
	s_cbranch_execz .LBB22_1291
.LBB22_1359:
	s_or_b32 s16, s16, exec_lo
	s_and_not1_b32 s19, s19, exec_lo
	s_trap 2
	s_or_b32 exec_lo, exec_lo, s18
	s_and_saveexec_b32 s17, s19
	s_delay_alu instid0(SALU_CYCLE_1)
	s_xor_b32 s17, exec_lo, s17
	s_cbranch_execnz .LBB22_1292
.LBB22_1360:
	s_or_b32 exec_lo, exec_lo, s17
	s_and_saveexec_b32 s17, s22
	s_cbranch_execz .LBB22_1406
.LBB22_1361:
	s_sext_i32_i16 s18, s0
	s_delay_alu instid0(SALU_CYCLE_1)
	s_cmp_lt_i32 s18, 5
	s_cbranch_scc1 .LBB22_1366
; %bb.1362:
	s_cmp_lt_i32 s18, 8
	s_cbranch_scc1 .LBB22_1367
; %bb.1363:
	;; [unrolled: 3-line block ×3, first 2 shown]
	s_cmp_gt_i32 s18, 9
	s_cbranch_scc0 .LBB22_1369
; %bb.1365:
	s_wait_loadcnt 0x0
	global_load_b64 v[2:3], v[0:1], off
	s_mov_b32 s18, 0
	s_wait_loadcnt 0x0
	v_cvt_i32_f64_e32 v5, v[2:3]
	s_branch .LBB22_1370
.LBB22_1366:
                                        ; implicit-def: $vgpr5
	s_branch .LBB22_1387
.LBB22_1367:
                                        ; implicit-def: $vgpr5
	s_branch .LBB22_1376
.LBB22_1368:
	s_mov_b32 s18, -1
                                        ; implicit-def: $vgpr5
	s_branch .LBB22_1373
.LBB22_1369:
	s_mov_b32 s18, -1
                                        ; implicit-def: $vgpr5
.LBB22_1370:
	s_delay_alu instid0(SALU_CYCLE_1)
	s_and_not1_b32 vcc_lo, exec_lo, s18
	s_cbranch_vccnz .LBB22_1372
; %bb.1371:
	s_wait_loadcnt 0x0
	global_load_b32 v2, v[0:1], off
	s_wait_loadcnt 0x0
	v_cvt_i32_f32_e32 v5, v2
.LBB22_1372:
	s_mov_b32 s18, 0
.LBB22_1373:
	s_delay_alu instid0(SALU_CYCLE_1)
	s_and_not1_b32 vcc_lo, exec_lo, s18
	s_cbranch_vccnz .LBB22_1375
; %bb.1374:
	s_wait_loadcnt 0x0
	global_load_b32 v2, v[0:1], off
	s_wait_loadcnt 0x0
	v_cvt_f32_f16_e32 v2, v2
	s_delay_alu instid0(VALU_DEP_1)
	v_cvt_i32_f32_e32 v5, v2
.LBB22_1375:
	s_cbranch_execnz .LBB22_1386
.LBB22_1376:
	s_sext_i32_i16 s18, s0
	s_delay_alu instid0(SALU_CYCLE_1)
	s_cmp_lt_i32 s18, 6
	s_cbranch_scc1 .LBB22_1379
; %bb.1377:
	s_cmp_gt_i32 s18, 6
	s_cbranch_scc0 .LBB22_1380
; %bb.1378:
	s_wait_loadcnt 0x0
	global_load_b64 v[2:3], v[0:1], off
	s_mov_b32 s18, 0
	s_wait_loadcnt 0x0
	v_cvt_i32_f64_e32 v5, v[2:3]
	s_branch .LBB22_1381
.LBB22_1379:
	s_mov_b32 s18, -1
                                        ; implicit-def: $vgpr5
	s_branch .LBB22_1384
.LBB22_1380:
	s_mov_b32 s18, -1
                                        ; implicit-def: $vgpr5
.LBB22_1381:
	s_delay_alu instid0(SALU_CYCLE_1)
	s_and_not1_b32 vcc_lo, exec_lo, s18
	s_cbranch_vccnz .LBB22_1383
; %bb.1382:
	s_wait_loadcnt 0x0
	global_load_b32 v2, v[0:1], off
	s_wait_loadcnt 0x0
	v_cvt_i32_f32_e32 v5, v2
.LBB22_1383:
	s_mov_b32 s18, 0
.LBB22_1384:
	s_delay_alu instid0(SALU_CYCLE_1)
	s_and_not1_b32 vcc_lo, exec_lo, s18
	s_cbranch_vccnz .LBB22_1386
; %bb.1385:
	s_wait_loadcnt 0x0
	global_load_u16 v2, v[0:1], off
	s_wait_loadcnt 0x0
	v_cvt_f32_f16_e32 v2, v2
	s_delay_alu instid0(VALU_DEP_1)
	v_cvt_i32_f32_e32 v5, v2
.LBB22_1386:
	s_cbranch_execnz .LBB22_1405
.LBB22_1387:
	s_sext_i32_i16 s18, s0
	s_delay_alu instid0(SALU_CYCLE_1)
	s_cmp_lt_i32 s18, 2
	s_cbranch_scc1 .LBB22_1391
; %bb.1388:
	s_cmp_lt_i32 s18, 3
	s_cbranch_scc1 .LBB22_1392
; %bb.1389:
	s_cmp_gt_i32 s18, 3
	s_cbranch_scc0 .LBB22_1393
; %bb.1390:
	s_wait_loadcnt 0x0
	global_load_b32 v5, v[0:1], off
	s_mov_b32 s18, 0
	s_branch .LBB22_1394
.LBB22_1391:
                                        ; implicit-def: $vgpr5
	s_branch .LBB22_1400
.LBB22_1392:
	s_mov_b32 s18, -1
                                        ; implicit-def: $vgpr5
	s_branch .LBB22_1397
.LBB22_1393:
	s_mov_b32 s18, -1
                                        ; implicit-def: $vgpr5
.LBB22_1394:
	s_delay_alu instid0(SALU_CYCLE_1)
	s_and_not1_b32 vcc_lo, exec_lo, s18
	s_cbranch_vccnz .LBB22_1396
; %bb.1395:
	s_wait_loadcnt 0x0
	global_load_b32 v5, v[0:1], off
.LBB22_1396:
	s_mov_b32 s18, 0
.LBB22_1397:
	s_delay_alu instid0(SALU_CYCLE_1)
	s_and_not1_b32 vcc_lo, exec_lo, s18
	s_cbranch_vccnz .LBB22_1399
; %bb.1398:
	s_wait_loadcnt 0x0
	global_load_i16 v5, v[0:1], off
.LBB22_1399:
	s_cbranch_execnz .LBB22_1405
.LBB22_1400:
	s_sext_i32_i16 s0, s0
	s_delay_alu instid0(SALU_CYCLE_1)
	s_cmp_gt_i32 s0, 0
	s_mov_b32 s0, 0
	s_cbranch_scc0 .LBB22_1402
; %bb.1401:
	s_wait_loadcnt 0x0
	global_load_i8 v5, v[0:1], off
	s_branch .LBB22_1403
.LBB22_1402:
	s_mov_b32 s0, -1
                                        ; implicit-def: $vgpr5
.LBB22_1403:
	s_delay_alu instid0(SALU_CYCLE_1)
	s_and_not1_b32 vcc_lo, exec_lo, s0
	s_cbranch_vccnz .LBB22_1405
; %bb.1404:
	s_wait_loadcnt 0x0
	global_load_u8 v5, v[0:1], off
.LBB22_1405:
	s_or_b32 s20, s20, exec_lo
.LBB22_1406:
	s_wait_xcnt 0x0
	s_or_b32 exec_lo, exec_lo, s17
	s_mov_b32 s0, 0
	s_mov_b32 s19, 0
                                        ; implicit-def: $sgpr17
                                        ; implicit-def: $vgpr2_vgpr3
                                        ; implicit-def: $vgpr0
	s_and_saveexec_b32 s18, s20
	s_cbranch_execz .LBB22_1418
; %bb.1407:
	s_wait_loadcnt 0x0
	s_delay_alu instid0(VALU_DEP_1) | instskip(SKIP_2) | instid1(VALU_DEP_1)
	v_sub_nc_u32_e32 v0, 0, v5
	s_mov_b32 s17, 0
	s_mov_b32 s0, exec_lo
	v_max_i32_e32 v0, v5, v0
	v_cmpx_ne_u32_e32 0, v4
	s_cbranch_execz .LBB22_1411
; %bb.1408:
	v_sub_nc_u32_e32 v1, 0, v4
	s_delay_alu instid0(VALU_DEP_1)
	v_max_i32_e32 v2, v4, v1
.LBB22_1409:                            ; =>This Inner Loop Header: Depth=1
	s_delay_alu instid0(VALU_DEP_1) | instskip(NEXT) | instid1(VALU_DEP_1)
	v_mov_b32_e32 v1, v2
	v_cvt_f32_u32_e32 v2, v1
	s_delay_alu instid0(VALU_DEP_1) | instskip(SKIP_1) | instid1(TRANS32_DEP_1)
	v_rcp_iflag_f32_e32 v2, v2
	v_nop
	v_dual_mul_f32 v2, 0x4f7ffffe, v2 :: v_dual_sub_nc_u32 v3, 0, v1
	s_delay_alu instid0(VALU_DEP_1) | instskip(NEXT) | instid1(VALU_DEP_1)
	v_cvt_u32_f32_e32 v2, v2
	v_mul_lo_u32 v3, v3, v2
	s_delay_alu instid0(VALU_DEP_1) | instskip(NEXT) | instid1(VALU_DEP_1)
	v_mul_hi_u32 v3, v2, v3
	v_add_nc_u32_e32 v2, v2, v3
	s_delay_alu instid0(VALU_DEP_1) | instskip(NEXT) | instid1(VALU_DEP_1)
	v_mul_hi_u32 v2, v0, v2
	v_mul_lo_u32 v2, v2, v1
	s_delay_alu instid0(VALU_DEP_1) | instskip(NEXT) | instid1(VALU_DEP_1)
	v_sub_nc_u32_e32 v0, v0, v2
	v_sub_nc_u32_e32 v2, v0, v1
	v_cmp_ge_u32_e32 vcc_lo, v0, v1
	s_delay_alu instid0(VALU_DEP_2) | instskip(NEXT) | instid1(VALU_DEP_1)
	v_cndmask_b32_e32 v0, v0, v2, vcc_lo
	v_sub_nc_u32_e32 v2, v0, v1
	v_cmp_ge_u32_e32 vcc_lo, v0, v1
	s_delay_alu instid0(VALU_DEP_2) | instskip(NEXT) | instid1(VALU_DEP_1)
	v_dual_cndmask_b32 v2, v0, v2, vcc_lo :: v_dual_mov_b32 v0, v1
	v_cmp_eq_u32_e32 vcc_lo, 0, v2
	s_or_b32 s17, vcc_lo, s17
	s_delay_alu instid0(SALU_CYCLE_1)
	s_and_not1_b32 exec_lo, exec_lo, s17
	s_cbranch_execnz .LBB22_1409
; %bb.1410:
	s_or_b32 exec_lo, exec_lo, s17
	v_mov_b32_e32 v0, v1
.LBB22_1411:
	s_or_b32 exec_lo, exec_lo, s0
	v_mul_lo_u32 v2, v10, s8
	s_and_b32 s17, s11, 0xff
	s_delay_alu instid0(SALU_CYCLE_1) | instskip(NEXT) | instid1(VALU_DEP_1)
	s_cmp_lt_i32 s17, 11
	v_ashrrev_i32_e32 v3, 31, v2
	s_delay_alu instid0(VALU_DEP_1)
	v_add_nc_u64_e32 v[2:3], s[4:5], v[2:3]
	s_cbranch_scc1 .LBB22_1421
; %bb.1412:
	s_and_b32 s19, 0xffff, s17
	s_mov_b32 s20, -1
	s_cmp_gt_i32 s19, 25
	s_mov_b32 s0, s15
	s_cbranch_scc0 .LBB22_1449
; %bb.1413:
	s_cmp_gt_i32 s19, 28
	s_mov_b32 s0, s15
	s_cbranch_scc0 .LBB22_1433
; %bb.1414:
	;; [unrolled: 4-line block ×4, first 2 shown]
	s_cmp_eq_u32 s19, 46
	s_mov_b32 s0, -1
	s_cbranch_scc0 .LBB22_1422
; %bb.1417:
	v_cvt_f32_u32_e32 v1, v0
	s_mov_b32 s0, 0
	s_mov_b32 s20, 0
	s_delay_alu instid0(VALU_DEP_1) | instskip(NEXT) | instid1(VALU_DEP_1)
	v_bfe_u32 v4, v1, 16, 1
	v_add3_u32 v1, v1, v4, 0x7fff
	s_delay_alu instid0(VALU_DEP_1)
	v_lshrrev_b32_e32 v1, 16, v1
	global_store_b32 v[2:3], v1, off
	s_branch .LBB22_1423
.LBB22_1418:
	s_or_b32 exec_lo, exec_lo, s18
	s_and_saveexec_b32 s18, s15
	s_cbranch_execnz .LBB22_1491
.LBB22_1419:
	s_or_b32 exec_lo, exec_lo, s18
	s_and_saveexec_b32 s15, s0
	s_delay_alu instid0(SALU_CYCLE_1)
	s_xor_b32 s0, exec_lo, s15
	s_cbranch_execz .LBB22_1492
.LBB22_1420:
	v_cmp_ne_u32_e32 vcc_lo, 0, v0
	v_cndmask_b32_e64 v1, 0, 1, vcc_lo
	s_wait_loadcnt 0x0
	global_store_b8 v[2:3], v1, off
	s_wait_xcnt 0x0
	s_or_b32 exec_lo, exec_lo, s0
	s_and_saveexec_b32 s0, s19
	s_delay_alu instid0(SALU_CYCLE_1)
	s_xor_b32 s0, exec_lo, s0
	s_cbranch_execz .LBB22_1530
	s_branch .LBB22_1493
.LBB22_1421:
	s_mov_b32 s21, 0
	s_mov_b32 s20, -1
	s_mov_b32 s0, s15
	s_branch .LBB22_1490
.LBB22_1422:
	s_mov_b32 s20, 0
.LBB22_1423:
	s_delay_alu instid0(SALU_CYCLE_1)
	s_and_b32 vcc_lo, exec_lo, s20
	s_cbranch_vccz .LBB22_1428
; %bb.1424:
	s_cmp_eq_u32 s19, 44
	s_mov_b32 s0, -1
	s_cbranch_scc0 .LBB22_1428
; %bb.1425:
	v_cvt_f32_u32_e32 v5, v0
	s_mov_b32 s20, exec_lo
	s_wait_xcnt 0x0
	s_delay_alu instid0(VALU_DEP_1) | instskip(NEXT) | instid1(VALU_DEP_1)
	v_dual_mov_b32 v4, 0xff :: v_dual_lshrrev_b32 v1, 23, v5
	v_cmpx_ne_u32_e32 0xff, v1
; %bb.1426:
	v_and_b32_e32 v4, 0x400000, v5
	v_and_or_b32 v5, 0x3fffff, v5, v1
	s_delay_alu instid0(VALU_DEP_2) | instskip(NEXT) | instid1(VALU_DEP_2)
	v_cmp_ne_u32_e32 vcc_lo, 0, v4
	v_cmp_ne_u32_e64 s0, 0, v5
	s_and_b32 s0, vcc_lo, s0
	s_delay_alu instid0(SALU_CYCLE_1) | instskip(NEXT) | instid1(VALU_DEP_1)
	v_cndmask_b32_e64 v4, 0, 1, s0
	v_add_nc_u32_e32 v4, v1, v4
; %bb.1427:
	s_or_b32 exec_lo, exec_lo, s20
	s_mov_b32 s0, 0
	global_store_b8 v[2:3], v4, off
.LBB22_1428:
	s_mov_b32 s20, 0
.LBB22_1429:
	s_delay_alu instid0(SALU_CYCLE_1)
	s_and_b32 vcc_lo, exec_lo, s20
	s_cbranch_vccz .LBB22_1432
; %bb.1430:
	s_cmp_eq_u32 s19, 29
	s_mov_b32 s0, -1
	s_cbranch_scc0 .LBB22_1432
; %bb.1431:
	s_wait_xcnt 0x0
	v_mov_b32_e32 v1, 0
	s_mov_b32 s0, 0
	s_mov_b32 s20, 0
	global_store_b64 v[2:3], v[0:1], off
	s_branch .LBB22_1433
.LBB22_1432:
	s_mov_b32 s20, 0
.LBB22_1433:
	s_delay_alu instid0(SALU_CYCLE_1)
	s_and_b32 vcc_lo, exec_lo, s20
	s_cbranch_vccz .LBB22_1448
; %bb.1434:
	s_cmp_lt_i32 s19, 27
	s_mov_b32 s20, -1
	s_cbranch_scc1 .LBB22_1440
; %bb.1435:
	s_cmp_gt_i32 s19, 27
	s_cbranch_scc0 .LBB22_1437
; %bb.1436:
	s_mov_b32 s20, 0
	global_store_b32 v[2:3], v0, off
.LBB22_1437:
	s_and_not1_b32 vcc_lo, exec_lo, s20
	s_cbranch_vccnz .LBB22_1439
; %bb.1438:
	global_store_b16 v[2:3], v0, off
.LBB22_1439:
	s_mov_b32 s20, 0
.LBB22_1440:
	s_delay_alu instid0(SALU_CYCLE_1)
	s_and_not1_b32 vcc_lo, exec_lo, s20
	s_cbranch_vccnz .LBB22_1448
; %bb.1441:
	s_wait_xcnt 0x0
	v_cvt_f32_u32_e32 v4, v0
	v_mov_b32_e32 v5, 0x80
	s_mov_b32 s20, exec_lo
	s_delay_alu instid0(VALU_DEP_2)
	v_cmpx_gt_u32_e32 0x43800000, v4
	s_cbranch_execz .LBB22_1447
; %bb.1442:
	s_mov_b32 s21, 0
	s_mov_b32 s22, exec_lo
                                        ; implicit-def: $vgpr1
	v_cmpx_lt_u32_e32 0x3bffffff, v4
	s_xor_b32 s22, exec_lo, s22
	s_cbranch_execz .LBB22_1545
; %bb.1443:
	v_bfe_u32 v1, v4, 20, 1
	s_mov_b32 s21, exec_lo
	s_delay_alu instid0(VALU_DEP_1) | instskip(NEXT) | instid1(VALU_DEP_1)
	v_add3_u32 v1, v4, v1, 0x487ffff
                                        ; implicit-def: $vgpr4
	v_lshrrev_b32_e32 v1, 20, v1
	s_and_not1_saveexec_b32 s22, s22
	s_cbranch_execnz .LBB22_1546
.LBB22_1444:
	s_or_b32 exec_lo, exec_lo, s22
	v_mov_b32_e32 v5, 0
	s_and_saveexec_b32 s22, s21
.LBB22_1445:
	v_mov_b32_e32 v5, v1
.LBB22_1446:
	s_or_b32 exec_lo, exec_lo, s22
.LBB22_1447:
	s_delay_alu instid0(SALU_CYCLE_1)
	s_or_b32 exec_lo, exec_lo, s20
	global_store_b8 v[2:3], v5, off
.LBB22_1448:
	s_mov_b32 s20, 0
.LBB22_1449:
	s_delay_alu instid0(SALU_CYCLE_1)
	s_and_b32 vcc_lo, exec_lo, s20
	s_mov_b32 s20, 0
	s_cbranch_vccz .LBB22_1489
; %bb.1450:
	s_cmp_gt_i32 s19, 22
	s_mov_b32 s21, -1
	s_cbranch_scc0 .LBB22_1482
; %bb.1451:
	s_cmp_lt_i32 s19, 24
	s_cbranch_scc1 .LBB22_1471
; %bb.1452:
	s_cmp_gt_i32 s19, 24
	s_cbranch_scc0 .LBB22_1460
; %bb.1453:
	s_wait_xcnt 0x0
	v_cvt_f32_u32_e32 v4, v0
	v_mov_b32_e32 v5, 0x80
	s_mov_b32 s21, exec_lo
	s_delay_alu instid0(VALU_DEP_2)
	v_cmpx_gt_u32_e32 0x47800000, v4
	s_cbranch_execz .LBB22_1459
; %bb.1454:
	s_mov_b32 s22, 0
	s_mov_b32 s23, exec_lo
                                        ; implicit-def: $vgpr1
	v_cmpx_lt_u32_e32 0x37ffffff, v4
	s_xor_b32 s23, exec_lo, s23
	s_cbranch_execz .LBB22_1666
; %bb.1455:
	v_bfe_u32 v1, v4, 21, 1
	s_mov_b32 s22, exec_lo
	s_delay_alu instid0(VALU_DEP_1) | instskip(NEXT) | instid1(VALU_DEP_1)
	v_add3_u32 v1, v4, v1, 0x88fffff
                                        ; implicit-def: $vgpr4
	v_lshrrev_b32_e32 v1, 21, v1
	s_and_not1_saveexec_b32 s23, s23
	s_cbranch_execnz .LBB22_1667
.LBB22_1456:
	s_or_b32 exec_lo, exec_lo, s23
	v_mov_b32_e32 v5, 0
	s_and_saveexec_b32 s23, s22
.LBB22_1457:
	v_mov_b32_e32 v5, v1
.LBB22_1458:
	s_or_b32 exec_lo, exec_lo, s23
.LBB22_1459:
	s_delay_alu instid0(SALU_CYCLE_1)
	s_or_b32 exec_lo, exec_lo, s21
	s_mov_b32 s21, 0
	global_store_b8 v[2:3], v5, off
.LBB22_1460:
	s_and_b32 vcc_lo, exec_lo, s21
	s_cbranch_vccz .LBB22_1470
; %bb.1461:
	s_wait_xcnt 0x0
	v_cvt_f32_u32_e32 v4, v0
	s_mov_b32 s21, exec_lo
                                        ; implicit-def: $vgpr1
	s_delay_alu instid0(VALU_DEP_1)
	v_cmpx_gt_u32_e32 0x43f00000, v4
	s_xor_b32 s21, exec_lo, s21
	s_cbranch_execz .LBB22_1467
; %bb.1462:
	s_mov_b32 s22, exec_lo
                                        ; implicit-def: $vgpr1
	v_cmpx_lt_u32_e32 0x3c7fffff, v4
	s_xor_b32 s22, exec_lo, s22
; %bb.1463:
	v_bfe_u32 v1, v4, 20, 1
	s_delay_alu instid0(VALU_DEP_1) | instskip(NEXT) | instid1(VALU_DEP_1)
	v_add3_u32 v1, v4, v1, 0x407ffff
	v_and_b32_e32 v4, 0xff00000, v1
	v_lshrrev_b32_e32 v1, 20, v1
	s_delay_alu instid0(VALU_DEP_2) | instskip(NEXT) | instid1(VALU_DEP_2)
	v_cmp_ne_u32_e32 vcc_lo, 0x7f00000, v4
                                        ; implicit-def: $vgpr4
	v_cndmask_b32_e32 v1, 0x7e, v1, vcc_lo
; %bb.1464:
	s_and_not1_saveexec_b32 s22, s22
; %bb.1465:
	v_add_f32_e32 v1, 0x46800000, v4
; %bb.1466:
	s_or_b32 exec_lo, exec_lo, s22
                                        ; implicit-def: $vgpr4
.LBB22_1467:
	s_and_not1_saveexec_b32 s21, s21
; %bb.1468:
	v_mov_b32_e32 v1, 0x7f
	v_cmp_lt_u32_e32 vcc_lo, 0x7f800000, v4
	s_delay_alu instid0(VALU_DEP_2)
	v_cndmask_b32_e32 v1, 0x7e, v1, vcc_lo
; %bb.1469:
	s_or_b32 exec_lo, exec_lo, s21
	global_store_b8 v[2:3], v1, off
.LBB22_1470:
	s_mov_b32 s21, 0
.LBB22_1471:
	s_delay_alu instid0(SALU_CYCLE_1)
	s_and_not1_b32 vcc_lo, exec_lo, s21
	s_cbranch_vccnz .LBB22_1481
; %bb.1472:
	s_wait_xcnt 0x0
	v_cvt_f32_u32_e32 v4, v0
	s_mov_b32 s21, exec_lo
                                        ; implicit-def: $vgpr1
	s_delay_alu instid0(VALU_DEP_1)
	v_cmpx_gt_u32_e32 0x47800000, v4
	s_xor_b32 s21, exec_lo, s21
	s_cbranch_execz .LBB22_1478
; %bb.1473:
	s_mov_b32 s22, exec_lo
                                        ; implicit-def: $vgpr1
	v_cmpx_lt_u32_e32 0x387fffff, v4
	s_xor_b32 s22, exec_lo, s22
; %bb.1474:
	v_bfe_u32 v1, v4, 21, 1
	s_delay_alu instid0(VALU_DEP_1) | instskip(NEXT) | instid1(VALU_DEP_1)
	v_add3_u32 v1, v4, v1, 0x80fffff
                                        ; implicit-def: $vgpr4
	v_lshrrev_b32_e32 v1, 21, v1
; %bb.1475:
	s_and_not1_saveexec_b32 s22, s22
; %bb.1476:
	v_add_f32_e32 v1, 0x43000000, v4
; %bb.1477:
	s_or_b32 exec_lo, exec_lo, s22
                                        ; implicit-def: $vgpr4
.LBB22_1478:
	s_and_not1_saveexec_b32 s21, s21
; %bb.1479:
	v_mov_b32_e32 v1, 0x7f
	v_cmp_lt_u32_e32 vcc_lo, 0x7f800000, v4
	s_delay_alu instid0(VALU_DEP_2)
	v_cndmask_b32_e32 v1, 0x7c, v1, vcc_lo
; %bb.1480:
	s_or_b32 exec_lo, exec_lo, s21
	global_store_b8 v[2:3], v1, off
.LBB22_1481:
	s_mov_b32 s21, 0
.LBB22_1482:
	s_delay_alu instid0(SALU_CYCLE_1)
	s_and_not1_b32 vcc_lo, exec_lo, s21
	s_mov_b32 s21, 0
	s_cbranch_vccnz .LBB22_1490
; %bb.1483:
	s_cmp_gt_i32 s19, 14
	s_mov_b32 s21, -1
	s_cbranch_scc0 .LBB22_1487
; %bb.1484:
	s_cmp_eq_u32 s19, 15
	s_mov_b32 s0, -1
	s_cbranch_scc0 .LBB22_1486
; %bb.1485:
	s_wait_xcnt 0x0
	v_cvt_f32_u32_e32 v1, v0
	s_mov_b32 s0, 0
	s_delay_alu instid0(VALU_DEP_1) | instskip(NEXT) | instid1(VALU_DEP_1)
	v_bfe_u32 v4, v1, 16, 1
	v_add3_u32 v1, v1, v4, 0x7fff
	global_store_d16_hi_b16 v[2:3], v1, off
.LBB22_1486:
	s_mov_b32 s21, 0
.LBB22_1487:
	s_delay_alu instid0(SALU_CYCLE_1)
	s_and_b32 vcc_lo, exec_lo, s21
	s_mov_b32 s21, 0
	s_cbranch_vccz .LBB22_1490
; %bb.1488:
	s_cmp_lg_u32 s19, 11
	s_mov_b32 s21, -1
	s_cselect_b32 s19, -1, 0
	s_and_not1_b32 s0, s0, exec_lo
	s_and_b32 s19, s19, exec_lo
	s_delay_alu instid0(SALU_CYCLE_1)
	s_or_b32 s0, s0, s19
	s_branch .LBB22_1490
.LBB22_1489:
	s_mov_b32 s21, 0
.LBB22_1490:
	s_and_b32 s19, s20, exec_lo
	s_and_not1_b32 s15, s15, exec_lo
	s_and_b32 s20, s0, exec_lo
	s_and_b32 s0, s21, exec_lo
	s_or_b32 s15, s15, s20
	s_wait_xcnt 0x0
	s_or_b32 exec_lo, exec_lo, s18
	s_and_saveexec_b32 s18, s15
	s_cbranch_execz .LBB22_1419
.LBB22_1491:
	s_or_b32 s16, s16, exec_lo
	s_and_not1_b32 s0, s0, exec_lo
	s_trap 2
	s_or_b32 exec_lo, exec_lo, s18
	s_and_saveexec_b32 s15, s0
	s_delay_alu instid0(SALU_CYCLE_1)
	s_xor_b32 s0, exec_lo, s15
	s_cbranch_execnz .LBB22_1420
.LBB22_1492:
	s_or_b32 exec_lo, exec_lo, s0
	s_and_saveexec_b32 s0, s19
	s_delay_alu instid0(SALU_CYCLE_1)
	s_xor_b32 s0, exec_lo, s0
	s_cbranch_execz .LBB22_1530
.LBB22_1493:
	s_sext_i32_i16 s18, s17
	s_mov_b32 s15, -1
	s_cmp_lt_i32 s18, 5
	s_cbranch_scc1 .LBB22_1514
; %bb.1494:
	s_cmp_lt_i32 s18, 8
	s_cbranch_scc1 .LBB22_1504
; %bb.1495:
	;; [unrolled: 3-line block ×3, first 2 shown]
	s_cmp_gt_i32 s18, 9
	s_cbranch_scc0 .LBB22_1498
; %bb.1497:
	s_wait_loadcnt 0x0
	v_cvt_f64_u32_e32 v[4:5], v0
	v_mov_b32_e32 v6, 0
	s_mov_b32 s15, 0
	s_delay_alu instid0(VALU_DEP_1)
	v_mov_b32_e32 v7, v6
	global_store_b128 v[2:3], v[4:7], off
.LBB22_1498:
	s_and_not1_b32 vcc_lo, exec_lo, s15
	s_cbranch_vccnz .LBB22_1500
; %bb.1499:
	s_wait_loadcnt 0x0
	v_cvt_f32_u32_e32 v4, v0
	v_mov_b32_e32 v5, 0
	global_store_b64 v[2:3], v[4:5], off
.LBB22_1500:
	s_mov_b32 s15, 0
.LBB22_1501:
	s_delay_alu instid0(SALU_CYCLE_1)
	s_and_not1_b32 vcc_lo, exec_lo, s15
	s_cbranch_vccnz .LBB22_1503
; %bb.1502:
	v_cvt_f32_u32_e32 v1, v0
	s_delay_alu instid0(VALU_DEP_1) | instskip(NEXT) | instid1(VALU_DEP_1)
	v_cvt_f16_f32_e32 v1, v1
	v_and_b32_e32 v1, 0xffff, v1
	s_wait_loadcnt 0x0
	global_store_b32 v[2:3], v1, off
.LBB22_1503:
	s_mov_b32 s15, 0
.LBB22_1504:
	s_delay_alu instid0(SALU_CYCLE_1)
	s_and_not1_b32 vcc_lo, exec_lo, s15
	s_cbranch_vccnz .LBB22_1513
; %bb.1505:
	s_sext_i32_i16 s18, s17
	s_mov_b32 s15, -1
	s_cmp_lt_i32 s18, 6
	s_cbranch_scc1 .LBB22_1511
; %bb.1506:
	s_cmp_gt_i32 s18, 6
	s_cbranch_scc0 .LBB22_1508
; %bb.1507:
	s_wait_loadcnt 0x0
	v_cvt_f64_u32_e32 v[4:5], v0
	s_mov_b32 s15, 0
	global_store_b64 v[2:3], v[4:5], off
.LBB22_1508:
	s_and_not1_b32 vcc_lo, exec_lo, s15
	s_cbranch_vccnz .LBB22_1510
; %bb.1509:
	s_wait_xcnt 0x0
	v_cvt_f32_u32_e32 v1, v0
	s_wait_loadcnt 0x0
	global_store_b32 v[2:3], v1, off
.LBB22_1510:
	s_mov_b32 s15, 0
.LBB22_1511:
	s_delay_alu instid0(SALU_CYCLE_1)
	s_and_not1_b32 vcc_lo, exec_lo, s15
	s_cbranch_vccnz .LBB22_1513
; %bb.1512:
	s_wait_xcnt 0x0
	v_cvt_f32_u32_e32 v1, v0
	s_delay_alu instid0(VALU_DEP_1)
	v_cvt_f16_f32_e32 v1, v1
	s_wait_loadcnt 0x0
	global_store_b16 v[2:3], v1, off
.LBB22_1513:
	s_mov_b32 s15, 0
.LBB22_1514:
	s_delay_alu instid0(SALU_CYCLE_1)
	s_and_not1_b32 vcc_lo, exec_lo, s15
	s_cbranch_vccnz .LBB22_1530
; %bb.1515:
	s_sext_i32_i16 s18, s17
	s_mov_b32 s15, -1
	s_cmp_lt_i32 s18, 2
	s_cbranch_scc1 .LBB22_1525
; %bb.1516:
	s_cmp_lt_i32 s18, 3
	s_cbranch_scc1 .LBB22_1522
; %bb.1517:
	s_cmp_gt_i32 s18, 3
	s_cbranch_scc0 .LBB22_1519
; %bb.1518:
	s_wait_xcnt 0x0
	v_mov_b32_e32 v1, 0
	s_mov_b32 s15, 0
	s_wait_loadcnt 0x0
	global_store_b64 v[2:3], v[0:1], off
.LBB22_1519:
	s_and_not1_b32 vcc_lo, exec_lo, s15
	s_cbranch_vccnz .LBB22_1521
; %bb.1520:
	s_wait_loadcnt 0x0
	global_store_b32 v[2:3], v0, off
.LBB22_1521:
	s_mov_b32 s15, 0
.LBB22_1522:
	s_delay_alu instid0(SALU_CYCLE_1)
	s_and_not1_b32 vcc_lo, exec_lo, s15
	s_cbranch_vccnz .LBB22_1524
; %bb.1523:
	s_wait_loadcnt 0x0
	global_store_b16 v[2:3], v0, off
.LBB22_1524:
	s_mov_b32 s15, 0
.LBB22_1525:
	s_delay_alu instid0(SALU_CYCLE_1)
	s_and_not1_b32 vcc_lo, exec_lo, s15
	s_cbranch_vccnz .LBB22_1530
; %bb.1526:
	s_sext_i32_i16 s15, s17
	s_delay_alu instid0(SALU_CYCLE_1)
	s_cmp_gt_i32 s15, 0
	s_mov_b32 s15, -1
	s_cbranch_scc0 .LBB22_1528
; %bb.1527:
	s_mov_b32 s15, 0
	s_wait_loadcnt 0x0
	global_store_b8 v[2:3], v0, off
.LBB22_1528:
	s_and_not1_b32 vcc_lo, exec_lo, s15
	s_cbranch_vccnz .LBB22_1530
; %bb.1529:
	s_wait_loadcnt 0x0
	global_store_b8 v[2:3], v0, off
.LBB22_1530:
	s_wait_xcnt 0x0
	s_or_b32 exec_lo, exec_lo, s0
	s_delay_alu instid0(SALU_CYCLE_1)
	s_and_b32 s15, s16, exec_lo
                                        ; implicit-def: $vgpr10
.LBB22_1531:
	s_or_saveexec_b32 s14, s14
	s_mov_b32 s0, 0
                                        ; implicit-def: $sgpr16
                                        ; implicit-def: $vgpr0_vgpr1
                                        ; implicit-def: $vgpr6
	s_xor_b32 exec_lo, exec_lo, s14
	s_cbranch_execz .LBB22_2637
; %bb.1532:
	s_wait_loadcnt 0x0
	v_mul_lo_u32 v2, s9, v10
	s_and_b32 s0, s13, 0xff
	s_delay_alu instid0(SALU_CYCLE_1) | instskip(NEXT) | instid1(VALU_DEP_1)
	s_cmp_lt_i32 s0, 11
	v_ashrrev_i32_e32 v3, 31, v2
	s_delay_alu instid0(VALU_DEP_1)
	v_add_nc_u64_e32 v[0:1], s[6:7], v[2:3]
	s_cbranch_scc1 .LBB22_1539
; %bb.1533:
	s_and_b32 s12, 0xffff, s0
	s_mov_b32 s16, 0
	s_cmp_gt_i32 s12, 25
	s_cbranch_scc0 .LBB22_1541
; %bb.1534:
	s_cmp_gt_i32 s12, 28
	s_cbranch_scc0 .LBB22_1542
; %bb.1535:
	;; [unrolled: 3-line block ×4, first 2 shown]
	s_cmp_eq_u32 s12, 46
	s_mov_b32 s18, 0
	s_cbranch_scc0 .LBB22_1547
; %bb.1538:
	global_load_b32 v3, v[0:1], off
	s_mov_b32 s13, 0
	s_mov_b32 s17, -1
	s_wait_loadcnt 0x0
	v_lshlrev_b32_e32 v3, 16, v3
	s_delay_alu instid0(VALU_DEP_1)
	v_cvt_i32_f32_e32 v3, v3
	s_branch .LBB22_1549
.LBB22_1539:
	s_mov_b32 s17, 0
	s_mov_b32 s12, s15
                                        ; implicit-def: $vgpr3
	s_cbranch_execnz .LBB22_1607
.LBB22_1540:
	s_and_not1_b32 vcc_lo, exec_lo, s17
	s_cbranch_vccz .LBB22_1652
	s_branch .LBB22_2635
.LBB22_1541:
	s_mov_b32 s17, 0
	s_mov_b32 s13, 0
                                        ; implicit-def: $vgpr3
	s_cbranch_execnz .LBB22_1574
	s_branch .LBB22_1603
.LBB22_1542:
	s_mov_b32 s17, 0
	s_mov_b32 s13, 0
                                        ; implicit-def: $vgpr3
	s_cbranch_execz .LBB22_1573
	s_branch .LBB22_1558
.LBB22_1543:
	s_mov_b32 s17, 0
	s_mov_b32 s13, 0
                                        ; implicit-def: $vgpr3
	s_cbranch_execnz .LBB22_1554
	s_branch .LBB22_1557
.LBB22_1544:
	s_mov_b32 s18, -1
	s_mov_b32 s17, 0
	s_mov_b32 s13, 0
	s_branch .LBB22_1548
.LBB22_1545:
	s_and_not1_saveexec_b32 s22, s22
	s_cbranch_execz .LBB22_1444
.LBB22_1546:
	v_add_f32_e32 v1, 0x46000000, v4
	s_and_not1_b32 s21, s21, exec_lo
	s_delay_alu instid0(VALU_DEP_1) | instskip(NEXT) | instid1(VALU_DEP_1)
	v_and_b32_e32 v1, 0xff, v1
	v_cmp_ne_u32_e32 vcc_lo, 0, v1
	s_and_b32 s23, vcc_lo, exec_lo
	s_delay_alu instid0(SALU_CYCLE_1)
	s_or_b32 s21, s21, s23
	s_or_b32 exec_lo, exec_lo, s22
	v_mov_b32_e32 v5, 0
	s_and_saveexec_b32 s22, s21
	s_cbranch_execnz .LBB22_1445
	s_branch .LBB22_1446
.LBB22_1547:
	s_mov_b32 s13, -1
	s_mov_b32 s17, 0
.LBB22_1548:
                                        ; implicit-def: $vgpr3
.LBB22_1549:
	s_and_b32 vcc_lo, exec_lo, s18
	s_cbranch_vccz .LBB22_1552
; %bb.1550:
	s_cmp_eq_u32 s12, 44
	s_cbranch_scc0 .LBB22_1553
; %bb.1551:
	global_load_u8 v3, v[0:1], off
	s_mov_b32 s13, 0
	s_mov_b32 s17, -1
	s_wait_loadcnt 0x0
	v_lshlrev_b32_e32 v4, 23, v3
	v_cmp_ne_u32_e32 vcc_lo, 0, v3
	s_delay_alu instid0(VALU_DEP_2) | instskip(NEXT) | instid1(VALU_DEP_1)
	v_cvt_i32_f32_e32 v4, v4
	v_cndmask_b32_e32 v3, 0, v4, vcc_lo
.LBB22_1552:
	s_branch .LBB22_1557
.LBB22_1553:
	s_mov_b32 s13, -1
                                        ; implicit-def: $vgpr3
	s_branch .LBB22_1557
.LBB22_1554:
	s_cmp_eq_u32 s12, 29
	s_cbranch_scc0 .LBB22_1556
; %bb.1555:
	global_load_b32 v3, v[0:1], off
	s_mov_b32 s13, 0
	s_mov_b32 s17, -1
	s_branch .LBB22_1557
.LBB22_1556:
	s_mov_b32 s13, -1
                                        ; implicit-def: $vgpr3
.LBB22_1557:
	s_branch .LBB22_1573
.LBB22_1558:
	s_cmp_lt_i32 s12, 27
	s_cbranch_scc1 .LBB22_1561
; %bb.1559:
	s_cmp_gt_i32 s12, 27
	s_cbranch_scc0 .LBB22_1562
; %bb.1560:
	s_wait_loadcnt 0x0
	global_load_b32 v3, v[0:1], off
	s_mov_b32 s17, 0
	s_branch .LBB22_1563
.LBB22_1561:
	s_mov_b32 s17, -1
                                        ; implicit-def: $vgpr3
	s_branch .LBB22_1566
.LBB22_1562:
	s_mov_b32 s17, -1
                                        ; implicit-def: $vgpr3
.LBB22_1563:
	s_delay_alu instid0(SALU_CYCLE_1)
	s_and_not1_b32 vcc_lo, exec_lo, s17
	s_cbranch_vccnz .LBB22_1565
; %bb.1564:
	s_wait_loadcnt 0x0
	global_load_u16 v3, v[0:1], off
.LBB22_1565:
	s_mov_b32 s17, 0
.LBB22_1566:
	s_delay_alu instid0(SALU_CYCLE_1)
	s_and_not1_b32 vcc_lo, exec_lo, s17
	s_cbranch_vccnz .LBB22_1572
; %bb.1567:
	global_load_u8 v4, v[0:1], off
	s_mov_b32 s18, 0
	s_mov_b32 s17, exec_lo
	s_wait_loadcnt 0x0
	v_cmpx_lt_i16_e32 0x7f, v4
	s_xor_b32 s17, exec_lo, s17
	s_cbranch_execz .LBB22_1583
; %bb.1568:
	v_cmp_ne_u16_e32 vcc_lo, 0x80, v4
	s_and_b32 s18, vcc_lo, exec_lo
	s_and_not1_saveexec_b32 s17, s17
	s_cbranch_execnz .LBB22_1584
.LBB22_1569:
	s_or_b32 exec_lo, exec_lo, s17
	v_mov_b32_e32 v3, 0
	s_and_saveexec_b32 s17, s18
	s_cbranch_execz .LBB22_1571
.LBB22_1570:
	v_and_b32_e32 v3, 0xffff, v4
	s_delay_alu instid0(VALU_DEP_1) | instskip(SKIP_1) | instid1(VALU_DEP_2)
	v_and_b32_e32 v5, 7, v3
	v_bfe_u32 v8, v3, 3, 4
	v_clz_i32_u32_e32 v6, v5
	s_delay_alu instid0(VALU_DEP_2) | instskip(NEXT) | instid1(VALU_DEP_2)
	v_cmp_eq_u32_e32 vcc_lo, 0, v8
	v_min_u32_e32 v6, 32, v6
	s_delay_alu instid0(VALU_DEP_1) | instskip(NEXT) | instid1(VALU_DEP_1)
	v_subrev_nc_u32_e32 v7, 28, v6
	v_dual_lshlrev_b32 v3, v7, v3 :: v_dual_sub_nc_u32 v6, 29, v6
	s_delay_alu instid0(VALU_DEP_1) | instskip(NEXT) | instid1(VALU_DEP_1)
	v_dual_lshlrev_b32 v4, 24, v4 :: v_dual_bitop2_b32 v3, 7, v3 bitop3:0x40
	v_dual_cndmask_b32 v6, v8, v6 :: v_dual_cndmask_b32 v3, v5, v3
	s_delay_alu instid0(VALU_DEP_2) | instskip(NEXT) | instid1(VALU_DEP_2)
	v_and_b32_e32 v4, 0x80000000, v4
	v_lshl_add_u32 v5, v6, 23, 0x3b800000
	s_delay_alu instid0(VALU_DEP_3) | instskip(NEXT) | instid1(VALU_DEP_1)
	v_lshlrev_b32_e32 v3, 20, v3
	v_or3_b32 v3, v4, v5, v3
	s_delay_alu instid0(VALU_DEP_1)
	v_cvt_i32_f32_e32 v3, v3
.LBB22_1571:
	s_or_b32 exec_lo, exec_lo, s17
.LBB22_1572:
	s_mov_b32 s17, -1
.LBB22_1573:
	s_branch .LBB22_1603
.LBB22_1574:
	s_cmp_gt_i32 s12, 22
	s_cbranch_scc0 .LBB22_1582
; %bb.1575:
	s_cmp_lt_i32 s12, 24
	s_cbranch_scc1 .LBB22_1585
; %bb.1576:
	s_cmp_gt_i32 s12, 24
	s_cbranch_scc0 .LBB22_1586
; %bb.1577:
	global_load_u8 v4, v[0:1], off
	s_mov_b32 s17, 0
	s_mov_b32 s16, exec_lo
	s_wait_loadcnt 0x0
	v_cmpx_lt_i16_e32 0x7f, v4
	s_xor_b32 s16, exec_lo, s16
	s_cbranch_execz .LBB22_1597
; %bb.1578:
	v_cmp_ne_u16_e32 vcc_lo, 0x80, v4
	s_and_b32 s17, vcc_lo, exec_lo
	s_and_not1_saveexec_b32 s16, s16
	s_cbranch_execnz .LBB22_1598
.LBB22_1579:
	s_or_b32 exec_lo, exec_lo, s16
	v_mov_b32_e32 v3, 0
	s_and_saveexec_b32 s16, s17
	s_cbranch_execz .LBB22_1581
.LBB22_1580:
	v_and_b32_e32 v3, 0xffff, v4
	s_delay_alu instid0(VALU_DEP_1) | instskip(SKIP_1) | instid1(VALU_DEP_2)
	v_and_b32_e32 v5, 3, v3
	v_bfe_u32 v8, v3, 2, 5
	v_clz_i32_u32_e32 v6, v5
	s_delay_alu instid0(VALU_DEP_2) | instskip(NEXT) | instid1(VALU_DEP_2)
	v_cmp_eq_u32_e32 vcc_lo, 0, v8
	v_min_u32_e32 v6, 32, v6
	s_delay_alu instid0(VALU_DEP_1) | instskip(NEXT) | instid1(VALU_DEP_1)
	v_subrev_nc_u32_e32 v7, 29, v6
	v_dual_lshlrev_b32 v3, v7, v3 :: v_dual_sub_nc_u32 v6, 30, v6
	s_delay_alu instid0(VALU_DEP_1) | instskip(NEXT) | instid1(VALU_DEP_1)
	v_dual_lshlrev_b32 v4, 24, v4 :: v_dual_bitop2_b32 v3, 3, v3 bitop3:0x40
	v_dual_cndmask_b32 v6, v8, v6 :: v_dual_cndmask_b32 v3, v5, v3
	s_delay_alu instid0(VALU_DEP_2) | instskip(NEXT) | instid1(VALU_DEP_2)
	v_and_b32_e32 v4, 0x80000000, v4
	v_lshl_add_u32 v5, v6, 23, 0x37800000
	s_delay_alu instid0(VALU_DEP_3) | instskip(NEXT) | instid1(VALU_DEP_1)
	v_lshlrev_b32_e32 v3, 21, v3
	v_or3_b32 v3, v4, v5, v3
	s_delay_alu instid0(VALU_DEP_1)
	v_cvt_i32_f32_e32 v3, v3
.LBB22_1581:
	s_or_b32 exec_lo, exec_lo, s16
	s_mov_b32 s16, 0
	s_branch .LBB22_1587
.LBB22_1582:
                                        ; implicit-def: $vgpr3
	s_mov_b32 s16, 0
	s_branch .LBB22_1593
.LBB22_1583:
	s_and_not1_saveexec_b32 s17, s17
	s_cbranch_execz .LBB22_1569
.LBB22_1584:
	v_cmp_ne_u16_e32 vcc_lo, 0, v4
	s_and_not1_b32 s18, s18, exec_lo
	s_and_b32 s19, vcc_lo, exec_lo
	s_delay_alu instid0(SALU_CYCLE_1)
	s_or_b32 s18, s18, s19
	s_or_b32 exec_lo, exec_lo, s17
	v_mov_b32_e32 v3, 0
	s_and_saveexec_b32 s17, s18
	s_cbranch_execnz .LBB22_1570
	s_branch .LBB22_1571
.LBB22_1585:
	s_mov_b32 s16, -1
                                        ; implicit-def: $vgpr3
	s_branch .LBB22_1590
.LBB22_1586:
	s_mov_b32 s16, -1
                                        ; implicit-def: $vgpr3
.LBB22_1587:
	s_delay_alu instid0(SALU_CYCLE_1)
	s_and_b32 vcc_lo, exec_lo, s16
	s_cbranch_vccz .LBB22_1589
; %bb.1588:
	s_wait_loadcnt 0x0
	global_load_u8 v3, v[0:1], off
	s_wait_loadcnt 0x0
	v_lshlrev_b32_e32 v3, 24, v3
	s_delay_alu instid0(VALU_DEP_1) | instskip(NEXT) | instid1(VALU_DEP_1)
	v_and_b32_e32 v4, 0x7f000000, v3
	v_clz_i32_u32_e32 v5, v4
	v_cmp_ne_u32_e32 vcc_lo, 0, v4
	v_add_nc_u32_e32 v7, 0x1000000, v4
	s_delay_alu instid0(VALU_DEP_3) | instskip(NEXT) | instid1(VALU_DEP_1)
	v_min_u32_e32 v5, 32, v5
	v_sub_nc_u32_e64 v5, v5, 4 clamp
	s_delay_alu instid0(VALU_DEP_1) | instskip(NEXT) | instid1(VALU_DEP_1)
	v_dual_lshlrev_b32 v6, v5, v4 :: v_dual_lshlrev_b32 v5, 23, v5
	v_lshrrev_b32_e32 v6, 4, v6
	s_delay_alu instid0(VALU_DEP_1) | instskip(NEXT) | instid1(VALU_DEP_1)
	v_dual_sub_nc_u32 v5, v6, v5 :: v_dual_ashrrev_i32 v6, 8, v7
	v_add_nc_u32_e32 v5, 0x3c000000, v5
	s_delay_alu instid0(VALU_DEP_1) | instskip(NEXT) | instid1(VALU_DEP_1)
	v_and_or_b32 v5, 0x7f800000, v6, v5
	v_cndmask_b32_e32 v4, 0, v5, vcc_lo
	s_delay_alu instid0(VALU_DEP_1) | instskip(NEXT) | instid1(VALU_DEP_1)
	v_and_or_b32 v3, 0x80000000, v3, v4
	v_cvt_i32_f32_e32 v3, v3
.LBB22_1589:
	s_mov_b32 s16, 0
.LBB22_1590:
	s_delay_alu instid0(SALU_CYCLE_1)
	s_and_not1_b32 vcc_lo, exec_lo, s16
	s_cbranch_vccnz .LBB22_1592
; %bb.1591:
	s_wait_loadcnt 0x0
	global_load_u8 v3, v[0:1], off
	s_wait_loadcnt 0x0
	v_lshlrev_b32_e32 v4, 25, v3
	v_lshlrev_b16 v3, 8, v3
	s_delay_alu instid0(VALU_DEP_1) | instskip(SKIP_1) | instid1(VALU_DEP_2)
	v_and_or_b32 v6, 0x7f00, v3, 0.5
	v_bfe_i32 v3, v3, 0, 16
	v_dual_add_f32 v6, -0.5, v6 :: v_dual_lshrrev_b32 v5, 4, v4
	v_cmp_gt_u32_e32 vcc_lo, 0x8000000, v4
	s_delay_alu instid0(VALU_DEP_2) | instskip(NEXT) | instid1(VALU_DEP_1)
	v_or_b32_e32 v5, 0x70000000, v5
	v_mul_f32_e32 v5, 0x7800000, v5
	s_delay_alu instid0(VALU_DEP_1) | instskip(NEXT) | instid1(VALU_DEP_1)
	v_cndmask_b32_e32 v4, v5, v6, vcc_lo
	v_and_or_b32 v3, 0x80000000, v3, v4
	s_delay_alu instid0(VALU_DEP_1)
	v_cvt_i32_f32_e32 v3, v3
.LBB22_1592:
	s_mov_b32 s17, -1
	s_mov_b32 s16, 0
	s_cbranch_execnz .LBB22_1603
.LBB22_1593:
	s_cmp_gt_i32 s12, 14
	s_cbranch_scc0 .LBB22_1596
; %bb.1594:
	s_cmp_eq_u32 s12, 15
	s_cbranch_scc0 .LBB22_1599
; %bb.1595:
	s_wait_loadcnt 0x0
	global_load_u16 v3, v[0:1], off
	s_mov_b32 s13, 0
	s_mov_b32 s17, -1
	s_wait_loadcnt 0x0
	v_lshlrev_b32_e32 v3, 16, v3
	s_delay_alu instid0(VALU_DEP_1)
	v_cvt_i32_f32_e32 v3, v3
	s_branch .LBB22_1601
.LBB22_1596:
	s_mov_b32 s16, -1
	s_branch .LBB22_1600
.LBB22_1597:
	s_and_not1_saveexec_b32 s16, s16
	s_cbranch_execz .LBB22_1579
.LBB22_1598:
	v_cmp_ne_u16_e32 vcc_lo, 0, v4
	s_and_not1_b32 s17, s17, exec_lo
	s_and_b32 s18, vcc_lo, exec_lo
	s_delay_alu instid0(SALU_CYCLE_1)
	s_or_b32 s17, s17, s18
	s_or_b32 exec_lo, exec_lo, s16
	v_mov_b32_e32 v3, 0
	s_and_saveexec_b32 s16, s17
	s_cbranch_execnz .LBB22_1580
	s_branch .LBB22_1581
.LBB22_1599:
	s_mov_b32 s13, -1
.LBB22_1600:
                                        ; implicit-def: $vgpr3
.LBB22_1601:
	s_and_b32 vcc_lo, exec_lo, s16
	s_mov_b32 s16, 0
	s_cbranch_vccz .LBB22_1603
; %bb.1602:
	s_cmp_lg_u32 s12, 11
	s_mov_b32 s16, -1
	s_cselect_b32 s13, -1, 0
.LBB22_1603:
	s_delay_alu instid0(SALU_CYCLE_1)
	s_and_b32 vcc_lo, exec_lo, s13
	s_mov_b32 s12, s15
	s_cbranch_vccnz .LBB22_1664
; %bb.1604:
	s_and_not1_b32 vcc_lo, exec_lo, s16
	s_cbranch_vccnz .LBB22_1606
.LBB22_1605:
	s_wait_loadcnt 0x0
	global_load_u8 v3, v[0:1], off
	s_mov_b32 s17, -1
	s_wait_loadcnt 0x0
	v_cmp_ne_u16_e32 vcc_lo, 0, v3
	v_cndmask_b32_e64 v3, 0, 1, vcc_lo
.LBB22_1606:
	s_branch .LBB22_1540
.LBB22_1607:
	s_and_b32 s13, 0xffff, s0
	s_delay_alu instid0(SALU_CYCLE_1)
	s_cmp_lt_i32 s13, 5
	s_cbranch_scc1 .LBB22_1612
; %bb.1608:
	s_cmp_lt_i32 s13, 8
	s_cbranch_scc1 .LBB22_1613
; %bb.1609:
	;; [unrolled: 3-line block ×3, first 2 shown]
	s_cmp_gt_i32 s13, 9
	s_cbranch_scc0 .LBB22_1615
; %bb.1611:
	global_load_b64 v[4:5], v[0:1], off
	s_mov_b32 s16, 0
	s_wait_loadcnt 0x0
	v_cvt_i32_f64_e32 v3, v[4:5]
	s_branch .LBB22_1616
.LBB22_1612:
                                        ; implicit-def: $vgpr3
	s_branch .LBB22_1633
.LBB22_1613:
                                        ; implicit-def: $vgpr3
	s_branch .LBB22_1622
.LBB22_1614:
	s_mov_b32 s16, -1
                                        ; implicit-def: $vgpr3
	s_branch .LBB22_1619
.LBB22_1615:
	s_mov_b32 s16, -1
                                        ; implicit-def: $vgpr3
.LBB22_1616:
	s_delay_alu instid0(SALU_CYCLE_1)
	s_and_not1_b32 vcc_lo, exec_lo, s16
	s_cbranch_vccnz .LBB22_1618
; %bb.1617:
	s_wait_loadcnt 0x0
	global_load_b32 v3, v[0:1], off
	s_wait_loadcnt 0x0
	v_cvt_i32_f32_e32 v3, v3
.LBB22_1618:
	s_mov_b32 s16, 0
.LBB22_1619:
	s_delay_alu instid0(SALU_CYCLE_1)
	s_and_not1_b32 vcc_lo, exec_lo, s16
	s_cbranch_vccnz .LBB22_1621
; %bb.1620:
	s_wait_loadcnt 0x0
	global_load_b32 v3, v[0:1], off
	s_wait_loadcnt 0x0
	v_cvt_f32_f16_e32 v3, v3
	s_delay_alu instid0(VALU_DEP_1)
	v_cvt_i32_f32_e32 v3, v3
.LBB22_1621:
	s_cbranch_execnz .LBB22_1632
.LBB22_1622:
	s_cmp_lt_i32 s13, 6
	s_cbranch_scc1 .LBB22_1625
; %bb.1623:
	s_cmp_gt_i32 s13, 6
	s_cbranch_scc0 .LBB22_1626
; %bb.1624:
	global_load_b64 v[4:5], v[0:1], off
	s_mov_b32 s16, 0
	s_wait_loadcnt 0x0
	v_cvt_i32_f64_e32 v3, v[4:5]
	s_branch .LBB22_1627
.LBB22_1625:
	s_mov_b32 s16, -1
                                        ; implicit-def: $vgpr3
	s_branch .LBB22_1630
.LBB22_1626:
	s_mov_b32 s16, -1
                                        ; implicit-def: $vgpr3
.LBB22_1627:
	s_delay_alu instid0(SALU_CYCLE_1)
	s_and_not1_b32 vcc_lo, exec_lo, s16
	s_cbranch_vccnz .LBB22_1629
; %bb.1628:
	s_wait_loadcnt 0x0
	global_load_b32 v3, v[0:1], off
	s_wait_loadcnt 0x0
	v_cvt_i32_f32_e32 v3, v3
.LBB22_1629:
	s_mov_b32 s16, 0
.LBB22_1630:
	s_delay_alu instid0(SALU_CYCLE_1)
	s_and_not1_b32 vcc_lo, exec_lo, s16
	s_cbranch_vccnz .LBB22_1632
; %bb.1631:
	s_wait_loadcnt 0x0
	global_load_u16 v3, v[0:1], off
	s_wait_loadcnt 0x0
	v_cvt_f32_f16_e32 v3, v3
	s_delay_alu instid0(VALU_DEP_1)
	v_cvt_i32_f32_e32 v3, v3
.LBB22_1632:
	s_cbranch_execnz .LBB22_1651
.LBB22_1633:
	s_cmp_lt_i32 s13, 2
	s_cbranch_scc1 .LBB22_1637
; %bb.1634:
	s_cmp_lt_i32 s13, 3
	s_cbranch_scc1 .LBB22_1638
; %bb.1635:
	s_cmp_gt_i32 s13, 3
	s_cbranch_scc0 .LBB22_1639
; %bb.1636:
	s_wait_loadcnt 0x0
	global_load_b32 v3, v[0:1], off
	s_mov_b32 s16, 0
	s_branch .LBB22_1640
.LBB22_1637:
                                        ; implicit-def: $vgpr3
	s_branch .LBB22_1646
.LBB22_1638:
	s_mov_b32 s16, -1
                                        ; implicit-def: $vgpr3
	s_branch .LBB22_1643
.LBB22_1639:
	s_mov_b32 s16, -1
                                        ; implicit-def: $vgpr3
.LBB22_1640:
	s_delay_alu instid0(SALU_CYCLE_1)
	s_and_not1_b32 vcc_lo, exec_lo, s16
	s_cbranch_vccnz .LBB22_1642
; %bb.1641:
	s_wait_loadcnt 0x0
	global_load_b32 v3, v[0:1], off
.LBB22_1642:
	s_mov_b32 s16, 0
.LBB22_1643:
	s_delay_alu instid0(SALU_CYCLE_1)
	s_and_not1_b32 vcc_lo, exec_lo, s16
	s_cbranch_vccnz .LBB22_1645
; %bb.1644:
	s_wait_loadcnt 0x0
	global_load_i16 v3, v[0:1], off
.LBB22_1645:
	s_cbranch_execnz .LBB22_1651
.LBB22_1646:
	s_cmp_gt_i32 s13, 0
	s_mov_b32 s13, 0
	s_cbranch_scc0 .LBB22_1648
; %bb.1647:
	s_wait_loadcnt 0x0
	global_load_i8 v3, v[0:1], off
	s_branch .LBB22_1649
.LBB22_1648:
	s_mov_b32 s13, -1
                                        ; implicit-def: $vgpr3
.LBB22_1649:
	s_delay_alu instid0(SALU_CYCLE_1)
	s_and_not1_b32 vcc_lo, exec_lo, s13
	s_cbranch_vccnz .LBB22_1651
; %bb.1650:
	s_wait_loadcnt 0x0
	global_load_u8 v3, v[0:1], off
.LBB22_1651:
.LBB22_1652:
	v_mul_lo_u32 v4, s10, v10
	s_and_b32 s1, s1, 0xff
	s_delay_alu instid0(SALU_CYCLE_1) | instskip(NEXT) | instid1(VALU_DEP_1)
	s_cmp_lt_i32 s1, 11
	v_ashrrev_i32_e32 v5, 31, v4
	s_wait_xcnt 0x0
	s_delay_alu instid0(VALU_DEP_1)
	v_add_nc_u64_e32 v[0:1], s[2:3], v[4:5]
	s_cbranch_scc1 .LBB22_1659
; %bb.1653:
	s_and_b32 s13, 0xffff, s1
	s_mov_b32 s17, 0
	s_cmp_gt_i32 s13, 25
	s_cbranch_scc0 .LBB22_1661
; %bb.1654:
	s_cmp_gt_i32 s13, 28
	s_cbranch_scc0 .LBB22_1662
; %bb.1655:
	;; [unrolled: 3-line block ×4, first 2 shown]
	s_cmp_eq_u32 s13, 46
	s_mov_b32 s19, 0
	s_cbranch_scc0 .LBB22_1668
; %bb.1658:
	global_load_b32 v5, v[0:1], off
	s_mov_b32 s16, 0
	s_mov_b32 s18, -1
	s_wait_loadcnt 0x0
	v_lshlrev_b32_e32 v5, 16, v5
	s_delay_alu instid0(VALU_DEP_1)
	v_cvt_i32_f32_e32 v5, v5
	s_branch .LBB22_1670
.LBB22_1659:
	s_mov_b32 s18, 0
                                        ; implicit-def: $vgpr5
	s_cbranch_execnz .LBB22_1731
.LBB22_1660:
	s_and_not1_b32 vcc_lo, exec_lo, s18
	s_cbranch_vccnz .LBB22_2635
	s_branch .LBB22_1778
.LBB22_1661:
	s_mov_b32 s18, 0
	s_mov_b32 s16, 0
                                        ; implicit-def: $vgpr5
	s_cbranch_execnz .LBB22_1697
	s_branch .LBB22_1727
.LBB22_1662:
	s_mov_b32 s19, -1
	s_mov_b32 s18, 0
	s_mov_b32 s16, 0
                                        ; implicit-def: $vgpr5
	s_branch .LBB22_1680
.LBB22_1663:
	s_mov_b32 s19, -1
	s_mov_b32 s18, 0
	s_mov_b32 s16, 0
                                        ; implicit-def: $vgpr5
	s_branch .LBB22_1675
.LBB22_1664:
	s_or_b32 s12, s15, exec_lo
	s_trap 2
	s_cbranch_execz .LBB22_1605
	s_branch .LBB22_1606
.LBB22_1665:
	s_mov_b32 s19, -1
	s_mov_b32 s18, 0
	s_mov_b32 s16, 0
	s_branch .LBB22_1669
.LBB22_1666:
	s_and_not1_saveexec_b32 s23, s23
	s_cbranch_execz .LBB22_1456
.LBB22_1667:
	v_add_f32_e32 v1, 0x42800000, v4
	s_and_not1_b32 s22, s22, exec_lo
	s_delay_alu instid0(VALU_DEP_1) | instskip(NEXT) | instid1(VALU_DEP_1)
	v_and_b32_e32 v1, 0xff, v1
	v_cmp_ne_u32_e32 vcc_lo, 0, v1
	s_and_b32 s24, vcc_lo, exec_lo
	s_delay_alu instid0(SALU_CYCLE_1)
	s_or_b32 s22, s22, s24
	s_or_b32 exec_lo, exec_lo, s23
	v_mov_b32_e32 v5, 0
	s_and_saveexec_b32 s23, s22
	s_cbranch_execnz .LBB22_1457
	s_branch .LBB22_1458
.LBB22_1668:
	s_mov_b32 s16, -1
	s_mov_b32 s18, 0
.LBB22_1669:
                                        ; implicit-def: $vgpr5
.LBB22_1670:
	s_and_b32 vcc_lo, exec_lo, s19
	s_cbranch_vccz .LBB22_1674
; %bb.1671:
	s_cmp_eq_u32 s13, 44
	s_cbranch_scc0 .LBB22_1673
; %bb.1672:
	global_load_u8 v5, v[0:1], off
	s_mov_b32 s16, 0
	s_mov_b32 s18, -1
	s_wait_loadcnt 0x0
	v_lshlrev_b32_e32 v6, 23, v5
	v_cmp_ne_u32_e32 vcc_lo, 0, v5
	s_delay_alu instid0(VALU_DEP_2) | instskip(NEXT) | instid1(VALU_DEP_1)
	v_cvt_i32_f32_e32 v6, v6
	v_cndmask_b32_e32 v5, 0, v6, vcc_lo
	s_branch .LBB22_1674
.LBB22_1673:
	s_mov_b32 s16, -1
                                        ; implicit-def: $vgpr5
.LBB22_1674:
	s_mov_b32 s19, 0
.LBB22_1675:
	s_delay_alu instid0(SALU_CYCLE_1)
	s_and_b32 vcc_lo, exec_lo, s19
	s_cbranch_vccz .LBB22_1679
; %bb.1676:
	s_cmp_eq_u32 s13, 29
	s_cbranch_scc0 .LBB22_1678
; %bb.1677:
	global_load_b32 v5, v[0:1], off
	s_mov_b32 s16, 0
	s_mov_b32 s18, -1
	s_branch .LBB22_1679
.LBB22_1678:
	s_mov_b32 s16, -1
                                        ; implicit-def: $vgpr5
.LBB22_1679:
	s_mov_b32 s19, 0
.LBB22_1680:
	s_delay_alu instid0(SALU_CYCLE_1)
	s_and_b32 vcc_lo, exec_lo, s19
	s_cbranch_vccz .LBB22_1696
; %bb.1681:
	s_cmp_lt_i32 s13, 27
	s_cbranch_scc1 .LBB22_1684
; %bb.1682:
	s_cmp_gt_i32 s13, 27
	s_cbranch_scc0 .LBB22_1685
; %bb.1683:
	s_wait_loadcnt 0x0
	global_load_b32 v5, v[0:1], off
	s_mov_b32 s18, 0
	s_branch .LBB22_1686
.LBB22_1684:
	s_mov_b32 s18, -1
                                        ; implicit-def: $vgpr5
	s_branch .LBB22_1689
.LBB22_1685:
	s_mov_b32 s18, -1
                                        ; implicit-def: $vgpr5
.LBB22_1686:
	s_delay_alu instid0(SALU_CYCLE_1)
	s_and_not1_b32 vcc_lo, exec_lo, s18
	s_cbranch_vccnz .LBB22_1688
; %bb.1687:
	s_wait_loadcnt 0x0
	global_load_u16 v5, v[0:1], off
.LBB22_1688:
	s_mov_b32 s18, 0
.LBB22_1689:
	s_delay_alu instid0(SALU_CYCLE_1)
	s_and_not1_b32 vcc_lo, exec_lo, s18
	s_cbranch_vccnz .LBB22_1695
; %bb.1690:
	global_load_u8 v6, v[0:1], off
	s_mov_b32 s19, 0
	s_mov_b32 s18, exec_lo
	s_wait_loadcnt 0x0
	v_cmpx_lt_i16_e32 0x7f, v6
	s_xor_b32 s18, exec_lo, s18
	s_cbranch_execz .LBB22_1706
; %bb.1691:
	v_cmp_ne_u16_e32 vcc_lo, 0x80, v6
	s_and_b32 s19, vcc_lo, exec_lo
	s_and_not1_saveexec_b32 s18, s18
	s_cbranch_execnz .LBB22_1707
.LBB22_1692:
	s_or_b32 exec_lo, exec_lo, s18
	v_mov_b32_e32 v5, 0
	s_and_saveexec_b32 s18, s19
	s_cbranch_execz .LBB22_1694
.LBB22_1693:
	v_and_b32_e32 v5, 0xffff, v6
	s_delay_alu instid0(VALU_DEP_1) | instskip(SKIP_1) | instid1(VALU_DEP_2)
	v_and_b32_e32 v7, 7, v5
	v_bfe_u32 v11, v5, 3, 4
	v_clz_i32_u32_e32 v8, v7
	s_delay_alu instid0(VALU_DEP_2) | instskip(NEXT) | instid1(VALU_DEP_2)
	v_cmp_eq_u32_e32 vcc_lo, 0, v11
	v_min_u32_e32 v8, 32, v8
	s_delay_alu instid0(VALU_DEP_1) | instskip(NEXT) | instid1(VALU_DEP_1)
	v_subrev_nc_u32_e32 v9, 28, v8
	v_dual_lshlrev_b32 v5, v9, v5 :: v_dual_sub_nc_u32 v8, 29, v8
	s_delay_alu instid0(VALU_DEP_1) | instskip(NEXT) | instid1(VALU_DEP_2)
	v_dual_lshlrev_b32 v6, 24, v6 :: v_dual_bitop2_b32 v5, 7, v5 bitop3:0x40
	v_cndmask_b32_e32 v8, v11, v8, vcc_lo
	s_delay_alu instid0(VALU_DEP_2) | instskip(NEXT) | instid1(VALU_DEP_3)
	v_cndmask_b32_e32 v5, v7, v5, vcc_lo
	v_and_b32_e32 v6, 0x80000000, v6
	s_delay_alu instid0(VALU_DEP_3) | instskip(NEXT) | instid1(VALU_DEP_3)
	v_lshl_add_u32 v7, v8, 23, 0x3b800000
	v_lshlrev_b32_e32 v5, 20, v5
	s_delay_alu instid0(VALU_DEP_1) | instskip(NEXT) | instid1(VALU_DEP_1)
	v_or3_b32 v5, v6, v7, v5
	v_cvt_i32_f32_e32 v5, v5
.LBB22_1694:
	s_or_b32 exec_lo, exec_lo, s18
.LBB22_1695:
	s_mov_b32 s18, -1
.LBB22_1696:
	s_branch .LBB22_1727
.LBB22_1697:
	s_cmp_gt_i32 s13, 22
	s_cbranch_scc0 .LBB22_1705
; %bb.1698:
	s_cmp_lt_i32 s13, 24
	s_cbranch_scc1 .LBB22_1708
; %bb.1699:
	s_cmp_gt_i32 s13, 24
	s_cbranch_scc0 .LBB22_1709
; %bb.1700:
	global_load_u8 v6, v[0:1], off
	s_mov_b32 s18, 0
	s_mov_b32 s17, exec_lo
	s_wait_loadcnt 0x0
	v_cmpx_lt_i16_e32 0x7f, v6
	s_xor_b32 s17, exec_lo, s17
	s_cbranch_execz .LBB22_1721
; %bb.1701:
	v_cmp_ne_u16_e32 vcc_lo, 0x80, v6
	s_and_b32 s18, vcc_lo, exec_lo
	s_and_not1_saveexec_b32 s17, s17
	s_cbranch_execnz .LBB22_1722
.LBB22_1702:
	s_or_b32 exec_lo, exec_lo, s17
	v_mov_b32_e32 v5, 0
	s_and_saveexec_b32 s17, s18
	s_cbranch_execz .LBB22_1704
.LBB22_1703:
	v_and_b32_e32 v5, 0xffff, v6
	s_delay_alu instid0(VALU_DEP_1) | instskip(SKIP_1) | instid1(VALU_DEP_2)
	v_and_b32_e32 v7, 3, v5
	v_bfe_u32 v11, v5, 2, 5
	v_clz_i32_u32_e32 v8, v7
	s_delay_alu instid0(VALU_DEP_2) | instskip(NEXT) | instid1(VALU_DEP_2)
	v_cmp_eq_u32_e32 vcc_lo, 0, v11
	v_min_u32_e32 v8, 32, v8
	s_delay_alu instid0(VALU_DEP_1) | instskip(NEXT) | instid1(VALU_DEP_1)
	v_subrev_nc_u32_e32 v9, 29, v8
	v_dual_lshlrev_b32 v5, v9, v5 :: v_dual_sub_nc_u32 v8, 30, v8
	s_delay_alu instid0(VALU_DEP_1) | instskip(NEXT) | instid1(VALU_DEP_2)
	v_dual_lshlrev_b32 v6, 24, v6 :: v_dual_bitop2_b32 v5, 3, v5 bitop3:0x40
	v_cndmask_b32_e32 v8, v11, v8, vcc_lo
	s_delay_alu instid0(VALU_DEP_2) | instskip(NEXT) | instid1(VALU_DEP_3)
	v_cndmask_b32_e32 v5, v7, v5, vcc_lo
	v_and_b32_e32 v6, 0x80000000, v6
	s_delay_alu instid0(VALU_DEP_3) | instskip(NEXT) | instid1(VALU_DEP_3)
	v_lshl_add_u32 v7, v8, 23, 0x37800000
	v_lshlrev_b32_e32 v5, 21, v5
	s_delay_alu instid0(VALU_DEP_1) | instskip(NEXT) | instid1(VALU_DEP_1)
	v_or3_b32 v5, v6, v7, v5
	v_cvt_i32_f32_e32 v5, v5
.LBB22_1704:
	s_or_b32 exec_lo, exec_lo, s17
	s_mov_b32 s17, 0
	s_branch .LBB22_1710
.LBB22_1705:
	s_mov_b32 s17, -1
                                        ; implicit-def: $vgpr5
	s_branch .LBB22_1716
.LBB22_1706:
	s_and_not1_saveexec_b32 s18, s18
	s_cbranch_execz .LBB22_1692
.LBB22_1707:
	v_cmp_ne_u16_e32 vcc_lo, 0, v6
	s_and_not1_b32 s19, s19, exec_lo
	s_and_b32 s20, vcc_lo, exec_lo
	s_delay_alu instid0(SALU_CYCLE_1)
	s_or_b32 s19, s19, s20
	s_or_b32 exec_lo, exec_lo, s18
	v_mov_b32_e32 v5, 0
	s_and_saveexec_b32 s18, s19
	s_cbranch_execnz .LBB22_1693
	s_branch .LBB22_1694
.LBB22_1708:
	s_mov_b32 s17, -1
                                        ; implicit-def: $vgpr5
	s_branch .LBB22_1713
.LBB22_1709:
	s_mov_b32 s17, -1
                                        ; implicit-def: $vgpr5
.LBB22_1710:
	s_delay_alu instid0(SALU_CYCLE_1)
	s_and_b32 vcc_lo, exec_lo, s17
	s_cbranch_vccz .LBB22_1712
; %bb.1711:
	s_wait_loadcnt 0x0
	global_load_u8 v5, v[0:1], off
	s_wait_loadcnt 0x0
	v_lshlrev_b32_e32 v5, 24, v5
	s_delay_alu instid0(VALU_DEP_1) | instskip(NEXT) | instid1(VALU_DEP_1)
	v_and_b32_e32 v6, 0x7f000000, v5
	v_clz_i32_u32_e32 v7, v6
	v_cmp_ne_u32_e32 vcc_lo, 0, v6
	v_add_nc_u32_e32 v9, 0x1000000, v6
	s_delay_alu instid0(VALU_DEP_3) | instskip(NEXT) | instid1(VALU_DEP_1)
	v_min_u32_e32 v7, 32, v7
	v_sub_nc_u32_e64 v7, v7, 4 clamp
	s_delay_alu instid0(VALU_DEP_1) | instskip(NEXT) | instid1(VALU_DEP_1)
	v_dual_lshlrev_b32 v8, v7, v6 :: v_dual_lshlrev_b32 v7, 23, v7
	v_lshrrev_b32_e32 v8, 4, v8
	s_delay_alu instid0(VALU_DEP_1) | instskip(NEXT) | instid1(VALU_DEP_1)
	v_dual_sub_nc_u32 v7, v8, v7 :: v_dual_ashrrev_i32 v8, 8, v9
	v_add_nc_u32_e32 v7, 0x3c000000, v7
	s_delay_alu instid0(VALU_DEP_1) | instskip(NEXT) | instid1(VALU_DEP_1)
	v_and_or_b32 v7, 0x7f800000, v8, v7
	v_cndmask_b32_e32 v6, 0, v7, vcc_lo
	s_delay_alu instid0(VALU_DEP_1) | instskip(NEXT) | instid1(VALU_DEP_1)
	v_and_or_b32 v5, 0x80000000, v5, v6
	v_cvt_i32_f32_e32 v5, v5
.LBB22_1712:
	s_mov_b32 s17, 0
.LBB22_1713:
	s_delay_alu instid0(SALU_CYCLE_1)
	s_and_not1_b32 vcc_lo, exec_lo, s17
	s_cbranch_vccnz .LBB22_1715
; %bb.1714:
	s_wait_loadcnt 0x0
	global_load_u8 v5, v[0:1], off
	s_wait_loadcnt 0x0
	v_lshlrev_b32_e32 v6, 25, v5
	v_lshlrev_b16 v5, 8, v5
	s_delay_alu instid0(VALU_DEP_1) | instskip(SKIP_1) | instid1(VALU_DEP_2)
	v_and_or_b32 v8, 0x7f00, v5, 0.5
	v_bfe_i32 v5, v5, 0, 16
	v_dual_add_f32 v8, -0.5, v8 :: v_dual_lshrrev_b32 v7, 4, v6
	v_cmp_gt_u32_e32 vcc_lo, 0x8000000, v6
	s_delay_alu instid0(VALU_DEP_2) | instskip(NEXT) | instid1(VALU_DEP_1)
	v_or_b32_e32 v7, 0x70000000, v7
	v_mul_f32_e32 v7, 0x7800000, v7
	s_delay_alu instid0(VALU_DEP_1) | instskip(NEXT) | instid1(VALU_DEP_1)
	v_cndmask_b32_e32 v6, v7, v8, vcc_lo
	v_and_or_b32 v5, 0x80000000, v5, v6
	s_delay_alu instid0(VALU_DEP_1)
	v_cvt_i32_f32_e32 v5, v5
.LBB22_1715:
	s_mov_b32 s17, 0
	s_mov_b32 s18, -1
.LBB22_1716:
	s_and_not1_b32 vcc_lo, exec_lo, s17
	s_mov_b32 s17, 0
	s_cbranch_vccnz .LBB22_1727
; %bb.1717:
	s_cmp_gt_i32 s13, 14
	s_cbranch_scc0 .LBB22_1720
; %bb.1718:
	s_cmp_eq_u32 s13, 15
	s_cbranch_scc0 .LBB22_1723
; %bb.1719:
	s_wait_loadcnt 0x0
	global_load_u16 v5, v[0:1], off
	s_mov_b32 s16, 0
	s_mov_b32 s18, -1
	s_wait_loadcnt 0x0
	v_lshlrev_b32_e32 v5, 16, v5
	s_delay_alu instid0(VALU_DEP_1)
	v_cvt_i32_f32_e32 v5, v5
	s_branch .LBB22_1725
.LBB22_1720:
	s_mov_b32 s17, -1
	s_branch .LBB22_1724
.LBB22_1721:
	s_and_not1_saveexec_b32 s17, s17
	s_cbranch_execz .LBB22_1702
.LBB22_1722:
	v_cmp_ne_u16_e32 vcc_lo, 0, v6
	s_and_not1_b32 s18, s18, exec_lo
	s_and_b32 s19, vcc_lo, exec_lo
	s_delay_alu instid0(SALU_CYCLE_1)
	s_or_b32 s18, s18, s19
	s_or_b32 exec_lo, exec_lo, s17
	v_mov_b32_e32 v5, 0
	s_and_saveexec_b32 s17, s18
	s_cbranch_execnz .LBB22_1703
	s_branch .LBB22_1704
.LBB22_1723:
	s_mov_b32 s16, -1
.LBB22_1724:
                                        ; implicit-def: $vgpr5
.LBB22_1725:
	s_and_b32 vcc_lo, exec_lo, s17
	s_mov_b32 s17, 0
	s_cbranch_vccz .LBB22_1727
; %bb.1726:
	s_cmp_lg_u32 s13, 11
	s_mov_b32 s17, -1
	s_cselect_b32 s16, -1, 0
.LBB22_1727:
	s_delay_alu instid0(SALU_CYCLE_1)
	s_and_b32 vcc_lo, exec_lo, s16
	s_cbranch_vccnz .LBB22_1794
; %bb.1728:
	s_and_not1_b32 vcc_lo, exec_lo, s17
	s_cbranch_vccnz .LBB22_1730
.LBB22_1729:
	s_wait_loadcnt 0x0
	global_load_u8 v5, v[0:1], off
	s_mov_b32 s18, -1
	s_wait_loadcnt 0x0
	v_cmp_ne_u16_e32 vcc_lo, 0, v5
	v_cndmask_b32_e64 v5, 0, 1, vcc_lo
.LBB22_1730:
	s_branch .LBB22_1660
.LBB22_1731:
	s_and_b32 s13, 0xffff, s1
	s_delay_alu instid0(SALU_CYCLE_1)
	s_cmp_lt_i32 s13, 5
	s_cbranch_scc1 .LBB22_1736
; %bb.1732:
	s_cmp_lt_i32 s13, 8
	s_cbranch_scc1 .LBB22_1737
; %bb.1733:
	;; [unrolled: 3-line block ×3, first 2 shown]
	s_cmp_gt_i32 s13, 9
	s_cbranch_scc0 .LBB22_1739
; %bb.1735:
	global_load_b64 v[6:7], v[0:1], off
	s_mov_b32 s16, 0
	s_wait_loadcnt 0x0
	v_cvt_i32_f64_e32 v5, v[6:7]
	s_branch .LBB22_1740
.LBB22_1736:
                                        ; implicit-def: $vgpr5
	s_branch .LBB22_1758
.LBB22_1737:
	s_mov_b32 s16, -1
                                        ; implicit-def: $vgpr5
	s_branch .LBB22_1746
.LBB22_1738:
	s_mov_b32 s16, -1
                                        ; implicit-def: $vgpr5
	s_branch .LBB22_1743
.LBB22_1739:
	s_mov_b32 s16, -1
                                        ; implicit-def: $vgpr5
.LBB22_1740:
	s_delay_alu instid0(SALU_CYCLE_1)
	s_and_not1_b32 vcc_lo, exec_lo, s16
	s_cbranch_vccnz .LBB22_1742
; %bb.1741:
	s_wait_loadcnt 0x0
	global_load_b32 v5, v[0:1], off
	s_wait_loadcnt 0x0
	v_cvt_i32_f32_e32 v5, v5
.LBB22_1742:
	s_mov_b32 s16, 0
.LBB22_1743:
	s_delay_alu instid0(SALU_CYCLE_1)
	s_and_not1_b32 vcc_lo, exec_lo, s16
	s_cbranch_vccnz .LBB22_1745
; %bb.1744:
	s_wait_loadcnt 0x0
	global_load_b32 v5, v[0:1], off
	s_wait_loadcnt 0x0
	v_cvt_f32_f16_e32 v5, v5
	s_delay_alu instid0(VALU_DEP_1)
	v_cvt_i32_f32_e32 v5, v5
.LBB22_1745:
	s_mov_b32 s16, 0
.LBB22_1746:
	s_delay_alu instid0(SALU_CYCLE_1)
	s_and_not1_b32 vcc_lo, exec_lo, s16
	s_cbranch_vccnz .LBB22_1757
; %bb.1747:
	s_cmp_lt_i32 s13, 6
	s_cbranch_scc1 .LBB22_1750
; %bb.1748:
	s_cmp_gt_i32 s13, 6
	s_cbranch_scc0 .LBB22_1751
; %bb.1749:
	global_load_b64 v[6:7], v[0:1], off
	s_mov_b32 s16, 0
	s_wait_loadcnt 0x0
	v_cvt_i32_f64_e32 v5, v[6:7]
	s_branch .LBB22_1752
.LBB22_1750:
	s_mov_b32 s16, -1
                                        ; implicit-def: $vgpr5
	s_branch .LBB22_1755
.LBB22_1751:
	s_mov_b32 s16, -1
                                        ; implicit-def: $vgpr5
.LBB22_1752:
	s_delay_alu instid0(SALU_CYCLE_1)
	s_and_not1_b32 vcc_lo, exec_lo, s16
	s_cbranch_vccnz .LBB22_1754
; %bb.1753:
	s_wait_loadcnt 0x0
	global_load_b32 v5, v[0:1], off
	s_wait_loadcnt 0x0
	v_cvt_i32_f32_e32 v5, v5
.LBB22_1754:
	s_mov_b32 s16, 0
.LBB22_1755:
	s_delay_alu instid0(SALU_CYCLE_1)
	s_and_not1_b32 vcc_lo, exec_lo, s16
	s_cbranch_vccnz .LBB22_1757
; %bb.1756:
	s_wait_loadcnt 0x0
	global_load_u16 v5, v[0:1], off
	s_wait_loadcnt 0x0
	v_cvt_f32_f16_e32 v5, v5
	s_delay_alu instid0(VALU_DEP_1)
	v_cvt_i32_f32_e32 v5, v5
.LBB22_1757:
	s_cbranch_execnz .LBB22_1777
.LBB22_1758:
	s_cmp_lt_i32 s13, 2
	s_cbranch_scc1 .LBB22_1762
; %bb.1759:
	s_cmp_lt_i32 s13, 3
	s_cbranch_scc1 .LBB22_1763
; %bb.1760:
	s_cmp_gt_i32 s13, 3
	s_cbranch_scc0 .LBB22_1764
; %bb.1761:
	s_wait_loadcnt 0x0
	global_load_b32 v5, v[0:1], off
	s_mov_b32 s16, 0
	s_branch .LBB22_1765
.LBB22_1762:
	s_mov_b32 s16, -1
                                        ; implicit-def: $vgpr5
	s_branch .LBB22_1771
.LBB22_1763:
	s_mov_b32 s16, -1
                                        ; implicit-def: $vgpr5
	s_branch .LBB22_1768
.LBB22_1764:
	s_mov_b32 s16, -1
                                        ; implicit-def: $vgpr5
.LBB22_1765:
	s_delay_alu instid0(SALU_CYCLE_1)
	s_and_not1_b32 vcc_lo, exec_lo, s16
	s_cbranch_vccnz .LBB22_1767
; %bb.1766:
	s_wait_loadcnt 0x0
	global_load_b32 v5, v[0:1], off
.LBB22_1767:
	s_mov_b32 s16, 0
.LBB22_1768:
	s_delay_alu instid0(SALU_CYCLE_1)
	s_and_not1_b32 vcc_lo, exec_lo, s16
	s_cbranch_vccnz .LBB22_1770
; %bb.1769:
	s_wait_loadcnt 0x0
	global_load_i16 v5, v[0:1], off
.LBB22_1770:
	s_mov_b32 s16, 0
.LBB22_1771:
	s_delay_alu instid0(SALU_CYCLE_1)
	s_and_not1_b32 vcc_lo, exec_lo, s16
	s_cbranch_vccnz .LBB22_1777
; %bb.1772:
	s_cmp_gt_i32 s13, 0
	s_mov_b32 s13, 0
	s_cbranch_scc0 .LBB22_1774
; %bb.1773:
	s_wait_loadcnt 0x0
	global_load_i8 v5, v[0:1], off
	s_branch .LBB22_1775
.LBB22_1774:
	s_mov_b32 s13, -1
                                        ; implicit-def: $vgpr5
.LBB22_1775:
	s_delay_alu instid0(SALU_CYCLE_1)
	s_and_not1_b32 vcc_lo, exec_lo, s13
	s_cbranch_vccnz .LBB22_1777
; %bb.1776:
	s_wait_loadcnt 0x0
	global_load_u8 v5, v[0:1], off
.LBB22_1777:
.LBB22_1778:
	s_wait_loadcnt 0x0
	s_delay_alu instid0(VALU_DEP_1) | instskip(SKIP_2) | instid1(VALU_DEP_1)
	v_sub_nc_u32_e32 v0, 0, v5
	s_mov_b32 s16, 0
	s_mov_b32 s13, exec_lo
	v_max_i32_e32 v0, v5, v0
	v_cmpx_ne_u32_e32 0, v3
	s_cbranch_execz .LBB22_1782
; %bb.1779:
	v_sub_nc_u32_e32 v1, 0, v3
	s_delay_alu instid0(VALU_DEP_1)
	v_max_i32_e32 v3, v3, v1
.LBB22_1780:                            ; =>This Inner Loop Header: Depth=1
	s_delay_alu instid0(VALU_DEP_1) | instskip(NEXT) | instid1(VALU_DEP_1)
	v_mov_b32_e32 v1, v3
	v_cvt_f32_u32_e32 v3, v1
	v_sub_nc_u32_e32 v5, 0, v1
	s_delay_alu instid0(VALU_DEP_2) | instskip(SKIP_1) | instid1(TRANS32_DEP_1)
	v_rcp_iflag_f32_e32 v3, v3
	v_nop
	v_mul_f32_e32 v3, 0x4f7ffffe, v3
	s_delay_alu instid0(VALU_DEP_1) | instskip(NEXT) | instid1(VALU_DEP_1)
	v_cvt_u32_f32_e32 v3, v3
	v_mul_lo_u32 v5, v5, v3
	s_delay_alu instid0(VALU_DEP_1) | instskip(NEXT) | instid1(VALU_DEP_1)
	v_mul_hi_u32 v5, v3, v5
	v_add_nc_u32_e32 v3, v3, v5
	s_delay_alu instid0(VALU_DEP_1) | instskip(NEXT) | instid1(VALU_DEP_1)
	v_mul_hi_u32 v3, v0, v3
	v_mul_lo_u32 v3, v3, v1
	s_delay_alu instid0(VALU_DEP_1) | instskip(NEXT) | instid1(VALU_DEP_1)
	v_sub_nc_u32_e32 v0, v0, v3
	v_sub_nc_u32_e32 v3, v0, v1
	v_cmp_ge_u32_e32 vcc_lo, v0, v1
	s_delay_alu instid0(VALU_DEP_2) | instskip(NEXT) | instid1(VALU_DEP_1)
	v_cndmask_b32_e32 v0, v0, v3, vcc_lo
	v_sub_nc_u32_e32 v3, v0, v1
	v_cmp_ge_u32_e32 vcc_lo, v0, v1
	s_delay_alu instid0(VALU_DEP_2) | instskip(NEXT) | instid1(VALU_DEP_1)
	v_dual_cndmask_b32 v3, v0, v3 :: v_dual_mov_b32 v0, v1
	v_cmp_eq_u32_e32 vcc_lo, 0, v3
	s_or_b32 s16, vcc_lo, s16
	s_delay_alu instid0(SALU_CYCLE_1)
	s_and_not1_b32 exec_lo, exec_lo, s16
	s_cbranch_execnz .LBB22_1780
; %bb.1781:
	s_or_b32 exec_lo, exec_lo, s16
	v_mov_b32_e32 v0, v1
.LBB22_1782:
	s_or_b32 exec_lo, exec_lo, s13
	s_lshl_b32 s9, s9, 7
	s_cmp_lt_i32 s0, 11
	v_add_nc_u32_e32 v6, s9, v2
	s_delay_alu instid0(VALU_DEP_1) | instskip(NEXT) | instid1(VALU_DEP_1)
	v_ashrrev_i32_e32 v7, 31, v6
	v_add_nc_u64_e32 v[2:3], s[6:7], v[6:7]
	s_cbranch_scc1 .LBB22_1789
; %bb.1783:
	s_and_b32 s13, 0xffff, s0
	s_mov_b32 s17, 0
	s_cmp_gt_i32 s13, 25
	s_cbranch_scc0 .LBB22_1791
; %bb.1784:
	s_cmp_gt_i32 s13, 28
	s_cbranch_scc0 .LBB22_1792
; %bb.1785:
	;; [unrolled: 3-line block ×4, first 2 shown]
	s_cmp_eq_u32 s13, 46
	s_mov_b32 s19, 0
	s_cbranch_scc0 .LBB22_1796
; %bb.1788:
	global_load_b32 v1, v[2:3], off
	s_mov_b32 s16, 0
	s_mov_b32 s18, -1
	s_wait_loadcnt 0x0
	v_lshlrev_b32_e32 v1, 16, v1
	s_delay_alu instid0(VALU_DEP_1)
	v_cvt_i32_f32_e32 v1, v1
	s_branch .LBB22_1798
.LBB22_1789:
	s_mov_b32 s18, 0
                                        ; implicit-def: $vgpr1
	s_cbranch_execnz .LBB22_1860
.LBB22_1790:
	s_and_not1_b32 vcc_lo, exec_lo, s18
	s_cbranch_vccnz .LBB22_2635
	s_branch .LBB22_1908
.LBB22_1791:
	s_mov_b32 s19, -1
	s_mov_b32 s18, 0
	s_mov_b32 s16, 0
                                        ; implicit-def: $vgpr1
	s_branch .LBB22_1825
.LBB22_1792:
	s_mov_b32 s19, -1
	s_mov_b32 s18, 0
	s_mov_b32 s16, 0
                                        ; implicit-def: $vgpr1
	s_branch .LBB22_1808
.LBB22_1793:
	s_mov_b32 s19, -1
	s_mov_b32 s18, 0
	s_mov_b32 s16, 0
                                        ; implicit-def: $vgpr1
	s_branch .LBB22_1803
.LBB22_1794:
	s_or_b32 s12, s12, exec_lo
	s_trap 2
	s_cbranch_execz .LBB22_1729
	s_branch .LBB22_1730
.LBB22_1795:
	s_mov_b32 s19, -1
	s_mov_b32 s18, 0
	s_mov_b32 s16, 0
	s_branch .LBB22_1797
.LBB22_1796:
	s_mov_b32 s16, -1
	s_mov_b32 s18, 0
.LBB22_1797:
                                        ; implicit-def: $vgpr1
.LBB22_1798:
	s_and_b32 vcc_lo, exec_lo, s19
	s_cbranch_vccz .LBB22_1802
; %bb.1799:
	s_cmp_eq_u32 s13, 44
	s_cbranch_scc0 .LBB22_1801
; %bb.1800:
	global_load_u8 v1, v[2:3], off
	s_mov_b32 s16, 0
	s_mov_b32 s18, -1
	s_wait_loadcnt 0x0
	v_lshlrev_b32_e32 v5, 23, v1
	v_cmp_ne_u32_e32 vcc_lo, 0, v1
	s_delay_alu instid0(VALU_DEP_2) | instskip(NEXT) | instid1(VALU_DEP_1)
	v_cvt_i32_f32_e32 v5, v5
	v_cndmask_b32_e32 v1, 0, v5, vcc_lo
	s_branch .LBB22_1802
.LBB22_1801:
	s_mov_b32 s16, -1
                                        ; implicit-def: $vgpr1
.LBB22_1802:
	s_mov_b32 s19, 0
.LBB22_1803:
	s_delay_alu instid0(SALU_CYCLE_1)
	s_and_b32 vcc_lo, exec_lo, s19
	s_cbranch_vccz .LBB22_1807
; %bb.1804:
	s_cmp_eq_u32 s13, 29
	s_cbranch_scc0 .LBB22_1806
; %bb.1805:
	global_load_b32 v1, v[2:3], off
	s_mov_b32 s16, 0
	s_mov_b32 s18, -1
	s_branch .LBB22_1807
.LBB22_1806:
	s_mov_b32 s16, -1
                                        ; implicit-def: $vgpr1
.LBB22_1807:
	s_mov_b32 s19, 0
.LBB22_1808:
	s_delay_alu instid0(SALU_CYCLE_1)
	s_and_b32 vcc_lo, exec_lo, s19
	s_cbranch_vccz .LBB22_1824
; %bb.1809:
	s_cmp_lt_i32 s13, 27
	s_cbranch_scc1 .LBB22_1812
; %bb.1810:
	s_cmp_gt_i32 s13, 27
	s_cbranch_scc0 .LBB22_1813
; %bb.1811:
	s_wait_loadcnt 0x0
	global_load_b32 v1, v[2:3], off
	s_mov_b32 s18, 0
	s_branch .LBB22_1814
.LBB22_1812:
	s_mov_b32 s18, -1
                                        ; implicit-def: $vgpr1
	s_branch .LBB22_1817
.LBB22_1813:
	s_mov_b32 s18, -1
                                        ; implicit-def: $vgpr1
.LBB22_1814:
	s_delay_alu instid0(SALU_CYCLE_1)
	s_and_not1_b32 vcc_lo, exec_lo, s18
	s_cbranch_vccnz .LBB22_1816
; %bb.1815:
	s_wait_loadcnt 0x0
	global_load_u16 v1, v[2:3], off
.LBB22_1816:
	s_mov_b32 s18, 0
.LBB22_1817:
	s_delay_alu instid0(SALU_CYCLE_1)
	s_and_not1_b32 vcc_lo, exec_lo, s18
	s_cbranch_vccnz .LBB22_1823
; %bb.1818:
	global_load_u8 v5, v[2:3], off
	s_mov_b32 s19, 0
	s_mov_b32 s18, exec_lo
	s_wait_loadcnt 0x0
	v_cmpx_lt_i16_e32 0x7f, v5
	s_xor_b32 s18, exec_lo, s18
	s_cbranch_execz .LBB22_1835
; %bb.1819:
	v_cmp_ne_u16_e32 vcc_lo, 0x80, v5
	s_and_b32 s19, vcc_lo, exec_lo
	s_and_not1_saveexec_b32 s18, s18
	s_cbranch_execnz .LBB22_1836
.LBB22_1820:
	s_or_b32 exec_lo, exec_lo, s18
	v_mov_b32_e32 v1, 0
	s_and_saveexec_b32 s18, s19
	s_cbranch_execz .LBB22_1822
.LBB22_1821:
	v_and_b32_e32 v1, 0xffff, v5
	s_delay_alu instid0(VALU_DEP_1) | instskip(SKIP_1) | instid1(VALU_DEP_2)
	v_and_b32_e32 v7, 7, v1
	v_bfe_u32 v11, v1, 3, 4
	v_clz_i32_u32_e32 v8, v7
	s_delay_alu instid0(VALU_DEP_2) | instskip(NEXT) | instid1(VALU_DEP_2)
	v_cmp_eq_u32_e32 vcc_lo, 0, v11
	v_min_u32_e32 v8, 32, v8
	s_delay_alu instid0(VALU_DEP_1) | instskip(NEXT) | instid1(VALU_DEP_1)
	v_subrev_nc_u32_e32 v9, 28, v8
	v_dual_lshlrev_b32 v1, v9, v1 :: v_dual_sub_nc_u32 v8, 29, v8
	s_delay_alu instid0(VALU_DEP_1) | instskip(NEXT) | instid1(VALU_DEP_2)
	v_and_b32_e32 v1, 7, v1
	v_dual_cndmask_b32 v8, v11, v8 :: v_dual_lshlrev_b32 v5, 24, v5
	s_delay_alu instid0(VALU_DEP_2) | instskip(NEXT) | instid1(VALU_DEP_2)
	v_cndmask_b32_e32 v1, v7, v1, vcc_lo
	v_and_b32_e32 v5, 0x80000000, v5
	s_delay_alu instid0(VALU_DEP_3) | instskip(NEXT) | instid1(VALU_DEP_3)
	v_lshl_add_u32 v7, v8, 23, 0x3b800000
	v_lshlrev_b32_e32 v1, 20, v1
	s_delay_alu instid0(VALU_DEP_1) | instskip(NEXT) | instid1(VALU_DEP_1)
	v_or3_b32 v1, v5, v7, v1
	v_cvt_i32_f32_e32 v1, v1
.LBB22_1822:
	s_or_b32 exec_lo, exec_lo, s18
.LBB22_1823:
	s_mov_b32 s18, -1
.LBB22_1824:
	s_mov_b32 s19, 0
.LBB22_1825:
	s_delay_alu instid0(SALU_CYCLE_1)
	s_and_b32 vcc_lo, exec_lo, s19
	s_cbranch_vccz .LBB22_1856
; %bb.1826:
	s_cmp_gt_i32 s13, 22
	s_cbranch_scc0 .LBB22_1834
; %bb.1827:
	s_cmp_lt_i32 s13, 24
	s_cbranch_scc1 .LBB22_1837
; %bb.1828:
	s_cmp_gt_i32 s13, 24
	s_cbranch_scc0 .LBB22_1838
; %bb.1829:
	global_load_u8 v5, v[2:3], off
	s_mov_b32 s18, 0
	s_mov_b32 s17, exec_lo
	s_wait_loadcnt 0x0
	v_cmpx_lt_i16_e32 0x7f, v5
	s_xor_b32 s17, exec_lo, s17
	s_cbranch_execz .LBB22_1850
; %bb.1830:
	v_cmp_ne_u16_e32 vcc_lo, 0x80, v5
	s_and_b32 s18, vcc_lo, exec_lo
	s_and_not1_saveexec_b32 s17, s17
	s_cbranch_execnz .LBB22_1851
.LBB22_1831:
	s_or_b32 exec_lo, exec_lo, s17
	v_mov_b32_e32 v1, 0
	s_and_saveexec_b32 s17, s18
	s_cbranch_execz .LBB22_1833
.LBB22_1832:
	v_and_b32_e32 v1, 0xffff, v5
	s_delay_alu instid0(VALU_DEP_1) | instskip(SKIP_1) | instid1(VALU_DEP_2)
	v_and_b32_e32 v7, 3, v1
	v_bfe_u32 v11, v1, 2, 5
	v_clz_i32_u32_e32 v8, v7
	s_delay_alu instid0(VALU_DEP_2) | instskip(NEXT) | instid1(VALU_DEP_2)
	v_cmp_eq_u32_e32 vcc_lo, 0, v11
	v_min_u32_e32 v8, 32, v8
	s_delay_alu instid0(VALU_DEP_1) | instskip(NEXT) | instid1(VALU_DEP_1)
	v_subrev_nc_u32_e32 v9, 29, v8
	v_dual_lshlrev_b32 v1, v9, v1 :: v_dual_sub_nc_u32 v8, 30, v8
	s_delay_alu instid0(VALU_DEP_1) | instskip(NEXT) | instid1(VALU_DEP_2)
	v_and_b32_e32 v1, 3, v1
	v_dual_cndmask_b32 v8, v11, v8 :: v_dual_lshlrev_b32 v5, 24, v5
	s_delay_alu instid0(VALU_DEP_2) | instskip(NEXT) | instid1(VALU_DEP_2)
	v_cndmask_b32_e32 v1, v7, v1, vcc_lo
	v_and_b32_e32 v5, 0x80000000, v5
	s_delay_alu instid0(VALU_DEP_3) | instskip(NEXT) | instid1(VALU_DEP_3)
	v_lshl_add_u32 v7, v8, 23, 0x37800000
	v_lshlrev_b32_e32 v1, 21, v1
	s_delay_alu instid0(VALU_DEP_1) | instskip(NEXT) | instid1(VALU_DEP_1)
	v_or3_b32 v1, v5, v7, v1
	v_cvt_i32_f32_e32 v1, v1
.LBB22_1833:
	s_or_b32 exec_lo, exec_lo, s17
	s_mov_b32 s17, 0
	s_branch .LBB22_1839
.LBB22_1834:
	s_mov_b32 s17, -1
                                        ; implicit-def: $vgpr1
	s_branch .LBB22_1845
.LBB22_1835:
	s_and_not1_saveexec_b32 s18, s18
	s_cbranch_execz .LBB22_1820
.LBB22_1836:
	v_cmp_ne_u16_e32 vcc_lo, 0, v5
	s_and_not1_b32 s19, s19, exec_lo
	s_and_b32 s20, vcc_lo, exec_lo
	s_delay_alu instid0(SALU_CYCLE_1)
	s_or_b32 s19, s19, s20
	s_or_b32 exec_lo, exec_lo, s18
	v_mov_b32_e32 v1, 0
	s_and_saveexec_b32 s18, s19
	s_cbranch_execnz .LBB22_1821
	s_branch .LBB22_1822
.LBB22_1837:
	s_mov_b32 s17, -1
                                        ; implicit-def: $vgpr1
	s_branch .LBB22_1842
.LBB22_1838:
	s_mov_b32 s17, -1
                                        ; implicit-def: $vgpr1
.LBB22_1839:
	s_delay_alu instid0(SALU_CYCLE_1)
	s_and_b32 vcc_lo, exec_lo, s17
	s_cbranch_vccz .LBB22_1841
; %bb.1840:
	s_wait_loadcnt 0x0
	global_load_u8 v1, v[2:3], off
	s_wait_loadcnt 0x0
	v_lshlrev_b32_e32 v1, 24, v1
	s_delay_alu instid0(VALU_DEP_1) | instskip(NEXT) | instid1(VALU_DEP_1)
	v_and_b32_e32 v5, 0x7f000000, v1
	v_clz_i32_u32_e32 v7, v5
	v_add_nc_u32_e32 v9, 0x1000000, v5
	v_cmp_ne_u32_e32 vcc_lo, 0, v5
	s_delay_alu instid0(VALU_DEP_3) | instskip(NEXT) | instid1(VALU_DEP_1)
	v_min_u32_e32 v7, 32, v7
	v_sub_nc_u32_e64 v7, v7, 4 clamp
	s_delay_alu instid0(VALU_DEP_1) | instskip(NEXT) | instid1(VALU_DEP_1)
	v_dual_lshlrev_b32 v8, v7, v5 :: v_dual_lshlrev_b32 v7, 23, v7
	v_lshrrev_b32_e32 v8, 4, v8
	s_delay_alu instid0(VALU_DEP_1) | instskip(NEXT) | instid1(VALU_DEP_1)
	v_dual_sub_nc_u32 v7, v8, v7 :: v_dual_ashrrev_i32 v8, 8, v9
	v_add_nc_u32_e32 v7, 0x3c000000, v7
	s_delay_alu instid0(VALU_DEP_1) | instskip(NEXT) | instid1(VALU_DEP_1)
	v_and_or_b32 v7, 0x7f800000, v8, v7
	v_cndmask_b32_e32 v5, 0, v7, vcc_lo
	s_delay_alu instid0(VALU_DEP_1) | instskip(NEXT) | instid1(VALU_DEP_1)
	v_and_or_b32 v1, 0x80000000, v1, v5
	v_cvt_i32_f32_e32 v1, v1
.LBB22_1841:
	s_mov_b32 s17, 0
.LBB22_1842:
	s_delay_alu instid0(SALU_CYCLE_1)
	s_and_not1_b32 vcc_lo, exec_lo, s17
	s_cbranch_vccnz .LBB22_1844
; %bb.1843:
	s_wait_loadcnt 0x0
	global_load_u8 v1, v[2:3], off
	s_wait_loadcnt 0x0
	v_lshlrev_b32_e32 v5, 25, v1
	v_lshlrev_b16 v1, 8, v1
	s_delay_alu instid0(VALU_DEP_1) | instskip(SKIP_1) | instid1(VALU_DEP_2)
	v_and_or_b32 v8, 0x7f00, v1, 0.5
	v_bfe_i32 v1, v1, 0, 16
	v_dual_add_f32 v8, -0.5, v8 :: v_dual_lshrrev_b32 v7, 4, v5
	v_cmp_gt_u32_e32 vcc_lo, 0x8000000, v5
	s_delay_alu instid0(VALU_DEP_2) | instskip(NEXT) | instid1(VALU_DEP_1)
	v_or_b32_e32 v7, 0x70000000, v7
	v_mul_f32_e32 v7, 0x7800000, v7
	s_delay_alu instid0(VALU_DEP_1) | instskip(NEXT) | instid1(VALU_DEP_1)
	v_cndmask_b32_e32 v5, v7, v8, vcc_lo
	v_and_or_b32 v1, 0x80000000, v1, v5
	s_delay_alu instid0(VALU_DEP_1)
	v_cvt_i32_f32_e32 v1, v1
.LBB22_1844:
	s_mov_b32 s17, 0
	s_mov_b32 s18, -1
.LBB22_1845:
	s_and_not1_b32 vcc_lo, exec_lo, s17
	s_mov_b32 s17, 0
	s_cbranch_vccnz .LBB22_1856
; %bb.1846:
	s_cmp_gt_i32 s13, 14
	s_cbranch_scc0 .LBB22_1849
; %bb.1847:
	s_cmp_eq_u32 s13, 15
	s_cbranch_scc0 .LBB22_1852
; %bb.1848:
	s_wait_loadcnt 0x0
	global_load_u16 v1, v[2:3], off
	s_mov_b32 s16, 0
	s_mov_b32 s18, -1
	s_wait_loadcnt 0x0
	v_lshlrev_b32_e32 v1, 16, v1
	s_delay_alu instid0(VALU_DEP_1)
	v_cvt_i32_f32_e32 v1, v1
	s_branch .LBB22_1854
.LBB22_1849:
	s_mov_b32 s17, -1
	s_branch .LBB22_1853
.LBB22_1850:
	s_and_not1_saveexec_b32 s17, s17
	s_cbranch_execz .LBB22_1831
.LBB22_1851:
	v_cmp_ne_u16_e32 vcc_lo, 0, v5
	s_and_not1_b32 s18, s18, exec_lo
	s_and_b32 s19, vcc_lo, exec_lo
	s_delay_alu instid0(SALU_CYCLE_1)
	s_or_b32 s18, s18, s19
	s_or_b32 exec_lo, exec_lo, s17
	v_mov_b32_e32 v1, 0
	s_and_saveexec_b32 s17, s18
	s_cbranch_execnz .LBB22_1832
	s_branch .LBB22_1833
.LBB22_1852:
	s_mov_b32 s16, -1
.LBB22_1853:
                                        ; implicit-def: $vgpr1
.LBB22_1854:
	s_and_b32 vcc_lo, exec_lo, s17
	s_mov_b32 s17, 0
	s_cbranch_vccz .LBB22_1856
; %bb.1855:
	s_cmp_lg_u32 s13, 11
	s_mov_b32 s17, -1
	s_cselect_b32 s16, -1, 0
.LBB22_1856:
	s_delay_alu instid0(SALU_CYCLE_1)
	s_and_b32 vcc_lo, exec_lo, s16
	s_cbranch_vccnz .LBB22_1919
; %bb.1857:
	s_and_not1_b32 vcc_lo, exec_lo, s17
	s_cbranch_vccnz .LBB22_1859
.LBB22_1858:
	s_wait_loadcnt 0x0
	global_load_u8 v1, v[2:3], off
	s_mov_b32 s18, -1
	s_wait_loadcnt 0x0
	v_cmp_ne_u16_e32 vcc_lo, 0, v1
	v_cndmask_b32_e64 v1, 0, 1, vcc_lo
.LBB22_1859:
	s_branch .LBB22_1790
.LBB22_1860:
	s_and_b32 s13, 0xffff, s0
	s_delay_alu instid0(SALU_CYCLE_1)
	s_cmp_lt_i32 s13, 5
	s_cbranch_scc1 .LBB22_1865
; %bb.1861:
	s_cmp_lt_i32 s13, 8
	s_cbranch_scc1 .LBB22_1866
; %bb.1862:
	;; [unrolled: 3-line block ×3, first 2 shown]
	s_cmp_gt_i32 s13, 9
	s_cbranch_scc0 .LBB22_1868
; %bb.1864:
	global_load_b64 v[8:9], v[2:3], off
	s_mov_b32 s16, 0
	s_wait_loadcnt 0x0
	v_cvt_i32_f64_e32 v1, v[8:9]
	s_branch .LBB22_1869
.LBB22_1865:
	s_mov_b32 s16, -1
                                        ; implicit-def: $vgpr1
	s_branch .LBB22_1887
.LBB22_1866:
	s_mov_b32 s16, -1
                                        ; implicit-def: $vgpr1
	s_branch .LBB22_1875
.LBB22_1867:
	s_mov_b32 s16, -1
                                        ; implicit-def: $vgpr1
	s_branch .LBB22_1872
.LBB22_1868:
	s_mov_b32 s16, -1
                                        ; implicit-def: $vgpr1
.LBB22_1869:
	s_delay_alu instid0(SALU_CYCLE_1)
	s_and_not1_b32 vcc_lo, exec_lo, s16
	s_cbranch_vccnz .LBB22_1871
; %bb.1870:
	s_wait_loadcnt 0x0
	global_load_b32 v1, v[2:3], off
	s_wait_loadcnt 0x0
	v_cvt_i32_f32_e32 v1, v1
.LBB22_1871:
	s_mov_b32 s16, 0
.LBB22_1872:
	s_delay_alu instid0(SALU_CYCLE_1)
	s_and_not1_b32 vcc_lo, exec_lo, s16
	s_cbranch_vccnz .LBB22_1874
; %bb.1873:
	s_wait_loadcnt 0x0
	global_load_b32 v1, v[2:3], off
	s_wait_loadcnt 0x0
	v_cvt_f32_f16_e32 v1, v1
	s_delay_alu instid0(VALU_DEP_1)
	v_cvt_i32_f32_e32 v1, v1
.LBB22_1874:
	s_mov_b32 s16, 0
.LBB22_1875:
	s_delay_alu instid0(SALU_CYCLE_1)
	s_and_not1_b32 vcc_lo, exec_lo, s16
	s_cbranch_vccnz .LBB22_1886
; %bb.1876:
	s_cmp_lt_i32 s13, 6
	s_cbranch_scc1 .LBB22_1879
; %bb.1877:
	s_cmp_gt_i32 s13, 6
	s_cbranch_scc0 .LBB22_1880
; %bb.1878:
	global_load_b64 v[8:9], v[2:3], off
	s_mov_b32 s16, 0
	s_wait_loadcnt 0x0
	v_cvt_i32_f64_e32 v1, v[8:9]
	s_branch .LBB22_1881
.LBB22_1879:
	s_mov_b32 s16, -1
                                        ; implicit-def: $vgpr1
	s_branch .LBB22_1884
.LBB22_1880:
	s_mov_b32 s16, -1
                                        ; implicit-def: $vgpr1
.LBB22_1881:
	s_delay_alu instid0(SALU_CYCLE_1)
	s_and_not1_b32 vcc_lo, exec_lo, s16
	s_cbranch_vccnz .LBB22_1883
; %bb.1882:
	s_wait_loadcnt 0x0
	global_load_b32 v1, v[2:3], off
	s_wait_loadcnt 0x0
	v_cvt_i32_f32_e32 v1, v1
.LBB22_1883:
	s_mov_b32 s16, 0
.LBB22_1884:
	s_delay_alu instid0(SALU_CYCLE_1)
	s_and_not1_b32 vcc_lo, exec_lo, s16
	s_cbranch_vccnz .LBB22_1886
; %bb.1885:
	s_wait_loadcnt 0x0
	global_load_u16 v1, v[2:3], off
	s_wait_loadcnt 0x0
	v_cvt_f32_f16_e32 v1, v1
	s_delay_alu instid0(VALU_DEP_1)
	v_cvt_i32_f32_e32 v1, v1
.LBB22_1886:
	s_mov_b32 s16, 0
.LBB22_1887:
	s_delay_alu instid0(SALU_CYCLE_1)
	s_and_not1_b32 vcc_lo, exec_lo, s16
	s_cbranch_vccnz .LBB22_1907
; %bb.1888:
	s_cmp_lt_i32 s13, 2
	s_cbranch_scc1 .LBB22_1892
; %bb.1889:
	s_cmp_lt_i32 s13, 3
	s_cbranch_scc1 .LBB22_1893
; %bb.1890:
	s_cmp_gt_i32 s13, 3
	s_cbranch_scc0 .LBB22_1894
; %bb.1891:
	s_wait_loadcnt 0x0
	global_load_b32 v1, v[2:3], off
	s_mov_b32 s16, 0
	s_branch .LBB22_1895
.LBB22_1892:
	s_mov_b32 s16, -1
                                        ; implicit-def: $vgpr1
	s_branch .LBB22_1901
.LBB22_1893:
	s_mov_b32 s16, -1
                                        ; implicit-def: $vgpr1
	s_branch .LBB22_1898
.LBB22_1894:
	s_mov_b32 s16, -1
                                        ; implicit-def: $vgpr1
.LBB22_1895:
	s_delay_alu instid0(SALU_CYCLE_1)
	s_and_not1_b32 vcc_lo, exec_lo, s16
	s_cbranch_vccnz .LBB22_1897
; %bb.1896:
	s_wait_loadcnt 0x0
	global_load_b32 v1, v[2:3], off
.LBB22_1897:
	s_mov_b32 s16, 0
.LBB22_1898:
	s_delay_alu instid0(SALU_CYCLE_1)
	s_and_not1_b32 vcc_lo, exec_lo, s16
	s_cbranch_vccnz .LBB22_1900
; %bb.1899:
	s_wait_loadcnt 0x0
	global_load_i16 v1, v[2:3], off
.LBB22_1900:
	s_mov_b32 s16, 0
.LBB22_1901:
	s_delay_alu instid0(SALU_CYCLE_1)
	s_and_not1_b32 vcc_lo, exec_lo, s16
	s_cbranch_vccnz .LBB22_1907
; %bb.1902:
	s_cmp_gt_i32 s13, 0
	s_mov_b32 s13, 0
	s_cbranch_scc0 .LBB22_1904
; %bb.1903:
	s_wait_loadcnt 0x0
	global_load_i8 v1, v[2:3], off
	s_branch .LBB22_1905
.LBB22_1904:
	s_mov_b32 s13, -1
                                        ; implicit-def: $vgpr1
.LBB22_1905:
	s_delay_alu instid0(SALU_CYCLE_1)
	s_and_not1_b32 vcc_lo, exec_lo, s13
	s_cbranch_vccnz .LBB22_1907
; %bb.1906:
	s_wait_loadcnt 0x0
	global_load_u8 v1, v[2:3], off
.LBB22_1907:
.LBB22_1908:
	s_lshl_b32 s10, s10, 7
	s_cmp_lt_i32 s1, 11
	v_add_nc_u32_e32 v4, s10, v4
	s_delay_alu instid0(VALU_DEP_1) | instskip(SKIP_1) | instid1(VALU_DEP_1)
	v_ashrrev_i32_e32 v5, 31, v4
	s_wait_xcnt 0x0
	v_add_nc_u64_e32 v[2:3], s[2:3], v[4:5]
	s_cbranch_scc1 .LBB22_1915
; %bb.1909:
	s_and_b32 s13, 0xffff, s1
	s_mov_b32 s17, 0
	s_cmp_gt_i32 s13, 25
	s_cbranch_scc0 .LBB22_1916
; %bb.1910:
	s_cmp_gt_i32 s13, 28
	s_cbranch_scc0 .LBB22_1917
; %bb.1911:
	s_cmp_gt_i32 s13, 43
	s_cbranch_scc0 .LBB22_1918
; %bb.1912:
	s_cmp_gt_i32 s13, 45
	s_cbranch_scc0 .LBB22_1920
; %bb.1913:
	s_cmp_eq_u32 s13, 46
	s_mov_b32 s19, 0
	s_cbranch_scc0 .LBB22_1921
; %bb.1914:
	global_load_b32 v5, v[2:3], off
	s_mov_b32 s16, 0
	s_mov_b32 s18, -1
	s_wait_loadcnt 0x0
	v_lshlrev_b32_e32 v5, 16, v5
	s_delay_alu instid0(VALU_DEP_1)
	v_cvt_i32_f32_e32 v5, v5
	s_branch .LBB22_1923
.LBB22_1915:
	s_mov_b32 s13, -1
	s_mov_b32 s18, 0
                                        ; implicit-def: $vgpr5
	s_branch .LBB22_1985
.LBB22_1916:
	s_mov_b32 s19, -1
	s_mov_b32 s18, 0
	s_mov_b32 s16, 0
                                        ; implicit-def: $vgpr5
	s_branch .LBB22_1950
.LBB22_1917:
	s_mov_b32 s19, -1
	s_mov_b32 s18, 0
	s_mov_b32 s16, 0
                                        ; implicit-def: $vgpr5
	s_branch .LBB22_1933
.LBB22_1918:
	s_mov_b32 s19, -1
	s_mov_b32 s18, 0
	s_mov_b32 s16, 0
                                        ; implicit-def: $vgpr5
	s_branch .LBB22_1928
.LBB22_1919:
	s_or_b32 s12, s12, exec_lo
	s_trap 2
	s_cbranch_execz .LBB22_1858
	s_branch .LBB22_1859
.LBB22_1920:
	s_mov_b32 s19, -1
	s_mov_b32 s18, 0
	s_mov_b32 s16, 0
	s_branch .LBB22_1922
.LBB22_1921:
	s_mov_b32 s16, -1
	s_mov_b32 s18, 0
.LBB22_1922:
                                        ; implicit-def: $vgpr5
.LBB22_1923:
	s_and_b32 vcc_lo, exec_lo, s19
	s_cbranch_vccz .LBB22_1927
; %bb.1924:
	s_cmp_eq_u32 s13, 44
	s_cbranch_scc0 .LBB22_1926
; %bb.1925:
	global_load_u8 v5, v[2:3], off
	s_mov_b32 s16, 0
	s_mov_b32 s18, -1
	s_wait_loadcnt 0x0
	v_lshlrev_b32_e32 v7, 23, v5
	v_cmp_ne_u32_e32 vcc_lo, 0, v5
	s_delay_alu instid0(VALU_DEP_2) | instskip(NEXT) | instid1(VALU_DEP_1)
	v_cvt_i32_f32_e32 v7, v7
	v_cndmask_b32_e32 v5, 0, v7, vcc_lo
	s_branch .LBB22_1927
.LBB22_1926:
	s_mov_b32 s16, -1
                                        ; implicit-def: $vgpr5
.LBB22_1927:
	s_mov_b32 s19, 0
.LBB22_1928:
	s_delay_alu instid0(SALU_CYCLE_1)
	s_and_b32 vcc_lo, exec_lo, s19
	s_cbranch_vccz .LBB22_1932
; %bb.1929:
	s_cmp_eq_u32 s13, 29
	s_cbranch_scc0 .LBB22_1931
; %bb.1930:
	global_load_b32 v5, v[2:3], off
	s_mov_b32 s16, 0
	s_mov_b32 s18, -1
	s_branch .LBB22_1932
.LBB22_1931:
	s_mov_b32 s16, -1
                                        ; implicit-def: $vgpr5
.LBB22_1932:
	s_mov_b32 s19, 0
.LBB22_1933:
	s_delay_alu instid0(SALU_CYCLE_1)
	s_and_b32 vcc_lo, exec_lo, s19
	s_cbranch_vccz .LBB22_1949
; %bb.1934:
	s_cmp_lt_i32 s13, 27
	s_cbranch_scc1 .LBB22_1937
; %bb.1935:
	s_cmp_gt_i32 s13, 27
	s_cbranch_scc0 .LBB22_1938
; %bb.1936:
	s_wait_loadcnt 0x0
	global_load_b32 v5, v[2:3], off
	s_mov_b32 s18, 0
	s_branch .LBB22_1939
.LBB22_1937:
	s_mov_b32 s18, -1
                                        ; implicit-def: $vgpr5
	s_branch .LBB22_1942
.LBB22_1938:
	s_mov_b32 s18, -1
                                        ; implicit-def: $vgpr5
.LBB22_1939:
	s_delay_alu instid0(SALU_CYCLE_1)
	s_and_not1_b32 vcc_lo, exec_lo, s18
	s_cbranch_vccnz .LBB22_1941
; %bb.1940:
	s_wait_loadcnt 0x0
	global_load_u16 v5, v[2:3], off
.LBB22_1941:
	s_mov_b32 s18, 0
.LBB22_1942:
	s_delay_alu instid0(SALU_CYCLE_1)
	s_and_not1_b32 vcc_lo, exec_lo, s18
	s_cbranch_vccnz .LBB22_1948
; %bb.1943:
	global_load_u8 v7, v[2:3], off
	s_mov_b32 s19, 0
	s_mov_b32 s18, exec_lo
	s_wait_loadcnt 0x0
	v_cmpx_lt_i16_e32 0x7f, v7
	s_xor_b32 s18, exec_lo, s18
	s_cbranch_execz .LBB22_1960
; %bb.1944:
	v_cmp_ne_u16_e32 vcc_lo, 0x80, v7
	s_and_b32 s19, vcc_lo, exec_lo
	s_and_not1_saveexec_b32 s18, s18
	s_cbranch_execnz .LBB22_1961
.LBB22_1945:
	s_or_b32 exec_lo, exec_lo, s18
	v_mov_b32_e32 v5, 0
	s_and_saveexec_b32 s18, s19
	s_cbranch_execz .LBB22_1947
.LBB22_1946:
	v_and_b32_e32 v5, 0xffff, v7
	s_delay_alu instid0(VALU_DEP_1) | instskip(SKIP_1) | instid1(VALU_DEP_2)
	v_dual_lshlrev_b32 v7, 24, v7 :: v_dual_bitop2_b32 v8, 7, v5 bitop3:0x40
	v_bfe_u32 v12, v5, 3, 4
	v_and_b32_e32 v7, 0x80000000, v7
	s_delay_alu instid0(VALU_DEP_3) | instskip(NEXT) | instid1(VALU_DEP_3)
	v_clz_i32_u32_e32 v9, v8
	v_cmp_eq_u32_e32 vcc_lo, 0, v12
	s_delay_alu instid0(VALU_DEP_2) | instskip(NEXT) | instid1(VALU_DEP_1)
	v_min_u32_e32 v9, 32, v9
	v_subrev_nc_u32_e32 v11, 28, v9
	v_sub_nc_u32_e32 v9, 29, v9
	s_delay_alu instid0(VALU_DEP_2) | instskip(NEXT) | instid1(VALU_DEP_2)
	v_lshlrev_b32_e32 v5, v11, v5
	v_cndmask_b32_e32 v9, v12, v9, vcc_lo
	s_delay_alu instid0(VALU_DEP_2) | instskip(NEXT) | instid1(VALU_DEP_1)
	v_and_b32_e32 v5, 7, v5
	v_cndmask_b32_e32 v5, v8, v5, vcc_lo
	s_delay_alu instid0(VALU_DEP_3) | instskip(NEXT) | instid1(VALU_DEP_2)
	v_lshl_add_u32 v8, v9, 23, 0x3b800000
	v_lshlrev_b32_e32 v5, 20, v5
	s_delay_alu instid0(VALU_DEP_1) | instskip(NEXT) | instid1(VALU_DEP_1)
	v_or3_b32 v5, v7, v8, v5
	v_cvt_i32_f32_e32 v5, v5
.LBB22_1947:
	s_or_b32 exec_lo, exec_lo, s18
.LBB22_1948:
	s_mov_b32 s18, -1
.LBB22_1949:
	s_mov_b32 s19, 0
.LBB22_1950:
	s_delay_alu instid0(SALU_CYCLE_1)
	s_and_b32 vcc_lo, exec_lo, s19
	s_cbranch_vccz .LBB22_1981
; %bb.1951:
	s_cmp_gt_i32 s13, 22
	s_cbranch_scc0 .LBB22_1959
; %bb.1952:
	s_cmp_lt_i32 s13, 24
	s_cbranch_scc1 .LBB22_1962
; %bb.1953:
	s_cmp_gt_i32 s13, 24
	s_cbranch_scc0 .LBB22_1963
; %bb.1954:
	global_load_u8 v7, v[2:3], off
	s_mov_b32 s18, 0
	s_mov_b32 s17, exec_lo
	s_wait_loadcnt 0x0
	v_cmpx_lt_i16_e32 0x7f, v7
	s_xor_b32 s17, exec_lo, s17
	s_cbranch_execz .LBB22_1975
; %bb.1955:
	v_cmp_ne_u16_e32 vcc_lo, 0x80, v7
	s_and_b32 s18, vcc_lo, exec_lo
	s_and_not1_saveexec_b32 s17, s17
	s_cbranch_execnz .LBB22_1976
.LBB22_1956:
	s_or_b32 exec_lo, exec_lo, s17
	v_mov_b32_e32 v5, 0
	s_and_saveexec_b32 s17, s18
	s_cbranch_execz .LBB22_1958
.LBB22_1957:
	v_and_b32_e32 v5, 0xffff, v7
	s_delay_alu instid0(VALU_DEP_1) | instskip(SKIP_1) | instid1(VALU_DEP_2)
	v_dual_lshlrev_b32 v7, 24, v7 :: v_dual_bitop2_b32 v8, 3, v5 bitop3:0x40
	v_bfe_u32 v12, v5, 2, 5
	v_and_b32_e32 v7, 0x80000000, v7
	s_delay_alu instid0(VALU_DEP_3) | instskip(NEXT) | instid1(VALU_DEP_3)
	v_clz_i32_u32_e32 v9, v8
	v_cmp_eq_u32_e32 vcc_lo, 0, v12
	s_delay_alu instid0(VALU_DEP_2) | instskip(NEXT) | instid1(VALU_DEP_1)
	v_min_u32_e32 v9, 32, v9
	v_subrev_nc_u32_e32 v11, 29, v9
	v_sub_nc_u32_e32 v9, 30, v9
	s_delay_alu instid0(VALU_DEP_2) | instskip(NEXT) | instid1(VALU_DEP_2)
	v_lshlrev_b32_e32 v5, v11, v5
	v_cndmask_b32_e32 v9, v12, v9, vcc_lo
	s_delay_alu instid0(VALU_DEP_2) | instskip(NEXT) | instid1(VALU_DEP_1)
	v_and_b32_e32 v5, 3, v5
	v_cndmask_b32_e32 v5, v8, v5, vcc_lo
	s_delay_alu instid0(VALU_DEP_3) | instskip(NEXT) | instid1(VALU_DEP_2)
	v_lshl_add_u32 v8, v9, 23, 0x37800000
	v_lshlrev_b32_e32 v5, 21, v5
	s_delay_alu instid0(VALU_DEP_1) | instskip(NEXT) | instid1(VALU_DEP_1)
	v_or3_b32 v5, v7, v8, v5
	v_cvt_i32_f32_e32 v5, v5
.LBB22_1958:
	s_or_b32 exec_lo, exec_lo, s17
	s_mov_b32 s17, 0
	s_branch .LBB22_1964
.LBB22_1959:
	s_mov_b32 s17, -1
                                        ; implicit-def: $vgpr5
	s_branch .LBB22_1970
.LBB22_1960:
	s_and_not1_saveexec_b32 s18, s18
	s_cbranch_execz .LBB22_1945
.LBB22_1961:
	v_cmp_ne_u16_e32 vcc_lo, 0, v7
	s_and_not1_b32 s19, s19, exec_lo
	s_and_b32 s20, vcc_lo, exec_lo
	s_delay_alu instid0(SALU_CYCLE_1)
	s_or_b32 s19, s19, s20
	s_or_b32 exec_lo, exec_lo, s18
	v_mov_b32_e32 v5, 0
	s_and_saveexec_b32 s18, s19
	s_cbranch_execnz .LBB22_1946
	s_branch .LBB22_1947
.LBB22_1962:
	s_mov_b32 s17, -1
                                        ; implicit-def: $vgpr5
	s_branch .LBB22_1967
.LBB22_1963:
	s_mov_b32 s17, -1
                                        ; implicit-def: $vgpr5
.LBB22_1964:
	s_delay_alu instid0(SALU_CYCLE_1)
	s_and_b32 vcc_lo, exec_lo, s17
	s_cbranch_vccz .LBB22_1966
; %bb.1965:
	s_wait_loadcnt 0x0
	global_load_u8 v5, v[2:3], off
	s_wait_loadcnt 0x0
	v_lshlrev_b32_e32 v5, 24, v5
	s_delay_alu instid0(VALU_DEP_1) | instskip(NEXT) | instid1(VALU_DEP_1)
	v_and_b32_e32 v7, 0x7f000000, v5
	v_clz_i32_u32_e32 v8, v7
	v_add_nc_u32_e32 v11, 0x1000000, v7
	v_cmp_ne_u32_e32 vcc_lo, 0, v7
	s_delay_alu instid0(VALU_DEP_3) | instskip(NEXT) | instid1(VALU_DEP_1)
	v_min_u32_e32 v8, 32, v8
	v_sub_nc_u32_e64 v8, v8, 4 clamp
	s_delay_alu instid0(VALU_DEP_1) | instskip(NEXT) | instid1(VALU_DEP_1)
	v_dual_lshlrev_b32 v9, v8, v7 :: v_dual_lshlrev_b32 v8, 23, v8
	v_lshrrev_b32_e32 v9, 4, v9
	s_delay_alu instid0(VALU_DEP_1) | instskip(NEXT) | instid1(VALU_DEP_1)
	v_dual_sub_nc_u32 v8, v9, v8 :: v_dual_ashrrev_i32 v9, 8, v11
	v_add_nc_u32_e32 v8, 0x3c000000, v8
	s_delay_alu instid0(VALU_DEP_1) | instskip(NEXT) | instid1(VALU_DEP_1)
	v_and_or_b32 v8, 0x7f800000, v9, v8
	v_cndmask_b32_e32 v7, 0, v8, vcc_lo
	s_delay_alu instid0(VALU_DEP_1) | instskip(NEXT) | instid1(VALU_DEP_1)
	v_and_or_b32 v5, 0x80000000, v5, v7
	v_cvt_i32_f32_e32 v5, v5
.LBB22_1966:
	s_mov_b32 s17, 0
.LBB22_1967:
	s_delay_alu instid0(SALU_CYCLE_1)
	s_and_not1_b32 vcc_lo, exec_lo, s17
	s_cbranch_vccnz .LBB22_1969
; %bb.1968:
	s_wait_loadcnt 0x0
	global_load_u8 v5, v[2:3], off
	s_wait_loadcnt 0x0
	v_lshlrev_b32_e32 v7, 25, v5
	v_lshlrev_b16 v5, 8, v5
	s_delay_alu instid0(VALU_DEP_1) | instskip(NEXT) | instid1(VALU_DEP_3)
	v_and_or_b32 v9, 0x7f00, v5, 0.5
	v_lshrrev_b32_e32 v8, 4, v7
	v_bfe_i32 v5, v5, 0, 16
	s_delay_alu instid0(VALU_DEP_3) | instskip(NEXT) | instid1(VALU_DEP_3)
	v_add_f32_e32 v9, -0.5, v9
	v_or_b32_e32 v8, 0x70000000, v8
	s_delay_alu instid0(VALU_DEP_1) | instskip(SKIP_1) | instid1(VALU_DEP_2)
	v_mul_f32_e32 v8, 0x7800000, v8
	v_cmp_gt_u32_e32 vcc_lo, 0x8000000, v7
	v_cndmask_b32_e32 v7, v8, v9, vcc_lo
	s_delay_alu instid0(VALU_DEP_1) | instskip(NEXT) | instid1(VALU_DEP_1)
	v_and_or_b32 v5, 0x80000000, v5, v7
	v_cvt_i32_f32_e32 v5, v5
.LBB22_1969:
	s_mov_b32 s17, 0
	s_mov_b32 s18, -1
.LBB22_1970:
	s_and_not1_b32 vcc_lo, exec_lo, s17
	s_mov_b32 s17, 0
	s_cbranch_vccnz .LBB22_1981
; %bb.1971:
	s_cmp_gt_i32 s13, 14
	s_cbranch_scc0 .LBB22_1974
; %bb.1972:
	s_cmp_eq_u32 s13, 15
	s_cbranch_scc0 .LBB22_1977
; %bb.1973:
	s_wait_loadcnt 0x0
	global_load_u16 v5, v[2:3], off
	s_mov_b32 s16, 0
	s_mov_b32 s18, -1
	s_wait_loadcnt 0x0
	v_lshlrev_b32_e32 v5, 16, v5
	s_delay_alu instid0(VALU_DEP_1)
	v_cvt_i32_f32_e32 v5, v5
	s_branch .LBB22_1979
.LBB22_1974:
	s_mov_b32 s17, -1
	s_branch .LBB22_1978
.LBB22_1975:
	s_and_not1_saveexec_b32 s17, s17
	s_cbranch_execz .LBB22_1956
.LBB22_1976:
	v_cmp_ne_u16_e32 vcc_lo, 0, v7
	s_and_not1_b32 s18, s18, exec_lo
	s_and_b32 s19, vcc_lo, exec_lo
	s_delay_alu instid0(SALU_CYCLE_1)
	s_or_b32 s18, s18, s19
	s_or_b32 exec_lo, exec_lo, s17
	v_mov_b32_e32 v5, 0
	s_and_saveexec_b32 s17, s18
	s_cbranch_execnz .LBB22_1957
	s_branch .LBB22_1958
.LBB22_1977:
	s_mov_b32 s16, -1
.LBB22_1978:
                                        ; implicit-def: $vgpr5
.LBB22_1979:
	s_and_b32 vcc_lo, exec_lo, s17
	s_mov_b32 s17, 0
	s_cbranch_vccz .LBB22_1981
; %bb.1980:
	s_cmp_lg_u32 s13, 11
	s_mov_b32 s17, -1
	s_cselect_b32 s16, -1, 0
.LBB22_1981:
	s_delay_alu instid0(SALU_CYCLE_1)
	s_and_b32 vcc_lo, exec_lo, s16
	s_cbranch_vccnz .LBB22_2050
; %bb.1982:
	s_and_not1_b32 vcc_lo, exec_lo, s17
	s_cbranch_vccnz .LBB22_1984
.LBB22_1983:
	s_wait_loadcnt 0x0
	global_load_u8 v5, v[2:3], off
	s_mov_b32 s18, -1
	s_wait_loadcnt 0x0
	v_cmp_ne_u16_e32 vcc_lo, 0, v5
	v_cndmask_b32_e64 v5, 0, 1, vcc_lo
.LBB22_1984:
	s_mov_b32 s13, 0
.LBB22_1985:
	s_delay_alu instid0(SALU_CYCLE_1)
	s_and_b32 vcc_lo, exec_lo, s13
	s_cbranch_vccz .LBB22_2034
; %bb.1986:
	s_and_b32 s13, 0xffff, s1
	s_delay_alu instid0(SALU_CYCLE_1)
	s_cmp_lt_i32 s13, 5
	s_cbranch_scc1 .LBB22_1991
; %bb.1987:
	s_cmp_lt_i32 s13, 8
	s_cbranch_scc1 .LBB22_1992
; %bb.1988:
	;; [unrolled: 3-line block ×3, first 2 shown]
	s_cmp_gt_i32 s13, 9
	s_cbranch_scc0 .LBB22_1994
; %bb.1990:
	global_load_b64 v[8:9], v[2:3], off
	s_mov_b32 s16, 0
	s_wait_loadcnt 0x0
	v_cvt_i32_f64_e32 v5, v[8:9]
	s_branch .LBB22_1995
.LBB22_1991:
	s_mov_b32 s16, -1
                                        ; implicit-def: $vgpr5
	s_branch .LBB22_2013
.LBB22_1992:
	s_mov_b32 s16, -1
                                        ; implicit-def: $vgpr5
	s_branch .LBB22_2001
.LBB22_1993:
	s_mov_b32 s16, -1
                                        ; implicit-def: $vgpr5
	s_branch .LBB22_1998
.LBB22_1994:
	s_mov_b32 s16, -1
                                        ; implicit-def: $vgpr5
.LBB22_1995:
	s_delay_alu instid0(SALU_CYCLE_1)
	s_and_not1_b32 vcc_lo, exec_lo, s16
	s_cbranch_vccnz .LBB22_1997
; %bb.1996:
	s_wait_loadcnt 0x0
	global_load_b32 v5, v[2:3], off
	s_wait_loadcnt 0x0
	v_cvt_i32_f32_e32 v5, v5
.LBB22_1997:
	s_mov_b32 s16, 0
.LBB22_1998:
	s_delay_alu instid0(SALU_CYCLE_1)
	s_and_not1_b32 vcc_lo, exec_lo, s16
	s_cbranch_vccnz .LBB22_2000
; %bb.1999:
	s_wait_loadcnt 0x0
	global_load_b32 v5, v[2:3], off
	s_wait_loadcnt 0x0
	v_cvt_f32_f16_e32 v5, v5
	s_delay_alu instid0(VALU_DEP_1)
	v_cvt_i32_f32_e32 v5, v5
.LBB22_2000:
	s_mov_b32 s16, 0
.LBB22_2001:
	s_delay_alu instid0(SALU_CYCLE_1)
	s_and_not1_b32 vcc_lo, exec_lo, s16
	s_cbranch_vccnz .LBB22_2012
; %bb.2002:
	s_cmp_lt_i32 s13, 6
	s_cbranch_scc1 .LBB22_2005
; %bb.2003:
	s_cmp_gt_i32 s13, 6
	s_cbranch_scc0 .LBB22_2006
; %bb.2004:
	global_load_b64 v[8:9], v[2:3], off
	s_mov_b32 s16, 0
	s_wait_loadcnt 0x0
	v_cvt_i32_f64_e32 v5, v[8:9]
	s_branch .LBB22_2007
.LBB22_2005:
	s_mov_b32 s16, -1
                                        ; implicit-def: $vgpr5
	s_branch .LBB22_2010
.LBB22_2006:
	s_mov_b32 s16, -1
                                        ; implicit-def: $vgpr5
.LBB22_2007:
	s_delay_alu instid0(SALU_CYCLE_1)
	s_and_not1_b32 vcc_lo, exec_lo, s16
	s_cbranch_vccnz .LBB22_2009
; %bb.2008:
	s_wait_loadcnt 0x0
	global_load_b32 v5, v[2:3], off
	s_wait_loadcnt 0x0
	v_cvt_i32_f32_e32 v5, v5
.LBB22_2009:
	s_mov_b32 s16, 0
.LBB22_2010:
	s_delay_alu instid0(SALU_CYCLE_1)
	s_and_not1_b32 vcc_lo, exec_lo, s16
	s_cbranch_vccnz .LBB22_2012
; %bb.2011:
	s_wait_loadcnt 0x0
	global_load_u16 v5, v[2:3], off
	s_wait_loadcnt 0x0
	v_cvt_f32_f16_e32 v5, v5
	s_delay_alu instid0(VALU_DEP_1)
	v_cvt_i32_f32_e32 v5, v5
.LBB22_2012:
	s_mov_b32 s16, 0
.LBB22_2013:
	s_delay_alu instid0(SALU_CYCLE_1)
	s_and_not1_b32 vcc_lo, exec_lo, s16
	s_cbranch_vccnz .LBB22_2033
; %bb.2014:
	s_cmp_lt_i32 s13, 2
	s_cbranch_scc1 .LBB22_2018
; %bb.2015:
	s_cmp_lt_i32 s13, 3
	s_cbranch_scc1 .LBB22_2019
; %bb.2016:
	s_cmp_gt_i32 s13, 3
	s_cbranch_scc0 .LBB22_2020
; %bb.2017:
	s_wait_loadcnt 0x0
	global_load_b32 v5, v[2:3], off
	s_mov_b32 s16, 0
	s_branch .LBB22_2021
.LBB22_2018:
	s_mov_b32 s16, -1
                                        ; implicit-def: $vgpr5
	s_branch .LBB22_2027
.LBB22_2019:
	s_mov_b32 s16, -1
                                        ; implicit-def: $vgpr5
	s_branch .LBB22_2024
.LBB22_2020:
	s_mov_b32 s16, -1
                                        ; implicit-def: $vgpr5
.LBB22_2021:
	s_delay_alu instid0(SALU_CYCLE_1)
	s_and_not1_b32 vcc_lo, exec_lo, s16
	s_cbranch_vccnz .LBB22_2023
; %bb.2022:
	s_wait_loadcnt 0x0
	global_load_b32 v5, v[2:3], off
.LBB22_2023:
	s_mov_b32 s16, 0
.LBB22_2024:
	s_delay_alu instid0(SALU_CYCLE_1)
	s_and_not1_b32 vcc_lo, exec_lo, s16
	s_cbranch_vccnz .LBB22_2026
; %bb.2025:
	s_wait_loadcnt 0x0
	global_load_i16 v5, v[2:3], off
.LBB22_2026:
	s_mov_b32 s16, 0
.LBB22_2027:
	s_delay_alu instid0(SALU_CYCLE_1)
	s_and_not1_b32 vcc_lo, exec_lo, s16
	s_cbranch_vccnz .LBB22_2033
; %bb.2028:
	s_cmp_gt_i32 s13, 0
	s_mov_b32 s13, 0
	s_cbranch_scc0 .LBB22_2030
; %bb.2029:
	s_wait_loadcnt 0x0
	global_load_i8 v5, v[2:3], off
	s_branch .LBB22_2031
.LBB22_2030:
	s_mov_b32 s13, -1
                                        ; implicit-def: $vgpr5
.LBB22_2031:
	s_delay_alu instid0(SALU_CYCLE_1)
	s_and_not1_b32 vcc_lo, exec_lo, s13
	s_cbranch_vccnz .LBB22_2033
; %bb.2032:
	s_wait_loadcnt 0x0
	global_load_u8 v5, v[2:3], off
.LBB22_2033:
	s_mov_b32 s18, -1
.LBB22_2034:
	s_delay_alu instid0(SALU_CYCLE_1)
	s_and_not1_b32 vcc_lo, exec_lo, s18
	s_cbranch_vccnz .LBB22_2635
; %bb.2035:
	s_wait_loadcnt 0x0
	s_delay_alu instid0(VALU_DEP_1) | instskip(SKIP_2) | instid1(VALU_DEP_1)
	v_sub_nc_u32_e32 v2, 0, v5
	s_mov_b32 s16, 0
	s_mov_b32 s13, exec_lo
	v_max_i32_e32 v2, v5, v2
	v_cmpx_ne_u32_e32 0, v1
	s_cbranch_execz .LBB22_2039
; %bb.2036:
	v_sub_nc_u32_e32 v3, 0, v1
	s_delay_alu instid0(VALU_DEP_1)
	v_max_i32_e32 v3, v1, v3
.LBB22_2037:                            ; =>This Inner Loop Header: Depth=1
	s_delay_alu instid0(VALU_DEP_1) | instskip(NEXT) | instid1(VALU_DEP_1)
	v_mov_b32_e32 v1, v3
	v_cvt_f32_u32_e32 v3, v1
	v_sub_nc_u32_e32 v5, 0, v1
	s_delay_alu instid0(VALU_DEP_2) | instskip(SKIP_1) | instid1(TRANS32_DEP_1)
	v_rcp_iflag_f32_e32 v3, v3
	v_nop
	v_mul_f32_e32 v3, 0x4f7ffffe, v3
	s_delay_alu instid0(VALU_DEP_1) | instskip(NEXT) | instid1(VALU_DEP_1)
	v_cvt_u32_f32_e32 v3, v3
	v_mul_lo_u32 v5, v5, v3
	s_delay_alu instid0(VALU_DEP_1) | instskip(NEXT) | instid1(VALU_DEP_1)
	v_mul_hi_u32 v5, v3, v5
	v_add_nc_u32_e32 v3, v3, v5
	s_delay_alu instid0(VALU_DEP_1) | instskip(NEXT) | instid1(VALU_DEP_1)
	v_mul_hi_u32 v3, v2, v3
	v_mul_lo_u32 v3, v3, v1
	s_delay_alu instid0(VALU_DEP_1) | instskip(NEXT) | instid1(VALU_DEP_1)
	v_sub_nc_u32_e32 v2, v2, v3
	v_sub_nc_u32_e32 v3, v2, v1
	v_cmp_ge_u32_e32 vcc_lo, v2, v1
	s_delay_alu instid0(VALU_DEP_2) | instskip(NEXT) | instid1(VALU_DEP_1)
	v_cndmask_b32_e32 v2, v2, v3, vcc_lo
	v_sub_nc_u32_e32 v3, v2, v1
	v_cmp_ge_u32_e32 vcc_lo, v2, v1
	s_delay_alu instid0(VALU_DEP_2) | instskip(NEXT) | instid1(VALU_DEP_1)
	v_dual_cndmask_b32 v3, v2, v3 :: v_dual_mov_b32 v2, v1
	v_cmp_eq_u32_e32 vcc_lo, 0, v3
	s_or_b32 s16, vcc_lo, s16
	s_delay_alu instid0(SALU_CYCLE_1)
	s_and_not1_b32 exec_lo, exec_lo, s16
	s_cbranch_execnz .LBB22_2037
; %bb.2038:
	s_or_b32 exec_lo, exec_lo, s16
	v_mov_b32_e32 v2, v1
.LBB22_2039:
	s_or_b32 exec_lo, exec_lo, s13
	v_add_nc_u32_e32 v6, s9, v6
	s_cmp_lt_i32 s0, 11
	s_delay_alu instid0(VALU_DEP_1) | instskip(NEXT) | instid1(VALU_DEP_1)
	v_ashrrev_i32_e32 v7, 31, v6
	v_add_nc_u64_e32 v[8:9], s[6:7], v[6:7]
	s_cbranch_scc1 .LBB22_2046
; %bb.2040:
	s_and_b32 s13, 0xffff, s0
	s_mov_b32 s17, 0
	s_cmp_gt_i32 s13, 25
	s_cbranch_scc0 .LBB22_2047
; %bb.2041:
	s_cmp_gt_i32 s13, 28
	s_cbranch_scc0 .LBB22_2048
; %bb.2042:
	s_cmp_gt_i32 s13, 43
	s_cbranch_scc0 .LBB22_2049
; %bb.2043:
	s_cmp_gt_i32 s13, 45
	s_cbranch_scc0 .LBB22_2051
; %bb.2044:
	s_cmp_eq_u32 s13, 46
	s_mov_b32 s19, 0
	s_cbranch_scc0 .LBB22_2052
; %bb.2045:
	global_load_b32 v1, v[8:9], off
	s_mov_b32 s16, 0
	s_mov_b32 s18, -1
	s_wait_loadcnt 0x0
	v_lshlrev_b32_e32 v1, 16, v1
	s_delay_alu instid0(VALU_DEP_1)
	v_cvt_i32_f32_e32 v1, v1
	s_branch .LBB22_2054
.LBB22_2046:
	s_mov_b32 s13, -1
	s_mov_b32 s18, 0
                                        ; implicit-def: $vgpr1
	s_branch .LBB22_2116
.LBB22_2047:
	s_mov_b32 s19, -1
	s_mov_b32 s18, 0
	s_mov_b32 s16, 0
                                        ; implicit-def: $vgpr1
	s_branch .LBB22_2081
.LBB22_2048:
	s_mov_b32 s19, -1
	s_mov_b32 s18, 0
	s_mov_b32 s16, 0
                                        ; implicit-def: $vgpr1
	s_branch .LBB22_2064
.LBB22_2049:
	s_mov_b32 s19, -1
	s_mov_b32 s18, 0
	s_mov_b32 s16, 0
                                        ; implicit-def: $vgpr1
	s_branch .LBB22_2059
.LBB22_2050:
	s_or_b32 s12, s12, exec_lo
	s_trap 2
	s_cbranch_execz .LBB22_1983
	s_branch .LBB22_1984
.LBB22_2051:
	s_mov_b32 s19, -1
	s_mov_b32 s18, 0
	s_mov_b32 s16, 0
	s_branch .LBB22_2053
.LBB22_2052:
	s_mov_b32 s16, -1
	s_mov_b32 s18, 0
.LBB22_2053:
                                        ; implicit-def: $vgpr1
.LBB22_2054:
	s_and_b32 vcc_lo, exec_lo, s19
	s_cbranch_vccz .LBB22_2058
; %bb.2055:
	s_cmp_eq_u32 s13, 44
	s_cbranch_scc0 .LBB22_2057
; %bb.2056:
	global_load_u8 v1, v[8:9], off
	s_mov_b32 s16, 0
	s_mov_b32 s18, -1
	s_wait_loadcnt 0x0
	v_lshlrev_b32_e32 v3, 23, v1
	v_cmp_ne_u32_e32 vcc_lo, 0, v1
	s_delay_alu instid0(VALU_DEP_2) | instskip(NEXT) | instid1(VALU_DEP_1)
	v_cvt_i32_f32_e32 v3, v3
	v_cndmask_b32_e32 v1, 0, v3, vcc_lo
	s_branch .LBB22_2058
.LBB22_2057:
	s_mov_b32 s16, -1
                                        ; implicit-def: $vgpr1
.LBB22_2058:
	s_mov_b32 s19, 0
.LBB22_2059:
	s_delay_alu instid0(SALU_CYCLE_1)
	s_and_b32 vcc_lo, exec_lo, s19
	s_cbranch_vccz .LBB22_2063
; %bb.2060:
	s_cmp_eq_u32 s13, 29
	s_cbranch_scc0 .LBB22_2062
; %bb.2061:
	global_load_b32 v1, v[8:9], off
	s_mov_b32 s16, 0
	s_mov_b32 s18, -1
	s_branch .LBB22_2063
.LBB22_2062:
	s_mov_b32 s16, -1
                                        ; implicit-def: $vgpr1
.LBB22_2063:
	s_mov_b32 s19, 0
.LBB22_2064:
	s_delay_alu instid0(SALU_CYCLE_1)
	s_and_b32 vcc_lo, exec_lo, s19
	s_cbranch_vccz .LBB22_2080
; %bb.2065:
	s_cmp_lt_i32 s13, 27
	s_cbranch_scc1 .LBB22_2068
; %bb.2066:
	s_cmp_gt_i32 s13, 27
	s_cbranch_scc0 .LBB22_2069
; %bb.2067:
	s_wait_loadcnt 0x0
	global_load_b32 v1, v[8:9], off
	s_mov_b32 s18, 0
	s_branch .LBB22_2070
.LBB22_2068:
	s_mov_b32 s18, -1
                                        ; implicit-def: $vgpr1
	s_branch .LBB22_2073
.LBB22_2069:
	s_mov_b32 s18, -1
                                        ; implicit-def: $vgpr1
.LBB22_2070:
	s_delay_alu instid0(SALU_CYCLE_1)
	s_and_not1_b32 vcc_lo, exec_lo, s18
	s_cbranch_vccnz .LBB22_2072
; %bb.2071:
	s_wait_loadcnt 0x0
	global_load_u16 v1, v[8:9], off
.LBB22_2072:
	s_mov_b32 s18, 0
.LBB22_2073:
	s_delay_alu instid0(SALU_CYCLE_1)
	s_and_not1_b32 vcc_lo, exec_lo, s18
	s_cbranch_vccnz .LBB22_2079
; %bb.2074:
	global_load_u8 v3, v[8:9], off
	s_mov_b32 s19, 0
	s_mov_b32 s18, exec_lo
	s_wait_loadcnt 0x0
	v_cmpx_lt_i16_e32 0x7f, v3
	s_xor_b32 s18, exec_lo, s18
	s_cbranch_execz .LBB22_2091
; %bb.2075:
	v_cmp_ne_u16_e32 vcc_lo, 0x80, v3
	s_and_b32 s19, vcc_lo, exec_lo
	s_and_not1_saveexec_b32 s18, s18
	s_cbranch_execnz .LBB22_2092
.LBB22_2076:
	s_or_b32 exec_lo, exec_lo, s18
	v_mov_b32_e32 v1, 0
	s_and_saveexec_b32 s18, s19
	s_cbranch_execz .LBB22_2078
.LBB22_2077:
	v_and_b32_e32 v1, 0xffff, v3
	s_delay_alu instid0(VALU_DEP_1) | instskip(SKIP_1) | instid1(VALU_DEP_2)
	v_and_b32_e32 v5, 7, v1
	v_bfe_u32 v12, v1, 3, 4
	v_clz_i32_u32_e32 v7, v5
	s_delay_alu instid0(VALU_DEP_2) | instskip(NEXT) | instid1(VALU_DEP_2)
	v_cmp_eq_u32_e32 vcc_lo, 0, v12
	v_min_u32_e32 v7, 32, v7
	s_delay_alu instid0(VALU_DEP_1) | instskip(NEXT) | instid1(VALU_DEP_1)
	v_subrev_nc_u32_e32 v11, 28, v7
	v_dual_lshlrev_b32 v1, v11, v1 :: v_dual_sub_nc_u32 v7, 29, v7
	s_delay_alu instid0(VALU_DEP_1) | instskip(NEXT) | instid1(VALU_DEP_1)
	v_dual_lshlrev_b32 v3, 24, v3 :: v_dual_bitop2_b32 v1, 7, v1 bitop3:0x40
	v_dual_cndmask_b32 v1, v5, v1, vcc_lo :: v_dual_cndmask_b32 v7, v12, v7, vcc_lo
	s_delay_alu instid0(VALU_DEP_2) | instskip(NEXT) | instid1(VALU_DEP_2)
	v_and_b32_e32 v3, 0x80000000, v3
	v_lshlrev_b32_e32 v1, 20, v1
	s_delay_alu instid0(VALU_DEP_3) | instskip(NEXT) | instid1(VALU_DEP_1)
	v_lshl_add_u32 v5, v7, 23, 0x3b800000
	v_or3_b32 v1, v3, v5, v1
	s_delay_alu instid0(VALU_DEP_1)
	v_cvt_i32_f32_e32 v1, v1
.LBB22_2078:
	s_or_b32 exec_lo, exec_lo, s18
.LBB22_2079:
	s_mov_b32 s18, -1
.LBB22_2080:
	s_mov_b32 s19, 0
.LBB22_2081:
	s_delay_alu instid0(SALU_CYCLE_1)
	s_and_b32 vcc_lo, exec_lo, s19
	s_cbranch_vccz .LBB22_2112
; %bb.2082:
	s_cmp_gt_i32 s13, 22
	s_cbranch_scc0 .LBB22_2090
; %bb.2083:
	s_cmp_lt_i32 s13, 24
	s_cbranch_scc1 .LBB22_2093
; %bb.2084:
	s_cmp_gt_i32 s13, 24
	s_cbranch_scc0 .LBB22_2094
; %bb.2085:
	global_load_u8 v3, v[8:9], off
	s_mov_b32 s18, 0
	s_mov_b32 s17, exec_lo
	s_wait_loadcnt 0x0
	v_cmpx_lt_i16_e32 0x7f, v3
	s_xor_b32 s17, exec_lo, s17
	s_cbranch_execz .LBB22_2106
; %bb.2086:
	v_cmp_ne_u16_e32 vcc_lo, 0x80, v3
	s_and_b32 s18, vcc_lo, exec_lo
	s_and_not1_saveexec_b32 s17, s17
	s_cbranch_execnz .LBB22_2107
.LBB22_2087:
	s_or_b32 exec_lo, exec_lo, s17
	v_mov_b32_e32 v1, 0
	s_and_saveexec_b32 s17, s18
	s_cbranch_execz .LBB22_2089
.LBB22_2088:
	v_and_b32_e32 v1, 0xffff, v3
	s_delay_alu instid0(VALU_DEP_1) | instskip(SKIP_1) | instid1(VALU_DEP_2)
	v_and_b32_e32 v5, 3, v1
	v_bfe_u32 v12, v1, 2, 5
	v_clz_i32_u32_e32 v7, v5
	s_delay_alu instid0(VALU_DEP_2) | instskip(NEXT) | instid1(VALU_DEP_2)
	v_cmp_eq_u32_e32 vcc_lo, 0, v12
	v_min_u32_e32 v7, 32, v7
	s_delay_alu instid0(VALU_DEP_1) | instskip(NEXT) | instid1(VALU_DEP_1)
	v_subrev_nc_u32_e32 v11, 29, v7
	v_dual_lshlrev_b32 v1, v11, v1 :: v_dual_sub_nc_u32 v7, 30, v7
	s_delay_alu instid0(VALU_DEP_1) | instskip(NEXT) | instid1(VALU_DEP_1)
	v_dual_lshlrev_b32 v3, 24, v3 :: v_dual_bitop2_b32 v1, 3, v1 bitop3:0x40
	v_dual_cndmask_b32 v1, v5, v1, vcc_lo :: v_dual_cndmask_b32 v7, v12, v7, vcc_lo
	s_delay_alu instid0(VALU_DEP_2) | instskip(NEXT) | instid1(VALU_DEP_2)
	v_and_b32_e32 v3, 0x80000000, v3
	v_lshlrev_b32_e32 v1, 21, v1
	s_delay_alu instid0(VALU_DEP_3) | instskip(NEXT) | instid1(VALU_DEP_1)
	v_lshl_add_u32 v5, v7, 23, 0x37800000
	v_or3_b32 v1, v3, v5, v1
	s_delay_alu instid0(VALU_DEP_1)
	v_cvt_i32_f32_e32 v1, v1
.LBB22_2089:
	s_or_b32 exec_lo, exec_lo, s17
	s_mov_b32 s17, 0
	s_branch .LBB22_2095
.LBB22_2090:
	s_mov_b32 s17, -1
                                        ; implicit-def: $vgpr1
	s_branch .LBB22_2101
.LBB22_2091:
	s_and_not1_saveexec_b32 s18, s18
	s_cbranch_execz .LBB22_2076
.LBB22_2092:
	v_cmp_ne_u16_e32 vcc_lo, 0, v3
	s_and_not1_b32 s19, s19, exec_lo
	s_and_b32 s20, vcc_lo, exec_lo
	s_delay_alu instid0(SALU_CYCLE_1)
	s_or_b32 s19, s19, s20
	s_or_b32 exec_lo, exec_lo, s18
	v_mov_b32_e32 v1, 0
	s_and_saveexec_b32 s18, s19
	s_cbranch_execnz .LBB22_2077
	s_branch .LBB22_2078
.LBB22_2093:
	s_mov_b32 s17, -1
                                        ; implicit-def: $vgpr1
	s_branch .LBB22_2098
.LBB22_2094:
	s_mov_b32 s17, -1
                                        ; implicit-def: $vgpr1
.LBB22_2095:
	s_delay_alu instid0(SALU_CYCLE_1)
	s_and_b32 vcc_lo, exec_lo, s17
	s_cbranch_vccz .LBB22_2097
; %bb.2096:
	s_wait_loadcnt 0x0
	global_load_u8 v1, v[8:9], off
	s_wait_loadcnt 0x0
	v_lshlrev_b32_e32 v1, 24, v1
	s_delay_alu instid0(VALU_DEP_1) | instskip(NEXT) | instid1(VALU_DEP_1)
	v_and_b32_e32 v3, 0x7f000000, v1
	v_clz_i32_u32_e32 v5, v3
	v_add_nc_u32_e32 v11, 0x1000000, v3
	v_cmp_ne_u32_e32 vcc_lo, 0, v3
	s_delay_alu instid0(VALU_DEP_3) | instskip(NEXT) | instid1(VALU_DEP_1)
	v_min_u32_e32 v5, 32, v5
	v_sub_nc_u32_e64 v5, v5, 4 clamp
	s_delay_alu instid0(VALU_DEP_1) | instskip(NEXT) | instid1(VALU_DEP_1)
	v_dual_lshlrev_b32 v7, v5, v3 :: v_dual_lshlrev_b32 v5, 23, v5
	v_lshrrev_b32_e32 v7, 4, v7
	s_delay_alu instid0(VALU_DEP_1) | instskip(NEXT) | instid1(VALU_DEP_1)
	v_dual_sub_nc_u32 v5, v7, v5 :: v_dual_ashrrev_i32 v7, 8, v11
	v_add_nc_u32_e32 v5, 0x3c000000, v5
	s_delay_alu instid0(VALU_DEP_1) | instskip(NEXT) | instid1(VALU_DEP_1)
	v_and_or_b32 v5, 0x7f800000, v7, v5
	v_cndmask_b32_e32 v3, 0, v5, vcc_lo
	s_delay_alu instid0(VALU_DEP_1) | instskip(NEXT) | instid1(VALU_DEP_1)
	v_and_or_b32 v1, 0x80000000, v1, v3
	v_cvt_i32_f32_e32 v1, v1
.LBB22_2097:
	s_mov_b32 s17, 0
.LBB22_2098:
	s_delay_alu instid0(SALU_CYCLE_1)
	s_and_not1_b32 vcc_lo, exec_lo, s17
	s_cbranch_vccnz .LBB22_2100
; %bb.2099:
	s_wait_loadcnt 0x0
	global_load_u8 v1, v[8:9], off
	s_wait_loadcnt 0x0
	v_lshlrev_b32_e32 v3, 25, v1
	v_lshlrev_b16 v1, 8, v1
	s_delay_alu instid0(VALU_DEP_1) | instskip(SKIP_1) | instid1(VALU_DEP_2)
	v_and_or_b32 v7, 0x7f00, v1, 0.5
	v_bfe_i32 v1, v1, 0, 16
	v_add_f32_e32 v7, -0.5, v7
	v_lshrrev_b32_e32 v5, 4, v3
	v_cmp_gt_u32_e32 vcc_lo, 0x8000000, v3
	s_delay_alu instid0(VALU_DEP_2) | instskip(NEXT) | instid1(VALU_DEP_1)
	v_or_b32_e32 v5, 0x70000000, v5
	v_mul_f32_e32 v5, 0x7800000, v5
	s_delay_alu instid0(VALU_DEP_1) | instskip(NEXT) | instid1(VALU_DEP_1)
	v_cndmask_b32_e32 v3, v5, v7, vcc_lo
	v_and_or_b32 v1, 0x80000000, v1, v3
	s_delay_alu instid0(VALU_DEP_1)
	v_cvt_i32_f32_e32 v1, v1
.LBB22_2100:
	s_mov_b32 s17, 0
	s_mov_b32 s18, -1
.LBB22_2101:
	s_and_not1_b32 vcc_lo, exec_lo, s17
	s_mov_b32 s17, 0
	s_cbranch_vccnz .LBB22_2112
; %bb.2102:
	s_cmp_gt_i32 s13, 14
	s_cbranch_scc0 .LBB22_2105
; %bb.2103:
	s_cmp_eq_u32 s13, 15
	s_cbranch_scc0 .LBB22_2108
; %bb.2104:
	s_wait_loadcnt 0x0
	global_load_u16 v1, v[8:9], off
	s_mov_b32 s16, 0
	s_mov_b32 s18, -1
	s_wait_loadcnt 0x0
	v_lshlrev_b32_e32 v1, 16, v1
	s_delay_alu instid0(VALU_DEP_1)
	v_cvt_i32_f32_e32 v1, v1
	s_branch .LBB22_2110
.LBB22_2105:
	s_mov_b32 s17, -1
	s_branch .LBB22_2109
.LBB22_2106:
	s_and_not1_saveexec_b32 s17, s17
	s_cbranch_execz .LBB22_2087
.LBB22_2107:
	v_cmp_ne_u16_e32 vcc_lo, 0, v3
	s_and_not1_b32 s18, s18, exec_lo
	s_and_b32 s19, vcc_lo, exec_lo
	s_delay_alu instid0(SALU_CYCLE_1)
	s_or_b32 s18, s18, s19
	s_or_b32 exec_lo, exec_lo, s17
	v_mov_b32_e32 v1, 0
	s_and_saveexec_b32 s17, s18
	s_cbranch_execnz .LBB22_2088
	s_branch .LBB22_2089
.LBB22_2108:
	s_mov_b32 s16, -1
.LBB22_2109:
                                        ; implicit-def: $vgpr1
.LBB22_2110:
	s_and_b32 vcc_lo, exec_lo, s17
	s_mov_b32 s17, 0
	s_cbranch_vccz .LBB22_2112
; %bb.2111:
	s_cmp_lg_u32 s13, 11
	s_mov_b32 s17, -1
	s_cselect_b32 s16, -1, 0
.LBB22_2112:
	s_delay_alu instid0(SALU_CYCLE_1)
	s_and_b32 vcc_lo, exec_lo, s16
	s_cbranch_vccnz .LBB22_2177
; %bb.2113:
	s_and_not1_b32 vcc_lo, exec_lo, s17
	s_cbranch_vccnz .LBB22_2115
.LBB22_2114:
	s_wait_loadcnt 0x0
	global_load_u8 v1, v[8:9], off
	s_mov_b32 s18, -1
	s_wait_loadcnt 0x0
	v_cmp_ne_u16_e32 vcc_lo, 0, v1
	v_cndmask_b32_e64 v1, 0, 1, vcc_lo
.LBB22_2115:
	s_mov_b32 s13, 0
.LBB22_2116:
	s_delay_alu instid0(SALU_CYCLE_1)
	s_and_b32 vcc_lo, exec_lo, s13
	s_cbranch_vccz .LBB22_2165
; %bb.2117:
	s_and_b32 s13, 0xffff, s0
	s_delay_alu instid0(SALU_CYCLE_1)
	s_cmp_lt_i32 s13, 5
	s_cbranch_scc1 .LBB22_2122
; %bb.2118:
	s_cmp_lt_i32 s13, 8
	s_cbranch_scc1 .LBB22_2123
; %bb.2119:
	;; [unrolled: 3-line block ×3, first 2 shown]
	s_cmp_gt_i32 s13, 9
	s_cbranch_scc0 .LBB22_2125
; %bb.2121:
	global_load_b64 v[12:13], v[8:9], off
	s_mov_b32 s16, 0
	s_wait_loadcnt 0x0
	v_cvt_i32_f64_e32 v1, v[12:13]
	s_branch .LBB22_2126
.LBB22_2122:
	s_mov_b32 s16, -1
                                        ; implicit-def: $vgpr1
	s_branch .LBB22_2144
.LBB22_2123:
	s_mov_b32 s16, -1
                                        ; implicit-def: $vgpr1
	s_branch .LBB22_2132
.LBB22_2124:
	s_mov_b32 s16, -1
                                        ; implicit-def: $vgpr1
	s_branch .LBB22_2129
.LBB22_2125:
	s_mov_b32 s16, -1
                                        ; implicit-def: $vgpr1
.LBB22_2126:
	s_delay_alu instid0(SALU_CYCLE_1)
	s_and_not1_b32 vcc_lo, exec_lo, s16
	s_cbranch_vccnz .LBB22_2128
; %bb.2127:
	s_wait_loadcnt 0x0
	global_load_b32 v1, v[8:9], off
	s_wait_loadcnt 0x0
	v_cvt_i32_f32_e32 v1, v1
.LBB22_2128:
	s_mov_b32 s16, 0
.LBB22_2129:
	s_delay_alu instid0(SALU_CYCLE_1)
	s_and_not1_b32 vcc_lo, exec_lo, s16
	s_cbranch_vccnz .LBB22_2131
; %bb.2130:
	s_wait_loadcnt 0x0
	global_load_b32 v1, v[8:9], off
	s_wait_loadcnt 0x0
	v_cvt_f32_f16_e32 v1, v1
	s_delay_alu instid0(VALU_DEP_1)
	v_cvt_i32_f32_e32 v1, v1
.LBB22_2131:
	s_mov_b32 s16, 0
.LBB22_2132:
	s_delay_alu instid0(SALU_CYCLE_1)
	s_and_not1_b32 vcc_lo, exec_lo, s16
	s_cbranch_vccnz .LBB22_2143
; %bb.2133:
	s_cmp_lt_i32 s13, 6
	s_cbranch_scc1 .LBB22_2136
; %bb.2134:
	s_cmp_gt_i32 s13, 6
	s_cbranch_scc0 .LBB22_2137
; %bb.2135:
	global_load_b64 v[12:13], v[8:9], off
	s_mov_b32 s16, 0
	s_wait_loadcnt 0x0
	v_cvt_i32_f64_e32 v1, v[12:13]
	s_branch .LBB22_2138
.LBB22_2136:
	s_mov_b32 s16, -1
                                        ; implicit-def: $vgpr1
	s_branch .LBB22_2141
.LBB22_2137:
	s_mov_b32 s16, -1
                                        ; implicit-def: $vgpr1
.LBB22_2138:
	s_delay_alu instid0(SALU_CYCLE_1)
	s_and_not1_b32 vcc_lo, exec_lo, s16
	s_cbranch_vccnz .LBB22_2140
; %bb.2139:
	s_wait_loadcnt 0x0
	global_load_b32 v1, v[8:9], off
	s_wait_loadcnt 0x0
	v_cvt_i32_f32_e32 v1, v1
.LBB22_2140:
	s_mov_b32 s16, 0
.LBB22_2141:
	s_delay_alu instid0(SALU_CYCLE_1)
	s_and_not1_b32 vcc_lo, exec_lo, s16
	s_cbranch_vccnz .LBB22_2143
; %bb.2142:
	s_wait_loadcnt 0x0
	global_load_u16 v1, v[8:9], off
	s_wait_loadcnt 0x0
	v_cvt_f32_f16_e32 v1, v1
	s_delay_alu instid0(VALU_DEP_1)
	v_cvt_i32_f32_e32 v1, v1
.LBB22_2143:
	s_mov_b32 s16, 0
.LBB22_2144:
	s_delay_alu instid0(SALU_CYCLE_1)
	s_and_not1_b32 vcc_lo, exec_lo, s16
	s_cbranch_vccnz .LBB22_2164
; %bb.2145:
	s_cmp_lt_i32 s13, 2
	s_cbranch_scc1 .LBB22_2149
; %bb.2146:
	s_cmp_lt_i32 s13, 3
	s_cbranch_scc1 .LBB22_2150
; %bb.2147:
	s_cmp_gt_i32 s13, 3
	s_cbranch_scc0 .LBB22_2151
; %bb.2148:
	s_wait_loadcnt 0x0
	global_load_b32 v1, v[8:9], off
	s_mov_b32 s16, 0
	s_branch .LBB22_2152
.LBB22_2149:
	s_mov_b32 s16, -1
                                        ; implicit-def: $vgpr1
	s_branch .LBB22_2158
.LBB22_2150:
	s_mov_b32 s16, -1
                                        ; implicit-def: $vgpr1
	s_branch .LBB22_2155
.LBB22_2151:
	s_mov_b32 s16, -1
                                        ; implicit-def: $vgpr1
.LBB22_2152:
	s_delay_alu instid0(SALU_CYCLE_1)
	s_and_not1_b32 vcc_lo, exec_lo, s16
	s_cbranch_vccnz .LBB22_2154
; %bb.2153:
	s_wait_loadcnt 0x0
	global_load_b32 v1, v[8:9], off
.LBB22_2154:
	s_mov_b32 s16, 0
.LBB22_2155:
	s_delay_alu instid0(SALU_CYCLE_1)
	s_and_not1_b32 vcc_lo, exec_lo, s16
	s_cbranch_vccnz .LBB22_2157
; %bb.2156:
	s_wait_loadcnt 0x0
	global_load_i16 v1, v[8:9], off
.LBB22_2157:
	s_mov_b32 s16, 0
.LBB22_2158:
	s_delay_alu instid0(SALU_CYCLE_1)
	s_and_not1_b32 vcc_lo, exec_lo, s16
	s_cbranch_vccnz .LBB22_2164
; %bb.2159:
	s_cmp_gt_i32 s13, 0
	s_mov_b32 s13, 0
	s_cbranch_scc0 .LBB22_2161
; %bb.2160:
	s_wait_loadcnt 0x0
	global_load_i8 v1, v[8:9], off
	s_branch .LBB22_2162
.LBB22_2161:
	s_mov_b32 s13, -1
                                        ; implicit-def: $vgpr1
.LBB22_2162:
	s_delay_alu instid0(SALU_CYCLE_1)
	s_and_not1_b32 vcc_lo, exec_lo, s13
	s_cbranch_vccnz .LBB22_2164
; %bb.2163:
	s_wait_loadcnt 0x0
	global_load_u8 v1, v[8:9], off
.LBB22_2164:
	s_mov_b32 s18, -1
.LBB22_2165:
	s_delay_alu instid0(SALU_CYCLE_1)
	s_and_not1_b32 vcc_lo, exec_lo, s18
	s_cbranch_vccnz .LBB22_2635
; %bb.2166:
	s_wait_xcnt 0x0
	v_add_nc_u32_e32 v8, s10, v4
	s_cmp_lt_i32 s1, 11
	s_delay_alu instid0(VALU_DEP_1) | instskip(NEXT) | instid1(VALU_DEP_1)
	v_ashrrev_i32_e32 v9, 31, v8
	v_add_nc_u64_e32 v[4:5], s[2:3], v[8:9]
	s_cbranch_scc1 .LBB22_2173
; %bb.2167:
	s_and_b32 s13, 0xffff, s1
	s_mov_b32 s17, 0
	s_cmp_gt_i32 s13, 25
	s_cbranch_scc0 .LBB22_2174
; %bb.2168:
	s_cmp_gt_i32 s13, 28
	s_cbranch_scc0 .LBB22_2175
; %bb.2169:
	;; [unrolled: 3-line block ×4, first 2 shown]
	s_cmp_eq_u32 s13, 46
	s_mov_b32 s19, 0
	s_cbranch_scc0 .LBB22_2181
; %bb.2172:
	global_load_b32 v3, v[4:5], off
	s_mov_b32 s16, 0
	s_mov_b32 s18, -1
	s_wait_loadcnt 0x0
	v_lshlrev_b32_e32 v3, 16, v3
	s_delay_alu instid0(VALU_DEP_1)
	v_cvt_i32_f32_e32 v3, v3
	s_branch .LBB22_2183
.LBB22_2173:
	s_mov_b32 s13, -1
	s_mov_b32 s18, 0
                                        ; implicit-def: $vgpr3
	s_branch .LBB22_2245
.LBB22_2174:
	s_mov_b32 s19, -1
	s_mov_b32 s18, 0
	s_mov_b32 s16, 0
                                        ; implicit-def: $vgpr3
	s_branch .LBB22_2210
.LBB22_2175:
	s_mov_b32 s19, -1
	s_mov_b32 s18, 0
	s_mov_b32 s16, 0
                                        ; implicit-def: $vgpr3
	s_branch .LBB22_2193
.LBB22_2176:
	s_mov_b32 s19, -1
	s_mov_b32 s18, 0
	s_mov_b32 s16, 0
                                        ; implicit-def: $vgpr3
	s_branch .LBB22_2188
.LBB22_2177:
	s_or_b32 s12, s12, exec_lo
	s_trap 2
	s_cbranch_execz .LBB22_2114
	s_branch .LBB22_2115
.LBB22_2178:
	s_mov_b32 s19, -1
	s_mov_b32 s18, 0
	s_mov_b32 s16, 0
	s_branch .LBB22_2182
.LBB22_2179:
	s_and_not1_saveexec_b32 s31, s31
	s_cbranch_execz .LBB22_1075
.LBB22_2180:
	v_add_f32_e32 v1, 0x42800000, v4
	s_and_not1_b32 s30, s30, exec_lo
	s_delay_alu instid0(VALU_DEP_1) | instskip(NEXT) | instid1(VALU_DEP_1)
	v_and_b32_e32 v1, 0xff, v1
	v_cmp_ne_u32_e32 vcc_lo, 0, v1
	s_and_b32 s33, vcc_lo, exec_lo
	s_delay_alu instid0(SALU_CYCLE_1)
	s_or_b32 s30, s30, s33
	s_or_b32 exec_lo, exec_lo, s31
	v_mov_b32_e32 v5, 0
	s_and_saveexec_b32 s31, s30
	s_cbranch_execnz .LBB22_1076
	s_branch .LBB22_1077
.LBB22_2181:
	s_mov_b32 s16, -1
	s_mov_b32 s18, 0
.LBB22_2182:
                                        ; implicit-def: $vgpr3
.LBB22_2183:
	s_and_b32 vcc_lo, exec_lo, s19
	s_cbranch_vccz .LBB22_2187
; %bb.2184:
	s_cmp_eq_u32 s13, 44
	s_cbranch_scc0 .LBB22_2186
; %bb.2185:
	global_load_u8 v3, v[4:5], off
	s_mov_b32 s16, 0
	s_mov_b32 s18, -1
	s_wait_loadcnt 0x0
	v_lshlrev_b32_e32 v7, 23, v3
	v_cmp_ne_u32_e32 vcc_lo, 0, v3
	s_delay_alu instid0(VALU_DEP_2) | instskip(NEXT) | instid1(VALU_DEP_1)
	v_cvt_i32_f32_e32 v7, v7
	v_cndmask_b32_e32 v3, 0, v7, vcc_lo
	s_branch .LBB22_2187
.LBB22_2186:
	s_mov_b32 s16, -1
                                        ; implicit-def: $vgpr3
.LBB22_2187:
	s_mov_b32 s19, 0
.LBB22_2188:
	s_delay_alu instid0(SALU_CYCLE_1)
	s_and_b32 vcc_lo, exec_lo, s19
	s_cbranch_vccz .LBB22_2192
; %bb.2189:
	s_cmp_eq_u32 s13, 29
	s_cbranch_scc0 .LBB22_2191
; %bb.2190:
	global_load_b32 v3, v[4:5], off
	s_mov_b32 s16, 0
	s_mov_b32 s18, -1
	s_branch .LBB22_2192
.LBB22_2191:
	s_mov_b32 s16, -1
                                        ; implicit-def: $vgpr3
.LBB22_2192:
	s_mov_b32 s19, 0
.LBB22_2193:
	s_delay_alu instid0(SALU_CYCLE_1)
	s_and_b32 vcc_lo, exec_lo, s19
	s_cbranch_vccz .LBB22_2209
; %bb.2194:
	s_cmp_lt_i32 s13, 27
	s_cbranch_scc1 .LBB22_2197
; %bb.2195:
	s_cmp_gt_i32 s13, 27
	s_cbranch_scc0 .LBB22_2198
; %bb.2196:
	s_wait_loadcnt 0x0
	global_load_b32 v3, v[4:5], off
	s_mov_b32 s18, 0
	s_branch .LBB22_2199
.LBB22_2197:
	s_mov_b32 s18, -1
                                        ; implicit-def: $vgpr3
	s_branch .LBB22_2202
.LBB22_2198:
	s_mov_b32 s18, -1
                                        ; implicit-def: $vgpr3
.LBB22_2199:
	s_delay_alu instid0(SALU_CYCLE_1)
	s_and_not1_b32 vcc_lo, exec_lo, s18
	s_cbranch_vccnz .LBB22_2201
; %bb.2200:
	s_wait_loadcnt 0x0
	global_load_u16 v3, v[4:5], off
.LBB22_2201:
	s_mov_b32 s18, 0
.LBB22_2202:
	s_delay_alu instid0(SALU_CYCLE_1)
	s_and_not1_b32 vcc_lo, exec_lo, s18
	s_cbranch_vccnz .LBB22_2208
; %bb.2203:
	global_load_u8 v7, v[4:5], off
	s_mov_b32 s19, 0
	s_mov_b32 s18, exec_lo
	s_wait_loadcnt 0x0
	v_cmpx_lt_i16_e32 0x7f, v7
	s_xor_b32 s18, exec_lo, s18
	s_cbranch_execz .LBB22_2220
; %bb.2204:
	v_cmp_ne_u16_e32 vcc_lo, 0x80, v7
	s_and_b32 s19, vcc_lo, exec_lo
	s_and_not1_saveexec_b32 s18, s18
	s_cbranch_execnz .LBB22_2221
.LBB22_2205:
	s_or_b32 exec_lo, exec_lo, s18
	v_mov_b32_e32 v3, 0
	s_and_saveexec_b32 s18, s19
	s_cbranch_execz .LBB22_2207
.LBB22_2206:
	v_and_b32_e32 v3, 0xffff, v7
	v_lshlrev_b32_e32 v7, 24, v7
	s_delay_alu instid0(VALU_DEP_2) | instskip(SKIP_1) | instid1(VALU_DEP_3)
	v_and_b32_e32 v9, 7, v3
	v_bfe_u32 v13, v3, 3, 4
	v_and_b32_e32 v7, 0x80000000, v7
	s_delay_alu instid0(VALU_DEP_3) | instskip(NEXT) | instid1(VALU_DEP_3)
	v_clz_i32_u32_e32 v11, v9
	v_cmp_eq_u32_e32 vcc_lo, 0, v13
	s_delay_alu instid0(VALU_DEP_2) | instskip(NEXT) | instid1(VALU_DEP_1)
	v_min_u32_e32 v11, 32, v11
	v_subrev_nc_u32_e32 v12, 28, v11
	v_sub_nc_u32_e32 v11, 29, v11
	s_delay_alu instid0(VALU_DEP_2) | instskip(NEXT) | instid1(VALU_DEP_2)
	v_lshlrev_b32_e32 v3, v12, v3
	v_cndmask_b32_e32 v11, v13, v11, vcc_lo
	s_delay_alu instid0(VALU_DEP_2) | instskip(NEXT) | instid1(VALU_DEP_1)
	v_and_b32_e32 v3, 7, v3
	v_cndmask_b32_e32 v3, v9, v3, vcc_lo
	s_delay_alu instid0(VALU_DEP_3) | instskip(NEXT) | instid1(VALU_DEP_2)
	v_lshl_add_u32 v9, v11, 23, 0x3b800000
	v_lshlrev_b32_e32 v3, 20, v3
	s_delay_alu instid0(VALU_DEP_1) | instskip(NEXT) | instid1(VALU_DEP_1)
	v_or3_b32 v3, v7, v9, v3
	v_cvt_i32_f32_e32 v3, v3
.LBB22_2207:
	s_or_b32 exec_lo, exec_lo, s18
.LBB22_2208:
	s_mov_b32 s18, -1
.LBB22_2209:
	s_mov_b32 s19, 0
.LBB22_2210:
	s_delay_alu instid0(SALU_CYCLE_1)
	s_and_b32 vcc_lo, exec_lo, s19
	s_cbranch_vccz .LBB22_2241
; %bb.2211:
	s_cmp_gt_i32 s13, 22
	s_cbranch_scc0 .LBB22_2219
; %bb.2212:
	s_cmp_lt_i32 s13, 24
	s_cbranch_scc1 .LBB22_2222
; %bb.2213:
	s_cmp_gt_i32 s13, 24
	s_cbranch_scc0 .LBB22_2223
; %bb.2214:
	global_load_u8 v7, v[4:5], off
	s_mov_b32 s18, 0
	s_mov_b32 s17, exec_lo
	s_wait_loadcnt 0x0
	v_cmpx_lt_i16_e32 0x7f, v7
	s_xor_b32 s17, exec_lo, s17
	s_cbranch_execz .LBB22_2235
; %bb.2215:
	v_cmp_ne_u16_e32 vcc_lo, 0x80, v7
	s_and_b32 s18, vcc_lo, exec_lo
	s_and_not1_saveexec_b32 s17, s17
	s_cbranch_execnz .LBB22_2236
.LBB22_2216:
	s_or_b32 exec_lo, exec_lo, s17
	v_mov_b32_e32 v3, 0
	s_and_saveexec_b32 s17, s18
	s_cbranch_execz .LBB22_2218
.LBB22_2217:
	v_and_b32_e32 v3, 0xffff, v7
	v_lshlrev_b32_e32 v7, 24, v7
	s_delay_alu instid0(VALU_DEP_2) | instskip(SKIP_1) | instid1(VALU_DEP_3)
	v_and_b32_e32 v9, 3, v3
	v_bfe_u32 v13, v3, 2, 5
	v_and_b32_e32 v7, 0x80000000, v7
	s_delay_alu instid0(VALU_DEP_3) | instskip(NEXT) | instid1(VALU_DEP_3)
	v_clz_i32_u32_e32 v11, v9
	v_cmp_eq_u32_e32 vcc_lo, 0, v13
	s_delay_alu instid0(VALU_DEP_2) | instskip(NEXT) | instid1(VALU_DEP_1)
	v_min_u32_e32 v11, 32, v11
	v_subrev_nc_u32_e32 v12, 29, v11
	v_sub_nc_u32_e32 v11, 30, v11
	s_delay_alu instid0(VALU_DEP_2) | instskip(NEXT) | instid1(VALU_DEP_2)
	v_lshlrev_b32_e32 v3, v12, v3
	v_cndmask_b32_e32 v11, v13, v11, vcc_lo
	s_delay_alu instid0(VALU_DEP_2) | instskip(NEXT) | instid1(VALU_DEP_1)
	v_and_b32_e32 v3, 3, v3
	v_cndmask_b32_e32 v3, v9, v3, vcc_lo
	s_delay_alu instid0(VALU_DEP_3) | instskip(NEXT) | instid1(VALU_DEP_2)
	v_lshl_add_u32 v9, v11, 23, 0x37800000
	v_lshlrev_b32_e32 v3, 21, v3
	s_delay_alu instid0(VALU_DEP_1) | instskip(NEXT) | instid1(VALU_DEP_1)
	v_or3_b32 v3, v7, v9, v3
	v_cvt_i32_f32_e32 v3, v3
.LBB22_2218:
	s_or_b32 exec_lo, exec_lo, s17
	s_mov_b32 s17, 0
	s_branch .LBB22_2224
.LBB22_2219:
	s_mov_b32 s17, -1
                                        ; implicit-def: $vgpr3
	s_branch .LBB22_2230
.LBB22_2220:
	s_and_not1_saveexec_b32 s18, s18
	s_cbranch_execz .LBB22_2205
.LBB22_2221:
	v_cmp_ne_u16_e32 vcc_lo, 0, v7
	s_and_not1_b32 s19, s19, exec_lo
	s_and_b32 s20, vcc_lo, exec_lo
	s_delay_alu instid0(SALU_CYCLE_1)
	s_or_b32 s19, s19, s20
	s_or_b32 exec_lo, exec_lo, s18
	v_mov_b32_e32 v3, 0
	s_and_saveexec_b32 s18, s19
	s_cbranch_execnz .LBB22_2206
	s_branch .LBB22_2207
.LBB22_2222:
	s_mov_b32 s17, -1
                                        ; implicit-def: $vgpr3
	s_branch .LBB22_2227
.LBB22_2223:
	s_mov_b32 s17, -1
                                        ; implicit-def: $vgpr3
.LBB22_2224:
	s_delay_alu instid0(SALU_CYCLE_1)
	s_and_b32 vcc_lo, exec_lo, s17
	s_cbranch_vccz .LBB22_2226
; %bb.2225:
	s_wait_loadcnt 0x0
	global_load_u8 v3, v[4:5], off
	s_wait_loadcnt 0x0
	v_lshlrev_b32_e32 v3, 24, v3
	s_delay_alu instid0(VALU_DEP_1) | instskip(NEXT) | instid1(VALU_DEP_1)
	v_and_b32_e32 v7, 0x7f000000, v3
	v_clz_i32_u32_e32 v9, v7
	v_cmp_ne_u32_e32 vcc_lo, 0, v7
	v_add_nc_u32_e32 v12, 0x1000000, v7
	s_delay_alu instid0(VALU_DEP_3) | instskip(NEXT) | instid1(VALU_DEP_1)
	v_min_u32_e32 v9, 32, v9
	v_sub_nc_u32_e64 v9, v9, 4 clamp
	s_delay_alu instid0(VALU_DEP_1) | instskip(NEXT) | instid1(VALU_DEP_1)
	v_dual_lshlrev_b32 v11, v9, v7 :: v_dual_lshlrev_b32 v9, 23, v9
	v_lshrrev_b32_e32 v11, 4, v11
	s_delay_alu instid0(VALU_DEP_1) | instskip(NEXT) | instid1(VALU_DEP_1)
	v_dual_sub_nc_u32 v9, v11, v9 :: v_dual_ashrrev_i32 v11, 8, v12
	v_add_nc_u32_e32 v9, 0x3c000000, v9
	s_delay_alu instid0(VALU_DEP_1) | instskip(NEXT) | instid1(VALU_DEP_1)
	v_and_or_b32 v9, 0x7f800000, v11, v9
	v_cndmask_b32_e32 v7, 0, v9, vcc_lo
	s_delay_alu instid0(VALU_DEP_1) | instskip(NEXT) | instid1(VALU_DEP_1)
	v_and_or_b32 v3, 0x80000000, v3, v7
	v_cvt_i32_f32_e32 v3, v3
.LBB22_2226:
	s_mov_b32 s17, 0
.LBB22_2227:
	s_delay_alu instid0(SALU_CYCLE_1)
	s_and_not1_b32 vcc_lo, exec_lo, s17
	s_cbranch_vccnz .LBB22_2229
; %bb.2228:
	s_wait_loadcnt 0x0
	global_load_u8 v3, v[4:5], off
	s_wait_loadcnt 0x0
	v_lshlrev_b32_e32 v7, 25, v3
	v_lshlrev_b16 v3, 8, v3
	s_delay_alu instid0(VALU_DEP_2) | instskip(NEXT) | instid1(VALU_DEP_2)
	v_lshrrev_b32_e32 v9, 4, v7
	v_and_or_b32 v11, 0x7f00, v3, 0.5
	v_cmp_gt_u32_e32 vcc_lo, 0x8000000, v7
	v_bfe_i32 v3, v3, 0, 16
	s_delay_alu instid0(VALU_DEP_4) | instskip(NEXT) | instid1(VALU_DEP_4)
	v_or_b32_e32 v9, 0x70000000, v9
	v_add_f32_e32 v11, -0.5, v11
	s_delay_alu instid0(VALU_DEP_2) | instskip(NEXT) | instid1(VALU_DEP_1)
	v_mul_f32_e32 v9, 0x7800000, v9
	v_cndmask_b32_e32 v7, v9, v11, vcc_lo
	s_delay_alu instid0(VALU_DEP_1) | instskip(NEXT) | instid1(VALU_DEP_1)
	v_and_or_b32 v3, 0x80000000, v3, v7
	v_cvt_i32_f32_e32 v3, v3
.LBB22_2229:
	s_mov_b32 s17, 0
	s_mov_b32 s18, -1
.LBB22_2230:
	s_and_not1_b32 vcc_lo, exec_lo, s17
	s_mov_b32 s17, 0
	s_cbranch_vccnz .LBB22_2241
; %bb.2231:
	s_cmp_gt_i32 s13, 14
	s_cbranch_scc0 .LBB22_2234
; %bb.2232:
	s_cmp_eq_u32 s13, 15
	s_cbranch_scc0 .LBB22_2237
; %bb.2233:
	s_wait_loadcnt 0x0
	global_load_u16 v3, v[4:5], off
	s_mov_b32 s16, 0
	s_mov_b32 s18, -1
	s_wait_loadcnt 0x0
	v_lshlrev_b32_e32 v3, 16, v3
	s_delay_alu instid0(VALU_DEP_1)
	v_cvt_i32_f32_e32 v3, v3
	s_branch .LBB22_2239
.LBB22_2234:
	s_mov_b32 s17, -1
	s_branch .LBB22_2238
.LBB22_2235:
	s_and_not1_saveexec_b32 s17, s17
	s_cbranch_execz .LBB22_2216
.LBB22_2236:
	v_cmp_ne_u16_e32 vcc_lo, 0, v7
	s_and_not1_b32 s18, s18, exec_lo
	s_and_b32 s19, vcc_lo, exec_lo
	s_delay_alu instid0(SALU_CYCLE_1)
	s_or_b32 s18, s18, s19
	s_or_b32 exec_lo, exec_lo, s17
	v_mov_b32_e32 v3, 0
	s_and_saveexec_b32 s17, s18
	s_cbranch_execnz .LBB22_2217
	s_branch .LBB22_2218
.LBB22_2237:
	s_mov_b32 s16, -1
.LBB22_2238:
                                        ; implicit-def: $vgpr3
.LBB22_2239:
	s_and_b32 vcc_lo, exec_lo, s17
	s_mov_b32 s17, 0
	s_cbranch_vccz .LBB22_2241
; %bb.2240:
	s_cmp_lg_u32 s13, 11
	s_mov_b32 s17, -1
	s_cselect_b32 s16, -1, 0
.LBB22_2241:
	s_delay_alu instid0(SALU_CYCLE_1)
	s_and_b32 vcc_lo, exec_lo, s16
	s_cbranch_vccnz .LBB22_2310
; %bb.2242:
	s_and_not1_b32 vcc_lo, exec_lo, s17
	s_cbranch_vccnz .LBB22_2244
.LBB22_2243:
	s_wait_loadcnt 0x0
	global_load_u8 v3, v[4:5], off
	s_mov_b32 s18, -1
	s_wait_loadcnt 0x0
	v_cmp_ne_u16_e32 vcc_lo, 0, v3
	v_cndmask_b32_e64 v3, 0, 1, vcc_lo
.LBB22_2244:
	s_mov_b32 s13, 0
.LBB22_2245:
	s_delay_alu instid0(SALU_CYCLE_1)
	s_and_b32 vcc_lo, exec_lo, s13
	s_cbranch_vccz .LBB22_2294
; %bb.2246:
	s_and_b32 s13, 0xffff, s1
	s_delay_alu instid0(SALU_CYCLE_1)
	s_cmp_lt_i32 s13, 5
	s_cbranch_scc1 .LBB22_2251
; %bb.2247:
	s_cmp_lt_i32 s13, 8
	s_cbranch_scc1 .LBB22_2252
; %bb.2248:
	;; [unrolled: 3-line block ×3, first 2 shown]
	s_cmp_gt_i32 s13, 9
	s_cbranch_scc0 .LBB22_2254
; %bb.2250:
	global_load_b64 v[12:13], v[4:5], off
	s_mov_b32 s16, 0
	s_wait_loadcnt 0x0
	v_cvt_i32_f64_e32 v3, v[12:13]
	s_branch .LBB22_2255
.LBB22_2251:
	s_mov_b32 s16, -1
                                        ; implicit-def: $vgpr3
	s_branch .LBB22_2273
.LBB22_2252:
	s_mov_b32 s16, -1
                                        ; implicit-def: $vgpr3
	s_branch .LBB22_2261
.LBB22_2253:
	s_mov_b32 s16, -1
                                        ; implicit-def: $vgpr3
	s_branch .LBB22_2258
.LBB22_2254:
	s_mov_b32 s16, -1
                                        ; implicit-def: $vgpr3
.LBB22_2255:
	s_delay_alu instid0(SALU_CYCLE_1)
	s_and_not1_b32 vcc_lo, exec_lo, s16
	s_cbranch_vccnz .LBB22_2257
; %bb.2256:
	s_wait_loadcnt 0x0
	global_load_b32 v3, v[4:5], off
	s_wait_loadcnt 0x0
	v_cvt_i32_f32_e32 v3, v3
.LBB22_2257:
	s_mov_b32 s16, 0
.LBB22_2258:
	s_delay_alu instid0(SALU_CYCLE_1)
	s_and_not1_b32 vcc_lo, exec_lo, s16
	s_cbranch_vccnz .LBB22_2260
; %bb.2259:
	s_wait_loadcnt 0x0
	global_load_b32 v3, v[4:5], off
	s_wait_loadcnt 0x0
	v_cvt_f32_f16_e32 v3, v3
	s_delay_alu instid0(VALU_DEP_1)
	v_cvt_i32_f32_e32 v3, v3
.LBB22_2260:
	s_mov_b32 s16, 0
.LBB22_2261:
	s_delay_alu instid0(SALU_CYCLE_1)
	s_and_not1_b32 vcc_lo, exec_lo, s16
	s_cbranch_vccnz .LBB22_2272
; %bb.2262:
	s_cmp_lt_i32 s13, 6
	s_cbranch_scc1 .LBB22_2265
; %bb.2263:
	s_cmp_gt_i32 s13, 6
	s_cbranch_scc0 .LBB22_2266
; %bb.2264:
	global_load_b64 v[12:13], v[4:5], off
	s_mov_b32 s16, 0
	s_wait_loadcnt 0x0
	v_cvt_i32_f64_e32 v3, v[12:13]
	s_branch .LBB22_2267
.LBB22_2265:
	s_mov_b32 s16, -1
                                        ; implicit-def: $vgpr3
	s_branch .LBB22_2270
.LBB22_2266:
	s_mov_b32 s16, -1
                                        ; implicit-def: $vgpr3
.LBB22_2267:
	s_delay_alu instid0(SALU_CYCLE_1)
	s_and_not1_b32 vcc_lo, exec_lo, s16
	s_cbranch_vccnz .LBB22_2269
; %bb.2268:
	s_wait_loadcnt 0x0
	global_load_b32 v3, v[4:5], off
	s_wait_loadcnt 0x0
	v_cvt_i32_f32_e32 v3, v3
.LBB22_2269:
	s_mov_b32 s16, 0
.LBB22_2270:
	s_delay_alu instid0(SALU_CYCLE_1)
	s_and_not1_b32 vcc_lo, exec_lo, s16
	s_cbranch_vccnz .LBB22_2272
; %bb.2271:
	s_wait_loadcnt 0x0
	global_load_u16 v3, v[4:5], off
	s_wait_loadcnt 0x0
	v_cvt_f32_f16_e32 v3, v3
	s_delay_alu instid0(VALU_DEP_1)
	v_cvt_i32_f32_e32 v3, v3
.LBB22_2272:
	s_mov_b32 s16, 0
.LBB22_2273:
	s_delay_alu instid0(SALU_CYCLE_1)
	s_and_not1_b32 vcc_lo, exec_lo, s16
	s_cbranch_vccnz .LBB22_2293
; %bb.2274:
	s_cmp_lt_i32 s13, 2
	s_cbranch_scc1 .LBB22_2278
; %bb.2275:
	s_cmp_lt_i32 s13, 3
	s_cbranch_scc1 .LBB22_2279
; %bb.2276:
	s_cmp_gt_i32 s13, 3
	s_cbranch_scc0 .LBB22_2280
; %bb.2277:
	s_wait_loadcnt 0x0
	global_load_b32 v3, v[4:5], off
	s_mov_b32 s16, 0
	s_branch .LBB22_2281
.LBB22_2278:
	s_mov_b32 s16, -1
                                        ; implicit-def: $vgpr3
	s_branch .LBB22_2287
.LBB22_2279:
	s_mov_b32 s16, -1
                                        ; implicit-def: $vgpr3
	s_branch .LBB22_2284
.LBB22_2280:
	s_mov_b32 s16, -1
                                        ; implicit-def: $vgpr3
.LBB22_2281:
	s_delay_alu instid0(SALU_CYCLE_1)
	s_and_not1_b32 vcc_lo, exec_lo, s16
	s_cbranch_vccnz .LBB22_2283
; %bb.2282:
	s_wait_loadcnt 0x0
	global_load_b32 v3, v[4:5], off
.LBB22_2283:
	s_mov_b32 s16, 0
.LBB22_2284:
	s_delay_alu instid0(SALU_CYCLE_1)
	s_and_not1_b32 vcc_lo, exec_lo, s16
	s_cbranch_vccnz .LBB22_2286
; %bb.2285:
	s_wait_loadcnt 0x0
	global_load_i16 v3, v[4:5], off
.LBB22_2286:
	s_mov_b32 s16, 0
.LBB22_2287:
	s_delay_alu instid0(SALU_CYCLE_1)
	s_and_not1_b32 vcc_lo, exec_lo, s16
	s_cbranch_vccnz .LBB22_2293
; %bb.2288:
	s_cmp_gt_i32 s13, 0
	s_mov_b32 s13, 0
	s_cbranch_scc0 .LBB22_2290
; %bb.2289:
	s_wait_loadcnt 0x0
	global_load_i8 v3, v[4:5], off
	s_branch .LBB22_2291
.LBB22_2290:
	s_mov_b32 s13, -1
                                        ; implicit-def: $vgpr3
.LBB22_2291:
	s_delay_alu instid0(SALU_CYCLE_1)
	s_and_not1_b32 vcc_lo, exec_lo, s13
	s_cbranch_vccnz .LBB22_2293
; %bb.2292:
	s_wait_loadcnt 0x0
	global_load_u8 v3, v[4:5], off
.LBB22_2293:
	s_mov_b32 s18, -1
.LBB22_2294:
	s_delay_alu instid0(SALU_CYCLE_1)
	s_and_not1_b32 vcc_lo, exec_lo, s18
	s_cbranch_vccnz .LBB22_2635
; %bb.2295:
	s_wait_loadcnt 0x0
	s_delay_alu instid0(VALU_DEP_1) | instskip(SKIP_2) | instid1(VALU_DEP_1)
	v_sub_nc_u32_e32 v4, 0, v3
	s_mov_b32 s16, 0
	s_mov_b32 s13, exec_lo
	v_max_i32_e32 v4, v3, v4
	v_cmpx_ne_u32_e32 0, v1
	s_cbranch_execz .LBB22_2299
; %bb.2296:
	v_sub_nc_u32_e32 v3, 0, v1
	s_delay_alu instid0(VALU_DEP_1)
	v_max_i32_e32 v3, v1, v3
.LBB22_2297:                            ; =>This Inner Loop Header: Depth=1
	s_delay_alu instid0(VALU_DEP_1) | instskip(NEXT) | instid1(VALU_DEP_1)
	v_mov_b32_e32 v1, v3
	v_cvt_f32_u32_e32 v3, v1
	v_sub_nc_u32_e32 v5, 0, v1
	s_delay_alu instid0(VALU_DEP_2) | instskip(SKIP_1) | instid1(TRANS32_DEP_1)
	v_rcp_iflag_f32_e32 v3, v3
	v_nop
	v_mul_f32_e32 v3, 0x4f7ffffe, v3
	s_delay_alu instid0(VALU_DEP_1) | instskip(NEXT) | instid1(VALU_DEP_1)
	v_cvt_u32_f32_e32 v3, v3
	v_mul_lo_u32 v5, v5, v3
	s_delay_alu instid0(VALU_DEP_1) | instskip(NEXT) | instid1(VALU_DEP_1)
	v_mul_hi_u32 v5, v3, v5
	v_add_nc_u32_e32 v3, v3, v5
	s_delay_alu instid0(VALU_DEP_1) | instskip(NEXT) | instid1(VALU_DEP_1)
	v_mul_hi_u32 v3, v4, v3
	v_mul_lo_u32 v3, v3, v1
	s_delay_alu instid0(VALU_DEP_1) | instskip(NEXT) | instid1(VALU_DEP_1)
	v_sub_nc_u32_e32 v3, v4, v3
	v_sub_nc_u32_e32 v4, v3, v1
	v_cmp_ge_u32_e32 vcc_lo, v3, v1
	s_delay_alu instid0(VALU_DEP_2) | instskip(NEXT) | instid1(VALU_DEP_1)
	v_cndmask_b32_e32 v3, v3, v4, vcc_lo
	v_sub_nc_u32_e32 v4, v3, v1
	v_cmp_ge_u32_e32 vcc_lo, v3, v1
	s_delay_alu instid0(VALU_DEP_2) | instskip(NEXT) | instid1(VALU_DEP_1)
	v_dual_cndmask_b32 v3, v3, v4 :: v_dual_mov_b32 v4, v1
	v_cmp_eq_u32_e32 vcc_lo, 0, v3
	s_or_b32 s16, vcc_lo, s16
	s_delay_alu instid0(SALU_CYCLE_1)
	s_and_not1_b32 exec_lo, exec_lo, s16
	s_cbranch_execnz .LBB22_2297
; %bb.2298:
	s_or_b32 exec_lo, exec_lo, s16
	v_mov_b32_e32 v4, v1
.LBB22_2299:
	s_or_b32 exec_lo, exec_lo, s13
	v_add_nc_u32_e32 v6, s9, v6
	s_cmp_lt_i32 s0, 11
	s_delay_alu instid0(VALU_DEP_1) | instskip(NEXT) | instid1(VALU_DEP_1)
	v_ashrrev_i32_e32 v7, 31, v6
	v_add_nc_u64_e32 v[6:7], s[6:7], v[6:7]
	s_cbranch_scc1 .LBB22_2306
; %bb.2300:
	s_and_b32 s6, 0xffff, s0
	s_mov_b32 s9, 0
	s_cmp_gt_i32 s6, 25
	s_cbranch_scc0 .LBB22_2307
; %bb.2301:
	s_cmp_gt_i32 s6, 28
	s_cbranch_scc0 .LBB22_2308
; %bb.2302:
	;; [unrolled: 3-line block ×4, first 2 shown]
	s_cmp_eq_u32 s6, 46
	s_mov_b32 s16, 0
	s_cbranch_scc0 .LBB22_2312
; %bb.2305:
	global_load_b32 v1, v[6:7], off
	s_mov_b32 s7, 0
	s_mov_b32 s13, -1
	s_wait_loadcnt 0x0
	v_lshlrev_b32_e32 v1, 16, v1
	s_delay_alu instid0(VALU_DEP_1)
	v_cvt_i32_f32_e32 v1, v1
	s_branch .LBB22_2314
.LBB22_2306:
	s_mov_b32 s6, -1
	s_mov_b32 s13, 0
                                        ; implicit-def: $vgpr1
	s_branch .LBB22_2376
.LBB22_2307:
	s_mov_b32 s16, -1
	s_mov_b32 s13, 0
	s_mov_b32 s7, 0
                                        ; implicit-def: $vgpr1
	s_branch .LBB22_2341
.LBB22_2308:
	s_mov_b32 s16, -1
	s_mov_b32 s13, 0
	s_mov_b32 s7, 0
                                        ; implicit-def: $vgpr1
	s_branch .LBB22_2324
.LBB22_2309:
	s_mov_b32 s16, -1
	s_mov_b32 s13, 0
	s_mov_b32 s7, 0
                                        ; implicit-def: $vgpr1
	s_branch .LBB22_2319
.LBB22_2310:
	s_or_b32 s12, s12, exec_lo
	s_trap 2
	s_cbranch_execz .LBB22_2243
	s_branch .LBB22_2244
.LBB22_2311:
	s_mov_b32 s16, -1
	s_mov_b32 s13, 0
	s_mov_b32 s7, 0
	s_branch .LBB22_2313
.LBB22_2312:
	s_mov_b32 s7, -1
	s_mov_b32 s13, 0
.LBB22_2313:
                                        ; implicit-def: $vgpr1
.LBB22_2314:
	s_and_b32 vcc_lo, exec_lo, s16
	s_cbranch_vccz .LBB22_2318
; %bb.2315:
	s_cmp_eq_u32 s6, 44
	s_cbranch_scc0 .LBB22_2317
; %bb.2316:
	global_load_u8 v1, v[6:7], off
	s_mov_b32 s7, 0
	s_mov_b32 s13, -1
	s_wait_loadcnt 0x0
	v_lshlrev_b32_e32 v3, 23, v1
	v_cmp_ne_u32_e32 vcc_lo, 0, v1
	s_delay_alu instid0(VALU_DEP_2) | instskip(NEXT) | instid1(VALU_DEP_1)
	v_cvt_i32_f32_e32 v3, v3
	v_cndmask_b32_e32 v1, 0, v3, vcc_lo
	s_branch .LBB22_2318
.LBB22_2317:
	s_mov_b32 s7, -1
                                        ; implicit-def: $vgpr1
.LBB22_2318:
	s_mov_b32 s16, 0
.LBB22_2319:
	s_delay_alu instid0(SALU_CYCLE_1)
	s_and_b32 vcc_lo, exec_lo, s16
	s_cbranch_vccz .LBB22_2323
; %bb.2320:
	s_cmp_eq_u32 s6, 29
	s_cbranch_scc0 .LBB22_2322
; %bb.2321:
	global_load_b32 v1, v[6:7], off
	s_mov_b32 s7, 0
	s_mov_b32 s13, -1
	s_branch .LBB22_2323
.LBB22_2322:
	s_mov_b32 s7, -1
                                        ; implicit-def: $vgpr1
.LBB22_2323:
	s_mov_b32 s16, 0
.LBB22_2324:
	s_delay_alu instid0(SALU_CYCLE_1)
	s_and_b32 vcc_lo, exec_lo, s16
	s_cbranch_vccz .LBB22_2340
; %bb.2325:
	s_cmp_lt_i32 s6, 27
	s_cbranch_scc1 .LBB22_2328
; %bb.2326:
	s_cmp_gt_i32 s6, 27
	s_cbranch_scc0 .LBB22_2329
; %bb.2327:
	s_wait_loadcnt 0x0
	global_load_b32 v1, v[6:7], off
	s_mov_b32 s13, 0
	s_branch .LBB22_2330
.LBB22_2328:
	s_mov_b32 s13, -1
                                        ; implicit-def: $vgpr1
	s_branch .LBB22_2333
.LBB22_2329:
	s_mov_b32 s13, -1
                                        ; implicit-def: $vgpr1
.LBB22_2330:
	s_delay_alu instid0(SALU_CYCLE_1)
	s_and_not1_b32 vcc_lo, exec_lo, s13
	s_cbranch_vccnz .LBB22_2332
; %bb.2331:
	s_wait_loadcnt 0x0
	global_load_u16 v1, v[6:7], off
.LBB22_2332:
	s_mov_b32 s13, 0
.LBB22_2333:
	s_delay_alu instid0(SALU_CYCLE_1)
	s_and_not1_b32 vcc_lo, exec_lo, s13
	s_cbranch_vccnz .LBB22_2339
; %bb.2334:
	global_load_u8 v3, v[6:7], off
	s_mov_b32 s16, 0
	s_mov_b32 s13, exec_lo
	s_wait_loadcnt 0x0
	v_cmpx_lt_i16_e32 0x7f, v3
	s_xor_b32 s13, exec_lo, s13
	s_cbranch_execz .LBB22_2351
; %bb.2335:
	v_cmp_ne_u16_e32 vcc_lo, 0x80, v3
	s_and_b32 s16, vcc_lo, exec_lo
	s_and_not1_saveexec_b32 s13, s13
	s_cbranch_execnz .LBB22_2352
.LBB22_2336:
	s_or_b32 exec_lo, exec_lo, s13
	v_mov_b32_e32 v1, 0
	s_and_saveexec_b32 s13, s16
	s_cbranch_execz .LBB22_2338
.LBB22_2337:
	v_and_b32_e32 v1, 0xffff, v3
	s_delay_alu instid0(VALU_DEP_1) | instskip(SKIP_1) | instid1(VALU_DEP_2)
	v_dual_lshlrev_b32 v3, 24, v3 :: v_dual_bitop2_b32 v5, 7, v1 bitop3:0x40
	v_bfe_u32 v12, v1, 3, 4
	v_and_b32_e32 v3, 0x80000000, v3
	s_delay_alu instid0(VALU_DEP_3) | instskip(NEXT) | instid1(VALU_DEP_3)
	v_clz_i32_u32_e32 v9, v5
	v_cmp_eq_u32_e32 vcc_lo, 0, v12
	s_delay_alu instid0(VALU_DEP_2) | instskip(NEXT) | instid1(VALU_DEP_1)
	v_min_u32_e32 v9, 32, v9
	v_subrev_nc_u32_e32 v11, 28, v9
	v_sub_nc_u32_e32 v9, 29, v9
	s_delay_alu instid0(VALU_DEP_2) | instskip(NEXT) | instid1(VALU_DEP_2)
	v_lshlrev_b32_e32 v1, v11, v1
	v_cndmask_b32_e32 v9, v12, v9, vcc_lo
	s_delay_alu instid0(VALU_DEP_2) | instskip(NEXT) | instid1(VALU_DEP_1)
	v_and_b32_e32 v1, 7, v1
	v_cndmask_b32_e32 v1, v5, v1, vcc_lo
	s_delay_alu instid0(VALU_DEP_3) | instskip(NEXT) | instid1(VALU_DEP_2)
	v_lshl_add_u32 v5, v9, 23, 0x3b800000
	v_lshlrev_b32_e32 v1, 20, v1
	s_delay_alu instid0(VALU_DEP_1) | instskip(NEXT) | instid1(VALU_DEP_1)
	v_or3_b32 v1, v3, v5, v1
	v_cvt_i32_f32_e32 v1, v1
.LBB22_2338:
	s_or_b32 exec_lo, exec_lo, s13
.LBB22_2339:
	s_mov_b32 s13, -1
.LBB22_2340:
	s_mov_b32 s16, 0
.LBB22_2341:
	s_delay_alu instid0(SALU_CYCLE_1)
	s_and_b32 vcc_lo, exec_lo, s16
	s_cbranch_vccz .LBB22_2372
; %bb.2342:
	s_cmp_gt_i32 s6, 22
	s_cbranch_scc0 .LBB22_2350
; %bb.2343:
	s_cmp_lt_i32 s6, 24
	s_cbranch_scc1 .LBB22_2353
; %bb.2344:
	s_cmp_gt_i32 s6, 24
	s_cbranch_scc0 .LBB22_2354
; %bb.2345:
	global_load_u8 v3, v[6:7], off
	s_mov_b32 s13, 0
	s_mov_b32 s9, exec_lo
	s_wait_loadcnt 0x0
	v_cmpx_lt_i16_e32 0x7f, v3
	s_xor_b32 s9, exec_lo, s9
	s_cbranch_execz .LBB22_2366
; %bb.2346:
	v_cmp_ne_u16_e32 vcc_lo, 0x80, v3
	s_and_b32 s13, vcc_lo, exec_lo
	s_and_not1_saveexec_b32 s9, s9
	s_cbranch_execnz .LBB22_2367
.LBB22_2347:
	s_or_b32 exec_lo, exec_lo, s9
	v_mov_b32_e32 v1, 0
	s_and_saveexec_b32 s9, s13
	s_cbranch_execz .LBB22_2349
.LBB22_2348:
	v_and_b32_e32 v1, 0xffff, v3
	s_delay_alu instid0(VALU_DEP_1) | instskip(SKIP_1) | instid1(VALU_DEP_2)
	v_dual_lshlrev_b32 v3, 24, v3 :: v_dual_bitop2_b32 v5, 3, v1 bitop3:0x40
	v_bfe_u32 v12, v1, 2, 5
	v_and_b32_e32 v3, 0x80000000, v3
	s_delay_alu instid0(VALU_DEP_3) | instskip(NEXT) | instid1(VALU_DEP_3)
	v_clz_i32_u32_e32 v9, v5
	v_cmp_eq_u32_e32 vcc_lo, 0, v12
	s_delay_alu instid0(VALU_DEP_2) | instskip(NEXT) | instid1(VALU_DEP_1)
	v_min_u32_e32 v9, 32, v9
	v_subrev_nc_u32_e32 v11, 29, v9
	v_sub_nc_u32_e32 v9, 30, v9
	s_delay_alu instid0(VALU_DEP_2) | instskip(NEXT) | instid1(VALU_DEP_2)
	v_lshlrev_b32_e32 v1, v11, v1
	v_cndmask_b32_e32 v9, v12, v9, vcc_lo
	s_delay_alu instid0(VALU_DEP_2) | instskip(NEXT) | instid1(VALU_DEP_1)
	v_and_b32_e32 v1, 3, v1
	v_cndmask_b32_e32 v1, v5, v1, vcc_lo
	s_delay_alu instid0(VALU_DEP_3) | instskip(NEXT) | instid1(VALU_DEP_2)
	v_lshl_add_u32 v5, v9, 23, 0x37800000
	v_lshlrev_b32_e32 v1, 21, v1
	s_delay_alu instid0(VALU_DEP_1) | instskip(NEXT) | instid1(VALU_DEP_1)
	v_or3_b32 v1, v3, v5, v1
	v_cvt_i32_f32_e32 v1, v1
.LBB22_2349:
	s_or_b32 exec_lo, exec_lo, s9
	s_mov_b32 s9, 0
	s_branch .LBB22_2355
.LBB22_2350:
	s_mov_b32 s9, -1
                                        ; implicit-def: $vgpr1
	s_branch .LBB22_2361
.LBB22_2351:
	s_and_not1_saveexec_b32 s13, s13
	s_cbranch_execz .LBB22_2336
.LBB22_2352:
	v_cmp_ne_u16_e32 vcc_lo, 0, v3
	s_and_not1_b32 s16, s16, exec_lo
	s_and_b32 s17, vcc_lo, exec_lo
	s_delay_alu instid0(SALU_CYCLE_1)
	s_or_b32 s16, s16, s17
	s_or_b32 exec_lo, exec_lo, s13
	v_mov_b32_e32 v1, 0
	s_and_saveexec_b32 s13, s16
	s_cbranch_execnz .LBB22_2337
	s_branch .LBB22_2338
.LBB22_2353:
	s_mov_b32 s9, -1
                                        ; implicit-def: $vgpr1
	s_branch .LBB22_2358
.LBB22_2354:
	s_mov_b32 s9, -1
                                        ; implicit-def: $vgpr1
.LBB22_2355:
	s_delay_alu instid0(SALU_CYCLE_1)
	s_and_b32 vcc_lo, exec_lo, s9
	s_cbranch_vccz .LBB22_2357
; %bb.2356:
	s_wait_loadcnt 0x0
	global_load_u8 v1, v[6:7], off
	s_wait_loadcnt 0x0
	v_lshlrev_b32_e32 v1, 24, v1
	s_delay_alu instid0(VALU_DEP_1) | instskip(NEXT) | instid1(VALU_DEP_1)
	v_and_b32_e32 v3, 0x7f000000, v1
	v_clz_i32_u32_e32 v5, v3
	v_add_nc_u32_e32 v11, 0x1000000, v3
	v_cmp_ne_u32_e32 vcc_lo, 0, v3
	s_delay_alu instid0(VALU_DEP_3) | instskip(NEXT) | instid1(VALU_DEP_1)
	v_min_u32_e32 v5, 32, v5
	v_sub_nc_u32_e64 v5, v5, 4 clamp
	s_delay_alu instid0(VALU_DEP_1) | instskip(NEXT) | instid1(VALU_DEP_1)
	v_dual_lshlrev_b32 v9, v5, v3 :: v_dual_lshlrev_b32 v5, 23, v5
	v_lshrrev_b32_e32 v9, 4, v9
	s_delay_alu instid0(VALU_DEP_1) | instskip(NEXT) | instid1(VALU_DEP_1)
	v_dual_sub_nc_u32 v5, v9, v5 :: v_dual_ashrrev_i32 v9, 8, v11
	v_add_nc_u32_e32 v5, 0x3c000000, v5
	s_delay_alu instid0(VALU_DEP_1) | instskip(NEXT) | instid1(VALU_DEP_1)
	v_and_or_b32 v5, 0x7f800000, v9, v5
	v_cndmask_b32_e32 v3, 0, v5, vcc_lo
	s_delay_alu instid0(VALU_DEP_1) | instskip(NEXT) | instid1(VALU_DEP_1)
	v_and_or_b32 v1, 0x80000000, v1, v3
	v_cvt_i32_f32_e32 v1, v1
.LBB22_2357:
	s_mov_b32 s9, 0
.LBB22_2358:
	s_delay_alu instid0(SALU_CYCLE_1)
	s_and_not1_b32 vcc_lo, exec_lo, s9
	s_cbranch_vccnz .LBB22_2360
; %bb.2359:
	s_wait_loadcnt 0x0
	global_load_u8 v1, v[6:7], off
	s_wait_loadcnt 0x0
	v_lshlrev_b32_e32 v3, 25, v1
	v_lshlrev_b16 v1, 8, v1
	s_delay_alu instid0(VALU_DEP_2) | instskip(NEXT) | instid1(VALU_DEP_2)
	v_cmp_gt_u32_e32 vcc_lo, 0x8000000, v3
	v_and_or_b32 v9, 0x7f00, v1, 0.5
	v_lshrrev_b32_e32 v5, 4, v3
	v_bfe_i32 v1, v1, 0, 16
	s_delay_alu instid0(VALU_DEP_3) | instskip(NEXT) | instid1(VALU_DEP_3)
	v_add_f32_e32 v9, -0.5, v9
	v_or_b32_e32 v5, 0x70000000, v5
	s_delay_alu instid0(VALU_DEP_1) | instskip(NEXT) | instid1(VALU_DEP_1)
	v_mul_f32_e32 v5, 0x7800000, v5
	v_cndmask_b32_e32 v3, v5, v9, vcc_lo
	s_delay_alu instid0(VALU_DEP_1) | instskip(NEXT) | instid1(VALU_DEP_1)
	v_and_or_b32 v1, 0x80000000, v1, v3
	v_cvt_i32_f32_e32 v1, v1
.LBB22_2360:
	s_mov_b32 s9, 0
	s_mov_b32 s13, -1
.LBB22_2361:
	s_and_not1_b32 vcc_lo, exec_lo, s9
	s_mov_b32 s9, 0
	s_cbranch_vccnz .LBB22_2372
; %bb.2362:
	s_cmp_gt_i32 s6, 14
	s_cbranch_scc0 .LBB22_2365
; %bb.2363:
	s_cmp_eq_u32 s6, 15
	s_cbranch_scc0 .LBB22_2368
; %bb.2364:
	s_wait_loadcnt 0x0
	global_load_u16 v1, v[6:7], off
	s_mov_b32 s7, 0
	s_mov_b32 s13, -1
	s_wait_loadcnt 0x0
	v_lshlrev_b32_e32 v1, 16, v1
	s_delay_alu instid0(VALU_DEP_1)
	v_cvt_i32_f32_e32 v1, v1
	s_branch .LBB22_2370
.LBB22_2365:
	s_mov_b32 s9, -1
	s_branch .LBB22_2369
.LBB22_2366:
	s_and_not1_saveexec_b32 s9, s9
	s_cbranch_execz .LBB22_2347
.LBB22_2367:
	v_cmp_ne_u16_e32 vcc_lo, 0, v3
	s_and_not1_b32 s13, s13, exec_lo
	s_and_b32 s16, vcc_lo, exec_lo
	s_delay_alu instid0(SALU_CYCLE_1)
	s_or_b32 s13, s13, s16
	s_or_b32 exec_lo, exec_lo, s9
	v_mov_b32_e32 v1, 0
	s_and_saveexec_b32 s9, s13
	s_cbranch_execnz .LBB22_2348
	s_branch .LBB22_2349
.LBB22_2368:
	s_mov_b32 s7, -1
.LBB22_2369:
                                        ; implicit-def: $vgpr1
.LBB22_2370:
	s_and_b32 vcc_lo, exec_lo, s9
	s_mov_b32 s9, 0
	s_cbranch_vccz .LBB22_2372
; %bb.2371:
	s_cmp_lg_u32 s6, 11
	s_mov_b32 s9, -1
	s_cselect_b32 s7, -1, 0
.LBB22_2372:
	s_delay_alu instid0(SALU_CYCLE_1)
	s_and_b32 vcc_lo, exec_lo, s7
	s_cbranch_vccnz .LBB22_2437
; %bb.2373:
	s_and_not1_b32 vcc_lo, exec_lo, s9
	s_cbranch_vccnz .LBB22_2375
.LBB22_2374:
	s_wait_loadcnt 0x0
	global_load_u8 v1, v[6:7], off
	s_mov_b32 s13, -1
	s_wait_loadcnt 0x0
	v_cmp_ne_u16_e32 vcc_lo, 0, v1
	v_cndmask_b32_e64 v1, 0, 1, vcc_lo
.LBB22_2375:
	s_mov_b32 s6, 0
.LBB22_2376:
	s_delay_alu instid0(SALU_CYCLE_1)
	s_and_b32 vcc_lo, exec_lo, s6
	s_cbranch_vccz .LBB22_2425
; %bb.2377:
	s_and_b32 s0, 0xffff, s0
	s_delay_alu instid0(SALU_CYCLE_1)
	s_cmp_lt_i32 s0, 5
	s_cbranch_scc1 .LBB22_2382
; %bb.2378:
	s_cmp_lt_i32 s0, 8
	s_cbranch_scc1 .LBB22_2383
; %bb.2379:
	;; [unrolled: 3-line block ×3, first 2 shown]
	s_cmp_gt_i32 s0, 9
	s_cbranch_scc0 .LBB22_2385
; %bb.2381:
	global_load_b64 v[12:13], v[6:7], off
	s_mov_b32 s6, 0
	s_wait_loadcnt 0x0
	v_cvt_i32_f64_e32 v1, v[12:13]
	s_branch .LBB22_2386
.LBB22_2382:
	s_mov_b32 s6, -1
                                        ; implicit-def: $vgpr1
	s_branch .LBB22_2404
.LBB22_2383:
	s_mov_b32 s6, -1
                                        ; implicit-def: $vgpr1
	s_branch .LBB22_2392
.LBB22_2384:
	s_mov_b32 s6, -1
                                        ; implicit-def: $vgpr1
	s_branch .LBB22_2389
.LBB22_2385:
	s_mov_b32 s6, -1
                                        ; implicit-def: $vgpr1
.LBB22_2386:
	s_delay_alu instid0(SALU_CYCLE_1)
	s_and_not1_b32 vcc_lo, exec_lo, s6
	s_cbranch_vccnz .LBB22_2388
; %bb.2387:
	s_wait_loadcnt 0x0
	global_load_b32 v1, v[6:7], off
	s_wait_loadcnt 0x0
	v_cvt_i32_f32_e32 v1, v1
.LBB22_2388:
	s_mov_b32 s6, 0
.LBB22_2389:
	s_delay_alu instid0(SALU_CYCLE_1)
	s_and_not1_b32 vcc_lo, exec_lo, s6
	s_cbranch_vccnz .LBB22_2391
; %bb.2390:
	s_wait_loadcnt 0x0
	global_load_b32 v1, v[6:7], off
	s_wait_loadcnt 0x0
	v_cvt_f32_f16_e32 v1, v1
	s_delay_alu instid0(VALU_DEP_1)
	v_cvt_i32_f32_e32 v1, v1
.LBB22_2391:
	s_mov_b32 s6, 0
.LBB22_2392:
	s_delay_alu instid0(SALU_CYCLE_1)
	s_and_not1_b32 vcc_lo, exec_lo, s6
	s_cbranch_vccnz .LBB22_2403
; %bb.2393:
	s_cmp_lt_i32 s0, 6
	s_cbranch_scc1 .LBB22_2396
; %bb.2394:
	s_cmp_gt_i32 s0, 6
	s_cbranch_scc0 .LBB22_2397
; %bb.2395:
	global_load_b64 v[12:13], v[6:7], off
	s_mov_b32 s6, 0
	s_wait_loadcnt 0x0
	v_cvt_i32_f64_e32 v1, v[12:13]
	s_branch .LBB22_2398
.LBB22_2396:
	s_mov_b32 s6, -1
                                        ; implicit-def: $vgpr1
	s_branch .LBB22_2401
.LBB22_2397:
	s_mov_b32 s6, -1
                                        ; implicit-def: $vgpr1
.LBB22_2398:
	s_delay_alu instid0(SALU_CYCLE_1)
	s_and_not1_b32 vcc_lo, exec_lo, s6
	s_cbranch_vccnz .LBB22_2400
; %bb.2399:
	s_wait_loadcnt 0x0
	global_load_b32 v1, v[6:7], off
	s_wait_loadcnt 0x0
	v_cvt_i32_f32_e32 v1, v1
.LBB22_2400:
	s_mov_b32 s6, 0
.LBB22_2401:
	s_delay_alu instid0(SALU_CYCLE_1)
	s_and_not1_b32 vcc_lo, exec_lo, s6
	s_cbranch_vccnz .LBB22_2403
; %bb.2402:
	s_wait_loadcnt 0x0
	global_load_u16 v1, v[6:7], off
	s_wait_loadcnt 0x0
	v_cvt_f32_f16_e32 v1, v1
	s_delay_alu instid0(VALU_DEP_1)
	v_cvt_i32_f32_e32 v1, v1
.LBB22_2403:
	s_mov_b32 s6, 0
.LBB22_2404:
	s_delay_alu instid0(SALU_CYCLE_1)
	s_and_not1_b32 vcc_lo, exec_lo, s6
	s_cbranch_vccnz .LBB22_2424
; %bb.2405:
	s_cmp_lt_i32 s0, 2
	s_cbranch_scc1 .LBB22_2409
; %bb.2406:
	s_cmp_lt_i32 s0, 3
	s_cbranch_scc1 .LBB22_2410
; %bb.2407:
	s_cmp_gt_i32 s0, 3
	s_cbranch_scc0 .LBB22_2411
; %bb.2408:
	s_wait_loadcnt 0x0
	global_load_b32 v1, v[6:7], off
	s_mov_b32 s6, 0
	s_branch .LBB22_2412
.LBB22_2409:
	s_mov_b32 s6, -1
                                        ; implicit-def: $vgpr1
	s_branch .LBB22_2418
.LBB22_2410:
	s_mov_b32 s6, -1
                                        ; implicit-def: $vgpr1
	s_branch .LBB22_2415
.LBB22_2411:
	s_mov_b32 s6, -1
                                        ; implicit-def: $vgpr1
.LBB22_2412:
	s_delay_alu instid0(SALU_CYCLE_1)
	s_and_not1_b32 vcc_lo, exec_lo, s6
	s_cbranch_vccnz .LBB22_2414
; %bb.2413:
	s_wait_loadcnt 0x0
	global_load_b32 v1, v[6:7], off
.LBB22_2414:
	s_mov_b32 s6, 0
.LBB22_2415:
	s_delay_alu instid0(SALU_CYCLE_1)
	s_and_not1_b32 vcc_lo, exec_lo, s6
	s_cbranch_vccnz .LBB22_2417
; %bb.2416:
	s_wait_loadcnt 0x0
	global_load_i16 v1, v[6:7], off
.LBB22_2417:
	s_mov_b32 s6, 0
.LBB22_2418:
	s_delay_alu instid0(SALU_CYCLE_1)
	s_and_not1_b32 vcc_lo, exec_lo, s6
	s_cbranch_vccnz .LBB22_2424
; %bb.2419:
	s_cmp_gt_i32 s0, 0
	s_mov_b32 s0, 0
	s_cbranch_scc0 .LBB22_2421
; %bb.2420:
	s_wait_loadcnt 0x0
	global_load_i8 v1, v[6:7], off
	s_branch .LBB22_2422
.LBB22_2421:
	s_mov_b32 s0, -1
                                        ; implicit-def: $vgpr1
.LBB22_2422:
	s_delay_alu instid0(SALU_CYCLE_1)
	s_and_not1_b32 vcc_lo, exec_lo, s0
	s_cbranch_vccnz .LBB22_2424
; %bb.2423:
	s_wait_loadcnt 0x0
	global_load_u8 v1, v[6:7], off
.LBB22_2424:
	s_mov_b32 s13, -1
.LBB22_2425:
	s_delay_alu instid0(SALU_CYCLE_1)
	s_and_not1_b32 vcc_lo, exec_lo, s13
	s_cbranch_vccnz .LBB22_2635
; %bb.2426:
	s_wait_xcnt 0x0
	v_add_nc_u32_e32 v6, s10, v8
	s_cmp_lt_i32 s1, 11
	s_delay_alu instid0(VALU_DEP_1) | instskip(NEXT) | instid1(VALU_DEP_1)
	v_ashrrev_i32_e32 v7, 31, v6
	v_add_nc_u64_e32 v[6:7], s[2:3], v[6:7]
	s_cbranch_scc1 .LBB22_2433
; %bb.2427:
	s_and_b32 s0, 0xffff, s1
	s_mov_b32 s3, 0
	s_cmp_gt_i32 s0, 25
	s_cbranch_scc0 .LBB22_2434
; %bb.2428:
	s_cmp_gt_i32 s0, 28
	s_cbranch_scc0 .LBB22_2435
; %bb.2429:
	;; [unrolled: 3-line block ×4, first 2 shown]
	s_cmp_eq_u32 s0, 46
	s_mov_b32 s7, 0
	s_cbranch_scc0 .LBB22_2439
; %bb.2432:
	global_load_b32 v3, v[6:7], off
	s_mov_b32 s2, 0
	s_mov_b32 s6, -1
	s_wait_loadcnt 0x0
	v_lshlrev_b32_e32 v3, 16, v3
	s_delay_alu instid0(VALU_DEP_1)
	v_cvt_i32_f32_e32 v3, v3
	s_branch .LBB22_2441
.LBB22_2433:
	s_mov_b32 s0, -1
	s_mov_b32 s6, 0
                                        ; implicit-def: $vgpr3
	s_branch .LBB22_2503
.LBB22_2434:
	s_mov_b32 s7, -1
	s_mov_b32 s6, 0
	s_mov_b32 s2, 0
                                        ; implicit-def: $vgpr3
	s_branch .LBB22_2468
.LBB22_2435:
	s_mov_b32 s7, -1
	s_mov_b32 s6, 0
	s_mov_b32 s2, 0
                                        ; implicit-def: $vgpr3
	s_branch .LBB22_2451
.LBB22_2436:
	s_mov_b32 s7, -1
	s_mov_b32 s6, 0
	s_mov_b32 s2, 0
                                        ; implicit-def: $vgpr3
	s_branch .LBB22_2446
.LBB22_2437:
	s_or_b32 s12, s12, exec_lo
	s_trap 2
	s_cbranch_execz .LBB22_2374
	s_branch .LBB22_2375
.LBB22_2438:
	s_mov_b32 s7, -1
	s_mov_b32 s6, 0
	s_mov_b32 s2, 0
	s_branch .LBB22_2440
.LBB22_2439:
	s_mov_b32 s2, -1
	s_mov_b32 s6, 0
.LBB22_2440:
                                        ; implicit-def: $vgpr3
.LBB22_2441:
	s_and_b32 vcc_lo, exec_lo, s7
	s_cbranch_vccz .LBB22_2445
; %bb.2442:
	s_cmp_eq_u32 s0, 44
	s_cbranch_scc0 .LBB22_2444
; %bb.2443:
	global_load_u8 v3, v[6:7], off
	s_mov_b32 s2, 0
	s_mov_b32 s6, -1
	s_wait_loadcnt 0x0
	v_lshlrev_b32_e32 v5, 23, v3
	v_cmp_ne_u32_e32 vcc_lo, 0, v3
	s_delay_alu instid0(VALU_DEP_2) | instskip(NEXT) | instid1(VALU_DEP_1)
	v_cvt_i32_f32_e32 v5, v5
	v_cndmask_b32_e32 v3, 0, v5, vcc_lo
	s_branch .LBB22_2445
.LBB22_2444:
	s_mov_b32 s2, -1
                                        ; implicit-def: $vgpr3
.LBB22_2445:
	s_mov_b32 s7, 0
.LBB22_2446:
	s_delay_alu instid0(SALU_CYCLE_1)
	s_and_b32 vcc_lo, exec_lo, s7
	s_cbranch_vccz .LBB22_2450
; %bb.2447:
	s_cmp_eq_u32 s0, 29
	s_cbranch_scc0 .LBB22_2449
; %bb.2448:
	global_load_b32 v3, v[6:7], off
	s_mov_b32 s2, 0
	s_mov_b32 s6, -1
	s_branch .LBB22_2450
.LBB22_2449:
	s_mov_b32 s2, -1
                                        ; implicit-def: $vgpr3
.LBB22_2450:
	s_mov_b32 s7, 0
.LBB22_2451:
	s_delay_alu instid0(SALU_CYCLE_1)
	s_and_b32 vcc_lo, exec_lo, s7
	s_cbranch_vccz .LBB22_2467
; %bb.2452:
	s_cmp_lt_i32 s0, 27
	s_cbranch_scc1 .LBB22_2455
; %bb.2453:
	s_cmp_gt_i32 s0, 27
	s_cbranch_scc0 .LBB22_2456
; %bb.2454:
	s_wait_loadcnt 0x0
	global_load_b32 v3, v[6:7], off
	s_mov_b32 s6, 0
	s_branch .LBB22_2457
.LBB22_2455:
	s_mov_b32 s6, -1
                                        ; implicit-def: $vgpr3
	s_branch .LBB22_2460
.LBB22_2456:
	s_mov_b32 s6, -1
                                        ; implicit-def: $vgpr3
.LBB22_2457:
	s_delay_alu instid0(SALU_CYCLE_1)
	s_and_not1_b32 vcc_lo, exec_lo, s6
	s_cbranch_vccnz .LBB22_2459
; %bb.2458:
	s_wait_loadcnt 0x0
	global_load_u16 v3, v[6:7], off
.LBB22_2459:
	s_mov_b32 s6, 0
.LBB22_2460:
	s_delay_alu instid0(SALU_CYCLE_1)
	s_and_not1_b32 vcc_lo, exec_lo, s6
	s_cbranch_vccnz .LBB22_2466
; %bb.2461:
	global_load_u8 v5, v[6:7], off
	s_mov_b32 s7, 0
	s_mov_b32 s6, exec_lo
	s_wait_loadcnt 0x0
	v_cmpx_lt_i16_e32 0x7f, v5
	s_xor_b32 s6, exec_lo, s6
	s_cbranch_execz .LBB22_2478
; %bb.2462:
	v_cmp_ne_u16_e32 vcc_lo, 0x80, v5
	s_and_b32 s7, vcc_lo, exec_lo
	s_and_not1_saveexec_b32 s6, s6
	s_cbranch_execnz .LBB22_2479
.LBB22_2463:
	s_or_b32 exec_lo, exec_lo, s6
	v_mov_b32_e32 v3, 0
	s_and_saveexec_b32 s6, s7
	s_cbranch_execz .LBB22_2465
.LBB22_2464:
	v_and_b32_e32 v3, 0xffff, v5
	s_delay_alu instid0(VALU_DEP_1) | instskip(SKIP_1) | instid1(VALU_DEP_2)
	v_and_b32_e32 v8, 7, v3
	v_bfe_u32 v12, v3, 3, 4
	v_clz_i32_u32_e32 v9, v8
	s_delay_alu instid0(VALU_DEP_2) | instskip(NEXT) | instid1(VALU_DEP_2)
	v_cmp_eq_u32_e32 vcc_lo, 0, v12
	v_min_u32_e32 v9, 32, v9
	s_delay_alu instid0(VALU_DEP_1) | instskip(NEXT) | instid1(VALU_DEP_1)
	v_subrev_nc_u32_e32 v11, 28, v9
	v_dual_lshlrev_b32 v3, v11, v3 :: v_dual_sub_nc_u32 v9, 29, v9
	s_delay_alu instid0(VALU_DEP_1) | instskip(NEXT) | instid1(VALU_DEP_1)
	v_dual_lshlrev_b32 v5, 24, v5 :: v_dual_bitop2_b32 v3, 7, v3 bitop3:0x40
	v_cndmask_b32_e32 v3, v8, v3, vcc_lo
	s_delay_alu instid0(VALU_DEP_3) | instskip(NEXT) | instid1(VALU_DEP_3)
	v_cndmask_b32_e32 v9, v12, v9, vcc_lo
	v_and_b32_e32 v5, 0x80000000, v5
	s_delay_alu instid0(VALU_DEP_3) | instskip(NEXT) | instid1(VALU_DEP_3)
	v_lshlrev_b32_e32 v3, 20, v3
	v_lshl_add_u32 v8, v9, 23, 0x3b800000
	s_delay_alu instid0(VALU_DEP_1) | instskip(NEXT) | instid1(VALU_DEP_1)
	v_or3_b32 v3, v5, v8, v3
	v_cvt_i32_f32_e32 v3, v3
.LBB22_2465:
	s_or_b32 exec_lo, exec_lo, s6
.LBB22_2466:
	s_mov_b32 s6, -1
.LBB22_2467:
	s_mov_b32 s7, 0
.LBB22_2468:
	s_delay_alu instid0(SALU_CYCLE_1)
	s_and_b32 vcc_lo, exec_lo, s7
	s_cbranch_vccz .LBB22_2499
; %bb.2469:
	s_cmp_gt_i32 s0, 22
	s_cbranch_scc0 .LBB22_2477
; %bb.2470:
	s_cmp_lt_i32 s0, 24
	s_cbranch_scc1 .LBB22_2480
; %bb.2471:
	s_cmp_gt_i32 s0, 24
	s_cbranch_scc0 .LBB22_2481
; %bb.2472:
	global_load_u8 v5, v[6:7], off
	s_mov_b32 s6, 0
	s_mov_b32 s3, exec_lo
	s_wait_loadcnt 0x0
	v_cmpx_lt_i16_e32 0x7f, v5
	s_xor_b32 s3, exec_lo, s3
	s_cbranch_execz .LBB22_2493
; %bb.2473:
	v_cmp_ne_u16_e32 vcc_lo, 0x80, v5
	s_and_b32 s6, vcc_lo, exec_lo
	s_and_not1_saveexec_b32 s3, s3
	s_cbranch_execnz .LBB22_2494
.LBB22_2474:
	s_or_b32 exec_lo, exec_lo, s3
	v_mov_b32_e32 v3, 0
	s_and_saveexec_b32 s3, s6
	s_cbranch_execz .LBB22_2476
.LBB22_2475:
	v_and_b32_e32 v3, 0xffff, v5
	s_delay_alu instid0(VALU_DEP_1) | instskip(SKIP_1) | instid1(VALU_DEP_2)
	v_and_b32_e32 v8, 3, v3
	v_bfe_u32 v12, v3, 2, 5
	v_clz_i32_u32_e32 v9, v8
	s_delay_alu instid0(VALU_DEP_2) | instskip(NEXT) | instid1(VALU_DEP_2)
	v_cmp_eq_u32_e32 vcc_lo, 0, v12
	v_min_u32_e32 v9, 32, v9
	s_delay_alu instid0(VALU_DEP_1) | instskip(NEXT) | instid1(VALU_DEP_1)
	v_subrev_nc_u32_e32 v11, 29, v9
	v_dual_lshlrev_b32 v3, v11, v3 :: v_dual_sub_nc_u32 v9, 30, v9
	s_delay_alu instid0(VALU_DEP_1) | instskip(NEXT) | instid1(VALU_DEP_1)
	v_dual_lshlrev_b32 v5, 24, v5 :: v_dual_bitop2_b32 v3, 3, v3 bitop3:0x40
	v_cndmask_b32_e32 v3, v8, v3, vcc_lo
	s_delay_alu instid0(VALU_DEP_3) | instskip(NEXT) | instid1(VALU_DEP_3)
	v_cndmask_b32_e32 v9, v12, v9, vcc_lo
	v_and_b32_e32 v5, 0x80000000, v5
	s_delay_alu instid0(VALU_DEP_3) | instskip(NEXT) | instid1(VALU_DEP_3)
	v_lshlrev_b32_e32 v3, 21, v3
	v_lshl_add_u32 v8, v9, 23, 0x37800000
	s_delay_alu instid0(VALU_DEP_1) | instskip(NEXT) | instid1(VALU_DEP_1)
	v_or3_b32 v3, v5, v8, v3
	v_cvt_i32_f32_e32 v3, v3
.LBB22_2476:
	s_or_b32 exec_lo, exec_lo, s3
	s_mov_b32 s3, 0
	s_branch .LBB22_2482
.LBB22_2477:
	s_mov_b32 s3, -1
                                        ; implicit-def: $vgpr3
	s_branch .LBB22_2488
.LBB22_2478:
	s_and_not1_saveexec_b32 s6, s6
	s_cbranch_execz .LBB22_2463
.LBB22_2479:
	v_cmp_ne_u16_e32 vcc_lo, 0, v5
	s_and_not1_b32 s7, s7, exec_lo
	s_and_b32 s9, vcc_lo, exec_lo
	s_delay_alu instid0(SALU_CYCLE_1)
	s_or_b32 s7, s7, s9
	s_or_b32 exec_lo, exec_lo, s6
	v_mov_b32_e32 v3, 0
	s_and_saveexec_b32 s6, s7
	s_cbranch_execnz .LBB22_2464
	s_branch .LBB22_2465
.LBB22_2480:
	s_mov_b32 s3, -1
                                        ; implicit-def: $vgpr3
	s_branch .LBB22_2485
.LBB22_2481:
	s_mov_b32 s3, -1
                                        ; implicit-def: $vgpr3
.LBB22_2482:
	s_delay_alu instid0(SALU_CYCLE_1)
	s_and_b32 vcc_lo, exec_lo, s3
	s_cbranch_vccz .LBB22_2484
; %bb.2483:
	s_wait_loadcnt 0x0
	global_load_u8 v3, v[6:7], off
	s_wait_loadcnt 0x0
	v_lshlrev_b32_e32 v3, 24, v3
	s_delay_alu instid0(VALU_DEP_1) | instskip(NEXT) | instid1(VALU_DEP_1)
	v_and_b32_e32 v5, 0x7f000000, v3
	v_clz_i32_u32_e32 v8, v5
	v_add_nc_u32_e32 v11, 0x1000000, v5
	v_cmp_ne_u32_e32 vcc_lo, 0, v5
	s_delay_alu instid0(VALU_DEP_3) | instskip(NEXT) | instid1(VALU_DEP_1)
	v_min_u32_e32 v8, 32, v8
	v_sub_nc_u32_e64 v8, v8, 4 clamp
	s_delay_alu instid0(VALU_DEP_1) | instskip(NEXT) | instid1(VALU_DEP_1)
	v_dual_lshlrev_b32 v9, v8, v5 :: v_dual_lshlrev_b32 v8, 23, v8
	v_lshrrev_b32_e32 v9, 4, v9
	s_delay_alu instid0(VALU_DEP_1) | instskip(NEXT) | instid1(VALU_DEP_1)
	v_dual_sub_nc_u32 v8, v9, v8 :: v_dual_ashrrev_i32 v9, 8, v11
	v_add_nc_u32_e32 v8, 0x3c000000, v8
	s_delay_alu instid0(VALU_DEP_1) | instskip(NEXT) | instid1(VALU_DEP_1)
	v_and_or_b32 v8, 0x7f800000, v9, v8
	v_cndmask_b32_e32 v5, 0, v8, vcc_lo
	s_delay_alu instid0(VALU_DEP_1) | instskip(NEXT) | instid1(VALU_DEP_1)
	v_and_or_b32 v3, 0x80000000, v3, v5
	v_cvt_i32_f32_e32 v3, v3
.LBB22_2484:
	s_mov_b32 s3, 0
.LBB22_2485:
	s_delay_alu instid0(SALU_CYCLE_1)
	s_and_not1_b32 vcc_lo, exec_lo, s3
	s_cbranch_vccnz .LBB22_2487
; %bb.2486:
	s_wait_loadcnt 0x0
	global_load_u8 v3, v[6:7], off
	s_wait_loadcnt 0x0
	v_lshlrev_b32_e32 v5, 25, v3
	v_lshlrev_b16 v3, 8, v3
	s_delay_alu instid0(VALU_DEP_1) | instskip(SKIP_1) | instid1(VALU_DEP_2)
	v_and_or_b32 v9, 0x7f00, v3, 0.5
	v_bfe_i32 v3, v3, 0, 16
	v_add_f32_e32 v9, -0.5, v9
	v_lshrrev_b32_e32 v8, 4, v5
	v_cmp_gt_u32_e32 vcc_lo, 0x8000000, v5
	s_delay_alu instid0(VALU_DEP_2) | instskip(NEXT) | instid1(VALU_DEP_1)
	v_or_b32_e32 v8, 0x70000000, v8
	v_mul_f32_e32 v8, 0x7800000, v8
	s_delay_alu instid0(VALU_DEP_1) | instskip(NEXT) | instid1(VALU_DEP_1)
	v_cndmask_b32_e32 v5, v8, v9, vcc_lo
	v_and_or_b32 v3, 0x80000000, v3, v5
	s_delay_alu instid0(VALU_DEP_1)
	v_cvt_i32_f32_e32 v3, v3
.LBB22_2487:
	s_mov_b32 s3, 0
	s_mov_b32 s6, -1
.LBB22_2488:
	s_and_not1_b32 vcc_lo, exec_lo, s3
	s_mov_b32 s3, 0
	s_cbranch_vccnz .LBB22_2499
; %bb.2489:
	s_cmp_gt_i32 s0, 14
	s_cbranch_scc0 .LBB22_2492
; %bb.2490:
	s_cmp_eq_u32 s0, 15
	s_cbranch_scc0 .LBB22_2495
; %bb.2491:
	s_wait_loadcnt 0x0
	global_load_u16 v3, v[6:7], off
	s_mov_b32 s2, 0
	s_mov_b32 s6, -1
	s_wait_loadcnt 0x0
	v_lshlrev_b32_e32 v3, 16, v3
	s_delay_alu instid0(VALU_DEP_1)
	v_cvt_i32_f32_e32 v3, v3
	s_branch .LBB22_2497
.LBB22_2492:
	s_mov_b32 s3, -1
	s_branch .LBB22_2496
.LBB22_2493:
	s_and_not1_saveexec_b32 s3, s3
	s_cbranch_execz .LBB22_2474
.LBB22_2494:
	v_cmp_ne_u16_e32 vcc_lo, 0, v5
	s_and_not1_b32 s6, s6, exec_lo
	s_and_b32 s7, vcc_lo, exec_lo
	s_delay_alu instid0(SALU_CYCLE_1)
	s_or_b32 s6, s6, s7
	s_or_b32 exec_lo, exec_lo, s3
	v_mov_b32_e32 v3, 0
	s_and_saveexec_b32 s3, s6
	s_cbranch_execnz .LBB22_2475
	s_branch .LBB22_2476
.LBB22_2495:
	s_mov_b32 s2, -1
.LBB22_2496:
                                        ; implicit-def: $vgpr3
.LBB22_2497:
	s_and_b32 vcc_lo, exec_lo, s3
	s_mov_b32 s3, 0
	s_cbranch_vccz .LBB22_2499
; %bb.2498:
	s_cmp_lg_u32 s0, 11
	s_mov_b32 s3, -1
	s_cselect_b32 s2, -1, 0
.LBB22_2499:
	s_delay_alu instid0(SALU_CYCLE_1)
	s_and_b32 vcc_lo, exec_lo, s2
	s_cbranch_vccnz .LBB22_3037
; %bb.2500:
	s_and_not1_b32 vcc_lo, exec_lo, s3
	s_cbranch_vccnz .LBB22_2502
.LBB22_2501:
	s_wait_loadcnt 0x0
	global_load_u8 v3, v[6:7], off
	s_mov_b32 s6, -1
	s_wait_loadcnt 0x0
	v_cmp_ne_u16_e32 vcc_lo, 0, v3
	v_cndmask_b32_e64 v3, 0, 1, vcc_lo
.LBB22_2502:
	s_mov_b32 s0, 0
.LBB22_2503:
	s_delay_alu instid0(SALU_CYCLE_1)
	s_and_b32 vcc_lo, exec_lo, s0
	s_cbranch_vccz .LBB22_2552
; %bb.2504:
	s_and_b32 s0, 0xffff, s1
	s_delay_alu instid0(SALU_CYCLE_1)
	s_cmp_lt_i32 s0, 5
	s_cbranch_scc1 .LBB22_2509
; %bb.2505:
	s_cmp_lt_i32 s0, 8
	s_cbranch_scc1 .LBB22_2510
; %bb.2506:
	;; [unrolled: 3-line block ×3, first 2 shown]
	s_cmp_gt_i32 s0, 9
	s_cbranch_scc0 .LBB22_2512
; %bb.2508:
	global_load_b64 v[8:9], v[6:7], off
	s_mov_b32 s1, 0
	s_wait_loadcnt 0x0
	v_cvt_i32_f64_e32 v3, v[8:9]
	s_branch .LBB22_2513
.LBB22_2509:
	s_mov_b32 s1, -1
                                        ; implicit-def: $vgpr3
	s_branch .LBB22_2531
.LBB22_2510:
	s_mov_b32 s1, -1
                                        ; implicit-def: $vgpr3
	s_branch .LBB22_2519
.LBB22_2511:
	s_mov_b32 s1, -1
                                        ; implicit-def: $vgpr3
	s_branch .LBB22_2516
.LBB22_2512:
	s_mov_b32 s1, -1
                                        ; implicit-def: $vgpr3
.LBB22_2513:
	s_delay_alu instid0(SALU_CYCLE_1)
	s_and_not1_b32 vcc_lo, exec_lo, s1
	s_cbranch_vccnz .LBB22_2515
; %bb.2514:
	s_wait_loadcnt 0x0
	global_load_b32 v3, v[6:7], off
	s_wait_loadcnt 0x0
	v_cvt_i32_f32_e32 v3, v3
.LBB22_2515:
	s_mov_b32 s1, 0
.LBB22_2516:
	s_delay_alu instid0(SALU_CYCLE_1)
	s_and_not1_b32 vcc_lo, exec_lo, s1
	s_cbranch_vccnz .LBB22_2518
; %bb.2517:
	s_wait_loadcnt 0x0
	global_load_b32 v3, v[6:7], off
	s_wait_loadcnt 0x0
	v_cvt_f32_f16_e32 v3, v3
	s_delay_alu instid0(VALU_DEP_1)
	v_cvt_i32_f32_e32 v3, v3
.LBB22_2518:
	s_mov_b32 s1, 0
.LBB22_2519:
	s_delay_alu instid0(SALU_CYCLE_1)
	s_and_not1_b32 vcc_lo, exec_lo, s1
	s_cbranch_vccnz .LBB22_2530
; %bb.2520:
	s_cmp_lt_i32 s0, 6
	s_cbranch_scc1 .LBB22_2523
; %bb.2521:
	s_cmp_gt_i32 s0, 6
	s_cbranch_scc0 .LBB22_2524
; %bb.2522:
	global_load_b64 v[8:9], v[6:7], off
	s_mov_b32 s1, 0
	s_wait_loadcnt 0x0
	v_cvt_i32_f64_e32 v3, v[8:9]
	s_branch .LBB22_2525
.LBB22_2523:
	s_mov_b32 s1, -1
                                        ; implicit-def: $vgpr3
	s_branch .LBB22_2528
.LBB22_2524:
	s_mov_b32 s1, -1
                                        ; implicit-def: $vgpr3
.LBB22_2525:
	s_delay_alu instid0(SALU_CYCLE_1)
	s_and_not1_b32 vcc_lo, exec_lo, s1
	s_cbranch_vccnz .LBB22_2527
; %bb.2526:
	s_wait_loadcnt 0x0
	global_load_b32 v3, v[6:7], off
	s_wait_loadcnt 0x0
	v_cvt_i32_f32_e32 v3, v3
.LBB22_2527:
	s_mov_b32 s1, 0
.LBB22_2528:
	s_delay_alu instid0(SALU_CYCLE_1)
	s_and_not1_b32 vcc_lo, exec_lo, s1
	s_cbranch_vccnz .LBB22_2530
; %bb.2529:
	s_wait_loadcnt 0x0
	global_load_u16 v3, v[6:7], off
	s_wait_loadcnt 0x0
	v_cvt_f32_f16_e32 v3, v3
	s_delay_alu instid0(VALU_DEP_1)
	v_cvt_i32_f32_e32 v3, v3
.LBB22_2530:
	s_mov_b32 s1, 0
.LBB22_2531:
	s_delay_alu instid0(SALU_CYCLE_1)
	s_and_not1_b32 vcc_lo, exec_lo, s1
	s_cbranch_vccnz .LBB22_2551
; %bb.2532:
	s_cmp_lt_i32 s0, 2
	s_cbranch_scc1 .LBB22_2536
; %bb.2533:
	s_cmp_lt_i32 s0, 3
	s_cbranch_scc1 .LBB22_2537
; %bb.2534:
	s_cmp_gt_i32 s0, 3
	s_cbranch_scc0 .LBB22_2538
; %bb.2535:
	s_wait_loadcnt 0x0
	global_load_b32 v3, v[6:7], off
	s_mov_b32 s1, 0
	s_branch .LBB22_2539
.LBB22_2536:
	s_mov_b32 s1, -1
                                        ; implicit-def: $vgpr3
	s_branch .LBB22_2545
.LBB22_2537:
	s_mov_b32 s1, -1
                                        ; implicit-def: $vgpr3
	s_branch .LBB22_2542
.LBB22_2538:
	s_mov_b32 s1, -1
                                        ; implicit-def: $vgpr3
.LBB22_2539:
	s_delay_alu instid0(SALU_CYCLE_1)
	s_and_not1_b32 vcc_lo, exec_lo, s1
	s_cbranch_vccnz .LBB22_2541
; %bb.2540:
	s_wait_loadcnt 0x0
	global_load_b32 v3, v[6:7], off
.LBB22_2541:
	s_mov_b32 s1, 0
.LBB22_2542:
	s_delay_alu instid0(SALU_CYCLE_1)
	s_and_not1_b32 vcc_lo, exec_lo, s1
	s_cbranch_vccnz .LBB22_2544
; %bb.2543:
	s_wait_loadcnt 0x0
	global_load_i16 v3, v[6:7], off
.LBB22_2544:
	s_mov_b32 s1, 0
.LBB22_2545:
	s_delay_alu instid0(SALU_CYCLE_1)
	s_and_not1_b32 vcc_lo, exec_lo, s1
	s_cbranch_vccnz .LBB22_2551
; %bb.2546:
	s_cmp_gt_i32 s0, 0
	s_mov_b32 s0, 0
	s_cbranch_scc0 .LBB22_2548
; %bb.2547:
	s_wait_loadcnt 0x0
	global_load_i8 v3, v[6:7], off
	s_branch .LBB22_2549
.LBB22_2548:
	s_mov_b32 s0, -1
                                        ; implicit-def: $vgpr3
.LBB22_2549:
	s_delay_alu instid0(SALU_CYCLE_1)
	s_and_not1_b32 vcc_lo, exec_lo, s0
	s_cbranch_vccnz .LBB22_2551
; %bb.2550:
	s_wait_loadcnt 0x0
	global_load_u8 v3, v[6:7], off
.LBB22_2551:
	s_mov_b32 s6, -1
.LBB22_2552:
	s_delay_alu instid0(SALU_CYCLE_1)
	s_and_not1_b32 vcc_lo, exec_lo, s6
	s_cbranch_vccnz .LBB22_2635
; %bb.2553:
	s_wait_loadcnt 0x0
	s_delay_alu instid0(VALU_DEP_1) | instskip(SKIP_3) | instid1(VALU_DEP_1)
	v_sub_nc_u32_e32 v5, 0, v3
	s_mov_b32 s1, 0
	s_mov_b32 s0, exec_lo
	s_wait_xcnt 0x0
	v_max_i32_e32 v6, v3, v5
	v_cmpx_ne_u32_e32 0, v1
	s_cbranch_execz .LBB22_2557
; %bb.2554:
	v_sub_nc_u32_e32 v3, 0, v1
	s_delay_alu instid0(VALU_DEP_1)
	v_max_i32_e32 v3, v1, v3
.LBB22_2555:                            ; =>This Inner Loop Header: Depth=1
	s_delay_alu instid0(VALU_DEP_1) | instskip(NEXT) | instid1(VALU_DEP_1)
	v_mov_b32_e32 v1, v3
	v_cvt_f32_u32_e32 v3, v1
	v_sub_nc_u32_e32 v5, 0, v1
	s_delay_alu instid0(VALU_DEP_2) | instskip(SKIP_1) | instid1(TRANS32_DEP_1)
	v_rcp_iflag_f32_e32 v3, v3
	v_nop
	v_mul_f32_e32 v3, 0x4f7ffffe, v3
	s_delay_alu instid0(VALU_DEP_1) | instskip(NEXT) | instid1(VALU_DEP_1)
	v_cvt_u32_f32_e32 v3, v3
	v_mul_lo_u32 v5, v5, v3
	s_delay_alu instid0(VALU_DEP_1) | instskip(NEXT) | instid1(VALU_DEP_1)
	v_mul_hi_u32 v5, v3, v5
	v_add_nc_u32_e32 v3, v3, v5
	s_delay_alu instid0(VALU_DEP_1) | instskip(NEXT) | instid1(VALU_DEP_1)
	v_mul_hi_u32 v3, v6, v3
	v_mul_lo_u32 v3, v3, v1
	s_delay_alu instid0(VALU_DEP_1) | instskip(NEXT) | instid1(VALU_DEP_1)
	v_dual_mov_b32 v6, v1 :: v_dual_sub_nc_u32 v3, v6, v3
	v_sub_nc_u32_e32 v5, v3, v1
	v_cmp_ge_u32_e32 vcc_lo, v3, v1
	s_delay_alu instid0(VALU_DEP_2) | instskip(NEXT) | instid1(VALU_DEP_1)
	v_cndmask_b32_e32 v3, v3, v5, vcc_lo
	v_sub_nc_u32_e32 v5, v3, v1
	v_cmp_ge_u32_e32 vcc_lo, v3, v1
	s_delay_alu instid0(VALU_DEP_2) | instskip(NEXT) | instid1(VALU_DEP_1)
	v_cndmask_b32_e32 v3, v3, v5, vcc_lo
	v_cmp_eq_u32_e32 vcc_lo, 0, v3
	s_or_b32 s1, vcc_lo, s1
	s_delay_alu instid0(SALU_CYCLE_1)
	s_and_not1_b32 exec_lo, exec_lo, s1
	s_cbranch_execnz .LBB22_2555
; %bb.2556:
	s_or_b32 exec_lo, exec_lo, s1
	v_mov_b32_e32 v6, v1
.LBB22_2557:
	s_or_b32 exec_lo, exec_lo, s0
	v_mul_lo_u32 v8, s8, v10
	s_and_b32 s16, s11, 0xff
	s_delay_alu instid0(SALU_CYCLE_1) | instskip(NEXT) | instid1(VALU_DEP_1)
	s_cmp_lt_i32 s16, 11
	v_ashrrev_i32_e32 v9, 31, v8
	s_delay_alu instid0(VALU_DEP_1)
	v_add_nc_u64_e32 v[10:11], s[4:5], v[8:9]
	s_cbranch_scc1 .LBB22_2680
; %bb.2558:
	s_and_b32 s1, 0xffff, s16
	s_mov_b32 s6, -1
	s_mov_b32 s2, 0
	s_cmp_gt_i32 s1, 25
	s_mov_b32 s3, 0
	s_mov_b32 s0, 0
	s_cbranch_scc0 .LBB22_2591
; %bb.2559:
	s_cmp_gt_i32 s1, 28
	s_cbranch_scc0 .LBB22_2574
; %bb.2560:
	s_cmp_gt_i32 s1, 43
	;; [unrolled: 3-line block ×3, first 2 shown]
	s_cbranch_scc0 .LBB22_2564
; %bb.2562:
	s_mov_b32 s0, -1
	s_mov_b32 s6, 0
	s_cmp_eq_u32 s1, 46
	s_cbranch_scc0 .LBB22_2564
; %bb.2563:
	v_cvt_f32_u32_e32 v1, v0
	s_mov_b32 s0, 0
	s_mov_b32 s3, -1
	s_delay_alu instid0(VALU_DEP_1) | instskip(NEXT) | instid1(VALU_DEP_1)
	v_bfe_u32 v3, v1, 16, 1
	v_add3_u32 v1, v1, v3, 0x7fff
	s_delay_alu instid0(VALU_DEP_1)
	v_lshrrev_b32_e32 v1, 16, v1
	global_store_b32 v[10:11], v1, off
.LBB22_2564:
	s_and_b32 vcc_lo, exec_lo, s6
	s_cbranch_vccz .LBB22_2569
; %bb.2565:
	s_cmp_eq_u32 s1, 44
	s_mov_b32 s0, -1
	s_cbranch_scc0 .LBB22_2569
; %bb.2566:
	v_cvt_f32_u32_e32 v5, v0
	v_mov_b32_e32 v3, 0xff
	s_mov_b32 s3, exec_lo
	s_wait_xcnt 0x0
	s_delay_alu instid0(VALU_DEP_2) | instskip(NEXT) | instid1(VALU_DEP_1)
	v_lshrrev_b32_e32 v1, 23, v5
	v_cmpx_ne_u32_e32 0xff, v1
; %bb.2567:
	v_and_b32_e32 v3, 0x400000, v5
	v_and_or_b32 v5, 0x3fffff, v5, v1
	s_delay_alu instid0(VALU_DEP_2) | instskip(NEXT) | instid1(VALU_DEP_2)
	v_cmp_ne_u32_e32 vcc_lo, 0, v3
	v_cmp_ne_u32_e64 s0, 0, v5
	s_and_b32 s0, vcc_lo, s0
	s_delay_alu instid0(SALU_CYCLE_1) | instskip(NEXT) | instid1(VALU_DEP_1)
	v_cndmask_b32_e64 v3, 0, 1, s0
	v_add_nc_u32_e32 v3, v1, v3
; %bb.2568:
	s_or_b32 exec_lo, exec_lo, s3
	s_mov_b32 s0, 0
	s_mov_b32 s3, -1
	global_store_b8 v[10:11], v3, off
.LBB22_2569:
	s_mov_b32 s6, 0
.LBB22_2570:
	s_delay_alu instid0(SALU_CYCLE_1)
	s_and_b32 vcc_lo, exec_lo, s6
	s_cbranch_vccz .LBB22_2573
; %bb.2571:
	s_cmp_eq_u32 s1, 29
	s_mov_b32 s0, -1
	s_cbranch_scc0 .LBB22_2573
; %bb.2572:
	s_wait_xcnt 0x0
	v_mov_b32_e32 v1, 0
	s_mov_b32 s0, 0
	s_mov_b32 s3, -1
	global_store_b64 v[10:11], v[0:1], off
.LBB22_2573:
	s_mov_b32 s6, 0
.LBB22_2574:
	s_delay_alu instid0(SALU_CYCLE_1)
	s_and_b32 vcc_lo, exec_lo, s6
	s_cbranch_vccz .LBB22_2590
; %bb.2575:
	s_cmp_lt_i32 s1, 27
	s_mov_b32 s3, -1
	s_cbranch_scc1 .LBB22_2581
; %bb.2576:
	s_cmp_gt_i32 s1, 27
	s_cbranch_scc0 .LBB22_2578
; %bb.2577:
	s_mov_b32 s3, 0
	global_store_b32 v[10:11], v0, off
.LBB22_2578:
	s_and_not1_b32 vcc_lo, exec_lo, s3
	s_cbranch_vccnz .LBB22_2580
; %bb.2579:
	global_store_b16 v[10:11], v0, off
.LBB22_2580:
	s_mov_b32 s3, 0
.LBB22_2581:
	s_delay_alu instid0(SALU_CYCLE_1)
	s_and_not1_b32 vcc_lo, exec_lo, s3
	s_cbranch_vccnz .LBB22_2589
; %bb.2582:
	s_wait_xcnt 0x0
	v_cvt_f32_u32_e32 v3, v0
	v_mov_b32_e32 v5, 0x80
	s_mov_b32 s3, exec_lo
	s_delay_alu instid0(VALU_DEP_2)
	v_cmpx_gt_u32_e32 0x43800000, v3
	s_cbranch_execz .LBB22_2588
; %bb.2583:
	s_mov_b32 s6, 0
	s_mov_b32 s7, exec_lo
                                        ; implicit-def: $vgpr1
	v_cmpx_lt_u32_e32 0x3bffffff, v3
	s_xor_b32 s7, exec_lo, s7
	s_cbranch_execz .LBB22_3038
; %bb.2584:
	v_bfe_u32 v1, v3, 20, 1
	s_mov_b32 s6, exec_lo
	s_delay_alu instid0(VALU_DEP_1) | instskip(NEXT) | instid1(VALU_DEP_1)
	v_add3_u32 v1, v3, v1, 0x487ffff
                                        ; implicit-def: $vgpr3
	v_lshrrev_b32_e32 v1, 20, v1
	s_and_not1_saveexec_b32 s7, s7
	s_cbranch_execnz .LBB22_3039
.LBB22_2585:
	s_or_b32 exec_lo, exec_lo, s7
	v_mov_b32_e32 v5, 0
	s_and_saveexec_b32 s7, s6
.LBB22_2586:
	v_mov_b32_e32 v5, v1
.LBB22_2587:
	s_or_b32 exec_lo, exec_lo, s7
.LBB22_2588:
	s_delay_alu instid0(SALU_CYCLE_1)
	s_or_b32 exec_lo, exec_lo, s3
	global_store_b8 v[10:11], v5, off
.LBB22_2589:
	s_mov_b32 s3, -1
.LBB22_2590:
	s_mov_b32 s6, 0
.LBB22_2591:
	s_delay_alu instid0(SALU_CYCLE_1)
	s_and_b32 vcc_lo, exec_lo, s6
	s_cbranch_vccz .LBB22_2631
; %bb.2592:
	s_cmp_gt_i32 s1, 22
	s_mov_b32 s2, -1
	s_cbranch_scc0 .LBB22_2624
; %bb.2593:
	s_cmp_lt_i32 s1, 24
	s_cbranch_scc1 .LBB22_2613
; %bb.2594:
	s_cmp_gt_i32 s1, 24
	s_cbranch_scc0 .LBB22_2602
; %bb.2595:
	s_wait_xcnt 0x0
	v_cvt_f32_u32_e32 v3, v0
	v_mov_b32_e32 v5, 0x80
	s_mov_b32 s2, exec_lo
	s_delay_alu instid0(VALU_DEP_2)
	v_cmpx_gt_u32_e32 0x47800000, v3
	s_cbranch_execz .LBB22_2601
; %bb.2596:
	s_mov_b32 s3, 0
	s_mov_b32 s6, exec_lo
                                        ; implicit-def: $vgpr1
	v_cmpx_lt_u32_e32 0x37ffffff, v3
	s_xor_b32 s6, exec_lo, s6
	s_cbranch_execz .LBB22_3041
; %bb.2597:
	v_bfe_u32 v1, v3, 21, 1
	s_mov_b32 s3, exec_lo
	s_delay_alu instid0(VALU_DEP_1) | instskip(NEXT) | instid1(VALU_DEP_1)
	v_add3_u32 v1, v3, v1, 0x88fffff
                                        ; implicit-def: $vgpr3
	v_lshrrev_b32_e32 v1, 21, v1
	s_and_not1_saveexec_b32 s6, s6
	s_cbranch_execnz .LBB22_3042
.LBB22_2598:
	s_or_b32 exec_lo, exec_lo, s6
	v_mov_b32_e32 v5, 0
	s_and_saveexec_b32 s6, s3
.LBB22_2599:
	v_mov_b32_e32 v5, v1
.LBB22_2600:
	s_or_b32 exec_lo, exec_lo, s6
.LBB22_2601:
	s_delay_alu instid0(SALU_CYCLE_1)
	s_or_b32 exec_lo, exec_lo, s2
	s_mov_b32 s2, 0
	global_store_b8 v[10:11], v5, off
.LBB22_2602:
	s_and_b32 vcc_lo, exec_lo, s2
	s_cbranch_vccz .LBB22_2612
; %bb.2603:
	s_wait_xcnt 0x0
	v_cvt_f32_u32_e32 v3, v0
	s_mov_b32 s2, exec_lo
                                        ; implicit-def: $vgpr1
	s_delay_alu instid0(VALU_DEP_1)
	v_cmpx_gt_u32_e32 0x43f00000, v3
	s_xor_b32 s2, exec_lo, s2
	s_cbranch_execz .LBB22_2609
; %bb.2604:
	s_mov_b32 s3, exec_lo
                                        ; implicit-def: $vgpr1
	v_cmpx_lt_u32_e32 0x3c7fffff, v3
	s_xor_b32 s3, exec_lo, s3
; %bb.2605:
	v_bfe_u32 v1, v3, 20, 1
	s_delay_alu instid0(VALU_DEP_1) | instskip(NEXT) | instid1(VALU_DEP_1)
	v_add3_u32 v1, v3, v1, 0x407ffff
	v_and_b32_e32 v3, 0xff00000, v1
	v_lshrrev_b32_e32 v1, 20, v1
	s_delay_alu instid0(VALU_DEP_2) | instskip(NEXT) | instid1(VALU_DEP_2)
	v_cmp_ne_u32_e32 vcc_lo, 0x7f00000, v3
                                        ; implicit-def: $vgpr3
	v_cndmask_b32_e32 v1, 0x7e, v1, vcc_lo
; %bb.2606:
	s_and_not1_saveexec_b32 s3, s3
; %bb.2607:
	v_add_f32_e32 v1, 0x46800000, v3
; %bb.2608:
	s_or_b32 exec_lo, exec_lo, s3
                                        ; implicit-def: $vgpr3
.LBB22_2609:
	s_and_not1_saveexec_b32 s2, s2
; %bb.2610:
	v_mov_b32_e32 v1, 0x7f
	v_cmp_lt_u32_e32 vcc_lo, 0x7f800000, v3
	s_delay_alu instid0(VALU_DEP_2)
	v_cndmask_b32_e32 v1, 0x7e, v1, vcc_lo
; %bb.2611:
	s_or_b32 exec_lo, exec_lo, s2
	global_store_b8 v[10:11], v1, off
.LBB22_2612:
	s_mov_b32 s2, 0
.LBB22_2613:
	s_delay_alu instid0(SALU_CYCLE_1)
	s_and_not1_b32 vcc_lo, exec_lo, s2
	s_cbranch_vccnz .LBB22_2623
; %bb.2614:
	s_wait_xcnt 0x0
	v_cvt_f32_u32_e32 v3, v0
	s_mov_b32 s2, exec_lo
                                        ; implicit-def: $vgpr1
	s_delay_alu instid0(VALU_DEP_1)
	v_cmpx_gt_u32_e32 0x47800000, v3
	s_xor_b32 s2, exec_lo, s2
	s_cbranch_execz .LBB22_2620
; %bb.2615:
	s_mov_b32 s3, exec_lo
                                        ; implicit-def: $vgpr1
	v_cmpx_lt_u32_e32 0x387fffff, v3
	s_xor_b32 s3, exec_lo, s3
; %bb.2616:
	v_bfe_u32 v1, v3, 21, 1
	s_delay_alu instid0(VALU_DEP_1) | instskip(NEXT) | instid1(VALU_DEP_1)
	v_add3_u32 v1, v3, v1, 0x80fffff
                                        ; implicit-def: $vgpr3
	v_lshrrev_b32_e32 v1, 21, v1
; %bb.2617:
	s_and_not1_saveexec_b32 s3, s3
; %bb.2618:
	v_add_f32_e32 v1, 0x43000000, v3
; %bb.2619:
	s_or_b32 exec_lo, exec_lo, s3
                                        ; implicit-def: $vgpr3
.LBB22_2620:
	s_and_not1_saveexec_b32 s2, s2
; %bb.2621:
	v_mov_b32_e32 v1, 0x7f
	v_cmp_lt_u32_e32 vcc_lo, 0x7f800000, v3
	s_delay_alu instid0(VALU_DEP_2)
	v_cndmask_b32_e32 v1, 0x7c, v1, vcc_lo
; %bb.2622:
	s_or_b32 exec_lo, exec_lo, s2
	global_store_b8 v[10:11], v1, off
.LBB22_2623:
	s_mov_b32 s2, 0
	s_mov_b32 s3, -1
.LBB22_2624:
	s_and_not1_b32 vcc_lo, exec_lo, s2
	s_mov_b32 s2, 0
	s_cbranch_vccnz .LBB22_2631
; %bb.2625:
	s_cmp_gt_i32 s1, 14
	s_mov_b32 s2, -1
	s_cbranch_scc0 .LBB22_2629
; %bb.2626:
	s_cmp_eq_u32 s1, 15
	s_mov_b32 s0, -1
	s_cbranch_scc0 .LBB22_2628
; %bb.2627:
	s_wait_xcnt 0x0
	v_cvt_f32_u32_e32 v1, v0
	s_mov_b32 s0, 0
	s_mov_b32 s3, -1
	s_delay_alu instid0(VALU_DEP_1) | instskip(NEXT) | instid1(VALU_DEP_1)
	v_bfe_u32 v3, v1, 16, 1
	v_add3_u32 v1, v1, v3, 0x7fff
	global_store_d16_hi_b16 v[10:11], v1, off
.LBB22_2628:
	s_mov_b32 s2, 0
.LBB22_2629:
	s_delay_alu instid0(SALU_CYCLE_1)
	s_and_b32 vcc_lo, exec_lo, s2
	s_mov_b32 s2, 0
	s_cbranch_vccz .LBB22_2631
; %bb.2630:
	s_cmp_lg_u32 s1, 11
	s_mov_b32 s2, -1
	s_cselect_b32 s0, -1, 0
.LBB22_2631:
	s_delay_alu instid0(SALU_CYCLE_1)
	s_and_b32 vcc_lo, exec_lo, s0
	s_cbranch_vccnz .LBB22_3040
; %bb.2632:
	s_and_not1_b32 vcc_lo, exec_lo, s2
	s_cbranch_vccnz .LBB22_2634
.LBB22_2633:
	v_cmp_ne_u32_e32 vcc_lo, 0, v0
	s_mov_b32 s3, -1
	s_wait_xcnt 0x0
	v_cndmask_b32_e64 v1, 0, 1, vcc_lo
	global_store_b8 v[10:11], v1, off
.LBB22_2634:
	s_mov_b32 s0, 0
	s_branch .LBB22_2681
.LBB22_2635:
	s_mov_b32 s0, 0
	s_mov_b32 s2, 0
                                        ; implicit-def: $sgpr16
                                        ; implicit-def: $vgpr0_vgpr1
                                        ; implicit-def: $vgpr6
.LBB22_2636:
	s_and_not1_b32 s1, s15, exec_lo
	s_and_b32 s3, s12, exec_lo
	s_and_b32 s0, s0, exec_lo
	;; [unrolled: 1-line block ×3, first 2 shown]
	s_or_b32 s15, s1, s3
.LBB22_2637:
	s_wait_xcnt 0x0
	s_or_b32 exec_lo, exec_lo, s14
	s_and_saveexec_b32 s1, s15
	s_cbranch_execz .LBB22_2640
; %bb.2638:
	; divergent unreachable
	s_or_b32 exec_lo, exec_lo, s1
	s_and_saveexec_b32 s1, s12
	s_delay_alu instid0(SALU_CYCLE_1)
	s_xor_b32 s1, exec_lo, s1
	s_cbranch_execnz .LBB22_2641
.LBB22_2639:
	s_or_b32 exec_lo, exec_lo, s1
	s_and_saveexec_b32 s1, s0
	s_cbranch_execnz .LBB22_2642
	s_branch .LBB22_2679
.LBB22_2640:
	s_or_b32 exec_lo, exec_lo, s1
	s_and_saveexec_b32 s1, s12
	s_delay_alu instid0(SALU_CYCLE_1)
	s_xor_b32 s1, exec_lo, s1
	s_cbranch_execz .LBB22_2639
.LBB22_2641:
	v_cmp_ne_u32_e32 vcc_lo, 0, v6
	s_wait_loadcnt 0x0
	v_cndmask_b32_e64 v2, 0, 1, vcc_lo
	global_store_b8 v[0:1], v2, off
	s_wait_xcnt 0x0
	s_or_b32 exec_lo, exec_lo, s1
	s_and_saveexec_b32 s1, s0
	s_cbranch_execz .LBB22_2679
.LBB22_2642:
	s_sext_i32_i16 s1, s16
	s_mov_b32 s0, -1
	s_cmp_lt_i32 s1, 5
	s_cbranch_scc1 .LBB22_2663
; %bb.2643:
	s_cmp_lt_i32 s1, 8
	s_cbranch_scc1 .LBB22_2653
; %bb.2644:
	;; [unrolled: 3-line block ×3, first 2 shown]
	s_cmp_gt_i32 s1, 9
	s_cbranch_scc0 .LBB22_2647
; %bb.2646:
	s_wait_loadcnt 0x0
	v_cvt_f64_u32_e32 v[2:3], v6
	v_mov_b32_e32 v4, 0
	s_mov_b32 s0, 0
	s_delay_alu instid0(VALU_DEP_1)
	v_mov_b32_e32 v5, v4
	global_store_b128 v[0:1], v[2:5], off
.LBB22_2647:
	s_and_not1_b32 vcc_lo, exec_lo, s0
	s_cbranch_vccnz .LBB22_2649
; %bb.2648:
	s_wait_loadcnt 0x0
	v_cvt_f32_u32_e32 v2, v6
	v_mov_b32_e32 v3, 0
	global_store_b64 v[0:1], v[2:3], off
.LBB22_2649:
	s_mov_b32 s0, 0
.LBB22_2650:
	s_delay_alu instid0(SALU_CYCLE_1)
	s_and_not1_b32 vcc_lo, exec_lo, s0
	s_cbranch_vccnz .LBB22_2652
; %bb.2651:
	s_wait_loadcnt 0x0
	v_cvt_f32_u32_e32 v2, v6
	s_delay_alu instid0(VALU_DEP_1) | instskip(NEXT) | instid1(VALU_DEP_1)
	v_cvt_f16_f32_e32 v2, v2
	v_and_b32_e32 v2, 0xffff, v2
	global_store_b32 v[0:1], v2, off
.LBB22_2652:
	s_mov_b32 s0, 0
.LBB22_2653:
	s_delay_alu instid0(SALU_CYCLE_1)
	s_and_not1_b32 vcc_lo, exec_lo, s0
	s_cbranch_vccnz .LBB22_2662
; %bb.2654:
	s_sext_i32_i16 s1, s16
	s_mov_b32 s0, -1
	s_cmp_lt_i32 s1, 6
	s_cbranch_scc1 .LBB22_2660
; %bb.2655:
	s_cmp_gt_i32 s1, 6
	s_cbranch_scc0 .LBB22_2657
; %bb.2656:
	s_wait_loadcnt 0x0
	v_cvt_f64_u32_e32 v[2:3], v6
	s_mov_b32 s0, 0
	global_store_b64 v[0:1], v[2:3], off
.LBB22_2657:
	s_and_not1_b32 vcc_lo, exec_lo, s0
	s_cbranch_vccnz .LBB22_2659
; %bb.2658:
	s_wait_loadcnt 0x0
	v_cvt_f32_u32_e32 v2, v6
	global_store_b32 v[0:1], v2, off
.LBB22_2659:
	s_mov_b32 s0, 0
.LBB22_2660:
	s_delay_alu instid0(SALU_CYCLE_1)
	s_and_not1_b32 vcc_lo, exec_lo, s0
	s_cbranch_vccnz .LBB22_2662
; %bb.2661:
	s_wait_loadcnt 0x0
	v_cvt_f32_u32_e32 v2, v6
	s_delay_alu instid0(VALU_DEP_1)
	v_cvt_f16_f32_e32 v2, v2
	global_store_b16 v[0:1], v2, off
.LBB22_2662:
	s_mov_b32 s0, 0
.LBB22_2663:
	s_delay_alu instid0(SALU_CYCLE_1)
	s_and_not1_b32 vcc_lo, exec_lo, s0
	s_cbranch_vccnz .LBB22_2679
; %bb.2664:
	s_sext_i32_i16 s1, s16
	s_mov_b32 s0, -1
	s_cmp_lt_i32 s1, 2
	s_cbranch_scc1 .LBB22_2674
; %bb.2665:
	s_cmp_lt_i32 s1, 3
	s_cbranch_scc1 .LBB22_2671
; %bb.2666:
	s_cmp_gt_i32 s1, 3
	s_cbranch_scc0 .LBB22_2668
; %bb.2667:
	v_mov_b32_e32 v7, 0
	s_mov_b32 s0, 0
	s_wait_loadcnt 0x0
	global_store_b64 v[0:1], v[6:7], off
.LBB22_2668:
	s_and_not1_b32 vcc_lo, exec_lo, s0
	s_cbranch_vccnz .LBB22_2670
; %bb.2669:
	s_wait_loadcnt 0x0
	global_store_b32 v[0:1], v6, off
.LBB22_2670:
	s_mov_b32 s0, 0
.LBB22_2671:
	s_delay_alu instid0(SALU_CYCLE_1)
	s_and_not1_b32 vcc_lo, exec_lo, s0
	s_cbranch_vccnz .LBB22_2673
; %bb.2672:
	s_wait_loadcnt 0x0
	global_store_b16 v[0:1], v6, off
.LBB22_2673:
	s_mov_b32 s0, 0
.LBB22_2674:
	s_delay_alu instid0(SALU_CYCLE_1)
	s_and_not1_b32 vcc_lo, exec_lo, s0
	s_cbranch_vccnz .LBB22_2679
; %bb.2675:
	s_sext_i32_i16 s0, s16
	s_delay_alu instid0(SALU_CYCLE_1)
	s_cmp_gt_i32 s0, 0
	s_mov_b32 s0, -1
	s_cbranch_scc0 .LBB22_2677
; %bb.2676:
	s_mov_b32 s0, 0
	s_wait_loadcnt 0x0
	global_store_b8 v[0:1], v6, off
.LBB22_2677:
	s_and_not1_b32 vcc_lo, exec_lo, s0
	s_cbranch_vccnz .LBB22_2679
; %bb.2678:
	s_wait_loadcnt 0x0
	global_store_b8 v[0:1], v6, off
	s_endpgm
.LBB22_2679:
	s_endpgm
.LBB22_2680:
	s_mov_b32 s0, -1
	s_mov_b32 s3, 0
.LBB22_2681:
	s_and_b32 vcc_lo, exec_lo, s0
	s_cbranch_vccz .LBB22_2720
; %bb.2682:
	s_and_b32 s0, 0xffff, s16
	s_mov_b32 s1, -1
	s_cmp_lt_i32 s0, 5
	s_cbranch_scc1 .LBB22_2703
; %bb.2683:
	s_cmp_lt_i32 s0, 8
	s_cbranch_scc1 .LBB22_2693
; %bb.2684:
	;; [unrolled: 3-line block ×3, first 2 shown]
	s_cmp_gt_i32 s0, 9
	s_cbranch_scc0 .LBB22_2687
; %bb.2686:
	v_cvt_f64_u32_e32 v[12:13], v0
	v_mov_b32_e32 v14, 0
	s_mov_b32 s1, 0
	s_delay_alu instid0(VALU_DEP_1)
	v_mov_b32_e32 v15, v14
	global_store_b128 v[10:11], v[12:15], off
.LBB22_2687:
	s_and_not1_b32 vcc_lo, exec_lo, s1
	s_cbranch_vccnz .LBB22_2689
; %bb.2688:
	s_wait_xcnt 0x0
	v_cvt_f32_u32_e32 v12, v0
	v_mov_b32_e32 v13, 0
	global_store_b64 v[10:11], v[12:13], off
.LBB22_2689:
	s_mov_b32 s1, 0
.LBB22_2690:
	s_delay_alu instid0(SALU_CYCLE_1)
	s_and_not1_b32 vcc_lo, exec_lo, s1
	s_cbranch_vccnz .LBB22_2692
; %bb.2691:
	s_wait_xcnt 0x0
	v_cvt_f32_u32_e32 v1, v0
	s_delay_alu instid0(VALU_DEP_1) | instskip(NEXT) | instid1(VALU_DEP_1)
	v_cvt_f16_f32_e32 v1, v1
	v_and_b32_e32 v1, 0xffff, v1
	global_store_b32 v[10:11], v1, off
.LBB22_2692:
	s_mov_b32 s1, 0
.LBB22_2693:
	s_delay_alu instid0(SALU_CYCLE_1)
	s_and_not1_b32 vcc_lo, exec_lo, s1
	s_cbranch_vccnz .LBB22_2702
; %bb.2694:
	s_cmp_lt_i32 s0, 6
	s_mov_b32 s1, -1
	s_cbranch_scc1 .LBB22_2700
; %bb.2695:
	s_cmp_gt_i32 s0, 6
	s_cbranch_scc0 .LBB22_2697
; %bb.2696:
	s_wait_xcnt 0x0
	v_cvt_f64_u32_e32 v[12:13], v0
	s_mov_b32 s1, 0
	global_store_b64 v[10:11], v[12:13], off
.LBB22_2697:
	s_and_not1_b32 vcc_lo, exec_lo, s1
	s_cbranch_vccnz .LBB22_2699
; %bb.2698:
	s_wait_xcnt 0x0
	v_cvt_f32_u32_e32 v1, v0
	global_store_b32 v[10:11], v1, off
.LBB22_2699:
	s_mov_b32 s1, 0
.LBB22_2700:
	s_delay_alu instid0(SALU_CYCLE_1)
	s_and_not1_b32 vcc_lo, exec_lo, s1
	s_cbranch_vccnz .LBB22_2702
; %bb.2701:
	s_wait_xcnt 0x0
	v_cvt_f32_u32_e32 v1, v0
	s_delay_alu instid0(VALU_DEP_1)
	v_cvt_f16_f32_e32 v1, v1
	global_store_b16 v[10:11], v1, off
.LBB22_2702:
	s_mov_b32 s1, 0
.LBB22_2703:
	s_delay_alu instid0(SALU_CYCLE_1)
	s_and_not1_b32 vcc_lo, exec_lo, s1
	s_cbranch_vccnz .LBB22_2719
; %bb.2704:
	s_cmp_lt_i32 s0, 2
	s_mov_b32 s1, -1
	s_cbranch_scc1 .LBB22_2714
; %bb.2705:
	s_cmp_lt_i32 s0, 3
	s_cbranch_scc1 .LBB22_2711
; %bb.2706:
	s_cmp_gt_i32 s0, 3
	s_cbranch_scc0 .LBB22_2708
; %bb.2707:
	s_wait_xcnt 0x0
	v_mov_b32_e32 v1, 0
	s_mov_b32 s1, 0
	global_store_b64 v[10:11], v[0:1], off
.LBB22_2708:
	s_and_not1_b32 vcc_lo, exec_lo, s1
	s_cbranch_vccnz .LBB22_2710
; %bb.2709:
	global_store_b32 v[10:11], v0, off
.LBB22_2710:
	s_mov_b32 s1, 0
.LBB22_2711:
	s_delay_alu instid0(SALU_CYCLE_1)
	s_and_not1_b32 vcc_lo, exec_lo, s1
	s_cbranch_vccnz .LBB22_2713
; %bb.2712:
	global_store_b16 v[10:11], v0, off
.LBB22_2713:
	s_mov_b32 s1, 0
.LBB22_2714:
	s_delay_alu instid0(SALU_CYCLE_1)
	s_and_not1_b32 vcc_lo, exec_lo, s1
	s_cbranch_vccnz .LBB22_2719
; %bb.2715:
	s_cmp_gt_i32 s0, 0
	s_mov_b32 s0, -1
	s_cbranch_scc0 .LBB22_2717
; %bb.2716:
	s_mov_b32 s0, 0
	global_store_b8 v[10:11], v0, off
.LBB22_2717:
	s_and_not1_b32 vcc_lo, exec_lo, s0
	s_cbranch_vccnz .LBB22_2719
; %bb.2718:
	global_store_b8 v[10:11], v0, off
.LBB22_2719:
	s_mov_b32 s3, -1
.LBB22_2720:
	s_delay_alu instid0(SALU_CYCLE_1)
	s_and_not1_b32 vcc_lo, exec_lo, s3
	s_cbranch_vccnz .LBB22_3035
; %bb.2721:
	s_lshl_b32 s1, s8, 7
	s_cmp_lt_i32 s16, 11
	s_wait_xcnt 0x0
	v_add_nc_u32_e32 v0, s1, v8
	s_delay_alu instid0(VALU_DEP_1) | instskip(NEXT) | instid1(VALU_DEP_1)
	v_ashrrev_i32_e32 v1, 31, v0
	v_add_nc_u64_e32 v[8:9], s[4:5], v[0:1]
	s_cbranch_scc1 .LBB22_2799
; %bb.2722:
	s_and_b32 s2, 0xffff, s16
	s_mov_b32 s7, -1
	s_mov_b32 s3, 0
	s_cmp_gt_i32 s2, 25
	s_mov_b32 s6, 0
	s_mov_b32 s0, 0
	s_cbranch_scc0 .LBB22_2755
; %bb.2723:
	s_cmp_gt_i32 s2, 28
	s_cbranch_scc0 .LBB22_2738
; %bb.2724:
	s_cmp_gt_i32 s2, 43
	;; [unrolled: 3-line block ×3, first 2 shown]
	s_cbranch_scc0 .LBB22_2728
; %bb.2726:
	s_mov_b32 s0, -1
	s_mov_b32 s7, 0
	s_cmp_eq_u32 s2, 46
	s_cbranch_scc0 .LBB22_2728
; %bb.2727:
	v_cvt_f32_u32_e32 v1, v2
	s_mov_b32 s0, 0
	s_mov_b32 s6, -1
	s_delay_alu instid0(VALU_DEP_1) | instskip(NEXT) | instid1(VALU_DEP_1)
	v_bfe_u32 v3, v1, 16, 1
	v_add3_u32 v1, v1, v3, 0x7fff
	s_delay_alu instid0(VALU_DEP_1)
	v_lshrrev_b32_e32 v1, 16, v1
	global_store_b32 v[8:9], v1, off
.LBB22_2728:
	s_and_b32 vcc_lo, exec_lo, s7
	s_cbranch_vccz .LBB22_2733
; %bb.2729:
	s_cmp_eq_u32 s2, 44
	s_mov_b32 s0, -1
	s_cbranch_scc0 .LBB22_2733
; %bb.2730:
	v_cvt_f32_u32_e32 v5, v2
	v_mov_b32_e32 v3, 0xff
	s_mov_b32 s6, exec_lo
	s_wait_xcnt 0x0
	s_delay_alu instid0(VALU_DEP_2) | instskip(NEXT) | instid1(VALU_DEP_1)
	v_lshrrev_b32_e32 v1, 23, v5
	v_cmpx_ne_u32_e32 0xff, v1
; %bb.2731:
	v_and_b32_e32 v3, 0x400000, v5
	v_and_or_b32 v5, 0x3fffff, v5, v1
	s_delay_alu instid0(VALU_DEP_2) | instskip(NEXT) | instid1(VALU_DEP_2)
	v_cmp_ne_u32_e32 vcc_lo, 0, v3
	v_cmp_ne_u32_e64 s0, 0, v5
	s_and_b32 s0, vcc_lo, s0
	s_delay_alu instid0(SALU_CYCLE_1) | instskip(NEXT) | instid1(VALU_DEP_1)
	v_cndmask_b32_e64 v3, 0, 1, s0
	v_add_nc_u32_e32 v3, v1, v3
; %bb.2732:
	s_or_b32 exec_lo, exec_lo, s6
	s_mov_b32 s0, 0
	s_mov_b32 s6, -1
	global_store_b8 v[8:9], v3, off
.LBB22_2733:
	s_mov_b32 s7, 0
.LBB22_2734:
	s_delay_alu instid0(SALU_CYCLE_1)
	s_and_b32 vcc_lo, exec_lo, s7
	s_cbranch_vccz .LBB22_2737
; %bb.2735:
	s_cmp_eq_u32 s2, 29
	s_mov_b32 s0, -1
	s_cbranch_scc0 .LBB22_2737
; %bb.2736:
	s_wait_xcnt 0x0
	v_mov_b32_e32 v3, 0
	s_mov_b32 s0, 0
	s_mov_b32 s6, -1
	global_store_b64 v[8:9], v[2:3], off
.LBB22_2737:
	s_mov_b32 s7, 0
.LBB22_2738:
	s_delay_alu instid0(SALU_CYCLE_1)
	s_and_b32 vcc_lo, exec_lo, s7
	s_cbranch_vccz .LBB22_2754
; %bb.2739:
	s_cmp_lt_i32 s2, 27
	s_mov_b32 s6, -1
	s_cbranch_scc1 .LBB22_2745
; %bb.2740:
	s_cmp_gt_i32 s2, 27
	s_cbranch_scc0 .LBB22_2742
; %bb.2741:
	s_mov_b32 s6, 0
	global_store_b32 v[8:9], v2, off
.LBB22_2742:
	s_and_not1_b32 vcc_lo, exec_lo, s6
	s_cbranch_vccnz .LBB22_2744
; %bb.2743:
	global_store_b16 v[8:9], v2, off
.LBB22_2744:
	s_mov_b32 s6, 0
.LBB22_2745:
	s_delay_alu instid0(SALU_CYCLE_1)
	s_and_not1_b32 vcc_lo, exec_lo, s6
	s_cbranch_vccnz .LBB22_2753
; %bb.2746:
	s_wait_xcnt 0x0
	v_cvt_f32_u32_e32 v3, v2
	v_mov_b32_e32 v5, 0x80
	s_mov_b32 s6, exec_lo
	s_delay_alu instid0(VALU_DEP_2)
	v_cmpx_gt_u32_e32 0x43800000, v3
	s_cbranch_execz .LBB22_2752
; %bb.2747:
	s_mov_b32 s7, 0
	s_mov_b32 s8, exec_lo
                                        ; implicit-def: $vgpr1
	v_cmpx_lt_u32_e32 0x3bffffff, v3
	s_xor_b32 s8, exec_lo, s8
	s_cbranch_execz .LBB22_3043
; %bb.2748:
	v_bfe_u32 v1, v3, 20, 1
	s_mov_b32 s7, exec_lo
	s_delay_alu instid0(VALU_DEP_1) | instskip(NEXT) | instid1(VALU_DEP_1)
	v_add3_u32 v1, v3, v1, 0x487ffff
                                        ; implicit-def: $vgpr3
	v_lshrrev_b32_e32 v1, 20, v1
	s_and_not1_saveexec_b32 s8, s8
	s_cbranch_execnz .LBB22_3044
.LBB22_2749:
	s_or_b32 exec_lo, exec_lo, s8
	v_mov_b32_e32 v5, 0
	s_and_saveexec_b32 s8, s7
.LBB22_2750:
	v_mov_b32_e32 v5, v1
.LBB22_2751:
	s_or_b32 exec_lo, exec_lo, s8
.LBB22_2752:
	s_delay_alu instid0(SALU_CYCLE_1)
	s_or_b32 exec_lo, exec_lo, s6
	global_store_b8 v[8:9], v5, off
.LBB22_2753:
	s_mov_b32 s6, -1
.LBB22_2754:
	s_mov_b32 s7, 0
.LBB22_2755:
	s_delay_alu instid0(SALU_CYCLE_1)
	s_and_b32 vcc_lo, exec_lo, s7
	s_cbranch_vccz .LBB22_2795
; %bb.2756:
	s_cmp_gt_i32 s2, 22
	s_mov_b32 s3, -1
	s_cbranch_scc0 .LBB22_2788
; %bb.2757:
	s_cmp_lt_i32 s2, 24
	s_cbranch_scc1 .LBB22_2777
; %bb.2758:
	s_cmp_gt_i32 s2, 24
	s_cbranch_scc0 .LBB22_2766
; %bb.2759:
	s_wait_xcnt 0x0
	v_cvt_f32_u32_e32 v3, v2
	v_mov_b32_e32 v5, 0x80
	s_mov_b32 s3, exec_lo
	s_delay_alu instid0(VALU_DEP_2)
	v_cmpx_gt_u32_e32 0x47800000, v3
	s_cbranch_execz .LBB22_2765
; %bb.2760:
	s_mov_b32 s6, 0
	s_mov_b32 s7, exec_lo
                                        ; implicit-def: $vgpr1
	v_cmpx_lt_u32_e32 0x37ffffff, v3
	s_xor_b32 s7, exec_lo, s7
	s_cbranch_execz .LBB22_3046
; %bb.2761:
	v_bfe_u32 v1, v3, 21, 1
	s_mov_b32 s6, exec_lo
	s_delay_alu instid0(VALU_DEP_1) | instskip(NEXT) | instid1(VALU_DEP_1)
	v_add3_u32 v1, v3, v1, 0x88fffff
                                        ; implicit-def: $vgpr3
	v_lshrrev_b32_e32 v1, 21, v1
	s_and_not1_saveexec_b32 s7, s7
	s_cbranch_execnz .LBB22_3047
.LBB22_2762:
	s_or_b32 exec_lo, exec_lo, s7
	v_mov_b32_e32 v5, 0
	s_and_saveexec_b32 s7, s6
.LBB22_2763:
	v_mov_b32_e32 v5, v1
.LBB22_2764:
	s_or_b32 exec_lo, exec_lo, s7
.LBB22_2765:
	s_delay_alu instid0(SALU_CYCLE_1)
	s_or_b32 exec_lo, exec_lo, s3
	s_mov_b32 s3, 0
	global_store_b8 v[8:9], v5, off
.LBB22_2766:
	s_and_b32 vcc_lo, exec_lo, s3
	s_cbranch_vccz .LBB22_2776
; %bb.2767:
	s_wait_xcnt 0x0
	v_cvt_f32_u32_e32 v3, v2
	s_mov_b32 s3, exec_lo
                                        ; implicit-def: $vgpr1
	s_delay_alu instid0(VALU_DEP_1)
	v_cmpx_gt_u32_e32 0x43f00000, v3
	s_xor_b32 s3, exec_lo, s3
	s_cbranch_execz .LBB22_2773
; %bb.2768:
	s_mov_b32 s6, exec_lo
                                        ; implicit-def: $vgpr1
	v_cmpx_lt_u32_e32 0x3c7fffff, v3
	s_xor_b32 s6, exec_lo, s6
; %bb.2769:
	v_bfe_u32 v1, v3, 20, 1
	s_delay_alu instid0(VALU_DEP_1) | instskip(NEXT) | instid1(VALU_DEP_1)
	v_add3_u32 v1, v3, v1, 0x407ffff
	v_and_b32_e32 v3, 0xff00000, v1
	v_lshrrev_b32_e32 v1, 20, v1
	s_delay_alu instid0(VALU_DEP_2) | instskip(NEXT) | instid1(VALU_DEP_2)
	v_cmp_ne_u32_e32 vcc_lo, 0x7f00000, v3
                                        ; implicit-def: $vgpr3
	v_cndmask_b32_e32 v1, 0x7e, v1, vcc_lo
; %bb.2770:
	s_and_not1_saveexec_b32 s6, s6
; %bb.2771:
	v_add_f32_e32 v1, 0x46800000, v3
; %bb.2772:
	s_or_b32 exec_lo, exec_lo, s6
                                        ; implicit-def: $vgpr3
.LBB22_2773:
	s_and_not1_saveexec_b32 s3, s3
; %bb.2774:
	v_mov_b32_e32 v1, 0x7f
	v_cmp_lt_u32_e32 vcc_lo, 0x7f800000, v3
	s_delay_alu instid0(VALU_DEP_2)
	v_cndmask_b32_e32 v1, 0x7e, v1, vcc_lo
; %bb.2775:
	s_or_b32 exec_lo, exec_lo, s3
	global_store_b8 v[8:9], v1, off
.LBB22_2776:
	s_mov_b32 s3, 0
.LBB22_2777:
	s_delay_alu instid0(SALU_CYCLE_1)
	s_and_not1_b32 vcc_lo, exec_lo, s3
	s_cbranch_vccnz .LBB22_2787
; %bb.2778:
	s_wait_xcnt 0x0
	v_cvt_f32_u32_e32 v3, v2
	s_mov_b32 s3, exec_lo
                                        ; implicit-def: $vgpr1
	s_delay_alu instid0(VALU_DEP_1)
	v_cmpx_gt_u32_e32 0x47800000, v3
	s_xor_b32 s3, exec_lo, s3
	s_cbranch_execz .LBB22_2784
; %bb.2779:
	s_mov_b32 s6, exec_lo
                                        ; implicit-def: $vgpr1
	v_cmpx_lt_u32_e32 0x387fffff, v3
	s_xor_b32 s6, exec_lo, s6
; %bb.2780:
	v_bfe_u32 v1, v3, 21, 1
	s_delay_alu instid0(VALU_DEP_1) | instskip(NEXT) | instid1(VALU_DEP_1)
	v_add3_u32 v1, v3, v1, 0x80fffff
                                        ; implicit-def: $vgpr3
	v_lshrrev_b32_e32 v1, 21, v1
; %bb.2781:
	s_and_not1_saveexec_b32 s6, s6
; %bb.2782:
	v_add_f32_e32 v1, 0x43000000, v3
; %bb.2783:
	s_or_b32 exec_lo, exec_lo, s6
                                        ; implicit-def: $vgpr3
.LBB22_2784:
	s_and_not1_saveexec_b32 s3, s3
; %bb.2785:
	v_mov_b32_e32 v1, 0x7f
	v_cmp_lt_u32_e32 vcc_lo, 0x7f800000, v3
	s_delay_alu instid0(VALU_DEP_2)
	v_cndmask_b32_e32 v1, 0x7c, v1, vcc_lo
; %bb.2786:
	s_or_b32 exec_lo, exec_lo, s3
	global_store_b8 v[8:9], v1, off
.LBB22_2787:
	s_mov_b32 s3, 0
	s_mov_b32 s6, -1
.LBB22_2788:
	s_and_not1_b32 vcc_lo, exec_lo, s3
	s_mov_b32 s3, 0
	s_cbranch_vccnz .LBB22_2795
; %bb.2789:
	s_cmp_gt_i32 s2, 14
	s_mov_b32 s3, -1
	s_cbranch_scc0 .LBB22_2793
; %bb.2790:
	s_cmp_eq_u32 s2, 15
	s_mov_b32 s0, -1
	s_cbranch_scc0 .LBB22_2792
; %bb.2791:
	s_wait_xcnt 0x0
	v_cvt_f32_u32_e32 v1, v2
	s_mov_b32 s0, 0
	s_mov_b32 s6, -1
	s_delay_alu instid0(VALU_DEP_1) | instskip(NEXT) | instid1(VALU_DEP_1)
	v_bfe_u32 v3, v1, 16, 1
	v_add3_u32 v1, v1, v3, 0x7fff
	global_store_d16_hi_b16 v[8:9], v1, off
.LBB22_2792:
	s_mov_b32 s3, 0
.LBB22_2793:
	s_delay_alu instid0(SALU_CYCLE_1)
	s_and_b32 vcc_lo, exec_lo, s3
	s_mov_b32 s3, 0
	s_cbranch_vccz .LBB22_2795
; %bb.2794:
	s_cmp_lg_u32 s2, 11
	s_mov_b32 s3, -1
	s_cselect_b32 s0, -1, 0
.LBB22_2795:
	s_delay_alu instid0(SALU_CYCLE_1)
	s_and_b32 vcc_lo, exec_lo, s0
	s_cbranch_vccnz .LBB22_3045
; %bb.2796:
	s_and_not1_b32 vcc_lo, exec_lo, s3
	s_cbranch_vccnz .LBB22_2798
.LBB22_2797:
	v_cmp_ne_u32_e32 vcc_lo, 0, v2
	s_mov_b32 s6, -1
	s_wait_xcnt 0x0
	v_cndmask_b32_e64 v1, 0, 1, vcc_lo
	global_store_b8 v[8:9], v1, off
.LBB22_2798:
	s_mov_b32 s0, 0
	s_branch .LBB22_2800
.LBB22_2799:
	s_mov_b32 s0, -1
	s_mov_b32 s6, 0
.LBB22_2800:
	s_and_b32 vcc_lo, exec_lo, s0
	s_cbranch_vccz .LBB22_2839
; %bb.2801:
	s_and_b32 s0, 0xffff, s16
	s_mov_b32 s2, -1
	s_cmp_lt_i32 s0, 5
	s_cbranch_scc1 .LBB22_2822
; %bb.2802:
	s_cmp_lt_i32 s0, 8
	s_cbranch_scc1 .LBB22_2812
; %bb.2803:
	;; [unrolled: 3-line block ×3, first 2 shown]
	s_cmp_gt_i32 s0, 9
	s_cbranch_scc0 .LBB22_2806
; %bb.2805:
	v_cvt_f64_u32_e32 v[10:11], v2
	v_mov_b32_e32 v12, 0
	s_mov_b32 s2, 0
	s_delay_alu instid0(VALU_DEP_1)
	v_mov_b32_e32 v13, v12
	global_store_b128 v[8:9], v[10:13], off
.LBB22_2806:
	s_and_not1_b32 vcc_lo, exec_lo, s2
	s_cbranch_vccnz .LBB22_2808
; %bb.2807:
	s_wait_xcnt 0x0
	v_cvt_f32_u32_e32 v10, v2
	v_mov_b32_e32 v11, 0
	global_store_b64 v[8:9], v[10:11], off
.LBB22_2808:
	s_mov_b32 s2, 0
.LBB22_2809:
	s_delay_alu instid0(SALU_CYCLE_1)
	s_and_not1_b32 vcc_lo, exec_lo, s2
	s_cbranch_vccnz .LBB22_2811
; %bb.2810:
	s_wait_xcnt 0x0
	v_cvt_f32_u32_e32 v1, v2
	s_delay_alu instid0(VALU_DEP_1) | instskip(NEXT) | instid1(VALU_DEP_1)
	v_cvt_f16_f32_e32 v1, v1
	v_and_b32_e32 v1, 0xffff, v1
	global_store_b32 v[8:9], v1, off
.LBB22_2811:
	s_mov_b32 s2, 0
.LBB22_2812:
	s_delay_alu instid0(SALU_CYCLE_1)
	s_and_not1_b32 vcc_lo, exec_lo, s2
	s_cbranch_vccnz .LBB22_2821
; %bb.2813:
	s_cmp_lt_i32 s0, 6
	s_mov_b32 s2, -1
	s_cbranch_scc1 .LBB22_2819
; %bb.2814:
	s_cmp_gt_i32 s0, 6
	s_cbranch_scc0 .LBB22_2816
; %bb.2815:
	s_wait_xcnt 0x0
	v_cvt_f64_u32_e32 v[10:11], v2
	s_mov_b32 s2, 0
	global_store_b64 v[8:9], v[10:11], off
.LBB22_2816:
	s_and_not1_b32 vcc_lo, exec_lo, s2
	s_cbranch_vccnz .LBB22_2818
; %bb.2817:
	s_wait_xcnt 0x0
	v_cvt_f32_u32_e32 v1, v2
	global_store_b32 v[8:9], v1, off
.LBB22_2818:
	s_mov_b32 s2, 0
.LBB22_2819:
	s_delay_alu instid0(SALU_CYCLE_1)
	s_and_not1_b32 vcc_lo, exec_lo, s2
	s_cbranch_vccnz .LBB22_2821
; %bb.2820:
	s_wait_xcnt 0x0
	v_cvt_f32_u32_e32 v1, v2
	s_delay_alu instid0(VALU_DEP_1)
	v_cvt_f16_f32_e32 v1, v1
	global_store_b16 v[8:9], v1, off
.LBB22_2821:
	s_mov_b32 s2, 0
.LBB22_2822:
	s_delay_alu instid0(SALU_CYCLE_1)
	s_and_not1_b32 vcc_lo, exec_lo, s2
	s_cbranch_vccnz .LBB22_2838
; %bb.2823:
	s_cmp_lt_i32 s0, 2
	s_mov_b32 s2, -1
	s_cbranch_scc1 .LBB22_2833
; %bb.2824:
	s_cmp_lt_i32 s0, 3
	s_cbranch_scc1 .LBB22_2830
; %bb.2825:
	s_cmp_gt_i32 s0, 3
	s_cbranch_scc0 .LBB22_2827
; %bb.2826:
	s_wait_xcnt 0x0
	v_mov_b32_e32 v3, 0
	s_mov_b32 s2, 0
	global_store_b64 v[8:9], v[2:3], off
.LBB22_2827:
	s_and_not1_b32 vcc_lo, exec_lo, s2
	s_cbranch_vccnz .LBB22_2829
; %bb.2828:
	global_store_b32 v[8:9], v2, off
.LBB22_2829:
	s_mov_b32 s2, 0
.LBB22_2830:
	s_delay_alu instid0(SALU_CYCLE_1)
	s_and_not1_b32 vcc_lo, exec_lo, s2
	s_cbranch_vccnz .LBB22_2832
; %bb.2831:
	global_store_b16 v[8:9], v2, off
.LBB22_2832:
	s_mov_b32 s2, 0
.LBB22_2833:
	s_delay_alu instid0(SALU_CYCLE_1)
	s_and_not1_b32 vcc_lo, exec_lo, s2
	s_cbranch_vccnz .LBB22_2838
; %bb.2834:
	s_cmp_gt_i32 s0, 0
	s_mov_b32 s0, -1
	s_cbranch_scc0 .LBB22_2836
; %bb.2835:
	s_mov_b32 s0, 0
	global_store_b8 v[8:9], v2, off
.LBB22_2836:
	s_and_not1_b32 vcc_lo, exec_lo, s0
	s_cbranch_vccnz .LBB22_2838
; %bb.2837:
	global_store_b8 v[8:9], v2, off
.LBB22_2838:
	s_mov_b32 s6, -1
.LBB22_2839:
	s_delay_alu instid0(SALU_CYCLE_1)
	s_and_not1_b32 vcc_lo, exec_lo, s6
	s_cbranch_vccnz .LBB22_3035
; %bb.2840:
	v_add_nc_u32_e32 v0, s1, v0
	s_cmp_lt_i32 s16, 11
	s_wait_xcnt 0x0
	s_delay_alu instid0(VALU_DEP_1) | instskip(NEXT) | instid1(VALU_DEP_1)
	v_ashrrev_i32_e32 v1, 31, v0
	v_add_nc_u64_e32 v[2:3], s[4:5], v[0:1]
	s_cbranch_scc1 .LBB22_2918
; %bb.2841:
	s_and_b32 s2, 0xffff, s16
	s_mov_b32 s7, -1
	s_mov_b32 s3, 0
	s_cmp_gt_i32 s2, 25
	s_mov_b32 s6, 0
	s_mov_b32 s0, 0
	s_cbranch_scc0 .LBB22_2874
; %bb.2842:
	s_cmp_gt_i32 s2, 28
	s_cbranch_scc0 .LBB22_2857
; %bb.2843:
	s_cmp_gt_i32 s2, 43
	;; [unrolled: 3-line block ×3, first 2 shown]
	s_cbranch_scc0 .LBB22_2847
; %bb.2845:
	s_mov_b32 s0, -1
	s_mov_b32 s7, 0
	s_cmp_eq_u32 s2, 46
	s_cbranch_scc0 .LBB22_2847
; %bb.2846:
	v_cvt_f32_u32_e32 v1, v4
	s_mov_b32 s0, 0
	s_mov_b32 s6, -1
	s_delay_alu instid0(VALU_DEP_1) | instskip(NEXT) | instid1(VALU_DEP_1)
	v_bfe_u32 v5, v1, 16, 1
	v_add3_u32 v1, v1, v5, 0x7fff
	s_delay_alu instid0(VALU_DEP_1)
	v_lshrrev_b32_e32 v1, 16, v1
	global_store_b32 v[2:3], v1, off
.LBB22_2847:
	s_and_b32 vcc_lo, exec_lo, s7
	s_cbranch_vccz .LBB22_2852
; %bb.2848:
	s_cmp_eq_u32 s2, 44
	s_mov_b32 s0, -1
	s_cbranch_scc0 .LBB22_2852
; %bb.2849:
	v_cvt_f32_u32_e32 v7, v4
	v_mov_b32_e32 v5, 0xff
	s_mov_b32 s6, exec_lo
	s_wait_xcnt 0x0
	s_delay_alu instid0(VALU_DEP_2) | instskip(NEXT) | instid1(VALU_DEP_1)
	v_lshrrev_b32_e32 v1, 23, v7
	v_cmpx_ne_u32_e32 0xff, v1
; %bb.2850:
	v_and_b32_e32 v5, 0x400000, v7
	v_and_or_b32 v7, 0x3fffff, v7, v1
	s_delay_alu instid0(VALU_DEP_2) | instskip(NEXT) | instid1(VALU_DEP_2)
	v_cmp_ne_u32_e32 vcc_lo, 0, v5
	v_cmp_ne_u32_e64 s0, 0, v7
	s_and_b32 s0, vcc_lo, s0
	s_delay_alu instid0(SALU_CYCLE_1) | instskip(NEXT) | instid1(VALU_DEP_1)
	v_cndmask_b32_e64 v5, 0, 1, s0
	v_add_nc_u32_e32 v5, v1, v5
; %bb.2851:
	s_or_b32 exec_lo, exec_lo, s6
	s_mov_b32 s0, 0
	s_mov_b32 s6, -1
	global_store_b8 v[2:3], v5, off
.LBB22_2852:
	s_mov_b32 s7, 0
.LBB22_2853:
	s_delay_alu instid0(SALU_CYCLE_1)
	s_and_b32 vcc_lo, exec_lo, s7
	s_cbranch_vccz .LBB22_2856
; %bb.2854:
	s_cmp_eq_u32 s2, 29
	s_mov_b32 s0, -1
	s_cbranch_scc0 .LBB22_2856
; %bb.2855:
	s_wait_xcnt 0x0
	v_mov_b32_e32 v5, 0
	s_mov_b32 s0, 0
	s_mov_b32 s6, -1
	global_store_b64 v[2:3], v[4:5], off
.LBB22_2856:
	s_mov_b32 s7, 0
.LBB22_2857:
	s_delay_alu instid0(SALU_CYCLE_1)
	s_and_b32 vcc_lo, exec_lo, s7
	s_cbranch_vccz .LBB22_2873
; %bb.2858:
	s_cmp_lt_i32 s2, 27
	s_mov_b32 s6, -1
	s_cbranch_scc1 .LBB22_2864
; %bb.2859:
	s_cmp_gt_i32 s2, 27
	s_cbranch_scc0 .LBB22_2861
; %bb.2860:
	s_mov_b32 s6, 0
	global_store_b32 v[2:3], v4, off
.LBB22_2861:
	s_and_not1_b32 vcc_lo, exec_lo, s6
	s_cbranch_vccnz .LBB22_2863
; %bb.2862:
	global_store_b16 v[2:3], v4, off
.LBB22_2863:
	s_mov_b32 s6, 0
.LBB22_2864:
	s_delay_alu instid0(SALU_CYCLE_1)
	s_and_not1_b32 vcc_lo, exec_lo, s6
	s_cbranch_vccnz .LBB22_2872
; %bb.2865:
	s_wait_xcnt 0x0
	v_cvt_f32_u32_e32 v5, v4
	v_mov_b32_e32 v7, 0x80
	s_mov_b32 s6, exec_lo
	s_delay_alu instid0(VALU_DEP_2)
	v_cmpx_gt_u32_e32 0x43800000, v5
	s_cbranch_execz .LBB22_2871
; %bb.2866:
	s_mov_b32 s7, 0
	s_mov_b32 s8, exec_lo
                                        ; implicit-def: $vgpr1
	v_cmpx_lt_u32_e32 0x3bffffff, v5
	s_xor_b32 s8, exec_lo, s8
	s_cbranch_execz .LBB22_3048
; %bb.2867:
	v_bfe_u32 v1, v5, 20, 1
	s_mov_b32 s7, exec_lo
	s_delay_alu instid0(VALU_DEP_1) | instskip(NEXT) | instid1(VALU_DEP_1)
	v_add3_u32 v1, v5, v1, 0x487ffff
                                        ; implicit-def: $vgpr5
	v_lshrrev_b32_e32 v1, 20, v1
	s_and_not1_saveexec_b32 s8, s8
	s_cbranch_execnz .LBB22_3049
.LBB22_2868:
	s_or_b32 exec_lo, exec_lo, s8
	v_mov_b32_e32 v7, 0
	s_and_saveexec_b32 s8, s7
.LBB22_2869:
	v_mov_b32_e32 v7, v1
.LBB22_2870:
	s_or_b32 exec_lo, exec_lo, s8
.LBB22_2871:
	s_delay_alu instid0(SALU_CYCLE_1)
	s_or_b32 exec_lo, exec_lo, s6
	global_store_b8 v[2:3], v7, off
.LBB22_2872:
	s_mov_b32 s6, -1
.LBB22_2873:
	s_mov_b32 s7, 0
.LBB22_2874:
	s_delay_alu instid0(SALU_CYCLE_1)
	s_and_b32 vcc_lo, exec_lo, s7
	s_cbranch_vccz .LBB22_2914
; %bb.2875:
	s_cmp_gt_i32 s2, 22
	s_mov_b32 s3, -1
	s_cbranch_scc0 .LBB22_2907
; %bb.2876:
	s_cmp_lt_i32 s2, 24
	s_cbranch_scc1 .LBB22_2896
; %bb.2877:
	s_cmp_gt_i32 s2, 24
	s_cbranch_scc0 .LBB22_2885
; %bb.2878:
	s_wait_xcnt 0x0
	v_cvt_f32_u32_e32 v5, v4
	v_mov_b32_e32 v7, 0x80
	s_mov_b32 s3, exec_lo
	s_delay_alu instid0(VALU_DEP_2)
	v_cmpx_gt_u32_e32 0x47800000, v5
	s_cbranch_execz .LBB22_2884
; %bb.2879:
	s_mov_b32 s6, 0
	s_mov_b32 s7, exec_lo
                                        ; implicit-def: $vgpr1
	v_cmpx_lt_u32_e32 0x37ffffff, v5
	s_xor_b32 s7, exec_lo, s7
	s_cbranch_execz .LBB22_3051
; %bb.2880:
	v_bfe_u32 v1, v5, 21, 1
	s_mov_b32 s6, exec_lo
	s_delay_alu instid0(VALU_DEP_1) | instskip(NEXT) | instid1(VALU_DEP_1)
	v_add3_u32 v1, v5, v1, 0x88fffff
                                        ; implicit-def: $vgpr5
	v_lshrrev_b32_e32 v1, 21, v1
	s_and_not1_saveexec_b32 s7, s7
	s_cbranch_execnz .LBB22_3052
.LBB22_2881:
	s_or_b32 exec_lo, exec_lo, s7
	v_mov_b32_e32 v7, 0
	s_and_saveexec_b32 s7, s6
.LBB22_2882:
	v_mov_b32_e32 v7, v1
.LBB22_2883:
	s_or_b32 exec_lo, exec_lo, s7
.LBB22_2884:
	s_delay_alu instid0(SALU_CYCLE_1)
	s_or_b32 exec_lo, exec_lo, s3
	s_mov_b32 s3, 0
	global_store_b8 v[2:3], v7, off
.LBB22_2885:
	s_and_b32 vcc_lo, exec_lo, s3
	s_cbranch_vccz .LBB22_2895
; %bb.2886:
	s_wait_xcnt 0x0
	v_cvt_f32_u32_e32 v5, v4
	s_mov_b32 s3, exec_lo
                                        ; implicit-def: $vgpr1
	s_delay_alu instid0(VALU_DEP_1)
	v_cmpx_gt_u32_e32 0x43f00000, v5
	s_xor_b32 s3, exec_lo, s3
	s_cbranch_execz .LBB22_2892
; %bb.2887:
	s_mov_b32 s6, exec_lo
                                        ; implicit-def: $vgpr1
	v_cmpx_lt_u32_e32 0x3c7fffff, v5
	s_xor_b32 s6, exec_lo, s6
; %bb.2888:
	v_bfe_u32 v1, v5, 20, 1
	s_delay_alu instid0(VALU_DEP_1) | instskip(NEXT) | instid1(VALU_DEP_1)
	v_add3_u32 v1, v5, v1, 0x407ffff
	v_and_b32_e32 v5, 0xff00000, v1
	v_lshrrev_b32_e32 v1, 20, v1
	s_delay_alu instid0(VALU_DEP_2) | instskip(NEXT) | instid1(VALU_DEP_2)
	v_cmp_ne_u32_e32 vcc_lo, 0x7f00000, v5
                                        ; implicit-def: $vgpr5
	v_cndmask_b32_e32 v1, 0x7e, v1, vcc_lo
; %bb.2889:
	s_and_not1_saveexec_b32 s6, s6
; %bb.2890:
	v_add_f32_e32 v1, 0x46800000, v5
; %bb.2891:
	s_or_b32 exec_lo, exec_lo, s6
                                        ; implicit-def: $vgpr5
.LBB22_2892:
	s_and_not1_saveexec_b32 s3, s3
; %bb.2893:
	v_mov_b32_e32 v1, 0x7f
	v_cmp_lt_u32_e32 vcc_lo, 0x7f800000, v5
	s_delay_alu instid0(VALU_DEP_2)
	v_cndmask_b32_e32 v1, 0x7e, v1, vcc_lo
; %bb.2894:
	s_or_b32 exec_lo, exec_lo, s3
	global_store_b8 v[2:3], v1, off
.LBB22_2895:
	s_mov_b32 s3, 0
.LBB22_2896:
	s_delay_alu instid0(SALU_CYCLE_1)
	s_and_not1_b32 vcc_lo, exec_lo, s3
	s_cbranch_vccnz .LBB22_2906
; %bb.2897:
	s_wait_xcnt 0x0
	v_cvt_f32_u32_e32 v5, v4
	s_mov_b32 s3, exec_lo
                                        ; implicit-def: $vgpr1
	s_delay_alu instid0(VALU_DEP_1)
	v_cmpx_gt_u32_e32 0x47800000, v5
	s_xor_b32 s3, exec_lo, s3
	s_cbranch_execz .LBB22_2903
; %bb.2898:
	s_mov_b32 s6, exec_lo
                                        ; implicit-def: $vgpr1
	v_cmpx_lt_u32_e32 0x387fffff, v5
	s_xor_b32 s6, exec_lo, s6
; %bb.2899:
	v_bfe_u32 v1, v5, 21, 1
	s_delay_alu instid0(VALU_DEP_1) | instskip(NEXT) | instid1(VALU_DEP_1)
	v_add3_u32 v1, v5, v1, 0x80fffff
                                        ; implicit-def: $vgpr5
	v_lshrrev_b32_e32 v1, 21, v1
; %bb.2900:
	s_and_not1_saveexec_b32 s6, s6
; %bb.2901:
	v_add_f32_e32 v1, 0x43000000, v5
; %bb.2902:
	s_or_b32 exec_lo, exec_lo, s6
                                        ; implicit-def: $vgpr5
.LBB22_2903:
	s_and_not1_saveexec_b32 s3, s3
; %bb.2904:
	v_mov_b32_e32 v1, 0x7f
	v_cmp_lt_u32_e32 vcc_lo, 0x7f800000, v5
	s_delay_alu instid0(VALU_DEP_2)
	v_cndmask_b32_e32 v1, 0x7c, v1, vcc_lo
; %bb.2905:
	s_or_b32 exec_lo, exec_lo, s3
	global_store_b8 v[2:3], v1, off
.LBB22_2906:
	s_mov_b32 s3, 0
	s_mov_b32 s6, -1
.LBB22_2907:
	s_and_not1_b32 vcc_lo, exec_lo, s3
	s_mov_b32 s3, 0
	s_cbranch_vccnz .LBB22_2914
; %bb.2908:
	s_cmp_gt_i32 s2, 14
	s_mov_b32 s3, -1
	s_cbranch_scc0 .LBB22_2912
; %bb.2909:
	s_cmp_eq_u32 s2, 15
	s_mov_b32 s0, -1
	s_cbranch_scc0 .LBB22_2911
; %bb.2910:
	s_wait_xcnt 0x0
	v_cvt_f32_u32_e32 v1, v4
	s_mov_b32 s0, 0
	s_mov_b32 s6, -1
	s_delay_alu instid0(VALU_DEP_1) | instskip(NEXT) | instid1(VALU_DEP_1)
	v_bfe_u32 v5, v1, 16, 1
	v_add3_u32 v1, v1, v5, 0x7fff
	global_store_d16_hi_b16 v[2:3], v1, off
.LBB22_2911:
	s_mov_b32 s3, 0
.LBB22_2912:
	s_delay_alu instid0(SALU_CYCLE_1)
	s_and_b32 vcc_lo, exec_lo, s3
	s_mov_b32 s3, 0
	s_cbranch_vccz .LBB22_2914
; %bb.2913:
	s_cmp_lg_u32 s2, 11
	s_mov_b32 s3, -1
	s_cselect_b32 s0, -1, 0
.LBB22_2914:
	s_delay_alu instid0(SALU_CYCLE_1)
	s_and_b32 vcc_lo, exec_lo, s0
	s_cbranch_vccnz .LBB22_3050
; %bb.2915:
	s_and_not1_b32 vcc_lo, exec_lo, s3
	s_cbranch_vccnz .LBB22_2917
.LBB22_2916:
	v_cmp_ne_u32_e32 vcc_lo, 0, v4
	s_mov_b32 s6, -1
	s_wait_xcnt 0x0
	v_cndmask_b32_e64 v1, 0, 1, vcc_lo
	global_store_b8 v[2:3], v1, off
.LBB22_2917:
	s_mov_b32 s0, 0
	s_branch .LBB22_2919
.LBB22_2918:
	s_mov_b32 s0, -1
	s_mov_b32 s6, 0
.LBB22_2919:
	s_and_b32 vcc_lo, exec_lo, s0
	s_cbranch_vccz .LBB22_2958
; %bb.2920:
	s_and_b32 s0, 0xffff, s16
	s_mov_b32 s2, -1
	s_cmp_lt_i32 s0, 5
	s_cbranch_scc1 .LBB22_2941
; %bb.2921:
	s_cmp_lt_i32 s0, 8
	s_cbranch_scc1 .LBB22_2931
; %bb.2922:
	;; [unrolled: 3-line block ×3, first 2 shown]
	s_cmp_gt_i32 s0, 9
	s_cbranch_scc0 .LBB22_2925
; %bb.2924:
	v_cvt_f64_u32_e32 v[8:9], v4
	v_mov_b32_e32 v10, 0
	s_mov_b32 s2, 0
	s_delay_alu instid0(VALU_DEP_1)
	v_mov_b32_e32 v11, v10
	global_store_b128 v[2:3], v[8:11], off
.LBB22_2925:
	s_and_not1_b32 vcc_lo, exec_lo, s2
	s_cbranch_vccnz .LBB22_2927
; %bb.2926:
	s_wait_xcnt 0x0
	v_cvt_f32_u32_e32 v8, v4
	v_mov_b32_e32 v9, 0
	global_store_b64 v[2:3], v[8:9], off
.LBB22_2927:
	s_mov_b32 s2, 0
.LBB22_2928:
	s_delay_alu instid0(SALU_CYCLE_1)
	s_and_not1_b32 vcc_lo, exec_lo, s2
	s_cbranch_vccnz .LBB22_2930
; %bb.2929:
	s_wait_xcnt 0x0
	v_cvt_f32_u32_e32 v1, v4
	s_delay_alu instid0(VALU_DEP_1) | instskip(NEXT) | instid1(VALU_DEP_1)
	v_cvt_f16_f32_e32 v1, v1
	v_and_b32_e32 v1, 0xffff, v1
	global_store_b32 v[2:3], v1, off
.LBB22_2930:
	s_mov_b32 s2, 0
.LBB22_2931:
	s_delay_alu instid0(SALU_CYCLE_1)
	s_and_not1_b32 vcc_lo, exec_lo, s2
	s_cbranch_vccnz .LBB22_2940
; %bb.2932:
	s_cmp_lt_i32 s0, 6
	s_mov_b32 s2, -1
	s_cbranch_scc1 .LBB22_2938
; %bb.2933:
	s_cmp_gt_i32 s0, 6
	s_cbranch_scc0 .LBB22_2935
; %bb.2934:
	s_wait_xcnt 0x0
	v_cvt_f64_u32_e32 v[8:9], v4
	s_mov_b32 s2, 0
	global_store_b64 v[2:3], v[8:9], off
.LBB22_2935:
	s_and_not1_b32 vcc_lo, exec_lo, s2
	s_cbranch_vccnz .LBB22_2937
; %bb.2936:
	s_wait_xcnt 0x0
	v_cvt_f32_u32_e32 v1, v4
	global_store_b32 v[2:3], v1, off
.LBB22_2937:
	s_mov_b32 s2, 0
.LBB22_2938:
	s_delay_alu instid0(SALU_CYCLE_1)
	s_and_not1_b32 vcc_lo, exec_lo, s2
	s_cbranch_vccnz .LBB22_2940
; %bb.2939:
	s_wait_xcnt 0x0
	v_cvt_f32_u32_e32 v1, v4
	s_delay_alu instid0(VALU_DEP_1)
	v_cvt_f16_f32_e32 v1, v1
	global_store_b16 v[2:3], v1, off
.LBB22_2940:
	s_mov_b32 s2, 0
.LBB22_2941:
	s_delay_alu instid0(SALU_CYCLE_1)
	s_and_not1_b32 vcc_lo, exec_lo, s2
	s_cbranch_vccnz .LBB22_2957
; %bb.2942:
	s_cmp_lt_i32 s0, 2
	s_mov_b32 s2, -1
	s_cbranch_scc1 .LBB22_2952
; %bb.2943:
	s_cmp_lt_i32 s0, 3
	s_cbranch_scc1 .LBB22_2949
; %bb.2944:
	s_cmp_gt_i32 s0, 3
	s_cbranch_scc0 .LBB22_2946
; %bb.2945:
	s_wait_xcnt 0x0
	v_mov_b32_e32 v5, 0
	s_mov_b32 s2, 0
	global_store_b64 v[2:3], v[4:5], off
.LBB22_2946:
	s_and_not1_b32 vcc_lo, exec_lo, s2
	s_cbranch_vccnz .LBB22_2948
; %bb.2947:
	global_store_b32 v[2:3], v4, off
.LBB22_2948:
	s_mov_b32 s2, 0
.LBB22_2949:
	s_delay_alu instid0(SALU_CYCLE_1)
	s_and_not1_b32 vcc_lo, exec_lo, s2
	s_cbranch_vccnz .LBB22_2951
; %bb.2950:
	global_store_b16 v[2:3], v4, off
.LBB22_2951:
	s_mov_b32 s2, 0
.LBB22_2952:
	s_delay_alu instid0(SALU_CYCLE_1)
	s_and_not1_b32 vcc_lo, exec_lo, s2
	s_cbranch_vccnz .LBB22_2957
; %bb.2953:
	s_cmp_gt_i32 s0, 0
	s_mov_b32 s0, -1
	s_cbranch_scc0 .LBB22_2955
; %bb.2954:
	s_mov_b32 s0, 0
	global_store_b8 v[2:3], v4, off
.LBB22_2955:
	s_and_not1_b32 vcc_lo, exec_lo, s0
	s_cbranch_vccnz .LBB22_2957
; %bb.2956:
	global_store_b8 v[2:3], v4, off
.LBB22_2957:
	s_mov_b32 s6, -1
.LBB22_2958:
	s_delay_alu instid0(SALU_CYCLE_1)
	s_and_not1_b32 vcc_lo, exec_lo, s6
	s_cbranch_vccnz .LBB22_3035
; %bb.2959:
	v_add_nc_u32_e32 v0, s1, v0
	s_cmp_lt_i32 s16, 11
	s_wait_xcnt 0x0
	s_delay_alu instid0(VALU_DEP_1) | instskip(NEXT) | instid1(VALU_DEP_1)
	v_ashrrev_i32_e32 v1, 31, v0
	v_add_nc_u64_e32 v[0:1], s[4:5], v[0:1]
	s_cbranch_scc1 .LBB22_3036
; %bb.2960:
	s_and_b32 s1, 0xffff, s16
	s_mov_b32 s3, -1
	s_mov_b32 s2, 0
	s_cmp_gt_i32 s1, 25
	s_mov_b32 s0, 0
	s_cbranch_scc0 .LBB22_2993
; %bb.2961:
	s_cmp_gt_i32 s1, 28
	s_cbranch_scc0 .LBB22_2977
; %bb.2962:
	s_cmp_gt_i32 s1, 43
	;; [unrolled: 3-line block ×3, first 2 shown]
	s_cbranch_scc0 .LBB22_2967
; %bb.2964:
	s_cmp_eq_u32 s1, 46
	s_mov_b32 s0, -1
	s_cbranch_scc0 .LBB22_2966
; %bb.2965:
	v_cvt_f32_u32_e32 v2, v6
	s_mov_b32 s0, 0
	s_delay_alu instid0(VALU_DEP_1) | instskip(NEXT) | instid1(VALU_DEP_1)
	v_bfe_u32 v3, v2, 16, 1
	v_add3_u32 v2, v2, v3, 0x7fff
	s_delay_alu instid0(VALU_DEP_1)
	v_lshrrev_b32_e32 v2, 16, v2
	global_store_b32 v[0:1], v2, off
.LBB22_2966:
	s_mov_b32 s3, 0
.LBB22_2967:
	s_delay_alu instid0(SALU_CYCLE_1)
	s_and_b32 vcc_lo, exec_lo, s3
	s_cbranch_vccz .LBB22_2972
; %bb.2968:
	s_cmp_eq_u32 s1, 44
	s_mov_b32 s0, -1
	s_cbranch_scc0 .LBB22_2972
; %bb.2969:
	v_cvt_f32_u32_e32 v4, v6
	s_mov_b32 s3, exec_lo
	s_wait_xcnt 0x0
	s_delay_alu instid0(VALU_DEP_1) | instskip(NEXT) | instid1(VALU_DEP_1)
	v_dual_mov_b32 v3, 0xff :: v_dual_lshrrev_b32 v2, 23, v4
	v_cmpx_ne_u32_e32 0xff, v2
; %bb.2970:
	v_and_b32_e32 v3, 0x400000, v4
	v_and_or_b32 v4, 0x3fffff, v4, v2
	s_delay_alu instid0(VALU_DEP_2) | instskip(NEXT) | instid1(VALU_DEP_2)
	v_cmp_ne_u32_e32 vcc_lo, 0, v3
	v_cmp_ne_u32_e64 s0, 0, v4
	s_and_b32 s0, vcc_lo, s0
	s_delay_alu instid0(SALU_CYCLE_1) | instskip(NEXT) | instid1(VALU_DEP_1)
	v_cndmask_b32_e64 v3, 0, 1, s0
	v_add_nc_u32_e32 v3, v2, v3
; %bb.2971:
	s_or_b32 exec_lo, exec_lo, s3
	s_mov_b32 s0, 0
	global_store_b8 v[0:1], v3, off
.LBB22_2972:
	s_mov_b32 s3, 0
.LBB22_2973:
	s_delay_alu instid0(SALU_CYCLE_1)
	s_and_b32 vcc_lo, exec_lo, s3
	s_cbranch_vccz .LBB22_2976
; %bb.2974:
	s_cmp_eq_u32 s1, 29
	s_mov_b32 s0, -1
	s_cbranch_scc0 .LBB22_2976
; %bb.2975:
	v_mov_b32_e32 v7, 0
	s_mov_b32 s0, 0
	global_store_b64 v[0:1], v[6:7], off
.LBB22_2976:
	s_mov_b32 s3, 0
.LBB22_2977:
	s_delay_alu instid0(SALU_CYCLE_1)
	s_and_b32 vcc_lo, exec_lo, s3
	s_cbranch_vccz .LBB22_2992
; %bb.2978:
	s_cmp_lt_i32 s1, 27
	s_mov_b32 s3, -1
	s_cbranch_scc1 .LBB22_2984
; %bb.2979:
	s_cmp_gt_i32 s1, 27
	s_cbranch_scc0 .LBB22_2981
; %bb.2980:
	s_mov_b32 s3, 0
	global_store_b32 v[0:1], v6, off
.LBB22_2981:
	s_and_not1_b32 vcc_lo, exec_lo, s3
	s_cbranch_vccnz .LBB22_2983
; %bb.2982:
	global_store_b16 v[0:1], v6, off
.LBB22_2983:
	s_mov_b32 s3, 0
.LBB22_2984:
	s_delay_alu instid0(SALU_CYCLE_1)
	s_and_not1_b32 vcc_lo, exec_lo, s3
	s_cbranch_vccnz .LBB22_2992
; %bb.2985:
	s_wait_xcnt 0x0
	v_cvt_f32_u32_e32 v3, v6
	v_mov_b32_e32 v4, 0x80
	s_mov_b32 s3, exec_lo
	s_delay_alu instid0(VALU_DEP_2)
	v_cmpx_gt_u32_e32 0x43800000, v3
	s_cbranch_execz .LBB22_2991
; %bb.2986:
	s_mov_b32 s4, 0
	s_mov_b32 s5, exec_lo
                                        ; implicit-def: $vgpr2
	v_cmpx_lt_u32_e32 0x3bffffff, v3
	s_xor_b32 s5, exec_lo, s5
	s_cbranch_execz .LBB22_3053
; %bb.2987:
	v_bfe_u32 v2, v3, 20, 1
	s_mov_b32 s4, exec_lo
	s_delay_alu instid0(VALU_DEP_1) | instskip(NEXT) | instid1(VALU_DEP_1)
	v_add3_u32 v2, v3, v2, 0x487ffff
                                        ; implicit-def: $vgpr3
	v_lshrrev_b32_e32 v2, 20, v2
	s_and_not1_saveexec_b32 s5, s5
	s_cbranch_execnz .LBB22_3054
.LBB22_2988:
	s_or_b32 exec_lo, exec_lo, s5
	v_mov_b32_e32 v4, 0
	s_and_saveexec_b32 s5, s4
.LBB22_2989:
	v_mov_b32_e32 v4, v2
.LBB22_2990:
	s_or_b32 exec_lo, exec_lo, s5
.LBB22_2991:
	s_delay_alu instid0(SALU_CYCLE_1)
	s_or_b32 exec_lo, exec_lo, s3
	global_store_b8 v[0:1], v4, off
.LBB22_2992:
	s_mov_b32 s3, 0
.LBB22_2993:
	s_delay_alu instid0(SALU_CYCLE_1)
	s_and_b32 vcc_lo, exec_lo, s3
	s_cbranch_vccz .LBB22_3033
; %bb.2994:
	s_cmp_gt_i32 s1, 22
	s_mov_b32 s2, -1
	s_cbranch_scc0 .LBB22_3026
; %bb.2995:
	s_cmp_lt_i32 s1, 24
	s_cbranch_scc1 .LBB22_3015
; %bb.2996:
	s_cmp_gt_i32 s1, 24
	s_cbranch_scc0 .LBB22_3004
; %bb.2997:
	s_wait_xcnt 0x0
	v_cvt_f32_u32_e32 v3, v6
	v_mov_b32_e32 v4, 0x80
	s_mov_b32 s2, exec_lo
	s_delay_alu instid0(VALU_DEP_2)
	v_cmpx_gt_u32_e32 0x47800000, v3
	s_cbranch_execz .LBB22_3003
; %bb.2998:
	s_mov_b32 s3, 0
	s_mov_b32 s4, exec_lo
                                        ; implicit-def: $vgpr2
	v_cmpx_lt_u32_e32 0x37ffffff, v3
	s_xor_b32 s4, exec_lo, s4
	s_cbranch_execz .LBB22_3056
; %bb.2999:
	v_bfe_u32 v2, v3, 21, 1
	s_mov_b32 s3, exec_lo
	s_delay_alu instid0(VALU_DEP_1) | instskip(NEXT) | instid1(VALU_DEP_1)
	v_add3_u32 v2, v3, v2, 0x88fffff
                                        ; implicit-def: $vgpr3
	v_lshrrev_b32_e32 v2, 21, v2
	s_and_not1_saveexec_b32 s4, s4
	s_cbranch_execnz .LBB22_3057
.LBB22_3000:
	s_or_b32 exec_lo, exec_lo, s4
	v_mov_b32_e32 v4, 0
	s_and_saveexec_b32 s4, s3
.LBB22_3001:
	v_mov_b32_e32 v4, v2
.LBB22_3002:
	s_or_b32 exec_lo, exec_lo, s4
.LBB22_3003:
	s_delay_alu instid0(SALU_CYCLE_1)
	s_or_b32 exec_lo, exec_lo, s2
	s_mov_b32 s2, 0
	global_store_b8 v[0:1], v4, off
.LBB22_3004:
	s_and_b32 vcc_lo, exec_lo, s2
	s_cbranch_vccz .LBB22_3014
; %bb.3005:
	s_wait_xcnt 0x0
	v_cvt_f32_u32_e32 v3, v6
	s_mov_b32 s2, exec_lo
                                        ; implicit-def: $vgpr2
	s_delay_alu instid0(VALU_DEP_1)
	v_cmpx_gt_u32_e32 0x43f00000, v3
	s_xor_b32 s2, exec_lo, s2
	s_cbranch_execz .LBB22_3011
; %bb.3006:
	s_mov_b32 s3, exec_lo
                                        ; implicit-def: $vgpr2
	v_cmpx_lt_u32_e32 0x3c7fffff, v3
	s_xor_b32 s3, exec_lo, s3
; %bb.3007:
	v_bfe_u32 v2, v3, 20, 1
	s_delay_alu instid0(VALU_DEP_1) | instskip(NEXT) | instid1(VALU_DEP_1)
	v_add3_u32 v2, v3, v2, 0x407ffff
	v_and_b32_e32 v3, 0xff00000, v2
	v_lshrrev_b32_e32 v2, 20, v2
	s_delay_alu instid0(VALU_DEP_2) | instskip(NEXT) | instid1(VALU_DEP_2)
	v_cmp_ne_u32_e32 vcc_lo, 0x7f00000, v3
                                        ; implicit-def: $vgpr3
	v_cndmask_b32_e32 v2, 0x7e, v2, vcc_lo
; %bb.3008:
	s_and_not1_saveexec_b32 s3, s3
; %bb.3009:
	v_add_f32_e32 v2, 0x46800000, v3
; %bb.3010:
	s_or_b32 exec_lo, exec_lo, s3
                                        ; implicit-def: $vgpr3
.LBB22_3011:
	s_and_not1_saveexec_b32 s2, s2
; %bb.3012:
	v_mov_b32_e32 v2, 0x7f
	v_cmp_lt_u32_e32 vcc_lo, 0x7f800000, v3
	s_delay_alu instid0(VALU_DEP_2)
	v_cndmask_b32_e32 v2, 0x7e, v2, vcc_lo
; %bb.3013:
	s_or_b32 exec_lo, exec_lo, s2
	global_store_b8 v[0:1], v2, off
.LBB22_3014:
	s_mov_b32 s2, 0
.LBB22_3015:
	s_delay_alu instid0(SALU_CYCLE_1)
	s_and_not1_b32 vcc_lo, exec_lo, s2
	s_cbranch_vccnz .LBB22_3025
; %bb.3016:
	s_wait_xcnt 0x0
	v_cvt_f32_u32_e32 v3, v6
	s_mov_b32 s2, exec_lo
                                        ; implicit-def: $vgpr2
	s_delay_alu instid0(VALU_DEP_1)
	v_cmpx_gt_u32_e32 0x47800000, v3
	s_xor_b32 s2, exec_lo, s2
	s_cbranch_execz .LBB22_3022
; %bb.3017:
	s_mov_b32 s3, exec_lo
                                        ; implicit-def: $vgpr2
	v_cmpx_lt_u32_e32 0x387fffff, v3
	s_xor_b32 s3, exec_lo, s3
; %bb.3018:
	v_bfe_u32 v2, v3, 21, 1
	s_delay_alu instid0(VALU_DEP_1) | instskip(NEXT) | instid1(VALU_DEP_1)
	v_add3_u32 v2, v3, v2, 0x80fffff
                                        ; implicit-def: $vgpr3
	v_lshrrev_b32_e32 v2, 21, v2
; %bb.3019:
	s_and_not1_saveexec_b32 s3, s3
; %bb.3020:
	v_add_f32_e32 v2, 0x43000000, v3
; %bb.3021:
	s_or_b32 exec_lo, exec_lo, s3
                                        ; implicit-def: $vgpr3
.LBB22_3022:
	s_and_not1_saveexec_b32 s2, s2
; %bb.3023:
	v_mov_b32_e32 v2, 0x7f
	v_cmp_lt_u32_e32 vcc_lo, 0x7f800000, v3
	s_delay_alu instid0(VALU_DEP_2)
	v_cndmask_b32_e32 v2, 0x7c, v2, vcc_lo
; %bb.3024:
	s_or_b32 exec_lo, exec_lo, s2
	global_store_b8 v[0:1], v2, off
.LBB22_3025:
	s_mov_b32 s2, 0
.LBB22_3026:
	s_delay_alu instid0(SALU_CYCLE_1)
	s_and_not1_b32 vcc_lo, exec_lo, s2
	s_mov_b32 s2, 0
	s_cbranch_vccnz .LBB22_3033
; %bb.3027:
	s_cmp_gt_i32 s1, 14
	s_mov_b32 s2, -1
	s_cbranch_scc0 .LBB22_3031
; %bb.3028:
	s_cmp_eq_u32 s1, 15
	s_mov_b32 s0, -1
	s_cbranch_scc0 .LBB22_3030
; %bb.3029:
	s_wait_xcnt 0x0
	v_cvt_f32_u32_e32 v2, v6
	s_mov_b32 s0, 0
	s_delay_alu instid0(VALU_DEP_1) | instskip(NEXT) | instid1(VALU_DEP_1)
	v_bfe_u32 v3, v2, 16, 1
	v_add3_u32 v2, v2, v3, 0x7fff
	global_store_d16_hi_b16 v[0:1], v2, off
.LBB22_3030:
	s_mov_b32 s2, 0
.LBB22_3031:
	s_delay_alu instid0(SALU_CYCLE_1)
	s_and_b32 vcc_lo, exec_lo, s2
	s_mov_b32 s2, 0
	s_cbranch_vccz .LBB22_3033
; %bb.3032:
	s_cmp_lg_u32 s1, 11
	s_mov_b32 s2, -1
	s_cselect_b32 s0, -1, 0
.LBB22_3033:
	s_delay_alu instid0(SALU_CYCLE_1)
	s_and_b32 vcc_lo, exec_lo, s0
	s_cbranch_vccnz .LBB22_3055
.LBB22_3034:
	s_mov_b32 s0, 0
	s_branch .LBB22_2636
.LBB22_3035:
	s_mov_b32 s0, 0
	s_mov_b32 s2, 0
                                        ; implicit-def: $sgpr16
                                        ; implicit-def: $vgpr0_vgpr1
	s_branch .LBB22_2636
.LBB22_3036:
	s_mov_b32 s2, 0
	s_mov_b32 s0, -1
	s_branch .LBB22_2636
.LBB22_3037:
	s_or_b32 s12, s12, exec_lo
	s_trap 2
	s_cbranch_execz .LBB22_2501
	s_branch .LBB22_2502
.LBB22_3038:
	s_and_not1_saveexec_b32 s7, s7
	s_cbranch_execz .LBB22_2585
.LBB22_3039:
	v_add_f32_e32 v1, 0x46000000, v3
	s_and_not1_b32 s6, s6, exec_lo
	s_delay_alu instid0(VALU_DEP_1) | instskip(NEXT) | instid1(VALU_DEP_1)
	v_and_b32_e32 v1, 0xff, v1
	v_cmp_ne_u32_e32 vcc_lo, 0, v1
	s_and_b32 s9, vcc_lo, exec_lo
	s_delay_alu instid0(SALU_CYCLE_1)
	s_or_b32 s6, s6, s9
	s_or_b32 exec_lo, exec_lo, s7
	v_mov_b32_e32 v5, 0
	s_and_saveexec_b32 s7, s6
	s_cbranch_execnz .LBB22_2586
	s_branch .LBB22_2587
.LBB22_3040:
	s_or_b32 s12, s12, exec_lo
	s_trap 2
	s_cbranch_execz .LBB22_2633
	s_branch .LBB22_2634
.LBB22_3041:
	s_and_not1_saveexec_b32 s6, s6
	s_cbranch_execz .LBB22_2598
.LBB22_3042:
	v_add_f32_e32 v1, 0x42800000, v3
	s_and_not1_b32 s3, s3, exec_lo
	s_delay_alu instid0(VALU_DEP_1) | instskip(NEXT) | instid1(VALU_DEP_1)
	v_and_b32_e32 v1, 0xff, v1
	v_cmp_ne_u32_e32 vcc_lo, 0, v1
	s_and_b32 s7, vcc_lo, exec_lo
	s_delay_alu instid0(SALU_CYCLE_1)
	s_or_b32 s3, s3, s7
	s_or_b32 exec_lo, exec_lo, s6
	v_mov_b32_e32 v5, 0
	s_and_saveexec_b32 s6, s3
	s_cbranch_execnz .LBB22_2599
	s_branch .LBB22_2600
.LBB22_3043:
	s_and_not1_saveexec_b32 s8, s8
	s_cbranch_execz .LBB22_2749
.LBB22_3044:
	v_add_f32_e32 v1, 0x46000000, v3
	s_and_not1_b32 s7, s7, exec_lo
	s_delay_alu instid0(VALU_DEP_1) | instskip(NEXT) | instid1(VALU_DEP_1)
	v_and_b32_e32 v1, 0xff, v1
	v_cmp_ne_u32_e32 vcc_lo, 0, v1
	s_and_b32 s9, vcc_lo, exec_lo
	s_delay_alu instid0(SALU_CYCLE_1)
	s_or_b32 s7, s7, s9
	s_or_b32 exec_lo, exec_lo, s8
	v_mov_b32_e32 v5, 0
	s_and_saveexec_b32 s8, s7
	s_cbranch_execnz .LBB22_2750
	s_branch .LBB22_2751
.LBB22_3045:
	s_or_b32 s12, s12, exec_lo
	s_trap 2
	s_cbranch_execz .LBB22_2797
	s_branch .LBB22_2798
.LBB22_3046:
	s_and_not1_saveexec_b32 s7, s7
	s_cbranch_execz .LBB22_2762
.LBB22_3047:
	v_add_f32_e32 v1, 0x42800000, v3
	s_and_not1_b32 s6, s6, exec_lo
	s_delay_alu instid0(VALU_DEP_1) | instskip(NEXT) | instid1(VALU_DEP_1)
	v_and_b32_e32 v1, 0xff, v1
	v_cmp_ne_u32_e32 vcc_lo, 0, v1
	s_and_b32 s8, vcc_lo, exec_lo
	s_delay_alu instid0(SALU_CYCLE_1)
	s_or_b32 s6, s6, s8
	s_or_b32 exec_lo, exec_lo, s7
	v_mov_b32_e32 v5, 0
	s_and_saveexec_b32 s7, s6
	s_cbranch_execnz .LBB22_2763
	s_branch .LBB22_2764
.LBB22_3048:
	s_and_not1_saveexec_b32 s8, s8
	s_cbranch_execz .LBB22_2868
.LBB22_3049:
	v_add_f32_e32 v1, 0x46000000, v5
	s_and_not1_b32 s7, s7, exec_lo
	s_delay_alu instid0(VALU_DEP_1) | instskip(NEXT) | instid1(VALU_DEP_1)
	v_and_b32_e32 v1, 0xff, v1
	v_cmp_ne_u32_e32 vcc_lo, 0, v1
	s_and_b32 s9, vcc_lo, exec_lo
	s_delay_alu instid0(SALU_CYCLE_1)
	s_or_b32 s7, s7, s9
	s_or_b32 exec_lo, exec_lo, s8
	v_mov_b32_e32 v7, 0
	s_and_saveexec_b32 s8, s7
	s_cbranch_execnz .LBB22_2869
	s_branch .LBB22_2870
.LBB22_3050:
	s_or_b32 s12, s12, exec_lo
	s_trap 2
	s_cbranch_execz .LBB22_2916
	s_branch .LBB22_2917
.LBB22_3051:
	s_and_not1_saveexec_b32 s7, s7
	s_cbranch_execz .LBB22_2881
.LBB22_3052:
	v_add_f32_e32 v1, 0x42800000, v5
	s_and_not1_b32 s6, s6, exec_lo
	s_delay_alu instid0(VALU_DEP_1) | instskip(NEXT) | instid1(VALU_DEP_1)
	v_and_b32_e32 v1, 0xff, v1
	v_cmp_ne_u32_e32 vcc_lo, 0, v1
	s_and_b32 s8, vcc_lo, exec_lo
	s_delay_alu instid0(SALU_CYCLE_1)
	s_or_b32 s6, s6, s8
	s_or_b32 exec_lo, exec_lo, s7
	v_mov_b32_e32 v7, 0
	s_and_saveexec_b32 s7, s6
	s_cbranch_execnz .LBB22_2882
	s_branch .LBB22_2883
.LBB22_3053:
	s_and_not1_saveexec_b32 s5, s5
	s_cbranch_execz .LBB22_2988
.LBB22_3054:
	v_add_f32_e32 v2, 0x46000000, v3
	s_and_not1_b32 s4, s4, exec_lo
	s_delay_alu instid0(VALU_DEP_1) | instskip(NEXT) | instid1(VALU_DEP_1)
	v_and_b32_e32 v2, 0xff, v2
	v_cmp_ne_u32_e32 vcc_lo, 0, v2
	s_and_b32 s6, vcc_lo, exec_lo
	s_delay_alu instid0(SALU_CYCLE_1)
	s_or_b32 s4, s4, s6
	s_or_b32 exec_lo, exec_lo, s5
	v_mov_b32_e32 v4, 0
	s_and_saveexec_b32 s5, s4
	s_cbranch_execnz .LBB22_2989
	s_branch .LBB22_2990
.LBB22_3055:
	s_mov_b32 s2, 0
	s_or_b32 s12, s12, exec_lo
	s_trap 2
	s_branch .LBB22_3034
.LBB22_3056:
	s_and_not1_saveexec_b32 s4, s4
	s_cbranch_execz .LBB22_3000
.LBB22_3057:
	v_add_f32_e32 v2, 0x42800000, v3
	s_and_not1_b32 s3, s3, exec_lo
	s_delay_alu instid0(VALU_DEP_1) | instskip(NEXT) | instid1(VALU_DEP_1)
	v_and_b32_e32 v2, 0xff, v2
	v_cmp_ne_u32_e32 vcc_lo, 0, v2
	s_and_b32 s5, vcc_lo, exec_lo
	s_delay_alu instid0(SALU_CYCLE_1)
	s_or_b32 s3, s3, s5
	s_or_b32 exec_lo, exec_lo, s4
	v_mov_b32_e32 v4, 0
	s_and_saveexec_b32 s4, s3
	s_cbranch_execnz .LBB22_3001
	s_branch .LBB22_3002
	.section	.rodata,"a",@progbits
	.p2align	6, 0x0
	.amdhsa_kernel _ZN2at6native32elementwise_kernel_manual_unrollILi128ELi4EZNS0_15gpu_kernel_implIZZZNS0_15gcd_kernel_cudaERNS_18TensorIteratorBaseEENKUlvE_clEvENKUlvE1_clEvEUliiE_EEvS4_RKT_EUlibE_EEviT1_
		.amdhsa_group_segment_fixed_size 0
		.amdhsa_private_segment_fixed_size 0
		.amdhsa_kernarg_size 48
		.amdhsa_user_sgpr_count 2
		.amdhsa_user_sgpr_dispatch_ptr 0
		.amdhsa_user_sgpr_queue_ptr 0
		.amdhsa_user_sgpr_kernarg_segment_ptr 1
		.amdhsa_user_sgpr_dispatch_id 0
		.amdhsa_user_sgpr_kernarg_preload_length 0
		.amdhsa_user_sgpr_kernarg_preload_offset 0
		.amdhsa_user_sgpr_private_segment_size 0
		.amdhsa_wavefront_size32 1
		.amdhsa_uses_dynamic_stack 0
		.amdhsa_enable_private_segment 0
		.amdhsa_system_sgpr_workgroup_id_x 1
		.amdhsa_system_sgpr_workgroup_id_y 0
		.amdhsa_system_sgpr_workgroup_id_z 0
		.amdhsa_system_sgpr_workgroup_info 0
		.amdhsa_system_vgpr_workitem_id 0
		.amdhsa_next_free_vgpr 16
		.amdhsa_next_free_sgpr 35
		.amdhsa_named_barrier_count 0
		.amdhsa_reserve_vcc 1
		.amdhsa_float_round_mode_32 0
		.amdhsa_float_round_mode_16_64 0
		.amdhsa_float_denorm_mode_32 3
		.amdhsa_float_denorm_mode_16_64 3
		.amdhsa_fp16_overflow 0
		.amdhsa_memory_ordered 1
		.amdhsa_forward_progress 1
		.amdhsa_inst_pref_size 255
		.amdhsa_round_robin_scheduling 0
		.amdhsa_exception_fp_ieee_invalid_op 0
		.amdhsa_exception_fp_denorm_src 0
		.amdhsa_exception_fp_ieee_div_zero 0
		.amdhsa_exception_fp_ieee_overflow 0
		.amdhsa_exception_fp_ieee_underflow 0
		.amdhsa_exception_fp_ieee_inexact 0
		.amdhsa_exception_int_div_zero 0
	.end_amdhsa_kernel
	.section	.text._ZN2at6native32elementwise_kernel_manual_unrollILi128ELi4EZNS0_15gpu_kernel_implIZZZNS0_15gcd_kernel_cudaERNS_18TensorIteratorBaseEENKUlvE_clEvENKUlvE1_clEvEUliiE_EEvS4_RKT_EUlibE_EEviT1_,"axG",@progbits,_ZN2at6native32elementwise_kernel_manual_unrollILi128ELi4EZNS0_15gpu_kernel_implIZZZNS0_15gcd_kernel_cudaERNS_18TensorIteratorBaseEENKUlvE_clEvENKUlvE1_clEvEUliiE_EEvS4_RKT_EUlibE_EEviT1_,comdat
.Lfunc_end22:
	.size	_ZN2at6native32elementwise_kernel_manual_unrollILi128ELi4EZNS0_15gpu_kernel_implIZZZNS0_15gcd_kernel_cudaERNS_18TensorIteratorBaseEENKUlvE_clEvENKUlvE1_clEvEUliiE_EEvS4_RKT_EUlibE_EEviT1_, .Lfunc_end22-_ZN2at6native32elementwise_kernel_manual_unrollILi128ELi4EZNS0_15gpu_kernel_implIZZZNS0_15gcd_kernel_cudaERNS_18TensorIteratorBaseEENKUlvE_clEvENKUlvE1_clEvEUliiE_EEvS4_RKT_EUlibE_EEviT1_
                                        ; -- End function
	.set _ZN2at6native32elementwise_kernel_manual_unrollILi128ELi4EZNS0_15gpu_kernel_implIZZZNS0_15gcd_kernel_cudaERNS_18TensorIteratorBaseEENKUlvE_clEvENKUlvE1_clEvEUliiE_EEvS4_RKT_EUlibE_EEviT1_.num_vgpr, 16
	.set _ZN2at6native32elementwise_kernel_manual_unrollILi128ELi4EZNS0_15gpu_kernel_implIZZZNS0_15gcd_kernel_cudaERNS_18TensorIteratorBaseEENKUlvE_clEvENKUlvE1_clEvEUliiE_EEvS4_RKT_EUlibE_EEviT1_.num_agpr, 0
	.set _ZN2at6native32elementwise_kernel_manual_unrollILi128ELi4EZNS0_15gpu_kernel_implIZZZNS0_15gcd_kernel_cudaERNS_18TensorIteratorBaseEENKUlvE_clEvENKUlvE1_clEvEUliiE_EEvS4_RKT_EUlibE_EEviT1_.numbered_sgpr, 35
	.set _ZN2at6native32elementwise_kernel_manual_unrollILi128ELi4EZNS0_15gpu_kernel_implIZZZNS0_15gcd_kernel_cudaERNS_18TensorIteratorBaseEENKUlvE_clEvENKUlvE1_clEvEUliiE_EEvS4_RKT_EUlibE_EEviT1_.num_named_barrier, 0
	.set _ZN2at6native32elementwise_kernel_manual_unrollILi128ELi4EZNS0_15gpu_kernel_implIZZZNS0_15gcd_kernel_cudaERNS_18TensorIteratorBaseEENKUlvE_clEvENKUlvE1_clEvEUliiE_EEvS4_RKT_EUlibE_EEviT1_.private_seg_size, 0
	.set _ZN2at6native32elementwise_kernel_manual_unrollILi128ELi4EZNS0_15gpu_kernel_implIZZZNS0_15gcd_kernel_cudaERNS_18TensorIteratorBaseEENKUlvE_clEvENKUlvE1_clEvEUliiE_EEvS4_RKT_EUlibE_EEviT1_.uses_vcc, 1
	.set _ZN2at6native32elementwise_kernel_manual_unrollILi128ELi4EZNS0_15gpu_kernel_implIZZZNS0_15gcd_kernel_cudaERNS_18TensorIteratorBaseEENKUlvE_clEvENKUlvE1_clEvEUliiE_EEvS4_RKT_EUlibE_EEviT1_.uses_flat_scratch, 0
	.set _ZN2at6native32elementwise_kernel_manual_unrollILi128ELi4EZNS0_15gpu_kernel_implIZZZNS0_15gcd_kernel_cudaERNS_18TensorIteratorBaseEENKUlvE_clEvENKUlvE1_clEvEUliiE_EEvS4_RKT_EUlibE_EEviT1_.has_dyn_sized_stack, 0
	.set _ZN2at6native32elementwise_kernel_manual_unrollILi128ELi4EZNS0_15gpu_kernel_implIZZZNS0_15gcd_kernel_cudaERNS_18TensorIteratorBaseEENKUlvE_clEvENKUlvE1_clEvEUliiE_EEvS4_RKT_EUlibE_EEviT1_.has_recursion, 0
	.set _ZN2at6native32elementwise_kernel_manual_unrollILi128ELi4EZNS0_15gpu_kernel_implIZZZNS0_15gcd_kernel_cudaERNS_18TensorIteratorBaseEENKUlvE_clEvENKUlvE1_clEvEUliiE_EEvS4_RKT_EUlibE_EEviT1_.has_indirect_call, 0
	.section	.AMDGPU.csdata,"",@progbits
; Kernel info:
; codeLenInByte = 52272
; TotalNumSgprs: 37
; NumVgprs: 16
; ScratchSize: 0
; MemoryBound: 1
; FloatMode: 240
; IeeeMode: 1
; LDSByteSize: 0 bytes/workgroup (compile time only)
; SGPRBlocks: 0
; VGPRBlocks: 0
; NumSGPRsForWavesPerEU: 37
; NumVGPRsForWavesPerEU: 16
; NamedBarCnt: 0
; Occupancy: 16
; WaveLimiterHint : 0
; COMPUTE_PGM_RSRC2:SCRATCH_EN: 0
; COMPUTE_PGM_RSRC2:USER_SGPR: 2
; COMPUTE_PGM_RSRC2:TRAP_HANDLER: 0
; COMPUTE_PGM_RSRC2:TGID_X_EN: 1
; COMPUTE_PGM_RSRC2:TGID_Y_EN: 0
; COMPUTE_PGM_RSRC2:TGID_Z_EN: 0
; COMPUTE_PGM_RSRC2:TIDIG_COMP_CNT: 0
	.section	.text._ZN2at6native32elementwise_kernel_manual_unrollILi128ELi4EZNS0_15gpu_kernel_implIZZZNS0_15gcd_kernel_cudaERNS_18TensorIteratorBaseEENKUlvE_clEvENKUlvE1_clEvEUliiE_EEvS4_RKT_EUlibE0_EEviT1_,"axG",@progbits,_ZN2at6native32elementwise_kernel_manual_unrollILi128ELi4EZNS0_15gpu_kernel_implIZZZNS0_15gcd_kernel_cudaERNS_18TensorIteratorBaseEENKUlvE_clEvENKUlvE1_clEvEUliiE_EEvS4_RKT_EUlibE0_EEviT1_,comdat
	.globl	_ZN2at6native32elementwise_kernel_manual_unrollILi128ELi4EZNS0_15gpu_kernel_implIZZZNS0_15gcd_kernel_cudaERNS_18TensorIteratorBaseEENKUlvE_clEvENKUlvE1_clEvEUliiE_EEvS4_RKT_EUlibE0_EEviT1_ ; -- Begin function _ZN2at6native32elementwise_kernel_manual_unrollILi128ELi4EZNS0_15gpu_kernel_implIZZZNS0_15gcd_kernel_cudaERNS_18TensorIteratorBaseEENKUlvE_clEvENKUlvE1_clEvEUliiE_EEvS4_RKT_EUlibE0_EEviT1_
	.p2align	8
	.type	_ZN2at6native32elementwise_kernel_manual_unrollILi128ELi4EZNS0_15gpu_kernel_implIZZZNS0_15gcd_kernel_cudaERNS_18TensorIteratorBaseEENKUlvE_clEvENKUlvE1_clEvEUliiE_EEvS4_RKT_EUlibE0_EEviT1_,@function
_ZN2at6native32elementwise_kernel_manual_unrollILi128ELi4EZNS0_15gpu_kernel_implIZZZNS0_15gcd_kernel_cudaERNS_18TensorIteratorBaseEENKUlvE_clEvENKUlvE1_clEvEUliiE_EEvS4_RKT_EUlibE0_EEviT1_: ; @_ZN2at6native32elementwise_kernel_manual_unrollILi128ELi4EZNS0_15gpu_kernel_implIZZZNS0_15gcd_kernel_cudaERNS_18TensorIteratorBaseEENKUlvE_clEvENKUlvE1_clEvEUliiE_EEvS4_RKT_EUlibE0_EEviT1_
; %bb.0:
	s_clause 0x1
	s_load_b32 s26, s[0:1], 0x8
	s_load_b32 s36, s[0:1], 0x0
	s_bfe_u32 s2, ttmp6, 0x4000c
	s_and_b32 s3, ttmp6, 15
	s_add_co_i32 s2, s2, 1
	s_getreg_b32 s4, hwreg(HW_REG_IB_STS2, 6, 4)
	s_mul_i32 s2, ttmp9, s2
	s_mov_b32 s28, 0
	s_add_co_i32 s3, s3, s2
	s_cmp_eq_u32 s4, 0
	s_mov_b32 s25, -1
	s_cselect_b32 s2, ttmp9, s3
	s_mov_b32 s8, 0
	v_lshl_or_b32 v0, s2, 9, v0
	s_add_nc_u64 s[2:3], s[0:1], 8
	s_wait_xcnt 0x0
	s_mov_b32 s0, exec_lo
	s_delay_alu instid0(VALU_DEP_1) | instskip(SKIP_2) | instid1(SALU_CYCLE_1)
	v_or_b32_e32 v1, 0x180, v0
	s_wait_kmcnt 0x0
	s_add_co_i32 s27, s26, -1
	s_cmp_gt_u32 s27, 1
	s_cselect_b32 s29, -1, 0
	v_cmpx_le_i32_e64 s36, v1
	s_xor_b32 s30, exec_lo, s0
	s_cbranch_execz .LBB23_1577
; %bb.1:
	v_mov_b32_e32 v1, 0
	s_cmp_lg_u32 s26, 0
	s_mov_b32 s19, 0
	s_cselect_b32 s37, -1, 0
	s_min_u32 s35, s27, 15
	s_clause 0x1
	global_load_u16 v2, v1, s[2:3] offset:417
	global_load_i8 v3, v1, s[2:3] offset:419
	s_clause 0x5
	s_load_b128 s[8:11], s[2:3], 0x4
	s_load_b64 s[0:1], s[2:3], 0x14
	s_load_b128 s[12:15], s[2:3], 0xc4
	s_load_b64 s[20:21], s[2:3], 0xd4
	s_load_b64 s[16:17], s[2:3], 0x198
	s_load_b128 s[4:7], s[2:3], 0x188
	s_cmp_gt_u32 s26, 1
	s_mov_b32 s23, s19
	s_mov_b32 s40, s19
	;; [unrolled: 1-line block ×3, first 2 shown]
	s_cselect_b32 s34, -1, 0
	s_mov_b32 s38, s19
	s_mov_b32 s41, exec_lo
	s_wait_kmcnt 0x0
	s_mov_b32 s18, s9
	s_mov_b32 s22, s0
	s_wait_loadcnt 0x1
	v_readfirstlane_b32 s31, v2
	s_wait_loadcnt 0x0
	v_readfirstlane_b32 s9, v3
	s_lshr_b32 s33, s31, 8
	v_cmpx_gt_i32_e64 s36, v0
	s_cbranch_execz .LBB23_389
; %bb.2:
	s_and_not1_b32 vcc_lo, exec_lo, s29
	s_cbranch_vccnz .LBB23_8
; %bb.3:
	s_and_not1_b32 vcc_lo, exec_lo, s37
	s_cbranch_vccnz .LBB23_9
; %bb.4:
	v_dual_mov_b32 v2, 0 :: v_dual_mov_b32 v1, v0
	v_dual_mov_b32 v6, 0 :: v_dual_mov_b32 v4, 0
	s_add_co_i32 s0, s35, 1
	s_mov_b64 s[24:25], 0xffffffffffffffe8
	s_and_b32 s0, s0, 30
	s_add_nc_u64 s[24:25], s[2:3], s[24:25]
.LBB23_5:                               ; =>This Inner Loop Header: Depth=1
	s_clause 0x3
	s_load_b128 s[44:47], s[24:25], 0x1c
	s_load_b64 s[38:39], s[24:25], 0x2c
	s_load_b128 s[48:51], s[24:25], 0xdc
	s_load_b64 s[42:43], s[24:25], 0xec
	s_add_co_i32 s0, s0, -2
	s_wait_xcnt 0x0
	s_add_nc_u64 s[24:25], s[24:25], 24
	s_cmp_lg_u32 s0, 0
	s_wait_kmcnt 0x0
	v_mul_hi_u32 v3, s45, v1
	s_delay_alu instid0(VALU_DEP_1) | instskip(NEXT) | instid1(VALU_DEP_1)
	v_add_nc_u32_e32 v3, v1, v3
	v_lshrrev_b32_e32 v3, s46, v3
	s_delay_alu instid0(VALU_DEP_1) | instskip(SKIP_1) | instid1(VALU_DEP_1)
	v_mul_hi_u32 v5, s38, v3
	v_mul_lo_u32 v7, v3, s44
	v_dual_add_nc_u32 v5, v3, v5 :: v_dual_sub_nc_u32 v7, v1, v7
	s_delay_alu instid0(VALU_DEP_1) | instskip(NEXT) | instid1(VALU_DEP_2)
	v_lshrrev_b32_e32 v1, s39, v5
	v_mad_u32 v2, v7, s48, v2
	v_mad_u32 v4, v7, s50, v4
	;; [unrolled: 1-line block ×3, first 2 shown]
	s_delay_alu instid0(VALU_DEP_4) | instskip(NEXT) | instid1(VALU_DEP_1)
	v_mul_lo_u32 v5, v1, s47
	v_sub_nc_u32_e32 v3, v3, v5
	s_delay_alu instid0(VALU_DEP_1)
	v_mad_u32 v2, v3, s51, v2
	v_mad_u32 v4, v3, s43, v4
	;; [unrolled: 1-line block ×3, first 2 shown]
	s_cbranch_scc1 .LBB23_5
; %bb.6:
	s_bitcmp1_b32 s35, 0
	s_cselect_b32 s0, -1, 0
	s_delay_alu instid0(SALU_CYCLE_1)
	s_and_b32 vcc_lo, exec_lo, s0
	s_cbranch_vccnz .LBB23_10
; %bb.7:
	s_clause 0x1
	s_load_b96 s[44:46], s[24:25], 0x1c
	s_load_b96 s[48:50], s[24:25], 0xdc
	s_wait_kmcnt 0x0
	v_mul_hi_u32 v3, s45, v1
	s_delay_alu instid0(VALU_DEP_1) | instskip(NEXT) | instid1(VALU_DEP_1)
	v_add_nc_u32_e32 v3, v1, v3
	v_lshrrev_b32_e32 v3, s46, v3
	s_delay_alu instid0(VALU_DEP_1) | instskip(NEXT) | instid1(VALU_DEP_1)
	v_mul_lo_u32 v3, v3, s44
	v_sub_nc_u32_e32 v1, v1, v3
	s_delay_alu instid0(VALU_DEP_1)
	v_mad_u32 v2, v1, s48, v2
	v_mad_u32 v6, v1, s49, v6
	;; [unrolled: 1-line block ×3, first 2 shown]
	s_cbranch_execz .LBB23_11
	s_branch .LBB23_13
.LBB23_8:
                                        ; implicit-def: $vgpr4
                                        ; implicit-def: $vgpr6
                                        ; implicit-def: $vgpr2
	s_branch .LBB23_11
.LBB23_9:
	v_dual_mov_b32 v4, 0 :: v_dual_mov_b32 v6, 0
	v_mov_b32_e32 v2, 0
.LBB23_10:
	s_cbranch_execnz .LBB23_13
.LBB23_11:
	v_mov_b32_e32 v1, 0
	s_and_not1_b32 vcc_lo, exec_lo, s34
	s_delay_alu instid0(VALU_DEP_1) | instskip(NEXT) | instid1(VALU_DEP_1)
	v_mul_u64_e32 v[2:3], s[18:19], v[0:1]
	v_add_nc_u32_e32 v2, v0, v3
	s_delay_alu instid0(VALU_DEP_1) | instskip(NEXT) | instid1(VALU_DEP_1)
	v_lshrrev_b32_e32 v8, s10, v2
	v_mul_lo_u32 v2, v8, s8
	s_delay_alu instid0(VALU_DEP_1) | instskip(NEXT) | instid1(VALU_DEP_1)
	v_sub_nc_u32_e32 v3, v0, v2
	v_mul_lo_u32 v2, v3, s12
	v_mul_lo_u32 v4, v3, s14
	;; [unrolled: 1-line block ×3, first 2 shown]
	s_cbranch_vccnz .LBB23_13
; %bb.12:
	v_mov_b32_e32 v9, v1
	s_delay_alu instid0(VALU_DEP_1) | instskip(NEXT) | instid1(VALU_DEP_1)
	v_mul_u64_e32 v[10:11], s[22:23], v[8:9]
	v_add_nc_u32_e32 v1, v8, v11
	s_delay_alu instid0(VALU_DEP_1) | instskip(NEXT) | instid1(VALU_DEP_1)
	v_lshrrev_b32_e32 v1, s1, v1
	v_mul_lo_u32 v1, v1, s11
	s_delay_alu instid0(VALU_DEP_1) | instskip(NEXT) | instid1(VALU_DEP_1)
	v_sub_nc_u32_e32 v1, v8, v1
	v_mad_u32 v2, v1, s15, v2
	v_mad_u32 v6, v1, s20, v6
	;; [unrolled: 1-line block ×3, first 2 shown]
.LBB23_13:
	v_mov_b32_e32 v7, 0
	s_and_b32 s0, s33, 0xff
	s_delay_alu instid0(SALU_CYCLE_1) | instskip(NEXT) | instid1(VALU_DEP_1)
	s_cmp_lt_i32 s0, 11
	v_add_nc_u64_e32 v[6:7], s[6:7], v[6:7]
	s_cbranch_scc1 .LBB23_20
; %bb.14:
	s_and_b32 s25, 0xffff, s0
	s_delay_alu instid0(SALU_CYCLE_1)
	s_cmp_gt_i32 s25, 25
	s_cbranch_scc0 .LBB23_29
; %bb.15:
	s_cmp_gt_i32 s25, 28
	s_cbranch_scc0 .LBB23_43
; %bb.16:
	;; [unrolled: 3-line block ×4, first 2 shown]
	s_cmp_eq_u32 s25, 46
	s_mov_b32 s39, 0
	s_cbranch_scc0 .LBB23_52
; %bb.19:
	global_load_b32 v1, v[6:7], off
	s_mov_b32 s38, -1
	s_mov_b32 s24, 0
	s_wait_loadcnt 0x0
	v_lshlrev_b32_e32 v1, 16, v1
	s_delay_alu instid0(VALU_DEP_1)
	v_cvt_i32_f32_e32 v1, v1
	s_branch .LBB23_54
.LBB23_20:
	s_mov_b32 s24, 0
	s_mov_b32 s38, 0
                                        ; implicit-def: $vgpr1
	s_cbranch_execnz .LBB23_116
.LBB23_21:
	s_and_not1_b32 vcc_lo, exec_lo, s38
	s_cbranch_vccnz .LBB23_163
.LBB23_22:
	v_mov_b32_e32 v5, 0
	s_and_b32 s0, s9, 0xff
	s_delay_alu instid0(SALU_CYCLE_1) | instskip(NEXT) | instid1(VALU_DEP_1)
	s_cmp_lt_i32 s0, 11
	v_add_nc_u64_e32 v[4:5], s[16:17], v[4:5]
	s_cbranch_scc1 .LBB23_30
; %bb.23:
	s_and_b32 s38, 0xffff, s0
	s_delay_alu instid0(SALU_CYCLE_1)
	s_cmp_gt_i32 s38, 25
	s_cbranch_scc0 .LBB23_44
; %bb.24:
	s_cmp_gt_i32 s38, 28
	s_cbranch_scc0 .LBB23_47
; %bb.25:
	;; [unrolled: 3-line block ×4, first 2 shown]
	s_cmp_eq_u32 s38, 46
	s_mov_b32 s40, 0
	s_cbranch_scc0 .LBB23_164
; %bb.28:
	global_load_b32 v3, v[4:5], off
	s_mov_b32 s39, -1
	s_mov_b32 s25, 0
	s_wait_loadcnt 0x0
	v_lshlrev_b32_e32 v3, 16, v3
	s_delay_alu instid0(VALU_DEP_1)
	v_cvt_i32_f32_e32 v3, v3
	s_branch .LBB23_166
.LBB23_29:
	s_mov_b32 s24, 0
	s_mov_b32 s38, 0
                                        ; implicit-def: $vgpr1
	s_cbranch_execnz .LBB23_83
	s_branch .LBB23_115
.LBB23_30:
	s_mov_b32 s25, 0
	s_mov_b32 s39, 0
                                        ; implicit-def: $vgpr3
	s_cbranch_execnz .LBB23_338
.LBB23_31:
	s_and_not1_b32 vcc_lo, exec_lo, s39
	s_cbranch_vccnz .LBB23_386
.LBB23_32:
	s_wait_loadcnt 0x0
	s_delay_alu instid0(VALU_DEP_1) | instskip(SKIP_2) | instid1(VALU_DEP_1)
	v_sub_nc_u32_e32 v4, 0, v3
	s_mov_b32 s38, 0
	s_mov_b32 s0, exec_lo
	v_max_i32_e32 v4, v3, v4
	v_cmpx_ne_u32_e32 0, v1
	s_cbranch_execz .LBB23_36
; %bb.33:
	v_sub_nc_u32_e32 v3, 0, v1
	s_delay_alu instid0(VALU_DEP_1)
	v_max_i32_e32 v3, v1, v3
.LBB23_34:                              ; =>This Inner Loop Header: Depth=1
	s_delay_alu instid0(VALU_DEP_1) | instskip(NEXT) | instid1(VALU_DEP_1)
	v_mov_b32_e32 v1, v3
	v_cvt_f32_u32_e32 v3, v1
	v_sub_nc_u32_e32 v5, 0, v1
	s_delay_alu instid0(VALU_DEP_2) | instskip(SKIP_1) | instid1(TRANS32_DEP_1)
	v_rcp_iflag_f32_e32 v3, v3
	v_nop
	v_mul_f32_e32 v3, 0x4f7ffffe, v3
	s_delay_alu instid0(VALU_DEP_1) | instskip(NEXT) | instid1(VALU_DEP_1)
	v_cvt_u32_f32_e32 v3, v3
	v_mul_lo_u32 v5, v5, v3
	s_delay_alu instid0(VALU_DEP_1) | instskip(NEXT) | instid1(VALU_DEP_1)
	v_mul_hi_u32 v5, v3, v5
	v_add_nc_u32_e32 v3, v3, v5
	s_delay_alu instid0(VALU_DEP_1) | instskip(NEXT) | instid1(VALU_DEP_1)
	v_mul_hi_u32 v3, v4, v3
	v_mul_lo_u32 v3, v3, v1
	s_delay_alu instid0(VALU_DEP_1) | instskip(NEXT) | instid1(VALU_DEP_1)
	v_sub_nc_u32_e32 v3, v4, v3
	v_sub_nc_u32_e32 v4, v3, v1
	v_cmp_ge_u32_e32 vcc_lo, v3, v1
	s_delay_alu instid0(VALU_DEP_2) | instskip(NEXT) | instid1(VALU_DEP_1)
	v_cndmask_b32_e32 v3, v3, v4, vcc_lo
	v_sub_nc_u32_e32 v4, v3, v1
	v_cmp_ge_u32_e32 vcc_lo, v3, v1
	s_delay_alu instid0(VALU_DEP_2) | instskip(NEXT) | instid1(VALU_DEP_1)
	v_dual_cndmask_b32 v3, v3, v4 :: v_dual_mov_b32 v4, v1
	v_cmp_eq_u32_e32 vcc_lo, 0, v3
	s_or_b32 s38, vcc_lo, s38
	s_delay_alu instid0(SALU_CYCLE_1)
	s_and_not1_b32 exec_lo, exec_lo, s38
	s_cbranch_execnz .LBB23_34
; %bb.35:
	s_or_b32 exec_lo, exec_lo, s38
	v_mov_b32_e32 v4, v1
.LBB23_36:
	s_or_b32 exec_lo, exec_lo, s0
	v_mov_b32_e32 v3, 0
	s_and_b32 s38, s31, 0xff
	s_delay_alu instid0(SALU_CYCLE_1) | instskip(NEXT) | instid1(VALU_DEP_1)
	s_cmp_lt_i32 s38, 11
	v_add_nc_u64_e32 v[2:3], s[4:5], v[2:3]
	s_cbranch_scc1 .LBB23_45
; %bb.37:
	s_and_b32 s39, 0xffff, s38
	s_delay_alu instid0(SALU_CYCLE_1)
	s_cmp_gt_i32 s39, 25
	s_cbranch_scc0 .LBB23_48
; %bb.38:
	s_cmp_gt_i32 s39, 28
	s_cbranch_scc0 .LBB23_51
; %bb.39:
	;; [unrolled: 3-line block ×4, first 2 shown]
	s_mov_b32 s42, 0
	s_mov_b32 s0, -1
	s_cmp_eq_u32 s39, 46
	s_mov_b32 s40, 0
	s_cbranch_scc0 .LBB23_170
; %bb.42:
	v_cvt_f32_u32_e32 v1, v4
	s_mov_b32 s40, -1
	s_mov_b32 s0, 0
	s_delay_alu instid0(VALU_DEP_1) | instskip(NEXT) | instid1(VALU_DEP_1)
	v_bfe_u32 v5, v1, 16, 1
	v_add3_u32 v1, v1, v5, 0x7fff
	s_delay_alu instid0(VALU_DEP_1)
	v_lshrrev_b32_e32 v1, 16, v1
	global_store_b32 v[2:3], v1, off
	s_branch .LBB23_170
.LBB23_43:
	s_mov_b32 s39, -1
	s_mov_b32 s24, 0
	s_mov_b32 s38, 0
                                        ; implicit-def: $vgpr1
	s_branch .LBB23_66
.LBB23_44:
	s_mov_b32 s40, -1
	s_mov_b32 s25, 0
	s_mov_b32 s39, 0
                                        ; implicit-def: $vgpr3
	s_branch .LBB23_304
.LBB23_45:
	s_mov_b32 s39, -1
	s_mov_b32 s0, 0
	s_mov_b32 s40, 0
	s_branch .LBB23_239
.LBB23_46:
	s_mov_b32 s39, -1
	s_mov_b32 s24, 0
	s_mov_b32 s38, 0
                                        ; implicit-def: $vgpr1
	s_branch .LBB23_61
.LBB23_47:
	s_mov_b32 s40, -1
	s_mov_b32 s25, 0
	s_mov_b32 s39, 0
                                        ; implicit-def: $vgpr3
	s_branch .LBB23_287
.LBB23_48:
	s_mov_b32 s42, -1
	s_mov_b32 s0, 0
	s_mov_b32 s40, 0
	s_branch .LBB23_197
.LBB23_49:
	s_mov_b32 s39, -1
	s_mov_b32 s24, 0
	s_branch .LBB23_53
.LBB23_50:
	s_mov_b32 s40, -1
	s_mov_b32 s25, 0
	s_mov_b32 s39, 0
                                        ; implicit-def: $vgpr3
	s_branch .LBB23_282
.LBB23_51:
	s_mov_b32 s42, -1
	s_mov_b32 s0, 0
	s_mov_b32 s40, 0
	s_branch .LBB23_180
.LBB23_52:
	s_mov_b32 s24, -1
.LBB23_53:
	s_mov_b32 s38, 0
                                        ; implicit-def: $vgpr1
.LBB23_54:
	s_and_b32 vcc_lo, exec_lo, s39
	s_cbranch_vccz .LBB23_60
; %bb.55:
	s_cmp_eq_u32 s25, 44
	s_cbranch_scc0 .LBB23_59
; %bb.56:
	global_load_u8 v1, v[6:7], off
	s_mov_b32 s24, 0
	s_mov_b32 s38, -1
	s_wait_loadcnt 0x0
	v_lshlrev_b32_e32 v3, 23, v1
	v_cmp_ne_u32_e32 vcc_lo, 0, v1
	s_delay_alu instid0(VALU_DEP_2) | instskip(NEXT) | instid1(VALU_DEP_1)
	v_cvt_i32_f32_e32 v3, v3
	v_cndmask_b32_e32 v1, 0, v3, vcc_lo
	s_branch .LBB23_60
.LBB23_57:
	s_mov_b32 s40, -1
	s_mov_b32 s25, 0
	s_branch .LBB23_165
.LBB23_58:
	s_mov_b32 s42, -1
	s_mov_b32 s0, 0
	s_mov_b32 s40, 0
	s_branch .LBB23_176
.LBB23_59:
	s_mov_b32 s24, -1
                                        ; implicit-def: $vgpr1
.LBB23_60:
	s_mov_b32 s39, 0
.LBB23_61:
	s_delay_alu instid0(SALU_CYCLE_1)
	s_and_b32 vcc_lo, exec_lo, s39
	s_cbranch_vccz .LBB23_65
; %bb.62:
	s_cmp_eq_u32 s25, 29
	s_cbranch_scc0 .LBB23_64
; %bb.63:
	global_load_b32 v1, v[6:7], off
	s_mov_b32 s38, -1
	s_mov_b32 s24, 0
	s_branch .LBB23_65
.LBB23_64:
	s_mov_b32 s24, -1
                                        ; implicit-def: $vgpr1
.LBB23_65:
	s_mov_b32 s39, 0
.LBB23_66:
	s_delay_alu instid0(SALU_CYCLE_1)
	s_and_b32 vcc_lo, exec_lo, s39
	s_cbranch_vccz .LBB23_82
; %bb.67:
	s_cmp_lt_i32 s25, 27
	s_cbranch_scc1 .LBB23_70
; %bb.68:
	s_cmp_gt_i32 s25, 27
	s_cbranch_scc0 .LBB23_71
; %bb.69:
	s_wait_loadcnt 0x0
	global_load_b32 v1, v[6:7], off
	s_mov_b32 s38, 0
	s_branch .LBB23_72
.LBB23_70:
	s_mov_b32 s38, -1
                                        ; implicit-def: $vgpr1
	s_branch .LBB23_75
.LBB23_71:
	s_mov_b32 s38, -1
                                        ; implicit-def: $vgpr1
.LBB23_72:
	s_delay_alu instid0(SALU_CYCLE_1)
	s_and_not1_b32 vcc_lo, exec_lo, s38
	s_cbranch_vccnz .LBB23_74
; %bb.73:
	s_wait_loadcnt 0x0
	global_load_u16 v1, v[6:7], off
.LBB23_74:
	s_mov_b32 s38, 0
.LBB23_75:
	s_delay_alu instid0(SALU_CYCLE_1)
	s_and_not1_b32 vcc_lo, exec_lo, s38
	s_cbranch_vccnz .LBB23_81
; %bb.76:
	global_load_u8 v3, v[6:7], off
	s_mov_b32 s39, 0
	s_mov_b32 s38, exec_lo
	s_wait_loadcnt 0x0
	v_cmpx_lt_i16_e32 0x7f, v3
	s_xor_b32 s38, exec_lo, s38
	s_cbranch_execz .LBB23_92
; %bb.77:
	v_cmp_ne_u16_e32 vcc_lo, 0x80, v3
	s_and_b32 s39, vcc_lo, exec_lo
	s_and_not1_saveexec_b32 s38, s38
	s_cbranch_execnz .LBB23_93
.LBB23_78:
	s_or_b32 exec_lo, exec_lo, s38
	v_mov_b32_e32 v1, 0
	s_and_saveexec_b32 s38, s39
	s_cbranch_execz .LBB23_80
.LBB23_79:
	v_and_b32_e32 v1, 0xffff, v3
	s_delay_alu instid0(VALU_DEP_1) | instskip(SKIP_1) | instid1(VALU_DEP_2)
	v_and_b32_e32 v5, 7, v1
	v_bfe_u32 v10, v1, 3, 4
	v_clz_i32_u32_e32 v8, v5
	s_delay_alu instid0(VALU_DEP_2) | instskip(NEXT) | instid1(VALU_DEP_2)
	v_cmp_eq_u32_e32 vcc_lo, 0, v10
	v_min_u32_e32 v8, 32, v8
	s_delay_alu instid0(VALU_DEP_1) | instskip(NEXT) | instid1(VALU_DEP_1)
	v_subrev_nc_u32_e32 v9, 28, v8
	v_dual_lshlrev_b32 v1, v9, v1 :: v_dual_sub_nc_u32 v8, 29, v8
	s_delay_alu instid0(VALU_DEP_1) | instskip(NEXT) | instid1(VALU_DEP_1)
	v_dual_lshlrev_b32 v3, 24, v3 :: v_dual_bitop2_b32 v1, 7, v1 bitop3:0x40
	v_dual_cndmask_b32 v8, v10, v8 :: v_dual_cndmask_b32 v1, v5, v1
	s_delay_alu instid0(VALU_DEP_2) | instskip(NEXT) | instid1(VALU_DEP_2)
	v_and_b32_e32 v3, 0x80000000, v3
	v_lshl_add_u32 v5, v8, 23, 0x3b800000
	s_delay_alu instid0(VALU_DEP_3) | instskip(NEXT) | instid1(VALU_DEP_1)
	v_lshlrev_b32_e32 v1, 20, v1
	v_or3_b32 v1, v3, v5, v1
	s_delay_alu instid0(VALU_DEP_1)
	v_cvt_i32_f32_e32 v1, v1
.LBB23_80:
	s_or_b32 exec_lo, exec_lo, s38
.LBB23_81:
	s_mov_b32 s38, -1
.LBB23_82:
	s_branch .LBB23_115
.LBB23_83:
	s_cmp_gt_i32 s25, 22
	s_cbranch_scc0 .LBB23_91
; %bb.84:
	s_cmp_lt_i32 s25, 24
	s_cbranch_scc1 .LBB23_94
; %bb.85:
	s_cmp_gt_i32 s25, 24
	s_cbranch_scc0 .LBB23_95
; %bb.86:
	global_load_u8 v3, v[6:7], off
	s_mov_b32 s39, 0
	s_mov_b32 s38, exec_lo
	s_wait_loadcnt 0x0
	v_cmpx_lt_i16_e32 0x7f, v3
	s_xor_b32 s38, exec_lo, s38
	s_cbranch_execz .LBB23_107
; %bb.87:
	v_cmp_ne_u16_e32 vcc_lo, 0x80, v3
	s_and_b32 s39, vcc_lo, exec_lo
	s_and_not1_saveexec_b32 s38, s38
	s_cbranch_execnz .LBB23_108
.LBB23_88:
	s_or_b32 exec_lo, exec_lo, s38
	v_mov_b32_e32 v1, 0
	s_and_saveexec_b32 s38, s39
	s_cbranch_execz .LBB23_90
.LBB23_89:
	v_and_b32_e32 v1, 0xffff, v3
	s_delay_alu instid0(VALU_DEP_1) | instskip(SKIP_1) | instid1(VALU_DEP_2)
	v_and_b32_e32 v5, 3, v1
	v_bfe_u32 v10, v1, 2, 5
	v_clz_i32_u32_e32 v8, v5
	s_delay_alu instid0(VALU_DEP_2) | instskip(NEXT) | instid1(VALU_DEP_2)
	v_cmp_eq_u32_e32 vcc_lo, 0, v10
	v_min_u32_e32 v8, 32, v8
	s_delay_alu instid0(VALU_DEP_1) | instskip(NEXT) | instid1(VALU_DEP_1)
	v_subrev_nc_u32_e32 v9, 29, v8
	v_dual_lshlrev_b32 v1, v9, v1 :: v_dual_sub_nc_u32 v8, 30, v8
	s_delay_alu instid0(VALU_DEP_1) | instskip(NEXT) | instid1(VALU_DEP_1)
	v_dual_lshlrev_b32 v3, 24, v3 :: v_dual_bitop2_b32 v1, 3, v1 bitop3:0x40
	v_dual_cndmask_b32 v8, v10, v8 :: v_dual_cndmask_b32 v1, v5, v1
	s_delay_alu instid0(VALU_DEP_2) | instskip(NEXT) | instid1(VALU_DEP_2)
	v_and_b32_e32 v3, 0x80000000, v3
	v_lshl_add_u32 v5, v8, 23, 0x37800000
	s_delay_alu instid0(VALU_DEP_3) | instskip(NEXT) | instid1(VALU_DEP_1)
	v_lshlrev_b32_e32 v1, 21, v1
	v_or3_b32 v1, v3, v5, v1
	s_delay_alu instid0(VALU_DEP_1)
	v_cvt_i32_f32_e32 v1, v1
.LBB23_90:
	s_or_b32 exec_lo, exec_lo, s38
	s_mov_b32 s38, 0
	s_branch .LBB23_96
.LBB23_91:
	s_mov_b32 s39, -1
                                        ; implicit-def: $vgpr1
	s_branch .LBB23_102
.LBB23_92:
	s_and_not1_saveexec_b32 s38, s38
	s_cbranch_execz .LBB23_78
.LBB23_93:
	v_cmp_ne_u16_e32 vcc_lo, 0, v3
	s_and_not1_b32 s39, s39, exec_lo
	s_and_b32 s40, vcc_lo, exec_lo
	s_delay_alu instid0(SALU_CYCLE_1)
	s_or_b32 s39, s39, s40
	s_or_b32 exec_lo, exec_lo, s38
	v_mov_b32_e32 v1, 0
	s_and_saveexec_b32 s38, s39
	s_cbranch_execnz .LBB23_79
	s_branch .LBB23_80
.LBB23_94:
	s_mov_b32 s38, -1
                                        ; implicit-def: $vgpr1
	s_branch .LBB23_99
.LBB23_95:
	s_mov_b32 s38, -1
                                        ; implicit-def: $vgpr1
.LBB23_96:
	s_delay_alu instid0(SALU_CYCLE_1)
	s_and_b32 vcc_lo, exec_lo, s38
	s_cbranch_vccz .LBB23_98
; %bb.97:
	s_wait_loadcnt 0x0
	global_load_u8 v1, v[6:7], off
	s_wait_loadcnt 0x0
	v_lshlrev_b32_e32 v1, 24, v1
	s_delay_alu instid0(VALU_DEP_1) | instskip(NEXT) | instid1(VALU_DEP_1)
	v_and_b32_e32 v3, 0x7f000000, v1
	v_clz_i32_u32_e32 v5, v3
	v_add_nc_u32_e32 v9, 0x1000000, v3
	v_cmp_ne_u32_e32 vcc_lo, 0, v3
	s_delay_alu instid0(VALU_DEP_3) | instskip(NEXT) | instid1(VALU_DEP_1)
	v_min_u32_e32 v5, 32, v5
	v_sub_nc_u32_e64 v5, v5, 4 clamp
	s_delay_alu instid0(VALU_DEP_1) | instskip(NEXT) | instid1(VALU_DEP_1)
	v_dual_lshlrev_b32 v8, v5, v3 :: v_dual_lshlrev_b32 v5, 23, v5
	v_lshrrev_b32_e32 v8, 4, v8
	s_delay_alu instid0(VALU_DEP_1) | instskip(SKIP_1) | instid1(VALU_DEP_2)
	v_sub_nc_u32_e32 v5, v8, v5
	v_ashrrev_i32_e32 v8, 8, v9
	v_add_nc_u32_e32 v5, 0x3c000000, v5
	s_delay_alu instid0(VALU_DEP_1) | instskip(NEXT) | instid1(VALU_DEP_1)
	v_and_or_b32 v5, 0x7f800000, v8, v5
	v_cndmask_b32_e32 v3, 0, v5, vcc_lo
	s_delay_alu instid0(VALU_DEP_1) | instskip(NEXT) | instid1(VALU_DEP_1)
	v_and_or_b32 v1, 0x80000000, v1, v3
	v_cvt_i32_f32_e32 v1, v1
.LBB23_98:
	s_mov_b32 s38, 0
.LBB23_99:
	s_delay_alu instid0(SALU_CYCLE_1)
	s_and_not1_b32 vcc_lo, exec_lo, s38
	s_cbranch_vccnz .LBB23_101
; %bb.100:
	s_wait_loadcnt 0x0
	global_load_u8 v1, v[6:7], off
	s_wait_loadcnt 0x0
	v_lshlrev_b32_e32 v3, 25, v1
	v_lshlrev_b16 v1, 8, v1
	s_delay_alu instid0(VALU_DEP_1) | instskip(SKIP_1) | instid1(VALU_DEP_2)
	v_and_or_b32 v8, 0x7f00, v1, 0.5
	v_bfe_i32 v1, v1, 0, 16
	v_dual_add_f32 v8, -0.5, v8 :: v_dual_lshrrev_b32 v5, 4, v3
	v_cmp_gt_u32_e32 vcc_lo, 0x8000000, v3
	s_delay_alu instid0(VALU_DEP_2) | instskip(NEXT) | instid1(VALU_DEP_1)
	v_or_b32_e32 v5, 0x70000000, v5
	v_mul_f32_e32 v5, 0x7800000, v5
	s_delay_alu instid0(VALU_DEP_1) | instskip(NEXT) | instid1(VALU_DEP_1)
	v_cndmask_b32_e32 v3, v5, v8, vcc_lo
	v_and_or_b32 v1, 0x80000000, v1, v3
	s_delay_alu instid0(VALU_DEP_1)
	v_cvt_i32_f32_e32 v1, v1
.LBB23_101:
	s_mov_b32 s39, 0
	s_mov_b32 s38, -1
.LBB23_102:
	s_and_not1_b32 vcc_lo, exec_lo, s39
	s_cbranch_vccnz .LBB23_115
; %bb.103:
	s_cmp_gt_i32 s25, 14
	s_cbranch_scc0 .LBB23_106
; %bb.104:
	s_cmp_eq_u32 s25, 15
	s_cbranch_scc0 .LBB23_109
; %bb.105:
	s_wait_loadcnt 0x0
	global_load_u16 v1, v[6:7], off
	s_mov_b32 s38, -1
	s_mov_b32 s24, 0
	s_wait_loadcnt 0x0
	v_lshlrev_b32_e32 v1, 16, v1
	s_delay_alu instid0(VALU_DEP_1)
	v_cvt_i32_f32_e32 v1, v1
	s_branch .LBB23_110
.LBB23_106:
	s_mov_b32 s39, -1
                                        ; implicit-def: $vgpr1
	s_branch .LBB23_111
.LBB23_107:
	s_and_not1_saveexec_b32 s38, s38
	s_cbranch_execz .LBB23_88
.LBB23_108:
	v_cmp_ne_u16_e32 vcc_lo, 0, v3
	s_and_not1_b32 s39, s39, exec_lo
	s_and_b32 s40, vcc_lo, exec_lo
	s_delay_alu instid0(SALU_CYCLE_1)
	s_or_b32 s39, s39, s40
	s_or_b32 exec_lo, exec_lo, s38
	v_mov_b32_e32 v1, 0
	s_and_saveexec_b32 s38, s39
	s_cbranch_execnz .LBB23_89
	s_branch .LBB23_90
.LBB23_109:
	s_mov_b32 s24, -1
                                        ; implicit-def: $vgpr1
.LBB23_110:
	s_mov_b32 s39, 0
.LBB23_111:
	s_delay_alu instid0(SALU_CYCLE_1)
	s_and_b32 vcc_lo, exec_lo, s39
	s_cbranch_vccz .LBB23_115
; %bb.112:
	s_cmp_eq_u32 s25, 11
	s_cbranch_scc0 .LBB23_114
; %bb.113:
	s_wait_loadcnt 0x0
	global_load_u8 v1, v[6:7], off
	s_mov_b32 s24, 0
	s_mov_b32 s38, -1
	s_wait_loadcnt 0x0
	v_cmp_ne_u16_e32 vcc_lo, 0, v1
	v_cndmask_b32_e64 v1, 0, 1, vcc_lo
	s_branch .LBB23_115
.LBB23_114:
	s_mov_b32 s24, -1
                                        ; implicit-def: $vgpr1
.LBB23_115:
	s_branch .LBB23_21
.LBB23_116:
	s_and_b32 s0, 0xffff, s0
	s_delay_alu instid0(SALU_CYCLE_1)
	s_cmp_lt_i32 s0, 5
	s_cbranch_scc1 .LBB23_121
; %bb.117:
	s_cmp_lt_i32 s0, 8
	s_cbranch_scc1 .LBB23_122
; %bb.118:
	;; [unrolled: 3-line block ×3, first 2 shown]
	s_cmp_gt_i32 s0, 9
	s_cbranch_scc0 .LBB23_124
; %bb.120:
	global_load_b64 v[8:9], v[6:7], off
	s_mov_b32 s25, 0
	s_wait_loadcnt 0x0
	v_cvt_i32_f64_e32 v1, v[8:9]
	s_branch .LBB23_125
.LBB23_121:
                                        ; implicit-def: $vgpr1
	s_branch .LBB23_143
.LBB23_122:
	s_mov_b32 s25, -1
                                        ; implicit-def: $vgpr1
	s_branch .LBB23_131
.LBB23_123:
	s_mov_b32 s25, -1
                                        ; implicit-def: $vgpr1
	s_branch .LBB23_128
.LBB23_124:
	s_mov_b32 s25, -1
                                        ; implicit-def: $vgpr1
.LBB23_125:
	s_delay_alu instid0(SALU_CYCLE_1)
	s_and_not1_b32 vcc_lo, exec_lo, s25
	s_cbranch_vccnz .LBB23_127
; %bb.126:
	s_wait_loadcnt 0x0
	global_load_b32 v1, v[6:7], off
	s_wait_loadcnt 0x0
	v_cvt_i32_f32_e32 v1, v1
.LBB23_127:
	s_mov_b32 s25, 0
.LBB23_128:
	s_delay_alu instid0(SALU_CYCLE_1)
	s_and_not1_b32 vcc_lo, exec_lo, s25
	s_cbranch_vccnz .LBB23_130
; %bb.129:
	s_wait_loadcnt 0x0
	global_load_b32 v1, v[6:7], off
	s_wait_loadcnt 0x0
	v_cvt_f32_f16_e32 v1, v1
	s_delay_alu instid0(VALU_DEP_1)
	v_cvt_i32_f32_e32 v1, v1
.LBB23_130:
	s_mov_b32 s25, 0
.LBB23_131:
	s_delay_alu instid0(SALU_CYCLE_1)
	s_and_not1_b32 vcc_lo, exec_lo, s25
	s_cbranch_vccnz .LBB23_142
; %bb.132:
	s_cmp_lt_i32 s0, 6
	s_cbranch_scc1 .LBB23_135
; %bb.133:
	s_cmp_gt_i32 s0, 6
	s_cbranch_scc0 .LBB23_136
; %bb.134:
	global_load_b64 v[8:9], v[6:7], off
	s_mov_b32 s25, 0
	s_wait_loadcnt 0x0
	v_cvt_i32_f64_e32 v1, v[8:9]
	s_branch .LBB23_137
.LBB23_135:
	s_mov_b32 s25, -1
                                        ; implicit-def: $vgpr1
	s_branch .LBB23_140
.LBB23_136:
	s_mov_b32 s25, -1
                                        ; implicit-def: $vgpr1
.LBB23_137:
	s_delay_alu instid0(SALU_CYCLE_1)
	s_and_not1_b32 vcc_lo, exec_lo, s25
	s_cbranch_vccnz .LBB23_139
; %bb.138:
	s_wait_loadcnt 0x0
	global_load_b32 v1, v[6:7], off
	s_wait_loadcnt 0x0
	v_cvt_i32_f32_e32 v1, v1
.LBB23_139:
	s_mov_b32 s25, 0
.LBB23_140:
	s_delay_alu instid0(SALU_CYCLE_1)
	s_and_not1_b32 vcc_lo, exec_lo, s25
	s_cbranch_vccnz .LBB23_142
; %bb.141:
	s_wait_loadcnt 0x0
	global_load_u16 v1, v[6:7], off
	s_wait_loadcnt 0x0
	v_cvt_f32_f16_e32 v1, v1
	s_delay_alu instid0(VALU_DEP_1)
	v_cvt_i32_f32_e32 v1, v1
.LBB23_142:
	s_cbranch_execnz .LBB23_162
.LBB23_143:
	s_cmp_lt_i32 s0, 2
	s_cbranch_scc1 .LBB23_147
; %bb.144:
	s_cmp_lt_i32 s0, 3
	s_cbranch_scc1 .LBB23_148
; %bb.145:
	s_cmp_gt_i32 s0, 3
	s_cbranch_scc0 .LBB23_149
; %bb.146:
	s_wait_loadcnt 0x0
	global_load_b32 v1, v[6:7], off
	s_mov_b32 s25, 0
	s_branch .LBB23_150
.LBB23_147:
	s_mov_b32 s25, -1
                                        ; implicit-def: $vgpr1
	s_branch .LBB23_156
.LBB23_148:
	s_mov_b32 s25, -1
                                        ; implicit-def: $vgpr1
	s_branch .LBB23_153
.LBB23_149:
	s_mov_b32 s25, -1
                                        ; implicit-def: $vgpr1
.LBB23_150:
	s_delay_alu instid0(SALU_CYCLE_1)
	s_and_not1_b32 vcc_lo, exec_lo, s25
	s_cbranch_vccnz .LBB23_152
; %bb.151:
	s_wait_loadcnt 0x0
	global_load_b32 v1, v[6:7], off
.LBB23_152:
	s_mov_b32 s25, 0
.LBB23_153:
	s_delay_alu instid0(SALU_CYCLE_1)
	s_and_not1_b32 vcc_lo, exec_lo, s25
	s_cbranch_vccnz .LBB23_155
; %bb.154:
	s_wait_loadcnt 0x0
	global_load_i16 v1, v[6:7], off
.LBB23_155:
	s_mov_b32 s25, 0
.LBB23_156:
	s_delay_alu instid0(SALU_CYCLE_1)
	s_and_not1_b32 vcc_lo, exec_lo, s25
	s_cbranch_vccnz .LBB23_162
; %bb.157:
	s_cmp_gt_i32 s0, 0
	s_mov_b32 s0, 0
	s_cbranch_scc0 .LBB23_159
; %bb.158:
	s_wait_loadcnt 0x0
	global_load_i8 v1, v[6:7], off
	s_branch .LBB23_160
.LBB23_159:
	s_mov_b32 s0, -1
                                        ; implicit-def: $vgpr1
.LBB23_160:
	s_delay_alu instid0(SALU_CYCLE_1)
	s_and_not1_b32 vcc_lo, exec_lo, s0
	s_cbranch_vccnz .LBB23_162
; %bb.161:
	s_wait_loadcnt 0x0
	global_load_u8 v1, v[6:7], off
.LBB23_162:
	s_branch .LBB23_22
.LBB23_163:
	s_mov_b32 s0, 0
	s_mov_b32 s25, 0
	s_branch .LBB23_387
.LBB23_164:
	s_mov_b32 s25, -1
.LBB23_165:
	s_mov_b32 s39, 0
                                        ; implicit-def: $vgpr3
.LBB23_166:
	s_and_b32 vcc_lo, exec_lo, s40
	s_cbranch_vccz .LBB23_281
; %bb.167:
	s_cmp_eq_u32 s38, 44
	s_cbranch_scc0 .LBB23_280
; %bb.168:
	global_load_u8 v3, v[4:5], off
	s_mov_b32 s25, 0
	s_mov_b32 s39, -1
	s_wait_loadcnt 0x0
	v_lshlrev_b32_e32 v6, 23, v3
	v_cmp_ne_u32_e32 vcc_lo, 0, v3
	s_delay_alu instid0(VALU_DEP_2) | instskip(NEXT) | instid1(VALU_DEP_1)
	v_cvt_i32_f32_e32 v6, v6
	v_cndmask_b32_e32 v3, 0, v6, vcc_lo
	s_branch .LBB23_281
.LBB23_169:
	s_mov_b32 s42, -1
	s_mov_b32 s0, 0
	s_mov_b32 s40, 0
.LBB23_170:
	s_and_b32 vcc_lo, exec_lo, s42
	s_cbranch_vccz .LBB23_175
; %bb.171:
	s_cmp_eq_u32 s39, 44
	s_mov_b32 s0, -1
	s_cbranch_scc0 .LBB23_175
; %bb.172:
	v_cvt_f32_u32_e32 v6, v4
	v_mov_b32_e32 v5, 0xff
	s_mov_b32 s40, exec_lo
	s_wait_xcnt 0x0
	s_delay_alu instid0(VALU_DEP_2) | instskip(NEXT) | instid1(VALU_DEP_1)
	v_lshrrev_b32_e32 v1, 23, v6
	v_cmpx_ne_u32_e32 0xff, v1
; %bb.173:
	v_and_b32_e32 v5, 0x400000, v6
	v_and_or_b32 v6, 0x3fffff, v6, v1
	s_delay_alu instid0(VALU_DEP_2) | instskip(NEXT) | instid1(VALU_DEP_2)
	v_cmp_ne_u32_e32 vcc_lo, 0, v5
	v_cmp_ne_u32_e64 s0, 0, v6
	s_and_b32 s0, vcc_lo, s0
	s_delay_alu instid0(SALU_CYCLE_1) | instskip(NEXT) | instid1(VALU_DEP_1)
	v_cndmask_b32_e64 v5, 0, 1, s0
	v_add_nc_u32_e32 v5, v1, v5
; %bb.174:
	s_or_b32 exec_lo, exec_lo, s40
	s_mov_b32 s40, -1
	s_mov_b32 s0, 0
	global_store_b8 v[2:3], v5, off
.LBB23_175:
	s_mov_b32 s42, 0
.LBB23_176:
	s_delay_alu instid0(SALU_CYCLE_1)
	s_and_b32 vcc_lo, exec_lo, s42
	s_cbranch_vccz .LBB23_179
; %bb.177:
	s_cmp_eq_u32 s39, 29
	s_mov_b32 s0, -1
	s_cbranch_scc0 .LBB23_179
; %bb.178:
	s_wait_xcnt 0x0
	v_mov_b32_e32 v5, 0
	s_mov_b32 s40, -1
	s_mov_b32 s0, 0
	s_mov_b32 s42, 0
	global_store_b64 v[2:3], v[4:5], off
	s_branch .LBB23_180
.LBB23_179:
	s_mov_b32 s42, 0
.LBB23_180:
	s_delay_alu instid0(SALU_CYCLE_1)
	s_and_b32 vcc_lo, exec_lo, s42
	s_cbranch_vccz .LBB23_196
; %bb.181:
	s_cmp_lt_i32 s39, 27
	s_mov_b32 s40, -1
	s_cbranch_scc1 .LBB23_187
; %bb.182:
	s_cmp_gt_i32 s39, 27
	s_cbranch_scc0 .LBB23_184
; %bb.183:
	s_mov_b32 s40, 0
	global_store_b32 v[2:3], v4, off
.LBB23_184:
	s_and_not1_b32 vcc_lo, exec_lo, s40
	s_cbranch_vccnz .LBB23_186
; %bb.185:
	global_store_b16 v[2:3], v4, off
.LBB23_186:
	s_mov_b32 s40, 0
.LBB23_187:
	s_delay_alu instid0(SALU_CYCLE_1)
	s_and_not1_b32 vcc_lo, exec_lo, s40
	s_cbranch_vccnz .LBB23_195
; %bb.188:
	s_wait_xcnt 0x0
	v_cvt_f32_u32_e32 v5, v4
	v_mov_b32_e32 v6, 0x80
	s_mov_b32 s40, exec_lo
	s_delay_alu instid0(VALU_DEP_2)
	v_cmpx_gt_u32_e32 0x43800000, v5
	s_cbranch_execz .LBB23_194
; %bb.189:
	s_mov_b32 s42, 0
	s_mov_b32 s43, exec_lo
                                        ; implicit-def: $vgpr1
	v_cmpx_lt_u32_e32 0x3bffffff, v5
	s_xor_b32 s43, exec_lo, s43
	s_cbranch_execz .LBB23_429
; %bb.190:
	v_bfe_u32 v1, v5, 20, 1
	s_mov_b32 s42, exec_lo
	s_delay_alu instid0(VALU_DEP_1) | instskip(NEXT) | instid1(VALU_DEP_1)
	v_add3_u32 v1, v5, v1, 0x487ffff
                                        ; implicit-def: $vgpr5
	v_lshrrev_b32_e32 v1, 20, v1
	s_and_not1_saveexec_b32 s43, s43
	s_cbranch_execnz .LBB23_430
.LBB23_191:
	s_or_b32 exec_lo, exec_lo, s43
	v_mov_b32_e32 v6, 0
	s_and_saveexec_b32 s43, s42
.LBB23_192:
	v_mov_b32_e32 v6, v1
.LBB23_193:
	s_or_b32 exec_lo, exec_lo, s43
.LBB23_194:
	s_delay_alu instid0(SALU_CYCLE_1)
	s_or_b32 exec_lo, exec_lo, s40
	global_store_b8 v[2:3], v6, off
.LBB23_195:
	s_mov_b32 s40, -1
.LBB23_196:
	s_mov_b32 s42, 0
.LBB23_197:
	s_delay_alu instid0(SALU_CYCLE_1)
	s_and_b32 vcc_lo, exec_lo, s42
	s_cbranch_vccz .LBB23_238
; %bb.198:
	s_cmp_gt_i32 s39, 22
	s_mov_b32 s42, -1
	s_cbranch_scc0 .LBB23_230
; %bb.199:
	s_cmp_lt_i32 s39, 24
	s_mov_b32 s40, -1
	s_cbranch_scc1 .LBB23_219
; %bb.200:
	s_cmp_gt_i32 s39, 24
	s_cbranch_scc0 .LBB23_208
; %bb.201:
	s_wait_xcnt 0x0
	v_cvt_f32_u32_e32 v5, v4
	v_mov_b32_e32 v6, 0x80
	s_mov_b32 s40, exec_lo
	s_delay_alu instid0(VALU_DEP_2)
	v_cmpx_gt_u32_e32 0x47800000, v5
	s_cbranch_execz .LBB23_207
; %bb.202:
	s_mov_b32 s42, 0
	s_mov_b32 s43, exec_lo
                                        ; implicit-def: $vgpr1
	v_cmpx_lt_u32_e32 0x37ffffff, v5
	s_xor_b32 s43, exec_lo, s43
	s_cbranch_execz .LBB23_544
; %bb.203:
	v_bfe_u32 v1, v5, 21, 1
	s_mov_b32 s42, exec_lo
	s_delay_alu instid0(VALU_DEP_1) | instskip(NEXT) | instid1(VALU_DEP_1)
	v_add3_u32 v1, v5, v1, 0x88fffff
                                        ; implicit-def: $vgpr5
	v_lshrrev_b32_e32 v1, 21, v1
	s_and_not1_saveexec_b32 s43, s43
	s_cbranch_execnz .LBB23_545
.LBB23_204:
	s_or_b32 exec_lo, exec_lo, s43
	v_mov_b32_e32 v6, 0
	s_and_saveexec_b32 s43, s42
.LBB23_205:
	v_mov_b32_e32 v6, v1
.LBB23_206:
	s_or_b32 exec_lo, exec_lo, s43
.LBB23_207:
	s_delay_alu instid0(SALU_CYCLE_1)
	s_or_b32 exec_lo, exec_lo, s40
	s_mov_b32 s40, 0
	global_store_b8 v[2:3], v6, off
.LBB23_208:
	s_and_b32 vcc_lo, exec_lo, s40
	s_cbranch_vccz .LBB23_218
; %bb.209:
	s_wait_xcnt 0x0
	v_cvt_f32_u32_e32 v5, v4
	s_mov_b32 s40, exec_lo
                                        ; implicit-def: $vgpr1
	s_delay_alu instid0(VALU_DEP_1)
	v_cmpx_gt_u32_e32 0x43f00000, v5
	s_xor_b32 s40, exec_lo, s40
	s_cbranch_execz .LBB23_215
; %bb.210:
	s_mov_b32 s42, exec_lo
                                        ; implicit-def: $vgpr1
	v_cmpx_lt_u32_e32 0x3c7fffff, v5
	s_xor_b32 s42, exec_lo, s42
; %bb.211:
	v_bfe_u32 v1, v5, 20, 1
	s_delay_alu instid0(VALU_DEP_1) | instskip(NEXT) | instid1(VALU_DEP_1)
	v_add3_u32 v1, v5, v1, 0x407ffff
	v_and_b32_e32 v5, 0xff00000, v1
	v_lshrrev_b32_e32 v1, 20, v1
	s_delay_alu instid0(VALU_DEP_2) | instskip(NEXT) | instid1(VALU_DEP_2)
	v_cmp_ne_u32_e32 vcc_lo, 0x7f00000, v5
                                        ; implicit-def: $vgpr5
	v_cndmask_b32_e32 v1, 0x7e, v1, vcc_lo
; %bb.212:
	s_and_not1_saveexec_b32 s42, s42
; %bb.213:
	v_add_f32_e32 v1, 0x46800000, v5
; %bb.214:
	s_or_b32 exec_lo, exec_lo, s42
                                        ; implicit-def: $vgpr5
.LBB23_215:
	s_and_not1_saveexec_b32 s40, s40
; %bb.216:
	v_mov_b32_e32 v1, 0x7f
	v_cmp_lt_u32_e32 vcc_lo, 0x7f800000, v5
	s_delay_alu instid0(VALU_DEP_2)
	v_cndmask_b32_e32 v1, 0x7e, v1, vcc_lo
; %bb.217:
	s_or_b32 exec_lo, exec_lo, s40
	global_store_b8 v[2:3], v1, off
.LBB23_218:
	s_mov_b32 s40, 0
.LBB23_219:
	s_delay_alu instid0(SALU_CYCLE_1)
	s_and_not1_b32 vcc_lo, exec_lo, s40
	s_cbranch_vccnz .LBB23_229
; %bb.220:
	s_wait_xcnt 0x0
	v_cvt_f32_u32_e32 v5, v4
	s_mov_b32 s40, exec_lo
                                        ; implicit-def: $vgpr1
	s_delay_alu instid0(VALU_DEP_1)
	v_cmpx_gt_u32_e32 0x47800000, v5
	s_xor_b32 s40, exec_lo, s40
	s_cbranch_execz .LBB23_226
; %bb.221:
	s_mov_b32 s42, exec_lo
                                        ; implicit-def: $vgpr1
	v_cmpx_lt_u32_e32 0x387fffff, v5
	s_xor_b32 s42, exec_lo, s42
; %bb.222:
	v_bfe_u32 v1, v5, 21, 1
	s_delay_alu instid0(VALU_DEP_1) | instskip(NEXT) | instid1(VALU_DEP_1)
	v_add3_u32 v1, v5, v1, 0x80fffff
                                        ; implicit-def: $vgpr5
	v_lshrrev_b32_e32 v1, 21, v1
; %bb.223:
	s_and_not1_saveexec_b32 s42, s42
; %bb.224:
	v_add_f32_e32 v1, 0x43000000, v5
; %bb.225:
	s_or_b32 exec_lo, exec_lo, s42
                                        ; implicit-def: $vgpr5
.LBB23_226:
	s_and_not1_saveexec_b32 s40, s40
; %bb.227:
	v_mov_b32_e32 v1, 0x7f
	v_cmp_lt_u32_e32 vcc_lo, 0x7f800000, v5
	s_delay_alu instid0(VALU_DEP_2)
	v_cndmask_b32_e32 v1, 0x7c, v1, vcc_lo
; %bb.228:
	s_or_b32 exec_lo, exec_lo, s40
	global_store_b8 v[2:3], v1, off
.LBB23_229:
	s_mov_b32 s42, 0
	s_mov_b32 s40, -1
.LBB23_230:
	s_and_not1_b32 vcc_lo, exec_lo, s42
	s_cbranch_vccnz .LBB23_238
; %bb.231:
	s_cmp_gt_i32 s39, 14
	s_mov_b32 s42, -1
	s_cbranch_scc0 .LBB23_235
; %bb.232:
	s_cmp_eq_u32 s39, 15
	s_mov_b32 s0, -1
	s_cbranch_scc0 .LBB23_234
; %bb.233:
	s_wait_xcnt 0x0
	v_cvt_f32_u32_e32 v1, v4
	s_mov_b32 s40, -1
	s_mov_b32 s0, 0
	s_delay_alu instid0(VALU_DEP_1) | instskip(NEXT) | instid1(VALU_DEP_1)
	v_bfe_u32 v5, v1, 16, 1
	v_add3_u32 v1, v1, v5, 0x7fff
	global_store_d16_hi_b16 v[2:3], v1, off
.LBB23_234:
	s_mov_b32 s42, 0
.LBB23_235:
	s_delay_alu instid0(SALU_CYCLE_1)
	s_and_b32 vcc_lo, exec_lo, s42
	s_cbranch_vccz .LBB23_238
; %bb.236:
	s_cmp_eq_u32 s39, 11
	s_mov_b32 s0, -1
	s_cbranch_scc0 .LBB23_238
; %bb.237:
	v_cmp_ne_u32_e32 vcc_lo, 0, v4
	s_mov_b32 s0, 0
	s_mov_b32 s40, -1
	s_wait_xcnt 0x0
	v_cndmask_b32_e64 v1, 0, 1, vcc_lo
	global_store_b8 v[2:3], v1, off
.LBB23_238:
	s_mov_b32 s39, 0
.LBB23_239:
	s_delay_alu instid0(SALU_CYCLE_1)
	s_and_b32 vcc_lo, exec_lo, s39
	s_cbranch_vccz .LBB23_278
; %bb.240:
	s_and_b32 s38, 0xffff, s38
	s_mov_b32 s39, -1
	s_cmp_lt_i32 s38, 5
	s_cbranch_scc1 .LBB23_261
; %bb.241:
	s_cmp_lt_i32 s38, 8
	s_cbranch_scc1 .LBB23_251
; %bb.242:
	;; [unrolled: 3-line block ×3, first 2 shown]
	s_cmp_gt_i32 s38, 9
	s_cbranch_scc0 .LBB23_245
; %bb.244:
	s_wait_xcnt 0x0
	v_cvt_f64_u32_e32 v[6:7], v4
	v_mov_b32_e32 v8, 0
	s_mov_b32 s39, 0
	s_delay_alu instid0(VALU_DEP_1)
	v_mov_b32_e32 v9, v8
	global_store_b128 v[2:3], v[6:9], off
.LBB23_245:
	s_and_not1_b32 vcc_lo, exec_lo, s39
	s_cbranch_vccnz .LBB23_247
; %bb.246:
	s_wait_xcnt 0x0
	v_cvt_f32_u32_e32 v6, v4
	v_mov_b32_e32 v7, 0
	global_store_b64 v[2:3], v[6:7], off
.LBB23_247:
	s_mov_b32 s39, 0
.LBB23_248:
	s_delay_alu instid0(SALU_CYCLE_1)
	s_and_not1_b32 vcc_lo, exec_lo, s39
	s_cbranch_vccnz .LBB23_250
; %bb.249:
	s_wait_xcnt 0x0
	v_cvt_f32_u32_e32 v1, v4
	s_delay_alu instid0(VALU_DEP_1) | instskip(NEXT) | instid1(VALU_DEP_1)
	v_cvt_f16_f32_e32 v1, v1
	v_and_b32_e32 v1, 0xffff, v1
	global_store_b32 v[2:3], v1, off
.LBB23_250:
	s_mov_b32 s39, 0
.LBB23_251:
	s_delay_alu instid0(SALU_CYCLE_1)
	s_and_not1_b32 vcc_lo, exec_lo, s39
	s_cbranch_vccnz .LBB23_260
; %bb.252:
	s_cmp_lt_i32 s38, 6
	s_mov_b32 s39, -1
	s_cbranch_scc1 .LBB23_258
; %bb.253:
	s_cmp_gt_i32 s38, 6
	s_cbranch_scc0 .LBB23_255
; %bb.254:
	s_wait_xcnt 0x0
	v_cvt_f64_u32_e32 v[6:7], v4
	s_mov_b32 s39, 0
	global_store_b64 v[2:3], v[6:7], off
.LBB23_255:
	s_and_not1_b32 vcc_lo, exec_lo, s39
	s_cbranch_vccnz .LBB23_257
; %bb.256:
	s_wait_xcnt 0x0
	v_cvt_f32_u32_e32 v1, v4
	global_store_b32 v[2:3], v1, off
.LBB23_257:
	s_mov_b32 s39, 0
.LBB23_258:
	s_delay_alu instid0(SALU_CYCLE_1)
	s_and_not1_b32 vcc_lo, exec_lo, s39
	s_cbranch_vccnz .LBB23_260
; %bb.259:
	s_wait_xcnt 0x0
	v_cvt_f32_u32_e32 v1, v4
	s_delay_alu instid0(VALU_DEP_1)
	v_cvt_f16_f32_e32 v1, v1
	global_store_b16 v[2:3], v1, off
.LBB23_260:
	s_mov_b32 s39, 0
.LBB23_261:
	s_delay_alu instid0(SALU_CYCLE_1)
	s_and_not1_b32 vcc_lo, exec_lo, s39
	s_cbranch_vccnz .LBB23_277
; %bb.262:
	s_cmp_lt_i32 s38, 2
	s_mov_b32 s39, -1
	s_cbranch_scc1 .LBB23_272
; %bb.263:
	s_cmp_lt_i32 s38, 3
	s_cbranch_scc1 .LBB23_269
; %bb.264:
	s_cmp_gt_i32 s38, 3
	s_cbranch_scc0 .LBB23_266
; %bb.265:
	s_wait_xcnt 0x0
	v_mov_b32_e32 v5, 0
	s_mov_b32 s39, 0
	global_store_b64 v[2:3], v[4:5], off
.LBB23_266:
	s_and_not1_b32 vcc_lo, exec_lo, s39
	s_cbranch_vccnz .LBB23_268
; %bb.267:
	global_store_b32 v[2:3], v4, off
.LBB23_268:
	s_mov_b32 s39, 0
.LBB23_269:
	s_delay_alu instid0(SALU_CYCLE_1)
	s_and_not1_b32 vcc_lo, exec_lo, s39
	s_cbranch_vccnz .LBB23_271
; %bb.270:
	global_store_b16 v[2:3], v4, off
.LBB23_271:
	s_mov_b32 s39, 0
.LBB23_272:
	s_delay_alu instid0(SALU_CYCLE_1)
	s_and_not1_b32 vcc_lo, exec_lo, s39
	s_cbranch_vccnz .LBB23_277
; %bb.273:
	s_cmp_gt_i32 s38, 0
	s_mov_b32 s38, -1
	s_cbranch_scc0 .LBB23_275
; %bb.274:
	s_mov_b32 s38, 0
	global_store_b8 v[2:3], v4, off
.LBB23_275:
	s_and_not1_b32 vcc_lo, exec_lo, s38
	s_cbranch_vccnz .LBB23_277
; %bb.276:
	global_store_b8 v[2:3], v4, off
.LBB23_277:
	s_mov_b32 s40, -1
.LBB23_278:
	s_delay_alu instid0(SALU_CYCLE_1)
	s_and_not1_b32 vcc_lo, exec_lo, s40
	s_cbranch_vccnz .LBB23_387
; %bb.279:
	v_add_nc_u32_e32 v0, 0x80, v0
	s_mov_b32 s42, -1
	s_branch .LBB23_388
.LBB23_280:
	s_mov_b32 s25, -1
                                        ; implicit-def: $vgpr3
.LBB23_281:
	s_mov_b32 s40, 0
.LBB23_282:
	s_delay_alu instid0(SALU_CYCLE_1)
	s_and_b32 vcc_lo, exec_lo, s40
	s_cbranch_vccz .LBB23_286
; %bb.283:
	s_cmp_eq_u32 s38, 29
	s_cbranch_scc0 .LBB23_285
; %bb.284:
	global_load_b32 v3, v[4:5], off
	s_mov_b32 s39, -1
	s_mov_b32 s25, 0
	s_branch .LBB23_286
.LBB23_285:
	s_mov_b32 s25, -1
                                        ; implicit-def: $vgpr3
.LBB23_286:
	s_mov_b32 s40, 0
.LBB23_287:
	s_delay_alu instid0(SALU_CYCLE_1)
	s_and_b32 vcc_lo, exec_lo, s40
	s_cbranch_vccz .LBB23_303
; %bb.288:
	s_cmp_lt_i32 s38, 27
	s_cbranch_scc1 .LBB23_291
; %bb.289:
	s_cmp_gt_i32 s38, 27
	s_cbranch_scc0 .LBB23_292
; %bb.290:
	s_wait_loadcnt 0x0
	global_load_b32 v3, v[4:5], off
	s_mov_b32 s39, 0
	s_branch .LBB23_293
.LBB23_291:
	s_mov_b32 s39, -1
                                        ; implicit-def: $vgpr3
	s_branch .LBB23_296
.LBB23_292:
	s_mov_b32 s39, -1
                                        ; implicit-def: $vgpr3
.LBB23_293:
	s_delay_alu instid0(SALU_CYCLE_1)
	s_and_not1_b32 vcc_lo, exec_lo, s39
	s_cbranch_vccnz .LBB23_295
; %bb.294:
	s_wait_loadcnt 0x0
	global_load_u16 v3, v[4:5], off
.LBB23_295:
	s_mov_b32 s39, 0
.LBB23_296:
	s_delay_alu instid0(SALU_CYCLE_1)
	s_and_not1_b32 vcc_lo, exec_lo, s39
	s_cbranch_vccnz .LBB23_302
; %bb.297:
	global_load_u8 v6, v[4:5], off
	s_mov_b32 s40, 0
	s_mov_b32 s39, exec_lo
	s_wait_loadcnt 0x0
	v_cmpx_lt_i16_e32 0x7f, v6
	s_xor_b32 s39, exec_lo, s39
	s_cbranch_execz .LBB23_314
; %bb.298:
	v_cmp_ne_u16_e32 vcc_lo, 0x80, v6
	s_and_b32 s40, vcc_lo, exec_lo
	s_and_not1_saveexec_b32 s39, s39
	s_cbranch_execnz .LBB23_315
.LBB23_299:
	s_or_b32 exec_lo, exec_lo, s39
	v_mov_b32_e32 v3, 0
	s_and_saveexec_b32 s39, s40
	s_cbranch_execz .LBB23_301
.LBB23_300:
	v_and_b32_e32 v3, 0xffff, v6
	s_delay_alu instid0(VALU_DEP_1) | instskip(SKIP_1) | instid1(VALU_DEP_2)
	v_and_b32_e32 v7, 7, v3
	v_bfe_u32 v10, v3, 3, 4
	v_clz_i32_u32_e32 v8, v7
	s_delay_alu instid0(VALU_DEP_2) | instskip(NEXT) | instid1(VALU_DEP_2)
	v_cmp_eq_u32_e32 vcc_lo, 0, v10
	v_min_u32_e32 v8, 32, v8
	s_delay_alu instid0(VALU_DEP_1) | instskip(NEXT) | instid1(VALU_DEP_1)
	v_subrev_nc_u32_e32 v9, 28, v8
	v_dual_lshlrev_b32 v3, v9, v3 :: v_dual_sub_nc_u32 v8, 29, v8
	s_delay_alu instid0(VALU_DEP_1) | instskip(NEXT) | instid1(VALU_DEP_1)
	v_dual_lshlrev_b32 v6, 24, v6 :: v_dual_bitop2_b32 v3, 7, v3 bitop3:0x40
	v_dual_cndmask_b32 v8, v10, v8 :: v_dual_cndmask_b32 v3, v7, v3
	s_delay_alu instid0(VALU_DEP_2) | instskip(NEXT) | instid1(VALU_DEP_2)
	v_and_b32_e32 v6, 0x80000000, v6
	v_lshl_add_u32 v7, v8, 23, 0x3b800000
	s_delay_alu instid0(VALU_DEP_3) | instskip(NEXT) | instid1(VALU_DEP_1)
	v_lshlrev_b32_e32 v3, 20, v3
	v_or3_b32 v3, v6, v7, v3
	s_delay_alu instid0(VALU_DEP_1)
	v_cvt_i32_f32_e32 v3, v3
.LBB23_301:
	s_or_b32 exec_lo, exec_lo, s39
.LBB23_302:
	s_mov_b32 s39, -1
.LBB23_303:
	s_mov_b32 s40, 0
.LBB23_304:
	s_delay_alu instid0(SALU_CYCLE_1)
	s_and_b32 vcc_lo, exec_lo, s40
	s_cbranch_vccz .LBB23_337
; %bb.305:
	s_cmp_gt_i32 s38, 22
	s_cbranch_scc0 .LBB23_313
; %bb.306:
	s_cmp_lt_i32 s38, 24
	s_cbranch_scc1 .LBB23_316
; %bb.307:
	s_cmp_gt_i32 s38, 24
	s_cbranch_scc0 .LBB23_317
; %bb.308:
	global_load_u8 v6, v[4:5], off
	s_mov_b32 s40, 0
	s_mov_b32 s39, exec_lo
	s_wait_loadcnt 0x0
	v_cmpx_lt_i16_e32 0x7f, v6
	s_xor_b32 s39, exec_lo, s39
	s_cbranch_execz .LBB23_329
; %bb.309:
	v_cmp_ne_u16_e32 vcc_lo, 0x80, v6
	s_and_b32 s40, vcc_lo, exec_lo
	s_and_not1_saveexec_b32 s39, s39
	s_cbranch_execnz .LBB23_330
.LBB23_310:
	s_or_b32 exec_lo, exec_lo, s39
	v_mov_b32_e32 v3, 0
	s_and_saveexec_b32 s39, s40
	s_cbranch_execz .LBB23_312
.LBB23_311:
	v_and_b32_e32 v3, 0xffff, v6
	s_delay_alu instid0(VALU_DEP_1) | instskip(SKIP_1) | instid1(VALU_DEP_2)
	v_and_b32_e32 v7, 3, v3
	v_bfe_u32 v10, v3, 2, 5
	v_clz_i32_u32_e32 v8, v7
	s_delay_alu instid0(VALU_DEP_2) | instskip(NEXT) | instid1(VALU_DEP_2)
	v_cmp_eq_u32_e32 vcc_lo, 0, v10
	v_min_u32_e32 v8, 32, v8
	s_delay_alu instid0(VALU_DEP_1) | instskip(NEXT) | instid1(VALU_DEP_1)
	v_subrev_nc_u32_e32 v9, 29, v8
	v_dual_lshlrev_b32 v3, v9, v3 :: v_dual_sub_nc_u32 v8, 30, v8
	s_delay_alu instid0(VALU_DEP_1) | instskip(NEXT) | instid1(VALU_DEP_1)
	v_dual_lshlrev_b32 v6, 24, v6 :: v_dual_bitop2_b32 v3, 3, v3 bitop3:0x40
	v_dual_cndmask_b32 v8, v10, v8 :: v_dual_cndmask_b32 v3, v7, v3
	s_delay_alu instid0(VALU_DEP_2) | instskip(NEXT) | instid1(VALU_DEP_2)
	v_and_b32_e32 v6, 0x80000000, v6
	v_lshl_add_u32 v7, v8, 23, 0x37800000
	s_delay_alu instid0(VALU_DEP_3) | instskip(NEXT) | instid1(VALU_DEP_1)
	v_lshlrev_b32_e32 v3, 21, v3
	v_or3_b32 v3, v6, v7, v3
	s_delay_alu instid0(VALU_DEP_1)
	v_cvt_i32_f32_e32 v3, v3
.LBB23_312:
	s_or_b32 exec_lo, exec_lo, s39
	s_mov_b32 s39, 0
	s_branch .LBB23_318
.LBB23_313:
	s_mov_b32 s40, -1
                                        ; implicit-def: $vgpr3
	s_branch .LBB23_324
.LBB23_314:
	s_and_not1_saveexec_b32 s39, s39
	s_cbranch_execz .LBB23_299
.LBB23_315:
	v_cmp_ne_u16_e32 vcc_lo, 0, v6
	s_and_not1_b32 s40, s40, exec_lo
	s_and_b32 s42, vcc_lo, exec_lo
	s_delay_alu instid0(SALU_CYCLE_1)
	s_or_b32 s40, s40, s42
	s_or_b32 exec_lo, exec_lo, s39
	v_mov_b32_e32 v3, 0
	s_and_saveexec_b32 s39, s40
	s_cbranch_execnz .LBB23_300
	s_branch .LBB23_301
.LBB23_316:
	s_mov_b32 s39, -1
                                        ; implicit-def: $vgpr3
	s_branch .LBB23_321
.LBB23_317:
	s_mov_b32 s39, -1
                                        ; implicit-def: $vgpr3
.LBB23_318:
	s_delay_alu instid0(SALU_CYCLE_1)
	s_and_b32 vcc_lo, exec_lo, s39
	s_cbranch_vccz .LBB23_320
; %bb.319:
	s_wait_loadcnt 0x0
	global_load_u8 v3, v[4:5], off
	s_wait_loadcnt 0x0
	v_lshlrev_b32_e32 v3, 24, v3
	s_delay_alu instid0(VALU_DEP_1) | instskip(NEXT) | instid1(VALU_DEP_1)
	v_and_b32_e32 v6, 0x7f000000, v3
	v_clz_i32_u32_e32 v7, v6
	v_cmp_ne_u32_e32 vcc_lo, 0, v6
	v_add_nc_u32_e32 v9, 0x1000000, v6
	s_delay_alu instid0(VALU_DEP_3) | instskip(NEXT) | instid1(VALU_DEP_1)
	v_min_u32_e32 v7, 32, v7
	v_sub_nc_u32_e64 v7, v7, 4 clamp
	s_delay_alu instid0(VALU_DEP_1) | instskip(NEXT) | instid1(VALU_DEP_1)
	v_dual_lshlrev_b32 v8, v7, v6 :: v_dual_lshlrev_b32 v7, 23, v7
	v_lshrrev_b32_e32 v8, 4, v8
	s_delay_alu instid0(VALU_DEP_1) | instskip(NEXT) | instid1(VALU_DEP_1)
	v_dual_sub_nc_u32 v7, v8, v7 :: v_dual_ashrrev_i32 v8, 8, v9
	v_add_nc_u32_e32 v7, 0x3c000000, v7
	s_delay_alu instid0(VALU_DEP_1) | instskip(NEXT) | instid1(VALU_DEP_1)
	v_and_or_b32 v7, 0x7f800000, v8, v7
	v_cndmask_b32_e32 v6, 0, v7, vcc_lo
	s_delay_alu instid0(VALU_DEP_1) | instskip(NEXT) | instid1(VALU_DEP_1)
	v_and_or_b32 v3, 0x80000000, v3, v6
	v_cvt_i32_f32_e32 v3, v3
.LBB23_320:
	s_mov_b32 s39, 0
.LBB23_321:
	s_delay_alu instid0(SALU_CYCLE_1)
	s_and_not1_b32 vcc_lo, exec_lo, s39
	s_cbranch_vccnz .LBB23_323
; %bb.322:
	s_wait_loadcnt 0x0
	global_load_u8 v3, v[4:5], off
	s_wait_loadcnt 0x0
	v_lshlrev_b32_e32 v6, 25, v3
	v_lshlrev_b16 v3, 8, v3
	s_delay_alu instid0(VALU_DEP_1) | instskip(SKIP_1) | instid1(VALU_DEP_2)
	v_and_or_b32 v8, 0x7f00, v3, 0.5
	v_bfe_i32 v3, v3, 0, 16
	v_dual_add_f32 v8, -0.5, v8 :: v_dual_lshrrev_b32 v7, 4, v6
	v_cmp_gt_u32_e32 vcc_lo, 0x8000000, v6
	s_delay_alu instid0(VALU_DEP_2) | instskip(NEXT) | instid1(VALU_DEP_1)
	v_or_b32_e32 v7, 0x70000000, v7
	v_mul_f32_e32 v7, 0x7800000, v7
	s_delay_alu instid0(VALU_DEP_1) | instskip(NEXT) | instid1(VALU_DEP_1)
	v_cndmask_b32_e32 v6, v7, v8, vcc_lo
	v_and_or_b32 v3, 0x80000000, v3, v6
	s_delay_alu instid0(VALU_DEP_1)
	v_cvt_i32_f32_e32 v3, v3
.LBB23_323:
	s_mov_b32 s40, 0
	s_mov_b32 s39, -1
.LBB23_324:
	s_and_not1_b32 vcc_lo, exec_lo, s40
	s_cbranch_vccnz .LBB23_337
; %bb.325:
	s_cmp_gt_i32 s38, 14
	s_cbranch_scc0 .LBB23_328
; %bb.326:
	s_cmp_eq_u32 s38, 15
	s_cbranch_scc0 .LBB23_331
; %bb.327:
	s_wait_loadcnt 0x0
	global_load_u16 v3, v[4:5], off
	s_mov_b32 s39, -1
	s_mov_b32 s25, 0
	s_wait_loadcnt 0x0
	v_lshlrev_b32_e32 v3, 16, v3
	s_delay_alu instid0(VALU_DEP_1)
	v_cvt_i32_f32_e32 v3, v3
	s_branch .LBB23_332
.LBB23_328:
	s_mov_b32 s40, -1
                                        ; implicit-def: $vgpr3
	s_branch .LBB23_333
.LBB23_329:
	s_and_not1_saveexec_b32 s39, s39
	s_cbranch_execz .LBB23_310
.LBB23_330:
	v_cmp_ne_u16_e32 vcc_lo, 0, v6
	s_and_not1_b32 s40, s40, exec_lo
	s_and_b32 s42, vcc_lo, exec_lo
	s_delay_alu instid0(SALU_CYCLE_1)
	s_or_b32 s40, s40, s42
	s_or_b32 exec_lo, exec_lo, s39
	v_mov_b32_e32 v3, 0
	s_and_saveexec_b32 s39, s40
	s_cbranch_execnz .LBB23_311
	s_branch .LBB23_312
.LBB23_331:
	s_mov_b32 s25, -1
                                        ; implicit-def: $vgpr3
.LBB23_332:
	s_mov_b32 s40, 0
.LBB23_333:
	s_delay_alu instid0(SALU_CYCLE_1)
	s_and_b32 vcc_lo, exec_lo, s40
	s_cbranch_vccz .LBB23_337
; %bb.334:
	s_cmp_eq_u32 s38, 11
	s_cbranch_scc0 .LBB23_336
; %bb.335:
	s_wait_loadcnt 0x0
	global_load_u8 v3, v[4:5], off
	s_mov_b32 s25, 0
	s_mov_b32 s39, -1
	s_wait_loadcnt 0x0
	v_cmp_ne_u16_e32 vcc_lo, 0, v3
	v_cndmask_b32_e64 v3, 0, 1, vcc_lo
	s_branch .LBB23_337
.LBB23_336:
	s_mov_b32 s25, -1
                                        ; implicit-def: $vgpr3
.LBB23_337:
	s_branch .LBB23_31
.LBB23_338:
	s_and_b32 s0, 0xffff, s0
	s_delay_alu instid0(SALU_CYCLE_1)
	s_cmp_lt_i32 s0, 5
	s_cbranch_scc1 .LBB23_343
; %bb.339:
	s_cmp_lt_i32 s0, 8
	s_cbranch_scc1 .LBB23_344
; %bb.340:
	;; [unrolled: 3-line block ×3, first 2 shown]
	s_cmp_gt_i32 s0, 9
	s_cbranch_scc0 .LBB23_346
; %bb.342:
	global_load_b64 v[6:7], v[4:5], off
	s_mov_b32 s38, 0
	s_wait_loadcnt 0x0
	v_cvt_i32_f64_e32 v3, v[6:7]
	s_branch .LBB23_347
.LBB23_343:
	s_mov_b32 s38, -1
                                        ; implicit-def: $vgpr3
	s_branch .LBB23_365
.LBB23_344:
	s_mov_b32 s38, -1
                                        ; implicit-def: $vgpr3
	s_branch .LBB23_353
.LBB23_345:
	s_mov_b32 s38, -1
                                        ; implicit-def: $vgpr3
	s_branch .LBB23_350
.LBB23_346:
	s_mov_b32 s38, -1
                                        ; implicit-def: $vgpr3
.LBB23_347:
	s_delay_alu instid0(SALU_CYCLE_1)
	s_and_not1_b32 vcc_lo, exec_lo, s38
	s_cbranch_vccnz .LBB23_349
; %bb.348:
	s_wait_loadcnt 0x0
	global_load_b32 v3, v[4:5], off
	s_wait_loadcnt 0x0
	v_cvt_i32_f32_e32 v3, v3
.LBB23_349:
	s_mov_b32 s38, 0
.LBB23_350:
	s_delay_alu instid0(SALU_CYCLE_1)
	s_and_not1_b32 vcc_lo, exec_lo, s38
	s_cbranch_vccnz .LBB23_352
; %bb.351:
	s_wait_loadcnt 0x0
	global_load_b32 v3, v[4:5], off
	s_wait_loadcnt 0x0
	v_cvt_f32_f16_e32 v3, v3
	s_delay_alu instid0(VALU_DEP_1)
	v_cvt_i32_f32_e32 v3, v3
.LBB23_352:
	s_mov_b32 s38, 0
.LBB23_353:
	s_delay_alu instid0(SALU_CYCLE_1)
	s_and_not1_b32 vcc_lo, exec_lo, s38
	s_cbranch_vccnz .LBB23_364
; %bb.354:
	s_cmp_lt_i32 s0, 6
	s_cbranch_scc1 .LBB23_357
; %bb.355:
	s_cmp_gt_i32 s0, 6
	s_cbranch_scc0 .LBB23_358
; %bb.356:
	global_load_b64 v[6:7], v[4:5], off
	s_mov_b32 s38, 0
	s_wait_loadcnt 0x0
	v_cvt_i32_f64_e32 v3, v[6:7]
	s_branch .LBB23_359
.LBB23_357:
	s_mov_b32 s38, -1
                                        ; implicit-def: $vgpr3
	s_branch .LBB23_362
.LBB23_358:
	s_mov_b32 s38, -1
                                        ; implicit-def: $vgpr3
.LBB23_359:
	s_delay_alu instid0(SALU_CYCLE_1)
	s_and_not1_b32 vcc_lo, exec_lo, s38
	s_cbranch_vccnz .LBB23_361
; %bb.360:
	s_wait_loadcnt 0x0
	global_load_b32 v3, v[4:5], off
	s_wait_loadcnt 0x0
	v_cvt_i32_f32_e32 v3, v3
.LBB23_361:
	s_mov_b32 s38, 0
.LBB23_362:
	s_delay_alu instid0(SALU_CYCLE_1)
	s_and_not1_b32 vcc_lo, exec_lo, s38
	s_cbranch_vccnz .LBB23_364
; %bb.363:
	s_wait_loadcnt 0x0
	global_load_u16 v3, v[4:5], off
	s_wait_loadcnt 0x0
	v_cvt_f32_f16_e32 v3, v3
	s_delay_alu instid0(VALU_DEP_1)
	v_cvt_i32_f32_e32 v3, v3
.LBB23_364:
	s_mov_b32 s38, 0
.LBB23_365:
	s_delay_alu instid0(SALU_CYCLE_1)
	s_and_not1_b32 vcc_lo, exec_lo, s38
	s_cbranch_vccnz .LBB23_385
; %bb.366:
	s_cmp_lt_i32 s0, 2
	s_cbranch_scc1 .LBB23_370
; %bb.367:
	s_cmp_lt_i32 s0, 3
	s_cbranch_scc1 .LBB23_371
; %bb.368:
	s_cmp_gt_i32 s0, 3
	s_cbranch_scc0 .LBB23_372
; %bb.369:
	s_wait_loadcnt 0x0
	global_load_b32 v3, v[4:5], off
	s_mov_b32 s38, 0
	s_branch .LBB23_373
.LBB23_370:
	s_mov_b32 s38, -1
                                        ; implicit-def: $vgpr3
	s_branch .LBB23_379
.LBB23_371:
	s_mov_b32 s38, -1
                                        ; implicit-def: $vgpr3
	s_branch .LBB23_376
.LBB23_372:
	s_mov_b32 s38, -1
                                        ; implicit-def: $vgpr3
.LBB23_373:
	s_delay_alu instid0(SALU_CYCLE_1)
	s_and_not1_b32 vcc_lo, exec_lo, s38
	s_cbranch_vccnz .LBB23_375
; %bb.374:
	s_wait_loadcnt 0x0
	global_load_b32 v3, v[4:5], off
.LBB23_375:
	s_mov_b32 s38, 0
.LBB23_376:
	s_delay_alu instid0(SALU_CYCLE_1)
	s_and_not1_b32 vcc_lo, exec_lo, s38
	s_cbranch_vccnz .LBB23_378
; %bb.377:
	s_wait_loadcnt 0x0
	global_load_i16 v3, v[4:5], off
.LBB23_378:
	s_mov_b32 s38, 0
.LBB23_379:
	s_delay_alu instid0(SALU_CYCLE_1)
	s_and_not1_b32 vcc_lo, exec_lo, s38
	s_cbranch_vccnz .LBB23_385
; %bb.380:
	s_cmp_gt_i32 s0, 0
	s_mov_b32 s0, 0
	s_cbranch_scc0 .LBB23_382
; %bb.381:
	s_wait_loadcnt 0x0
	global_load_i8 v3, v[4:5], off
	s_branch .LBB23_383
.LBB23_382:
	s_mov_b32 s0, -1
                                        ; implicit-def: $vgpr3
.LBB23_383:
	s_delay_alu instid0(SALU_CYCLE_1)
	s_and_not1_b32 vcc_lo, exec_lo, s0
	s_cbranch_vccnz .LBB23_385
; %bb.384:
	s_wait_loadcnt 0x0
	global_load_u8 v3, v[4:5], off
.LBB23_385:
	s_branch .LBB23_32
.LBB23_386:
	s_mov_b32 s0, 0
.LBB23_387:
	s_mov_b32 s42, 0
                                        ; implicit-def: $vgpr0
.LBB23_388:
	s_and_b32 s38, s0, exec_lo
	s_and_b32 s39, s25, exec_lo
	;; [unrolled: 1-line block ×3, first 2 shown]
	s_or_not1_b32 s25, s42, exec_lo
.LBB23_389:
	s_wait_xcnt 0x0
	s_or_b32 exec_lo, exec_lo, s41
	s_mov_b32 s43, 0
	s_mov_b32 s24, 0
                                        ; implicit-def: $sgpr0
                                        ; implicit-def: $vgpr6_vgpr7
                                        ; implicit-def: $vgpr4
                                        ; implicit-def: $vgpr2
                                        ; implicit-def: $vgpr3
	s_and_saveexec_b32 s41, s25
	s_cbranch_execz .LBB23_397
; %bb.390:
	s_mov_b32 s47, -1
	s_mov_b32 s42, s40
	s_mov_b32 s44, s39
	;; [unrolled: 1-line block ×3, first 2 shown]
	s_mov_b32 s45, exec_lo
	v_cmpx_gt_i32_e64 s36, v0
	s_cbranch_execz .LBB23_789
; %bb.391:
	s_and_not1_b32 vcc_lo, exec_lo, s29
	s_cbranch_vccnz .LBB23_400
; %bb.392:
	s_and_not1_b32 vcc_lo, exec_lo, s37
	s_cbranch_vccnz .LBB23_401
; %bb.393:
	s_wait_loadcnt 0x0
	v_dual_mov_b32 v2, 0 :: v_dual_mov_b32 v1, v0
	v_dual_mov_b32 v6, 0 :: v_dual_mov_b32 v4, 0
	s_add_co_i32 s0, s35, 1
	s_mov_b64 s[24:25], 0xffffffffffffffe8
	s_and_b32 s0, s0, 30
	s_add_nc_u64 s[24:25], s[2:3], s[24:25]
.LBB23_394:                             ; =>This Inner Loop Header: Depth=1
	s_clause 0x3
	s_load_b128 s[48:51], s[24:25], 0x1c
	s_load_b64 s[42:43], s[24:25], 0x2c
	s_load_b128 s[52:55], s[24:25], 0xdc
	s_load_b64 s[46:47], s[24:25], 0xec
	s_add_co_i32 s0, s0, -2
	s_wait_xcnt 0x0
	s_add_nc_u64 s[24:25], s[24:25], 24
	s_cmp_eq_u32 s0, 0
	s_wait_kmcnt 0x0
	v_mul_hi_u32 v3, s49, v1
	s_delay_alu instid0(VALU_DEP_1) | instskip(NEXT) | instid1(VALU_DEP_1)
	v_add_nc_u32_e32 v3, v1, v3
	v_lshrrev_b32_e32 v3, s50, v3
	s_delay_alu instid0(VALU_DEP_1) | instskip(SKIP_1) | instid1(VALU_DEP_1)
	v_mul_hi_u32 v5, s42, v3
	v_mul_lo_u32 v7, v3, s48
	v_dual_add_nc_u32 v5, v3, v5 :: v_dual_sub_nc_u32 v7, v1, v7
	s_delay_alu instid0(VALU_DEP_1) | instskip(NEXT) | instid1(VALU_DEP_2)
	v_lshrrev_b32_e32 v1, s43, v5
	v_mad_u32 v2, v7, s52, v2
	v_mad_u32 v4, v7, s54, v4
	;; [unrolled: 1-line block ×3, first 2 shown]
	s_delay_alu instid0(VALU_DEP_4) | instskip(NEXT) | instid1(VALU_DEP_1)
	v_mul_lo_u32 v5, v1, s51
	v_sub_nc_u32_e32 v3, v3, v5
	s_delay_alu instid0(VALU_DEP_1)
	v_mad_u32 v2, v3, s55, v2
	v_mad_u32 v4, v3, s47, v4
	;; [unrolled: 1-line block ×3, first 2 shown]
	s_cbranch_scc0 .LBB23_394
; %bb.395:
	s_bitcmp1_b32 s35, 0
	s_cselect_b32 s0, -1, 0
	s_delay_alu instid0(SALU_CYCLE_1)
	s_and_b32 vcc_lo, exec_lo, s0
	s_cbranch_vccnz .LBB23_402
; %bb.396:
	s_clause 0x1
	s_load_b96 s[48:50], s[24:25], 0x1c
	s_load_b96 s[52:54], s[24:25], 0xdc
	s_wait_kmcnt 0x0
	v_mul_hi_u32 v3, s49, v1
	s_delay_alu instid0(VALU_DEP_1) | instskip(NEXT) | instid1(VALU_DEP_1)
	v_add_nc_u32_e32 v3, v1, v3
	v_lshrrev_b32_e32 v3, s50, v3
	s_delay_alu instid0(VALU_DEP_1) | instskip(NEXT) | instid1(VALU_DEP_1)
	v_mul_lo_u32 v3, v3, s48
	v_sub_nc_u32_e32 v1, v1, v3
	s_delay_alu instid0(VALU_DEP_1)
	v_mad_u32 v2, v1, s52, v2
	v_mad_u32 v6, v1, s53, v6
	;; [unrolled: 1-line block ×3, first 2 shown]
	s_branch .LBB23_402
.LBB23_397:
	s_or_b32 exec_lo, exec_lo, s41
	s_mov_b32 s1, 0
	s_and_saveexec_b32 s6, s40
	s_cbranch_execnz .LBB23_1281
.LBB23_398:
	s_or_b32 exec_lo, exec_lo, s6
	s_and_saveexec_b32 s6, s19
	s_delay_alu instid0(SALU_CYCLE_1)
	s_xor_b32 s6, exec_lo, s6
	s_cbranch_execz .LBB23_1282
.LBB23_399:
	global_load_u8 v0, v[6:7], off
	s_or_b32 s24, s24, exec_lo
	s_wait_loadcnt 0x0
	v_cmp_ne_u16_e32 vcc_lo, 0, v0
	v_cndmask_b32_e64 v3, 0, 1, vcc_lo
	s_wait_xcnt 0x0
	s_or_b32 exec_lo, exec_lo, s6
	s_and_saveexec_b32 s6, s43
	s_cbranch_execz .LBB23_1328
	s_branch .LBB23_1283
.LBB23_400:
                                        ; implicit-def: $vgpr4
                                        ; implicit-def: $vgpr6
                                        ; implicit-def: $vgpr2
	s_branch .LBB23_403
.LBB23_401:
	v_dual_mov_b32 v4, 0 :: v_dual_mov_b32 v6, 0
	v_mov_b32_e32 v2, 0
.LBB23_402:
	s_cbranch_execnz .LBB23_405
.LBB23_403:
	s_wait_loadcnt 0x0
	v_mov_b32_e32 v1, 0
	s_and_not1_b32 vcc_lo, exec_lo, s34
	s_delay_alu instid0(VALU_DEP_1) | instskip(NEXT) | instid1(VALU_DEP_1)
	v_mul_u64_e32 v[2:3], s[18:19], v[0:1]
	v_add_nc_u32_e32 v2, v0, v3
	s_delay_alu instid0(VALU_DEP_1) | instskip(NEXT) | instid1(VALU_DEP_1)
	v_lshrrev_b32_e32 v8, s10, v2
	v_mul_lo_u32 v2, v8, s8
	s_delay_alu instid0(VALU_DEP_1) | instskip(NEXT) | instid1(VALU_DEP_1)
	v_sub_nc_u32_e32 v3, v0, v2
	v_mul_lo_u32 v2, v3, s12
	v_mul_lo_u32 v4, v3, s14
	;; [unrolled: 1-line block ×3, first 2 shown]
	s_cbranch_vccnz .LBB23_405
; %bb.404:
	v_mov_b32_e32 v9, v1
	s_delay_alu instid0(VALU_DEP_1) | instskip(NEXT) | instid1(VALU_DEP_1)
	v_mul_u64_e32 v[10:11], s[22:23], v[8:9]
	v_add_nc_u32_e32 v1, v8, v11
	s_delay_alu instid0(VALU_DEP_1) | instskip(NEXT) | instid1(VALU_DEP_1)
	v_lshrrev_b32_e32 v1, s1, v1
	v_mul_lo_u32 v1, v1, s11
	s_delay_alu instid0(VALU_DEP_1) | instskip(NEXT) | instid1(VALU_DEP_1)
	v_sub_nc_u32_e32 v1, v8, v1
	v_mad_u32 v2, v1, s15, v2
	v_mad_u32 v6, v1, s20, v6
	;; [unrolled: 1-line block ×3, first 2 shown]
.LBB23_405:
	v_mov_b32_e32 v7, 0
	s_and_b32 s0, s33, 0xff
	s_delay_alu instid0(SALU_CYCLE_1) | instskip(NEXT) | instid1(VALU_DEP_1)
	s_cmp_lt_i32 s0, 11
	v_add_nc_u64_e32 v[6:7], s[6:7], v[6:7]
	s_cbranch_scc1 .LBB23_412
; %bb.406:
	s_and_b32 s25, 0xffff, s0
	s_delay_alu instid0(SALU_CYCLE_1)
	s_cmp_gt_i32 s25, 25
	s_cbranch_scc0 .LBB23_421
; %bb.407:
	s_cmp_gt_i32 s25, 28
	s_cbranch_scc0 .LBB23_423
; %bb.408:
	;; [unrolled: 3-line block ×4, first 2 shown]
	s_cmp_eq_u32 s25, 46
	s_mov_b32 s43, 0
	s_cbranch_scc0 .LBB23_431
; %bb.411:
	s_wait_loadcnt 0x0
	global_load_b32 v1, v[6:7], off
	s_mov_b32 s42, -1
	s_mov_b32 s24, 0
	s_wait_loadcnt 0x0
	v_lshlrev_b32_e32 v1, 16, v1
	s_delay_alu instid0(VALU_DEP_1)
	v_cvt_i32_f32_e32 v1, v1
	s_branch .LBB23_433
.LBB23_412:
	s_mov_b32 s42, 0
	s_mov_b32 s24, s40
                                        ; implicit-def: $vgpr1
	s_cbranch_execnz .LBB23_495
.LBB23_413:
	s_and_not1_b32 vcc_lo, exec_lo, s42
	s_cbranch_vccnz .LBB23_543
.LBB23_414:
	v_mov_b32_e32 v5, 0
	s_and_b32 s0, s9, 0xff
	s_delay_alu instid0(SALU_CYCLE_1) | instskip(NEXT) | instid1(VALU_DEP_1)
	s_cmp_lt_i32 s0, 11
	v_add_nc_u64_e32 v[4:5], s[16:17], v[4:5]
	s_cbranch_scc1 .LBB23_422
; %bb.415:
	s_and_b32 s42, 0xffff, s0
	s_delay_alu instid0(SALU_CYCLE_1)
	s_cmp_gt_i32 s42, 25
	s_cbranch_scc0 .LBB23_424
; %bb.416:
	s_cmp_gt_i32 s42, 28
	s_cbranch_scc0 .LBB23_426
; %bb.417:
	;; [unrolled: 3-line block ×4, first 2 shown]
	s_cmp_eq_u32 s42, 46
	s_mov_b32 s44, 0
	s_cbranch_scc0 .LBB23_546
; %bb.420:
	s_wait_loadcnt 0x0
	global_load_b32 v3, v[4:5], off
	s_mov_b32 s43, -1
	s_mov_b32 s25, 0
	s_wait_loadcnt 0x0
	v_lshlrev_b32_e32 v3, 16, v3
	s_delay_alu instid0(VALU_DEP_1)
	v_cvt_i32_f32_e32 v3, v3
	s_branch .LBB23_548
.LBB23_421:
	s_mov_b32 s43, -1
	s_mov_b32 s42, 0
	s_mov_b32 s24, s40
                                        ; implicit-def: $vgpr1
	s_branch .LBB23_461
.LBB23_422:
	s_mov_b32 s42, -1
	s_mov_b32 s43, 0
	s_mov_b32 s25, s39
                                        ; implicit-def: $vgpr3
	s_branch .LBB23_609
.LBB23_423:
	s_mov_b32 s43, -1
	s_mov_b32 s42, 0
	s_mov_b32 s24, s40
                                        ; implicit-def: $vgpr1
	s_branch .LBB23_444
.LBB23_424:
	s_mov_b32 s44, -1
	s_mov_b32 s43, 0
	s_mov_b32 s25, s39
                                        ; implicit-def: $vgpr3
	s_branch .LBB23_575
.LBB23_425:
	s_mov_b32 s43, -1
	s_mov_b32 s42, 0
	s_mov_b32 s24, s40
                                        ; implicit-def: $vgpr1
	s_branch .LBB23_439
.LBB23_426:
	s_mov_b32 s44, -1
	s_mov_b32 s43, 0
	s_mov_b32 s25, s39
                                        ; implicit-def: $vgpr3
	s_branch .LBB23_558
.LBB23_427:
	s_mov_b32 s43, -1
	s_mov_b32 s42, 0
	s_mov_b32 s24, s40
	s_branch .LBB23_432
.LBB23_428:
	s_mov_b32 s44, -1
	s_mov_b32 s43, 0
	s_mov_b32 s25, s39
                                        ; implicit-def: $vgpr3
	s_branch .LBB23_553
.LBB23_429:
	s_and_not1_saveexec_b32 s43, s43
	s_cbranch_execz .LBB23_191
.LBB23_430:
	v_add_f32_e32 v1, 0x46000000, v5
	s_and_not1_b32 s42, s42, exec_lo
	s_delay_alu instid0(VALU_DEP_1) | instskip(NEXT) | instid1(VALU_DEP_1)
	v_and_b32_e32 v1, 0xff, v1
	v_cmp_ne_u32_e32 vcc_lo, 0, v1
	s_and_b32 s44, vcc_lo, exec_lo
	s_delay_alu instid0(SALU_CYCLE_1)
	s_or_b32 s42, s42, s44
	s_or_b32 exec_lo, exec_lo, s43
	v_mov_b32_e32 v6, 0
	s_and_saveexec_b32 s43, s42
	s_cbranch_execnz .LBB23_192
	s_branch .LBB23_193
.LBB23_431:
	s_mov_b32 s24, -1
	s_mov_b32 s42, 0
.LBB23_432:
                                        ; implicit-def: $vgpr1
.LBB23_433:
	s_and_b32 vcc_lo, exec_lo, s43
	s_cbranch_vccz .LBB23_438
; %bb.434:
	s_cmp_eq_u32 s25, 44
	s_cbranch_scc0 .LBB23_437
; %bb.435:
	s_wait_loadcnt 0x0
	global_load_u8 v1, v[6:7], off
	s_mov_b32 s24, 0
	s_mov_b32 s42, -1
	s_wait_loadcnt 0x0
	v_lshlrev_b32_e32 v3, 23, v1
	v_cmp_ne_u32_e32 vcc_lo, 0, v1
	s_delay_alu instid0(VALU_DEP_2) | instskip(NEXT) | instid1(VALU_DEP_1)
	v_cvt_i32_f32_e32 v3, v3
	v_cndmask_b32_e32 v1, 0, v3, vcc_lo
	s_branch .LBB23_438
.LBB23_436:
	s_mov_b32 s44, -1
	s_mov_b32 s43, 0
	s_mov_b32 s25, s39
	s_branch .LBB23_547
.LBB23_437:
	s_mov_b32 s24, -1
                                        ; implicit-def: $vgpr1
.LBB23_438:
	s_mov_b32 s43, 0
.LBB23_439:
	s_delay_alu instid0(SALU_CYCLE_1)
	s_and_b32 vcc_lo, exec_lo, s43
	s_cbranch_vccz .LBB23_443
; %bb.440:
	s_cmp_eq_u32 s25, 29
	s_cbranch_scc0 .LBB23_442
; %bb.441:
	s_wait_loadcnt 0x0
	global_load_b32 v1, v[6:7], off
	s_mov_b32 s42, -1
	s_mov_b32 s24, 0
	s_branch .LBB23_443
.LBB23_442:
	s_mov_b32 s24, -1
                                        ; implicit-def: $vgpr1
.LBB23_443:
	s_mov_b32 s43, 0
.LBB23_444:
	s_delay_alu instid0(SALU_CYCLE_1)
	s_and_b32 vcc_lo, exec_lo, s43
	s_cbranch_vccz .LBB23_460
; %bb.445:
	s_cmp_lt_i32 s25, 27
	s_cbranch_scc1 .LBB23_448
; %bb.446:
	s_cmp_gt_i32 s25, 27
	s_cbranch_scc0 .LBB23_449
; %bb.447:
	s_wait_loadcnt 0x0
	global_load_b32 v1, v[6:7], off
	s_mov_b32 s42, 0
	s_branch .LBB23_450
.LBB23_448:
	s_mov_b32 s42, -1
                                        ; implicit-def: $vgpr1
	s_branch .LBB23_453
.LBB23_449:
	s_mov_b32 s42, -1
                                        ; implicit-def: $vgpr1
.LBB23_450:
	s_delay_alu instid0(SALU_CYCLE_1)
	s_and_not1_b32 vcc_lo, exec_lo, s42
	s_cbranch_vccnz .LBB23_452
; %bb.451:
	s_wait_loadcnt 0x0
	global_load_u16 v1, v[6:7], off
.LBB23_452:
	s_mov_b32 s42, 0
.LBB23_453:
	s_delay_alu instid0(SALU_CYCLE_1)
	s_and_not1_b32 vcc_lo, exec_lo, s42
	s_cbranch_vccnz .LBB23_459
; %bb.454:
	s_wait_loadcnt 0x0
	global_load_u8 v3, v[6:7], off
	s_mov_b32 s43, 0
	s_mov_b32 s42, exec_lo
	s_wait_loadcnt 0x0
	v_cmpx_lt_i16_e32 0x7f, v3
	s_xor_b32 s42, exec_lo, s42
	s_cbranch_execz .LBB23_471
; %bb.455:
	v_cmp_ne_u16_e32 vcc_lo, 0x80, v3
	s_and_b32 s43, vcc_lo, exec_lo
	s_and_not1_saveexec_b32 s42, s42
	s_cbranch_execnz .LBB23_472
.LBB23_456:
	s_or_b32 exec_lo, exec_lo, s42
	v_mov_b32_e32 v1, 0
	s_and_saveexec_b32 s42, s43
	s_cbranch_execz .LBB23_458
.LBB23_457:
	v_and_b32_e32 v1, 0xffff, v3
	s_delay_alu instid0(VALU_DEP_1) | instskip(SKIP_1) | instid1(VALU_DEP_2)
	v_and_b32_e32 v5, 7, v1
	v_bfe_u32 v10, v1, 3, 4
	v_clz_i32_u32_e32 v8, v5
	s_delay_alu instid0(VALU_DEP_2) | instskip(NEXT) | instid1(VALU_DEP_2)
	v_cmp_eq_u32_e32 vcc_lo, 0, v10
	v_min_u32_e32 v8, 32, v8
	s_delay_alu instid0(VALU_DEP_1) | instskip(NEXT) | instid1(VALU_DEP_1)
	v_subrev_nc_u32_e32 v9, 28, v8
	v_dual_lshlrev_b32 v1, v9, v1 :: v_dual_sub_nc_u32 v8, 29, v8
	s_delay_alu instid0(VALU_DEP_1) | instskip(NEXT) | instid1(VALU_DEP_1)
	v_dual_lshlrev_b32 v3, 24, v3 :: v_dual_bitop2_b32 v1, 7, v1 bitop3:0x40
	v_dual_cndmask_b32 v8, v10, v8 :: v_dual_cndmask_b32 v1, v5, v1
	s_delay_alu instid0(VALU_DEP_2) | instskip(NEXT) | instid1(VALU_DEP_2)
	v_and_b32_e32 v3, 0x80000000, v3
	v_lshl_add_u32 v5, v8, 23, 0x3b800000
	s_delay_alu instid0(VALU_DEP_3) | instskip(NEXT) | instid1(VALU_DEP_1)
	v_lshlrev_b32_e32 v1, 20, v1
	v_or3_b32 v1, v3, v5, v1
	s_delay_alu instid0(VALU_DEP_1)
	v_cvt_i32_f32_e32 v1, v1
.LBB23_458:
	s_or_b32 exec_lo, exec_lo, s42
.LBB23_459:
	s_mov_b32 s42, -1
.LBB23_460:
	s_mov_b32 s43, 0
.LBB23_461:
	s_delay_alu instid0(SALU_CYCLE_1)
	s_and_b32 vcc_lo, exec_lo, s43
	s_cbranch_vccz .LBB23_494
; %bb.462:
	s_cmp_gt_i32 s25, 22
	s_cbranch_scc0 .LBB23_470
; %bb.463:
	s_cmp_lt_i32 s25, 24
	s_cbranch_scc1 .LBB23_473
; %bb.464:
	s_cmp_gt_i32 s25, 24
	s_cbranch_scc0 .LBB23_474
; %bb.465:
	s_wait_loadcnt 0x0
	global_load_u8 v3, v[6:7], off
	s_mov_b32 s43, 0
	s_mov_b32 s42, exec_lo
	s_wait_loadcnt 0x0
	v_cmpx_lt_i16_e32 0x7f, v3
	s_xor_b32 s42, exec_lo, s42
	s_cbranch_execz .LBB23_486
; %bb.466:
	v_cmp_ne_u16_e32 vcc_lo, 0x80, v3
	s_and_b32 s43, vcc_lo, exec_lo
	s_and_not1_saveexec_b32 s42, s42
	s_cbranch_execnz .LBB23_487
.LBB23_467:
	s_or_b32 exec_lo, exec_lo, s42
	v_mov_b32_e32 v1, 0
	s_and_saveexec_b32 s42, s43
	s_cbranch_execz .LBB23_469
.LBB23_468:
	v_and_b32_e32 v1, 0xffff, v3
	s_delay_alu instid0(VALU_DEP_1) | instskip(SKIP_1) | instid1(VALU_DEP_2)
	v_and_b32_e32 v5, 3, v1
	v_bfe_u32 v10, v1, 2, 5
	v_clz_i32_u32_e32 v8, v5
	s_delay_alu instid0(VALU_DEP_2) | instskip(NEXT) | instid1(VALU_DEP_2)
	v_cmp_eq_u32_e32 vcc_lo, 0, v10
	v_min_u32_e32 v8, 32, v8
	s_delay_alu instid0(VALU_DEP_1) | instskip(NEXT) | instid1(VALU_DEP_1)
	v_subrev_nc_u32_e32 v9, 29, v8
	v_dual_lshlrev_b32 v1, v9, v1 :: v_dual_sub_nc_u32 v8, 30, v8
	s_delay_alu instid0(VALU_DEP_1) | instskip(NEXT) | instid1(VALU_DEP_1)
	v_dual_lshlrev_b32 v3, 24, v3 :: v_dual_bitop2_b32 v1, 3, v1 bitop3:0x40
	v_dual_cndmask_b32 v8, v10, v8 :: v_dual_cndmask_b32 v1, v5, v1
	s_delay_alu instid0(VALU_DEP_2) | instskip(NEXT) | instid1(VALU_DEP_2)
	v_and_b32_e32 v3, 0x80000000, v3
	v_lshl_add_u32 v5, v8, 23, 0x37800000
	s_delay_alu instid0(VALU_DEP_3) | instskip(NEXT) | instid1(VALU_DEP_1)
	v_lshlrev_b32_e32 v1, 21, v1
	v_or3_b32 v1, v3, v5, v1
	s_delay_alu instid0(VALU_DEP_1)
	v_cvt_i32_f32_e32 v1, v1
.LBB23_469:
	s_or_b32 exec_lo, exec_lo, s42
	s_mov_b32 s42, 0
	s_branch .LBB23_475
.LBB23_470:
	s_mov_b32 s43, -1
                                        ; implicit-def: $vgpr1
	s_branch .LBB23_481
.LBB23_471:
	s_and_not1_saveexec_b32 s42, s42
	s_cbranch_execz .LBB23_456
.LBB23_472:
	v_cmp_ne_u16_e32 vcc_lo, 0, v3
	s_and_not1_b32 s43, s43, exec_lo
	s_and_b32 s44, vcc_lo, exec_lo
	s_delay_alu instid0(SALU_CYCLE_1)
	s_or_b32 s43, s43, s44
	s_or_b32 exec_lo, exec_lo, s42
	v_mov_b32_e32 v1, 0
	s_and_saveexec_b32 s42, s43
	s_cbranch_execnz .LBB23_457
	s_branch .LBB23_458
.LBB23_473:
	s_mov_b32 s42, -1
                                        ; implicit-def: $vgpr1
	s_branch .LBB23_478
.LBB23_474:
	s_mov_b32 s42, -1
                                        ; implicit-def: $vgpr1
.LBB23_475:
	s_delay_alu instid0(SALU_CYCLE_1)
	s_and_b32 vcc_lo, exec_lo, s42
	s_cbranch_vccz .LBB23_477
; %bb.476:
	s_wait_loadcnt 0x0
	global_load_u8 v1, v[6:7], off
	s_wait_loadcnt 0x0
	v_lshlrev_b32_e32 v1, 24, v1
	s_delay_alu instid0(VALU_DEP_1) | instskip(NEXT) | instid1(VALU_DEP_1)
	v_and_b32_e32 v3, 0x7f000000, v1
	v_clz_i32_u32_e32 v5, v3
	v_add_nc_u32_e32 v9, 0x1000000, v3
	v_cmp_ne_u32_e32 vcc_lo, 0, v3
	s_delay_alu instid0(VALU_DEP_3) | instskip(NEXT) | instid1(VALU_DEP_1)
	v_min_u32_e32 v5, 32, v5
	v_sub_nc_u32_e64 v5, v5, 4 clamp
	s_delay_alu instid0(VALU_DEP_1) | instskip(NEXT) | instid1(VALU_DEP_1)
	v_dual_lshlrev_b32 v8, v5, v3 :: v_dual_lshlrev_b32 v5, 23, v5
	v_lshrrev_b32_e32 v8, 4, v8
	s_delay_alu instid0(VALU_DEP_1) | instskip(SKIP_1) | instid1(VALU_DEP_2)
	v_sub_nc_u32_e32 v5, v8, v5
	v_ashrrev_i32_e32 v8, 8, v9
	v_add_nc_u32_e32 v5, 0x3c000000, v5
	s_delay_alu instid0(VALU_DEP_1) | instskip(NEXT) | instid1(VALU_DEP_1)
	v_and_or_b32 v5, 0x7f800000, v8, v5
	v_cndmask_b32_e32 v3, 0, v5, vcc_lo
	s_delay_alu instid0(VALU_DEP_1) | instskip(NEXT) | instid1(VALU_DEP_1)
	v_and_or_b32 v1, 0x80000000, v1, v3
	v_cvt_i32_f32_e32 v1, v1
.LBB23_477:
	s_mov_b32 s42, 0
.LBB23_478:
	s_delay_alu instid0(SALU_CYCLE_1)
	s_and_not1_b32 vcc_lo, exec_lo, s42
	s_cbranch_vccnz .LBB23_480
; %bb.479:
	s_wait_loadcnt 0x0
	global_load_u8 v1, v[6:7], off
	s_wait_loadcnt 0x0
	v_lshlrev_b32_e32 v3, 25, v1
	v_lshlrev_b16 v1, 8, v1
	s_delay_alu instid0(VALU_DEP_1) | instskip(SKIP_1) | instid1(VALU_DEP_2)
	v_and_or_b32 v8, 0x7f00, v1, 0.5
	v_bfe_i32 v1, v1, 0, 16
	v_dual_add_f32 v8, -0.5, v8 :: v_dual_lshrrev_b32 v5, 4, v3
	v_cmp_gt_u32_e32 vcc_lo, 0x8000000, v3
	s_delay_alu instid0(VALU_DEP_2) | instskip(NEXT) | instid1(VALU_DEP_1)
	v_or_b32_e32 v5, 0x70000000, v5
	v_mul_f32_e32 v5, 0x7800000, v5
	s_delay_alu instid0(VALU_DEP_1) | instskip(NEXT) | instid1(VALU_DEP_1)
	v_cndmask_b32_e32 v3, v5, v8, vcc_lo
	v_and_or_b32 v1, 0x80000000, v1, v3
	s_delay_alu instid0(VALU_DEP_1)
	v_cvt_i32_f32_e32 v1, v1
.LBB23_480:
	s_mov_b32 s43, 0
	s_mov_b32 s42, -1
.LBB23_481:
	s_and_not1_b32 vcc_lo, exec_lo, s43
	s_cbranch_vccnz .LBB23_494
; %bb.482:
	s_cmp_gt_i32 s25, 14
	s_cbranch_scc0 .LBB23_485
; %bb.483:
	s_cmp_eq_u32 s25, 15
	s_cbranch_scc0 .LBB23_488
; %bb.484:
	s_wait_loadcnt 0x0
	global_load_u16 v1, v[6:7], off
	s_mov_b32 s42, -1
	s_mov_b32 s24, 0
	s_wait_loadcnt 0x0
	v_lshlrev_b32_e32 v1, 16, v1
	s_delay_alu instid0(VALU_DEP_1)
	v_cvt_i32_f32_e32 v1, v1
	s_branch .LBB23_489
.LBB23_485:
	s_mov_b32 s43, -1
                                        ; implicit-def: $vgpr1
	s_branch .LBB23_490
.LBB23_486:
	s_and_not1_saveexec_b32 s42, s42
	s_cbranch_execz .LBB23_467
.LBB23_487:
	v_cmp_ne_u16_e32 vcc_lo, 0, v3
	s_and_not1_b32 s43, s43, exec_lo
	s_and_b32 s44, vcc_lo, exec_lo
	s_delay_alu instid0(SALU_CYCLE_1)
	s_or_b32 s43, s43, s44
	s_or_b32 exec_lo, exec_lo, s42
	v_mov_b32_e32 v1, 0
	s_and_saveexec_b32 s42, s43
	s_cbranch_execnz .LBB23_468
	s_branch .LBB23_469
.LBB23_488:
	s_mov_b32 s24, -1
                                        ; implicit-def: $vgpr1
.LBB23_489:
	s_mov_b32 s43, 0
.LBB23_490:
	s_delay_alu instid0(SALU_CYCLE_1)
	s_and_b32 vcc_lo, exec_lo, s43
	s_cbranch_vccz .LBB23_494
; %bb.491:
	s_cmp_eq_u32 s25, 11
	s_cbranch_scc0 .LBB23_493
; %bb.492:
	s_wait_loadcnt 0x0
	global_load_u8 v1, v[6:7], off
	s_mov_b32 s24, 0
	s_mov_b32 s42, -1
	s_wait_loadcnt 0x0
	v_cmp_ne_u16_e32 vcc_lo, 0, v1
	v_cndmask_b32_e64 v1, 0, 1, vcc_lo
	s_branch .LBB23_494
.LBB23_493:
	s_mov_b32 s24, -1
                                        ; implicit-def: $vgpr1
.LBB23_494:
	s_branch .LBB23_413
.LBB23_495:
	s_and_b32 s0, 0xffff, s0
	s_delay_alu instid0(SALU_CYCLE_1)
	s_cmp_lt_i32 s0, 5
	s_cbranch_scc1 .LBB23_500
; %bb.496:
	s_cmp_lt_i32 s0, 8
	s_cbranch_scc1 .LBB23_501
; %bb.497:
	s_cmp_lt_i32 s0, 9
	s_cbranch_scc1 .LBB23_502
; %bb.498:
	s_cmp_gt_i32 s0, 9
	s_cbranch_scc0 .LBB23_503
; %bb.499:
	global_load_b64 v[8:9], v[6:7], off
	s_mov_b32 s25, 0
	s_wait_loadcnt 0x0
	v_cvt_i32_f64_e32 v1, v[8:9]
	s_branch .LBB23_504
.LBB23_500:
	s_mov_b32 s25, -1
                                        ; implicit-def: $vgpr1
	s_branch .LBB23_522
.LBB23_501:
	s_mov_b32 s25, -1
                                        ; implicit-def: $vgpr1
	s_branch .LBB23_510
.LBB23_502:
	s_mov_b32 s25, -1
                                        ; implicit-def: $vgpr1
	s_branch .LBB23_507
.LBB23_503:
	s_mov_b32 s25, -1
                                        ; implicit-def: $vgpr1
.LBB23_504:
	s_delay_alu instid0(SALU_CYCLE_1)
	s_and_not1_b32 vcc_lo, exec_lo, s25
	s_cbranch_vccnz .LBB23_506
; %bb.505:
	s_wait_loadcnt 0x0
	global_load_b32 v1, v[6:7], off
	s_wait_loadcnt 0x0
	v_cvt_i32_f32_e32 v1, v1
.LBB23_506:
	s_mov_b32 s25, 0
.LBB23_507:
	s_delay_alu instid0(SALU_CYCLE_1)
	s_and_not1_b32 vcc_lo, exec_lo, s25
	s_cbranch_vccnz .LBB23_509
; %bb.508:
	s_wait_loadcnt 0x0
	global_load_b32 v1, v[6:7], off
	s_wait_loadcnt 0x0
	v_cvt_f32_f16_e32 v1, v1
	s_delay_alu instid0(VALU_DEP_1)
	v_cvt_i32_f32_e32 v1, v1
.LBB23_509:
	s_mov_b32 s25, 0
.LBB23_510:
	s_delay_alu instid0(SALU_CYCLE_1)
	s_and_not1_b32 vcc_lo, exec_lo, s25
	s_cbranch_vccnz .LBB23_521
; %bb.511:
	s_cmp_lt_i32 s0, 6
	s_cbranch_scc1 .LBB23_514
; %bb.512:
	s_cmp_gt_i32 s0, 6
	s_cbranch_scc0 .LBB23_515
; %bb.513:
	global_load_b64 v[8:9], v[6:7], off
	s_mov_b32 s25, 0
	s_wait_loadcnt 0x0
	v_cvt_i32_f64_e32 v1, v[8:9]
	s_branch .LBB23_516
.LBB23_514:
	s_mov_b32 s25, -1
                                        ; implicit-def: $vgpr1
	s_branch .LBB23_519
.LBB23_515:
	s_mov_b32 s25, -1
                                        ; implicit-def: $vgpr1
.LBB23_516:
	s_delay_alu instid0(SALU_CYCLE_1)
	s_and_not1_b32 vcc_lo, exec_lo, s25
	s_cbranch_vccnz .LBB23_518
; %bb.517:
	s_wait_loadcnt 0x0
	global_load_b32 v1, v[6:7], off
	s_wait_loadcnt 0x0
	v_cvt_i32_f32_e32 v1, v1
.LBB23_518:
	s_mov_b32 s25, 0
.LBB23_519:
	s_delay_alu instid0(SALU_CYCLE_1)
	s_and_not1_b32 vcc_lo, exec_lo, s25
	s_cbranch_vccnz .LBB23_521
; %bb.520:
	s_wait_loadcnt 0x0
	global_load_u16 v1, v[6:7], off
	s_wait_loadcnt 0x0
	v_cvt_f32_f16_e32 v1, v1
	s_delay_alu instid0(VALU_DEP_1)
	v_cvt_i32_f32_e32 v1, v1
.LBB23_521:
	s_mov_b32 s25, 0
.LBB23_522:
	s_delay_alu instid0(SALU_CYCLE_1)
	s_and_not1_b32 vcc_lo, exec_lo, s25
	s_cbranch_vccnz .LBB23_542
; %bb.523:
	s_cmp_lt_i32 s0, 2
	s_cbranch_scc1 .LBB23_527
; %bb.524:
	s_cmp_lt_i32 s0, 3
	s_cbranch_scc1 .LBB23_528
; %bb.525:
	s_cmp_gt_i32 s0, 3
	s_cbranch_scc0 .LBB23_529
; %bb.526:
	s_wait_loadcnt 0x0
	global_load_b32 v1, v[6:7], off
	s_mov_b32 s25, 0
	s_branch .LBB23_530
.LBB23_527:
	s_mov_b32 s25, -1
                                        ; implicit-def: $vgpr1
	s_branch .LBB23_536
.LBB23_528:
	s_mov_b32 s25, -1
                                        ; implicit-def: $vgpr1
	s_branch .LBB23_533
.LBB23_529:
	s_mov_b32 s25, -1
                                        ; implicit-def: $vgpr1
.LBB23_530:
	s_delay_alu instid0(SALU_CYCLE_1)
	s_and_not1_b32 vcc_lo, exec_lo, s25
	s_cbranch_vccnz .LBB23_532
; %bb.531:
	s_wait_loadcnt 0x0
	global_load_b32 v1, v[6:7], off
.LBB23_532:
	s_mov_b32 s25, 0
.LBB23_533:
	s_delay_alu instid0(SALU_CYCLE_1)
	s_and_not1_b32 vcc_lo, exec_lo, s25
	s_cbranch_vccnz .LBB23_535
; %bb.534:
	s_wait_loadcnt 0x0
	global_load_i16 v1, v[6:7], off
.LBB23_535:
	s_mov_b32 s25, 0
.LBB23_536:
	s_delay_alu instid0(SALU_CYCLE_1)
	s_and_not1_b32 vcc_lo, exec_lo, s25
	s_cbranch_vccnz .LBB23_542
; %bb.537:
	s_cmp_gt_i32 s0, 0
	s_mov_b32 s0, 0
	s_cbranch_scc0 .LBB23_539
; %bb.538:
	s_wait_loadcnt 0x0
	global_load_i8 v1, v[6:7], off
	s_branch .LBB23_540
.LBB23_539:
	s_mov_b32 s0, -1
                                        ; implicit-def: $vgpr1
.LBB23_540:
	s_delay_alu instid0(SALU_CYCLE_1)
	s_and_not1_b32 vcc_lo, exec_lo, s0
	s_cbranch_vccnz .LBB23_542
; %bb.541:
	s_wait_loadcnt 0x0
	global_load_u8 v1, v[6:7], off
.LBB23_542:
	s_branch .LBB23_414
.LBB23_543:
	s_mov_b32 s46, 0
	s_mov_b32 s0, s38
	;; [unrolled: 1-line block ×3, first 2 shown]
	s_branch .LBB23_787
.LBB23_544:
	s_and_not1_saveexec_b32 s43, s43
	s_cbranch_execz .LBB23_204
.LBB23_545:
	v_add_f32_e32 v1, 0x42800000, v5
	s_and_not1_b32 s42, s42, exec_lo
	s_delay_alu instid0(VALU_DEP_1) | instskip(NEXT) | instid1(VALU_DEP_1)
	v_and_b32_e32 v1, 0xff, v1
	v_cmp_ne_u32_e32 vcc_lo, 0, v1
	s_and_b32 s44, vcc_lo, exec_lo
	s_delay_alu instid0(SALU_CYCLE_1)
	s_or_b32 s42, s42, s44
	s_or_b32 exec_lo, exec_lo, s43
	v_mov_b32_e32 v6, 0
	s_and_saveexec_b32 s43, s42
	s_cbranch_execnz .LBB23_205
	s_branch .LBB23_206
.LBB23_546:
	s_mov_b32 s25, -1
	s_mov_b32 s43, 0
.LBB23_547:
                                        ; implicit-def: $vgpr3
.LBB23_548:
	s_and_b32 vcc_lo, exec_lo, s44
	s_cbranch_vccz .LBB23_552
; %bb.549:
	s_cmp_eq_u32 s42, 44
	s_cbranch_scc0 .LBB23_551
; %bb.550:
	s_wait_loadcnt 0x0
	global_load_u8 v3, v[4:5], off
	s_mov_b32 s25, 0
	s_mov_b32 s43, -1
	s_wait_loadcnt 0x0
	s_wait_xcnt 0x1
	v_lshlrev_b32_e32 v6, 23, v3
	v_cmp_ne_u32_e32 vcc_lo, 0, v3
	s_delay_alu instid0(VALU_DEP_2) | instskip(NEXT) | instid1(VALU_DEP_1)
	v_cvt_i32_f32_e32 v6, v6
	v_cndmask_b32_e32 v3, 0, v6, vcc_lo
	s_branch .LBB23_552
.LBB23_551:
	s_mov_b32 s25, -1
                                        ; implicit-def: $vgpr3
.LBB23_552:
	s_mov_b32 s44, 0
.LBB23_553:
	s_delay_alu instid0(SALU_CYCLE_1)
	s_and_b32 vcc_lo, exec_lo, s44
	s_cbranch_vccz .LBB23_557
; %bb.554:
	s_cmp_eq_u32 s42, 29
	s_cbranch_scc0 .LBB23_556
; %bb.555:
	s_wait_loadcnt 0x0
	global_load_b32 v3, v[4:5], off
	s_mov_b32 s43, -1
	s_mov_b32 s25, 0
	s_branch .LBB23_557
.LBB23_556:
	s_mov_b32 s25, -1
                                        ; implicit-def: $vgpr3
.LBB23_557:
	s_mov_b32 s44, 0
.LBB23_558:
	s_delay_alu instid0(SALU_CYCLE_1)
	s_and_b32 vcc_lo, exec_lo, s44
	s_cbranch_vccz .LBB23_574
; %bb.559:
	s_cmp_lt_i32 s42, 27
	s_cbranch_scc1 .LBB23_562
; %bb.560:
	s_cmp_gt_i32 s42, 27
	s_cbranch_scc0 .LBB23_563
; %bb.561:
	s_wait_loadcnt 0x0
	global_load_b32 v3, v[4:5], off
	s_mov_b32 s43, 0
	s_branch .LBB23_564
.LBB23_562:
	s_mov_b32 s43, -1
                                        ; implicit-def: $vgpr3
	s_branch .LBB23_567
.LBB23_563:
	s_mov_b32 s43, -1
                                        ; implicit-def: $vgpr3
.LBB23_564:
	s_delay_alu instid0(SALU_CYCLE_1)
	s_and_not1_b32 vcc_lo, exec_lo, s43
	s_cbranch_vccnz .LBB23_566
; %bb.565:
	s_wait_loadcnt 0x0
	global_load_u16 v3, v[4:5], off
.LBB23_566:
	s_mov_b32 s43, 0
.LBB23_567:
	s_delay_alu instid0(SALU_CYCLE_1)
	s_and_not1_b32 vcc_lo, exec_lo, s43
	s_cbranch_vccnz .LBB23_573
; %bb.568:
	global_load_u8 v6, v[4:5], off
	s_mov_b32 s44, 0
	s_mov_b32 s43, exec_lo
	s_wait_loadcnt 0x0
	v_cmpx_lt_i16_e32 0x7f, v6
	s_xor_b32 s43, exec_lo, s43
	s_cbranch_execz .LBB23_585
; %bb.569:
	v_cmp_ne_u16_e32 vcc_lo, 0x80, v6
	s_and_b32 s44, vcc_lo, exec_lo
	s_and_not1_saveexec_b32 s43, s43
	s_cbranch_execnz .LBB23_586
.LBB23_570:
	s_or_b32 exec_lo, exec_lo, s43
	v_mov_b32_e32 v3, 0
	s_and_saveexec_b32 s43, s44
	s_cbranch_execz .LBB23_572
.LBB23_571:
	v_and_b32_e32 v3, 0xffff, v6
	s_delay_alu instid0(VALU_DEP_1) | instskip(SKIP_1) | instid1(VALU_DEP_2)
	v_and_b32_e32 v7, 7, v3
	v_bfe_u32 v10, v3, 3, 4
	v_clz_i32_u32_e32 v8, v7
	s_delay_alu instid0(VALU_DEP_2) | instskip(NEXT) | instid1(VALU_DEP_2)
	v_cmp_eq_u32_e32 vcc_lo, 0, v10
	v_min_u32_e32 v8, 32, v8
	s_delay_alu instid0(VALU_DEP_1) | instskip(NEXT) | instid1(VALU_DEP_1)
	v_subrev_nc_u32_e32 v9, 28, v8
	v_dual_lshlrev_b32 v3, v9, v3 :: v_dual_sub_nc_u32 v8, 29, v8
	s_delay_alu instid0(VALU_DEP_1) | instskip(NEXT) | instid1(VALU_DEP_1)
	v_dual_lshlrev_b32 v6, 24, v6 :: v_dual_bitop2_b32 v3, 7, v3 bitop3:0x40
	v_dual_cndmask_b32 v8, v10, v8 :: v_dual_cndmask_b32 v3, v7, v3
	s_delay_alu instid0(VALU_DEP_2) | instskip(NEXT) | instid1(VALU_DEP_2)
	v_and_b32_e32 v6, 0x80000000, v6
	v_lshl_add_u32 v7, v8, 23, 0x3b800000
	s_delay_alu instid0(VALU_DEP_3) | instskip(NEXT) | instid1(VALU_DEP_1)
	v_lshlrev_b32_e32 v3, 20, v3
	v_or3_b32 v3, v6, v7, v3
	s_delay_alu instid0(VALU_DEP_1)
	v_cvt_i32_f32_e32 v3, v3
.LBB23_572:
	s_or_b32 exec_lo, exec_lo, s43
.LBB23_573:
	s_mov_b32 s43, -1
.LBB23_574:
	s_mov_b32 s44, 0
.LBB23_575:
	s_delay_alu instid0(SALU_CYCLE_1)
	s_and_b32 vcc_lo, exec_lo, s44
	s_cbranch_vccz .LBB23_608
; %bb.576:
	s_cmp_gt_i32 s42, 22
	s_cbranch_scc0 .LBB23_584
; %bb.577:
	s_cmp_lt_i32 s42, 24
	s_cbranch_scc1 .LBB23_587
; %bb.578:
	s_cmp_gt_i32 s42, 24
	s_cbranch_scc0 .LBB23_588
; %bb.579:
	global_load_u8 v6, v[4:5], off
	s_mov_b32 s44, 0
	s_mov_b32 s43, exec_lo
	s_wait_loadcnt 0x0
	v_cmpx_lt_i16_e32 0x7f, v6
	s_xor_b32 s43, exec_lo, s43
	s_cbranch_execz .LBB23_600
; %bb.580:
	v_cmp_ne_u16_e32 vcc_lo, 0x80, v6
	s_and_b32 s44, vcc_lo, exec_lo
	s_and_not1_saveexec_b32 s43, s43
	s_cbranch_execnz .LBB23_601
.LBB23_581:
	s_or_b32 exec_lo, exec_lo, s43
	v_mov_b32_e32 v3, 0
	s_and_saveexec_b32 s43, s44
	s_cbranch_execz .LBB23_583
.LBB23_582:
	v_and_b32_e32 v3, 0xffff, v6
	s_delay_alu instid0(VALU_DEP_1) | instskip(SKIP_1) | instid1(VALU_DEP_2)
	v_and_b32_e32 v7, 3, v3
	v_bfe_u32 v10, v3, 2, 5
	v_clz_i32_u32_e32 v8, v7
	s_delay_alu instid0(VALU_DEP_2) | instskip(NEXT) | instid1(VALU_DEP_2)
	v_cmp_eq_u32_e32 vcc_lo, 0, v10
	v_min_u32_e32 v8, 32, v8
	s_delay_alu instid0(VALU_DEP_1) | instskip(NEXT) | instid1(VALU_DEP_1)
	v_subrev_nc_u32_e32 v9, 29, v8
	v_dual_lshlrev_b32 v3, v9, v3 :: v_dual_sub_nc_u32 v8, 30, v8
	s_delay_alu instid0(VALU_DEP_1) | instskip(NEXT) | instid1(VALU_DEP_1)
	v_dual_lshlrev_b32 v6, 24, v6 :: v_dual_bitop2_b32 v3, 3, v3 bitop3:0x40
	v_dual_cndmask_b32 v8, v10, v8 :: v_dual_cndmask_b32 v3, v7, v3
	s_delay_alu instid0(VALU_DEP_2) | instskip(NEXT) | instid1(VALU_DEP_2)
	v_and_b32_e32 v6, 0x80000000, v6
	v_lshl_add_u32 v7, v8, 23, 0x37800000
	s_delay_alu instid0(VALU_DEP_3) | instskip(NEXT) | instid1(VALU_DEP_1)
	v_lshlrev_b32_e32 v3, 21, v3
	v_or3_b32 v3, v6, v7, v3
	s_delay_alu instid0(VALU_DEP_1)
	v_cvt_i32_f32_e32 v3, v3
.LBB23_583:
	s_or_b32 exec_lo, exec_lo, s43
	s_mov_b32 s43, 0
	s_branch .LBB23_589
.LBB23_584:
	s_mov_b32 s44, -1
                                        ; implicit-def: $vgpr3
	s_branch .LBB23_595
.LBB23_585:
	s_and_not1_saveexec_b32 s43, s43
	s_cbranch_execz .LBB23_570
.LBB23_586:
	v_cmp_ne_u16_e32 vcc_lo, 0, v6
	s_and_not1_b32 s44, s44, exec_lo
	s_and_b32 s46, vcc_lo, exec_lo
	s_delay_alu instid0(SALU_CYCLE_1)
	s_or_b32 s44, s44, s46
	s_or_b32 exec_lo, exec_lo, s43
	v_mov_b32_e32 v3, 0
	s_and_saveexec_b32 s43, s44
	s_cbranch_execnz .LBB23_571
	s_branch .LBB23_572
.LBB23_587:
	s_mov_b32 s43, -1
                                        ; implicit-def: $vgpr3
	s_branch .LBB23_592
.LBB23_588:
	s_mov_b32 s43, -1
                                        ; implicit-def: $vgpr3
.LBB23_589:
	s_delay_alu instid0(SALU_CYCLE_1)
	s_and_b32 vcc_lo, exec_lo, s43
	s_cbranch_vccz .LBB23_591
; %bb.590:
	s_wait_loadcnt 0x0
	global_load_u8 v3, v[4:5], off
	s_wait_loadcnt 0x0
	v_lshlrev_b32_e32 v3, 24, v3
	s_wait_xcnt 0x1
	s_delay_alu instid0(VALU_DEP_1) | instskip(NEXT) | instid1(VALU_DEP_1)
	v_and_b32_e32 v6, 0x7f000000, v3
	v_clz_i32_u32_e32 v7, v6
	v_cmp_ne_u32_e32 vcc_lo, 0, v6
	v_add_nc_u32_e32 v9, 0x1000000, v6
	s_delay_alu instid0(VALU_DEP_3) | instskip(NEXT) | instid1(VALU_DEP_1)
	v_min_u32_e32 v7, 32, v7
	v_sub_nc_u32_e64 v7, v7, 4 clamp
	s_delay_alu instid0(VALU_DEP_1) | instskip(NEXT) | instid1(VALU_DEP_1)
	v_dual_lshlrev_b32 v8, v7, v6 :: v_dual_lshlrev_b32 v7, 23, v7
	v_lshrrev_b32_e32 v8, 4, v8
	s_delay_alu instid0(VALU_DEP_1) | instskip(NEXT) | instid1(VALU_DEP_1)
	v_dual_sub_nc_u32 v7, v8, v7 :: v_dual_ashrrev_i32 v8, 8, v9
	v_add_nc_u32_e32 v7, 0x3c000000, v7
	s_delay_alu instid0(VALU_DEP_1) | instskip(NEXT) | instid1(VALU_DEP_1)
	v_and_or_b32 v7, 0x7f800000, v8, v7
	v_cndmask_b32_e32 v6, 0, v7, vcc_lo
	s_delay_alu instid0(VALU_DEP_1) | instskip(NEXT) | instid1(VALU_DEP_1)
	v_and_or_b32 v3, 0x80000000, v3, v6
	v_cvt_i32_f32_e32 v3, v3
.LBB23_591:
	s_mov_b32 s43, 0
.LBB23_592:
	s_delay_alu instid0(SALU_CYCLE_1)
	s_and_not1_b32 vcc_lo, exec_lo, s43
	s_cbranch_vccnz .LBB23_594
; %bb.593:
	s_wait_loadcnt 0x0
	global_load_u8 v3, v[4:5], off
	s_wait_loadcnt 0x0
	s_wait_xcnt 0x1
	v_lshlrev_b32_e32 v6, 25, v3
	v_lshlrev_b16 v3, 8, v3
	s_delay_alu instid0(VALU_DEP_1) | instskip(SKIP_1) | instid1(VALU_DEP_2)
	v_and_or_b32 v8, 0x7f00, v3, 0.5
	v_bfe_i32 v3, v3, 0, 16
	v_dual_add_f32 v8, -0.5, v8 :: v_dual_lshrrev_b32 v7, 4, v6
	v_cmp_gt_u32_e32 vcc_lo, 0x8000000, v6
	s_delay_alu instid0(VALU_DEP_2) | instskip(NEXT) | instid1(VALU_DEP_1)
	v_or_b32_e32 v7, 0x70000000, v7
	v_mul_f32_e32 v7, 0x7800000, v7
	s_delay_alu instid0(VALU_DEP_1) | instskip(NEXT) | instid1(VALU_DEP_1)
	v_cndmask_b32_e32 v6, v7, v8, vcc_lo
	v_and_or_b32 v3, 0x80000000, v3, v6
	s_delay_alu instid0(VALU_DEP_1)
	v_cvt_i32_f32_e32 v3, v3
.LBB23_594:
	s_mov_b32 s44, 0
	s_mov_b32 s43, -1
.LBB23_595:
	s_and_not1_b32 vcc_lo, exec_lo, s44
	s_cbranch_vccnz .LBB23_608
; %bb.596:
	s_cmp_gt_i32 s42, 14
	s_cbranch_scc0 .LBB23_599
; %bb.597:
	s_cmp_eq_u32 s42, 15
	s_cbranch_scc0 .LBB23_602
; %bb.598:
	s_wait_loadcnt 0x0
	global_load_u16 v3, v[4:5], off
	s_mov_b32 s43, -1
	s_mov_b32 s25, 0
	s_wait_loadcnt 0x0
	v_lshlrev_b32_e32 v3, 16, v3
	s_delay_alu instid0(VALU_DEP_1)
	v_cvt_i32_f32_e32 v3, v3
	s_branch .LBB23_603
.LBB23_599:
	s_mov_b32 s44, -1
                                        ; implicit-def: $vgpr3
	s_branch .LBB23_604
.LBB23_600:
	s_and_not1_saveexec_b32 s43, s43
	s_cbranch_execz .LBB23_581
.LBB23_601:
	v_cmp_ne_u16_e32 vcc_lo, 0, v6
	s_and_not1_b32 s44, s44, exec_lo
	s_and_b32 s46, vcc_lo, exec_lo
	s_delay_alu instid0(SALU_CYCLE_1)
	s_or_b32 s44, s44, s46
	s_or_b32 exec_lo, exec_lo, s43
	v_mov_b32_e32 v3, 0
	s_and_saveexec_b32 s43, s44
	s_cbranch_execnz .LBB23_582
	s_branch .LBB23_583
.LBB23_602:
	s_mov_b32 s25, -1
                                        ; implicit-def: $vgpr3
.LBB23_603:
	s_mov_b32 s44, 0
.LBB23_604:
	s_delay_alu instid0(SALU_CYCLE_1)
	s_and_b32 vcc_lo, exec_lo, s44
	s_cbranch_vccz .LBB23_608
; %bb.605:
	s_cmp_eq_u32 s42, 11
	s_cbranch_scc0 .LBB23_607
; %bb.606:
	s_wait_loadcnt 0x0
	global_load_u8 v3, v[4:5], off
	s_mov_b32 s25, 0
	s_mov_b32 s43, -1
	s_wait_loadcnt 0x0
	v_cmp_ne_u16_e32 vcc_lo, 0, v3
	v_cndmask_b32_e64 v3, 0, 1, vcc_lo
	s_branch .LBB23_608
.LBB23_607:
	s_mov_b32 s25, -1
                                        ; implicit-def: $vgpr3
.LBB23_608:
	s_mov_b32 s42, 0
.LBB23_609:
	s_delay_alu instid0(SALU_CYCLE_1)
	s_and_b32 vcc_lo, exec_lo, s42
	s_cbranch_vccz .LBB23_658
; %bb.610:
	s_and_b32 s0, 0xffff, s0
	s_delay_alu instid0(SALU_CYCLE_1)
	s_cmp_lt_i32 s0, 5
	s_cbranch_scc1 .LBB23_615
; %bb.611:
	s_cmp_lt_i32 s0, 8
	s_cbranch_scc1 .LBB23_616
; %bb.612:
	s_cmp_lt_i32 s0, 9
	s_cbranch_scc1 .LBB23_617
; %bb.613:
	s_cmp_gt_i32 s0, 9
	s_cbranch_scc0 .LBB23_618
; %bb.614:
	global_load_b64 v[6:7], v[4:5], off
	s_mov_b32 s42, 0
	s_wait_loadcnt 0x0
	v_cvt_i32_f64_e32 v3, v[6:7]
	s_branch .LBB23_619
.LBB23_615:
	s_mov_b32 s42, -1
                                        ; implicit-def: $vgpr3
	s_branch .LBB23_637
.LBB23_616:
	s_mov_b32 s42, -1
                                        ; implicit-def: $vgpr3
	s_branch .LBB23_625
.LBB23_617:
	s_mov_b32 s42, -1
                                        ; implicit-def: $vgpr3
	s_branch .LBB23_622
.LBB23_618:
	s_mov_b32 s42, -1
                                        ; implicit-def: $vgpr3
.LBB23_619:
	s_delay_alu instid0(SALU_CYCLE_1)
	s_and_not1_b32 vcc_lo, exec_lo, s42
	s_cbranch_vccnz .LBB23_621
; %bb.620:
	s_wait_loadcnt 0x0
	global_load_b32 v3, v[4:5], off
	s_wait_loadcnt 0x0
	v_cvt_i32_f32_e32 v3, v3
.LBB23_621:
	s_mov_b32 s42, 0
.LBB23_622:
	s_delay_alu instid0(SALU_CYCLE_1)
	s_and_not1_b32 vcc_lo, exec_lo, s42
	s_cbranch_vccnz .LBB23_624
; %bb.623:
	s_wait_loadcnt 0x0
	global_load_b32 v3, v[4:5], off
	s_wait_loadcnt 0x0
	v_cvt_f32_f16_e32 v3, v3
	s_delay_alu instid0(VALU_DEP_1)
	v_cvt_i32_f32_e32 v3, v3
.LBB23_624:
	s_mov_b32 s42, 0
.LBB23_625:
	s_delay_alu instid0(SALU_CYCLE_1)
	s_and_not1_b32 vcc_lo, exec_lo, s42
	s_cbranch_vccnz .LBB23_636
; %bb.626:
	s_cmp_lt_i32 s0, 6
	s_cbranch_scc1 .LBB23_629
; %bb.627:
	s_cmp_gt_i32 s0, 6
	s_cbranch_scc0 .LBB23_630
; %bb.628:
	global_load_b64 v[6:7], v[4:5], off
	s_mov_b32 s42, 0
	s_wait_loadcnt 0x0
	v_cvt_i32_f64_e32 v3, v[6:7]
	s_branch .LBB23_631
.LBB23_629:
	s_mov_b32 s42, -1
                                        ; implicit-def: $vgpr3
	s_branch .LBB23_634
.LBB23_630:
	s_mov_b32 s42, -1
                                        ; implicit-def: $vgpr3
.LBB23_631:
	s_delay_alu instid0(SALU_CYCLE_1)
	s_and_not1_b32 vcc_lo, exec_lo, s42
	s_cbranch_vccnz .LBB23_633
; %bb.632:
	s_wait_loadcnt 0x0
	global_load_b32 v3, v[4:5], off
	s_wait_loadcnt 0x0
	v_cvt_i32_f32_e32 v3, v3
.LBB23_633:
	s_mov_b32 s42, 0
.LBB23_634:
	s_delay_alu instid0(SALU_CYCLE_1)
	s_and_not1_b32 vcc_lo, exec_lo, s42
	s_cbranch_vccnz .LBB23_636
; %bb.635:
	s_wait_loadcnt 0x0
	global_load_u16 v3, v[4:5], off
	s_wait_loadcnt 0x0
	v_cvt_f32_f16_e32 v3, v3
	s_delay_alu instid0(VALU_DEP_1)
	v_cvt_i32_f32_e32 v3, v3
.LBB23_636:
	s_mov_b32 s42, 0
.LBB23_637:
	s_delay_alu instid0(SALU_CYCLE_1)
	s_and_not1_b32 vcc_lo, exec_lo, s42
	s_cbranch_vccnz .LBB23_657
; %bb.638:
	s_cmp_lt_i32 s0, 2
	s_cbranch_scc1 .LBB23_642
; %bb.639:
	s_cmp_lt_i32 s0, 3
	s_cbranch_scc1 .LBB23_643
; %bb.640:
	s_cmp_gt_i32 s0, 3
	s_cbranch_scc0 .LBB23_644
; %bb.641:
	s_wait_loadcnt 0x0
	global_load_b32 v3, v[4:5], off
	s_mov_b32 s42, 0
	s_branch .LBB23_645
.LBB23_642:
	s_mov_b32 s42, -1
                                        ; implicit-def: $vgpr3
	s_branch .LBB23_651
.LBB23_643:
	s_mov_b32 s42, -1
                                        ; implicit-def: $vgpr3
	s_branch .LBB23_648
.LBB23_644:
	s_mov_b32 s42, -1
                                        ; implicit-def: $vgpr3
.LBB23_645:
	s_delay_alu instid0(SALU_CYCLE_1)
	s_and_not1_b32 vcc_lo, exec_lo, s42
	s_cbranch_vccnz .LBB23_647
; %bb.646:
	s_wait_loadcnt 0x0
	global_load_b32 v3, v[4:5], off
.LBB23_647:
	s_mov_b32 s42, 0
.LBB23_648:
	s_delay_alu instid0(SALU_CYCLE_1)
	s_and_not1_b32 vcc_lo, exec_lo, s42
	s_cbranch_vccnz .LBB23_650
; %bb.649:
	s_wait_loadcnt 0x0
	global_load_i16 v3, v[4:5], off
.LBB23_650:
	s_mov_b32 s42, 0
.LBB23_651:
	s_delay_alu instid0(SALU_CYCLE_1)
	s_and_not1_b32 vcc_lo, exec_lo, s42
	s_cbranch_vccnz .LBB23_657
; %bb.652:
	s_cmp_gt_i32 s0, 0
	s_mov_b32 s0, 0
	s_cbranch_scc0 .LBB23_654
; %bb.653:
	s_wait_loadcnt 0x0
	global_load_i8 v3, v[4:5], off
	s_branch .LBB23_655
.LBB23_654:
	s_mov_b32 s0, -1
                                        ; implicit-def: $vgpr3
.LBB23_655:
	s_delay_alu instid0(SALU_CYCLE_1)
	s_and_not1_b32 vcc_lo, exec_lo, s0
	s_cbranch_vccnz .LBB23_657
; %bb.656:
	s_wait_loadcnt 0x0
	global_load_u8 v3, v[4:5], off
.LBB23_657:
	s_mov_b32 s43, -1
.LBB23_658:
	s_delay_alu instid0(SALU_CYCLE_1)
	s_and_not1_b32 vcc_lo, exec_lo, s43
	s_cbranch_vccnz .LBB23_670
; %bb.659:
	s_wait_loadcnt 0x0
	s_delay_alu instid0(VALU_DEP_1) | instskip(SKIP_2) | instid1(VALU_DEP_1)
	v_sub_nc_u32_e32 v4, 0, v3
	s_mov_b32 s42, 0
	s_mov_b32 s0, exec_lo
	v_max_i32_e32 v4, v3, v4
	v_cmpx_ne_u32_e32 0, v1
	s_cbranch_execz .LBB23_663
; %bb.660:
	v_sub_nc_u32_e32 v3, 0, v1
	s_delay_alu instid0(VALU_DEP_1)
	v_max_i32_e32 v3, v1, v3
.LBB23_661:                             ; =>This Inner Loop Header: Depth=1
	s_delay_alu instid0(VALU_DEP_1) | instskip(NEXT) | instid1(VALU_DEP_1)
	v_mov_b32_e32 v1, v3
	v_cvt_f32_u32_e32 v3, v1
	v_sub_nc_u32_e32 v5, 0, v1
	s_delay_alu instid0(VALU_DEP_2) | instskip(SKIP_1) | instid1(TRANS32_DEP_1)
	v_rcp_iflag_f32_e32 v3, v3
	v_nop
	v_mul_f32_e32 v3, 0x4f7ffffe, v3
	s_delay_alu instid0(VALU_DEP_1) | instskip(NEXT) | instid1(VALU_DEP_1)
	v_cvt_u32_f32_e32 v3, v3
	v_mul_lo_u32 v5, v5, v3
	s_delay_alu instid0(VALU_DEP_1) | instskip(NEXT) | instid1(VALU_DEP_1)
	v_mul_hi_u32 v5, v3, v5
	v_add_nc_u32_e32 v3, v3, v5
	s_delay_alu instid0(VALU_DEP_1) | instskip(NEXT) | instid1(VALU_DEP_1)
	v_mul_hi_u32 v3, v4, v3
	v_mul_lo_u32 v3, v3, v1
	s_delay_alu instid0(VALU_DEP_1) | instskip(NEXT) | instid1(VALU_DEP_1)
	v_sub_nc_u32_e32 v3, v4, v3
	v_sub_nc_u32_e32 v4, v3, v1
	v_cmp_ge_u32_e32 vcc_lo, v3, v1
	s_delay_alu instid0(VALU_DEP_2) | instskip(NEXT) | instid1(VALU_DEP_1)
	v_cndmask_b32_e32 v3, v3, v4, vcc_lo
	v_sub_nc_u32_e32 v4, v3, v1
	v_cmp_ge_u32_e32 vcc_lo, v3, v1
	s_delay_alu instid0(VALU_DEP_2) | instskip(NEXT) | instid1(VALU_DEP_1)
	v_dual_cndmask_b32 v3, v3, v4 :: v_dual_mov_b32 v4, v1
	v_cmp_eq_u32_e32 vcc_lo, 0, v3
	s_or_b32 s42, vcc_lo, s42
	s_delay_alu instid0(SALU_CYCLE_1)
	s_and_not1_b32 exec_lo, exec_lo, s42
	s_cbranch_execnz .LBB23_661
; %bb.662:
	s_or_b32 exec_lo, exec_lo, s42
	v_mov_b32_e32 v4, v1
.LBB23_663:
	s_or_b32 exec_lo, exec_lo, s0
	v_mov_b32_e32 v3, 0
	s_and_b32 s42, s31, 0xff
	s_delay_alu instid0(SALU_CYCLE_1) | instskip(NEXT) | instid1(VALU_DEP_1)
	s_cmp_lt_i32 s42, 11
	v_add_nc_u64_e32 v[2:3], s[4:5], v[2:3]
	s_cbranch_scc1 .LBB23_671
; %bb.664:
	s_and_b32 s43, 0xffff, s42
	s_delay_alu instid0(SALU_CYCLE_1)
	s_cmp_gt_i32 s43, 25
	s_cbranch_scc0 .LBB23_672
; %bb.665:
	s_cmp_gt_i32 s43, 28
	s_cbranch_scc0 .LBB23_673
; %bb.666:
	;; [unrolled: 3-line block ×4, first 2 shown]
	s_mov_b32 s46, 0
	s_mov_b32 s0, -1
	s_cmp_eq_u32 s43, 46
	s_mov_b32 s44, 0
	s_cbranch_scc0 .LBB23_676
; %bb.669:
	v_cvt_f32_u32_e32 v1, v4
	s_mov_b32 s44, -1
	s_mov_b32 s0, 0
	s_delay_alu instid0(VALU_DEP_1) | instskip(NEXT) | instid1(VALU_DEP_1)
	v_bfe_u32 v5, v1, 16, 1
	v_add3_u32 v1, v1, v5, 0x7fff
	s_delay_alu instid0(VALU_DEP_1)
	v_lshrrev_b32_e32 v1, 16, v1
	global_store_b32 v[2:3], v1, off
	s_branch .LBB23_676
.LBB23_670:
	s_mov_b32 s46, 0
	s_mov_b32 s0, s38
	s_branch .LBB23_787
.LBB23_671:
	s_mov_b32 s43, -1
	s_mov_b32 s44, 0
	s_mov_b32 s0, s38
	s_branch .LBB23_745
.LBB23_672:
	s_mov_b32 s46, -1
	s_mov_b32 s44, 0
	s_mov_b32 s0, s38
	s_branch .LBB23_703
.LBB23_673:
	s_mov_b32 s46, -1
	s_mov_b32 s44, 0
	s_mov_b32 s0, s38
	s_branch .LBB23_686
.LBB23_674:
	s_mov_b32 s46, -1
	s_mov_b32 s44, 0
	s_mov_b32 s0, s38
	s_branch .LBB23_682
.LBB23_675:
	s_mov_b32 s46, -1
	s_mov_b32 s44, 0
	s_mov_b32 s0, s38
.LBB23_676:
	s_and_b32 vcc_lo, exec_lo, s46
	s_cbranch_vccz .LBB23_681
; %bb.677:
	s_cmp_eq_u32 s43, 44
	s_mov_b32 s0, -1
	s_cbranch_scc0 .LBB23_681
; %bb.678:
	v_cvt_f32_u32_e32 v6, v4
	v_mov_b32_e32 v5, 0xff
	s_mov_b32 s44, exec_lo
	s_wait_xcnt 0x0
	s_delay_alu instid0(VALU_DEP_2) | instskip(NEXT) | instid1(VALU_DEP_1)
	v_lshrrev_b32_e32 v1, 23, v6
	v_cmpx_ne_u32_e32 0xff, v1
; %bb.679:
	v_and_b32_e32 v5, 0x400000, v6
	v_and_or_b32 v6, 0x3fffff, v6, v1
	s_delay_alu instid0(VALU_DEP_2) | instskip(NEXT) | instid1(VALU_DEP_2)
	v_cmp_ne_u32_e32 vcc_lo, 0, v5
	v_cmp_ne_u32_e64 s0, 0, v6
	s_and_b32 s0, vcc_lo, s0
	s_delay_alu instid0(SALU_CYCLE_1) | instskip(NEXT) | instid1(VALU_DEP_1)
	v_cndmask_b32_e64 v5, 0, 1, s0
	v_add_nc_u32_e32 v5, v1, v5
; %bb.680:
	s_or_b32 exec_lo, exec_lo, s44
	s_mov_b32 s44, -1
	s_mov_b32 s0, 0
	global_store_b8 v[2:3], v5, off
.LBB23_681:
	s_mov_b32 s46, 0
.LBB23_682:
	s_delay_alu instid0(SALU_CYCLE_1)
	s_and_b32 vcc_lo, exec_lo, s46
	s_cbranch_vccz .LBB23_685
; %bb.683:
	s_cmp_eq_u32 s43, 29
	s_mov_b32 s0, -1
	s_cbranch_scc0 .LBB23_685
; %bb.684:
	s_wait_xcnt 0x0
	v_mov_b32_e32 v5, 0
	s_mov_b32 s44, -1
	s_mov_b32 s0, 0
	s_mov_b32 s46, 0
	global_store_b64 v[2:3], v[4:5], off
	s_branch .LBB23_686
.LBB23_685:
	s_mov_b32 s46, 0
.LBB23_686:
	s_delay_alu instid0(SALU_CYCLE_1)
	s_and_b32 vcc_lo, exec_lo, s46
	s_cbranch_vccz .LBB23_702
; %bb.687:
	s_cmp_lt_i32 s43, 27
	s_mov_b32 s44, -1
	s_cbranch_scc1 .LBB23_693
; %bb.688:
	s_cmp_gt_i32 s43, 27
	s_cbranch_scc0 .LBB23_690
; %bb.689:
	s_mov_b32 s44, 0
	global_store_b32 v[2:3], v4, off
.LBB23_690:
	s_and_not1_b32 vcc_lo, exec_lo, s44
	s_cbranch_vccnz .LBB23_692
; %bb.691:
	global_store_b16 v[2:3], v4, off
.LBB23_692:
	s_mov_b32 s44, 0
.LBB23_693:
	s_delay_alu instid0(SALU_CYCLE_1)
	s_and_not1_b32 vcc_lo, exec_lo, s44
	s_cbranch_vccnz .LBB23_701
; %bb.694:
	s_wait_xcnt 0x0
	v_cvt_f32_u32_e32 v5, v4
	v_mov_b32_e32 v6, 0x80
	s_mov_b32 s44, exec_lo
	s_delay_alu instid0(VALU_DEP_2)
	v_cmpx_gt_u32_e32 0x43800000, v5
	s_cbranch_execz .LBB23_700
; %bb.695:
	s_mov_b32 s46, 0
	s_mov_b32 s47, exec_lo
                                        ; implicit-def: $vgpr1
	v_cmpx_lt_u32_e32 0x3bffffff, v5
	s_xor_b32 s47, exec_lo, s47
	s_cbranch_execz .LBB23_815
; %bb.696:
	v_bfe_u32 v1, v5, 20, 1
	s_mov_b32 s46, exec_lo
	s_delay_alu instid0(VALU_DEP_1) | instskip(NEXT) | instid1(VALU_DEP_1)
	v_add3_u32 v1, v5, v1, 0x487ffff
                                        ; implicit-def: $vgpr5
	v_lshrrev_b32_e32 v1, 20, v1
	s_and_not1_saveexec_b32 s47, s47
	s_cbranch_execnz .LBB23_816
.LBB23_697:
	s_or_b32 exec_lo, exec_lo, s47
	v_mov_b32_e32 v6, 0
	s_and_saveexec_b32 s47, s46
.LBB23_698:
	v_mov_b32_e32 v6, v1
.LBB23_699:
	s_or_b32 exec_lo, exec_lo, s47
.LBB23_700:
	s_delay_alu instid0(SALU_CYCLE_1)
	s_or_b32 exec_lo, exec_lo, s44
	global_store_b8 v[2:3], v6, off
.LBB23_701:
	s_mov_b32 s44, -1
.LBB23_702:
	s_mov_b32 s46, 0
.LBB23_703:
	s_delay_alu instid0(SALU_CYCLE_1)
	s_and_b32 vcc_lo, exec_lo, s46
	s_cbranch_vccz .LBB23_744
; %bb.704:
	s_cmp_gt_i32 s43, 22
	s_mov_b32 s46, -1
	s_cbranch_scc0 .LBB23_736
; %bb.705:
	s_cmp_lt_i32 s43, 24
	s_mov_b32 s44, -1
	s_cbranch_scc1 .LBB23_725
; %bb.706:
	s_cmp_gt_i32 s43, 24
	s_cbranch_scc0 .LBB23_714
; %bb.707:
	s_wait_xcnt 0x0
	v_cvt_f32_u32_e32 v5, v4
	v_mov_b32_e32 v6, 0x80
	s_mov_b32 s44, exec_lo
	s_delay_alu instid0(VALU_DEP_2)
	v_cmpx_gt_u32_e32 0x47800000, v5
	s_cbranch_execz .LBB23_713
; %bb.708:
	s_mov_b32 s46, 0
	s_mov_b32 s47, exec_lo
                                        ; implicit-def: $vgpr1
	v_cmpx_lt_u32_e32 0x37ffffff, v5
	s_xor_b32 s47, exec_lo, s47
	s_cbranch_execz .LBB23_943
; %bb.709:
	v_bfe_u32 v1, v5, 21, 1
	s_mov_b32 s46, exec_lo
	s_delay_alu instid0(VALU_DEP_1) | instskip(NEXT) | instid1(VALU_DEP_1)
	v_add3_u32 v1, v5, v1, 0x88fffff
                                        ; implicit-def: $vgpr5
	v_lshrrev_b32_e32 v1, 21, v1
	s_and_not1_saveexec_b32 s47, s47
	s_cbranch_execnz .LBB23_944
.LBB23_710:
	s_or_b32 exec_lo, exec_lo, s47
	v_mov_b32_e32 v6, 0
	s_and_saveexec_b32 s47, s46
.LBB23_711:
	v_mov_b32_e32 v6, v1
.LBB23_712:
	s_or_b32 exec_lo, exec_lo, s47
.LBB23_713:
	s_delay_alu instid0(SALU_CYCLE_1)
	s_or_b32 exec_lo, exec_lo, s44
	s_mov_b32 s44, 0
	global_store_b8 v[2:3], v6, off
.LBB23_714:
	s_and_b32 vcc_lo, exec_lo, s44
	s_cbranch_vccz .LBB23_724
; %bb.715:
	s_wait_xcnt 0x0
	v_cvt_f32_u32_e32 v5, v4
	s_mov_b32 s44, exec_lo
                                        ; implicit-def: $vgpr1
	s_delay_alu instid0(VALU_DEP_1)
	v_cmpx_gt_u32_e32 0x43f00000, v5
	s_xor_b32 s44, exec_lo, s44
	s_cbranch_execz .LBB23_721
; %bb.716:
	s_mov_b32 s46, exec_lo
                                        ; implicit-def: $vgpr1
	v_cmpx_lt_u32_e32 0x3c7fffff, v5
	s_xor_b32 s46, exec_lo, s46
; %bb.717:
	v_bfe_u32 v1, v5, 20, 1
	s_delay_alu instid0(VALU_DEP_1) | instskip(NEXT) | instid1(VALU_DEP_1)
	v_add3_u32 v1, v5, v1, 0x407ffff
	v_and_b32_e32 v5, 0xff00000, v1
	v_lshrrev_b32_e32 v1, 20, v1
	s_delay_alu instid0(VALU_DEP_2) | instskip(NEXT) | instid1(VALU_DEP_2)
	v_cmp_ne_u32_e32 vcc_lo, 0x7f00000, v5
                                        ; implicit-def: $vgpr5
	v_cndmask_b32_e32 v1, 0x7e, v1, vcc_lo
; %bb.718:
	s_and_not1_saveexec_b32 s46, s46
; %bb.719:
	v_add_f32_e32 v1, 0x46800000, v5
; %bb.720:
	s_or_b32 exec_lo, exec_lo, s46
                                        ; implicit-def: $vgpr5
.LBB23_721:
	s_and_not1_saveexec_b32 s44, s44
; %bb.722:
	v_mov_b32_e32 v1, 0x7f
	v_cmp_lt_u32_e32 vcc_lo, 0x7f800000, v5
	s_delay_alu instid0(VALU_DEP_2)
	v_cndmask_b32_e32 v1, 0x7e, v1, vcc_lo
; %bb.723:
	s_or_b32 exec_lo, exec_lo, s44
	global_store_b8 v[2:3], v1, off
.LBB23_724:
	s_mov_b32 s44, 0
.LBB23_725:
	s_delay_alu instid0(SALU_CYCLE_1)
	s_and_not1_b32 vcc_lo, exec_lo, s44
	s_cbranch_vccnz .LBB23_735
; %bb.726:
	s_wait_xcnt 0x0
	v_cvt_f32_u32_e32 v5, v4
	s_mov_b32 s44, exec_lo
                                        ; implicit-def: $vgpr1
	s_delay_alu instid0(VALU_DEP_1)
	v_cmpx_gt_u32_e32 0x47800000, v5
	s_xor_b32 s44, exec_lo, s44
	s_cbranch_execz .LBB23_732
; %bb.727:
	s_mov_b32 s46, exec_lo
                                        ; implicit-def: $vgpr1
	v_cmpx_lt_u32_e32 0x387fffff, v5
	s_xor_b32 s46, exec_lo, s46
; %bb.728:
	v_bfe_u32 v1, v5, 21, 1
	s_delay_alu instid0(VALU_DEP_1) | instskip(NEXT) | instid1(VALU_DEP_1)
	v_add3_u32 v1, v5, v1, 0x80fffff
                                        ; implicit-def: $vgpr5
	v_lshrrev_b32_e32 v1, 21, v1
; %bb.729:
	s_and_not1_saveexec_b32 s46, s46
; %bb.730:
	v_add_f32_e32 v1, 0x43000000, v5
; %bb.731:
	s_or_b32 exec_lo, exec_lo, s46
                                        ; implicit-def: $vgpr5
.LBB23_732:
	s_and_not1_saveexec_b32 s44, s44
; %bb.733:
	v_mov_b32_e32 v1, 0x7f
	v_cmp_lt_u32_e32 vcc_lo, 0x7f800000, v5
	s_delay_alu instid0(VALU_DEP_2)
	v_cndmask_b32_e32 v1, 0x7c, v1, vcc_lo
; %bb.734:
	s_or_b32 exec_lo, exec_lo, s44
	global_store_b8 v[2:3], v1, off
.LBB23_735:
	s_mov_b32 s46, 0
	s_mov_b32 s44, -1
.LBB23_736:
	s_and_not1_b32 vcc_lo, exec_lo, s46
	s_cbranch_vccnz .LBB23_744
; %bb.737:
	s_cmp_gt_i32 s43, 14
	s_mov_b32 s46, -1
	s_cbranch_scc0 .LBB23_741
; %bb.738:
	s_cmp_eq_u32 s43, 15
	s_mov_b32 s0, -1
	s_cbranch_scc0 .LBB23_740
; %bb.739:
	s_wait_xcnt 0x0
	v_cvt_f32_u32_e32 v1, v4
	s_mov_b32 s44, -1
	s_mov_b32 s0, 0
	s_delay_alu instid0(VALU_DEP_1) | instskip(NEXT) | instid1(VALU_DEP_1)
	v_bfe_u32 v5, v1, 16, 1
	v_add3_u32 v1, v1, v5, 0x7fff
	global_store_d16_hi_b16 v[2:3], v1, off
.LBB23_740:
	s_mov_b32 s46, 0
.LBB23_741:
	s_delay_alu instid0(SALU_CYCLE_1)
	s_and_b32 vcc_lo, exec_lo, s46
	s_cbranch_vccz .LBB23_744
; %bb.742:
	s_cmp_eq_u32 s43, 11
	s_mov_b32 s0, -1
	s_cbranch_scc0 .LBB23_744
; %bb.743:
	v_cmp_ne_u32_e32 vcc_lo, 0, v4
	s_mov_b32 s0, 0
	s_mov_b32 s44, -1
	s_wait_xcnt 0x0
	v_cndmask_b32_e64 v1, 0, 1, vcc_lo
	global_store_b8 v[2:3], v1, off
.LBB23_744:
	s_mov_b32 s43, 0
.LBB23_745:
	s_delay_alu instid0(SALU_CYCLE_1)
	s_and_b32 vcc_lo, exec_lo, s43
	s_cbranch_vccz .LBB23_784
; %bb.746:
	s_and_b32 s42, 0xffff, s42
	s_mov_b32 s43, -1
	s_cmp_lt_i32 s42, 5
	s_cbranch_scc1 .LBB23_767
; %bb.747:
	s_cmp_lt_i32 s42, 8
	s_cbranch_scc1 .LBB23_757
; %bb.748:
	;; [unrolled: 3-line block ×3, first 2 shown]
	s_cmp_gt_i32 s42, 9
	s_cbranch_scc0 .LBB23_751
; %bb.750:
	s_wait_xcnt 0x0
	v_cvt_f64_u32_e32 v[6:7], v4
	v_mov_b32_e32 v8, 0
	s_mov_b32 s43, 0
	s_delay_alu instid0(VALU_DEP_1)
	v_mov_b32_e32 v9, v8
	global_store_b128 v[2:3], v[6:9], off
.LBB23_751:
	s_and_not1_b32 vcc_lo, exec_lo, s43
	s_cbranch_vccnz .LBB23_753
; %bb.752:
	s_wait_xcnt 0x0
	v_cvt_f32_u32_e32 v6, v4
	v_mov_b32_e32 v7, 0
	global_store_b64 v[2:3], v[6:7], off
.LBB23_753:
	s_mov_b32 s43, 0
.LBB23_754:
	s_delay_alu instid0(SALU_CYCLE_1)
	s_and_not1_b32 vcc_lo, exec_lo, s43
	s_cbranch_vccnz .LBB23_756
; %bb.755:
	s_wait_xcnt 0x0
	v_cvt_f32_u32_e32 v1, v4
	s_delay_alu instid0(VALU_DEP_1) | instskip(NEXT) | instid1(VALU_DEP_1)
	v_cvt_f16_f32_e32 v1, v1
	v_and_b32_e32 v1, 0xffff, v1
	global_store_b32 v[2:3], v1, off
.LBB23_756:
	s_mov_b32 s43, 0
.LBB23_757:
	s_delay_alu instid0(SALU_CYCLE_1)
	s_and_not1_b32 vcc_lo, exec_lo, s43
	s_cbranch_vccnz .LBB23_766
; %bb.758:
	s_cmp_lt_i32 s42, 6
	s_mov_b32 s43, -1
	s_cbranch_scc1 .LBB23_764
; %bb.759:
	s_cmp_gt_i32 s42, 6
	s_cbranch_scc0 .LBB23_761
; %bb.760:
	s_wait_xcnt 0x0
	v_cvt_f64_u32_e32 v[6:7], v4
	s_mov_b32 s43, 0
	global_store_b64 v[2:3], v[6:7], off
.LBB23_761:
	s_and_not1_b32 vcc_lo, exec_lo, s43
	s_cbranch_vccnz .LBB23_763
; %bb.762:
	s_wait_xcnt 0x0
	v_cvt_f32_u32_e32 v1, v4
	global_store_b32 v[2:3], v1, off
.LBB23_763:
	s_mov_b32 s43, 0
.LBB23_764:
	s_delay_alu instid0(SALU_CYCLE_1)
	s_and_not1_b32 vcc_lo, exec_lo, s43
	s_cbranch_vccnz .LBB23_766
; %bb.765:
	s_wait_xcnt 0x0
	v_cvt_f32_u32_e32 v1, v4
	s_delay_alu instid0(VALU_DEP_1)
	v_cvt_f16_f32_e32 v1, v1
	global_store_b16 v[2:3], v1, off
.LBB23_766:
	s_mov_b32 s43, 0
.LBB23_767:
	s_delay_alu instid0(SALU_CYCLE_1)
	s_and_not1_b32 vcc_lo, exec_lo, s43
	s_cbranch_vccnz .LBB23_783
; %bb.768:
	s_cmp_lt_i32 s42, 2
	s_mov_b32 s43, -1
	s_cbranch_scc1 .LBB23_778
; %bb.769:
	s_cmp_lt_i32 s42, 3
	s_cbranch_scc1 .LBB23_775
; %bb.770:
	s_cmp_gt_i32 s42, 3
	s_cbranch_scc0 .LBB23_772
; %bb.771:
	s_wait_xcnt 0x0
	v_mov_b32_e32 v5, 0
	s_mov_b32 s43, 0
	global_store_b64 v[2:3], v[4:5], off
.LBB23_772:
	s_and_not1_b32 vcc_lo, exec_lo, s43
	s_cbranch_vccnz .LBB23_774
; %bb.773:
	global_store_b32 v[2:3], v4, off
.LBB23_774:
	s_mov_b32 s43, 0
.LBB23_775:
	s_delay_alu instid0(SALU_CYCLE_1)
	s_and_not1_b32 vcc_lo, exec_lo, s43
	s_cbranch_vccnz .LBB23_777
; %bb.776:
	global_store_b16 v[2:3], v4, off
.LBB23_777:
	s_mov_b32 s43, 0
.LBB23_778:
	s_delay_alu instid0(SALU_CYCLE_1)
	s_and_not1_b32 vcc_lo, exec_lo, s43
	s_cbranch_vccnz .LBB23_783
; %bb.779:
	s_cmp_gt_i32 s42, 0
	s_mov_b32 s42, -1
	s_cbranch_scc0 .LBB23_781
; %bb.780:
	s_mov_b32 s42, 0
	global_store_b8 v[2:3], v4, off
.LBB23_781:
	s_and_not1_b32 vcc_lo, exec_lo, s42
	s_cbranch_vccnz .LBB23_783
; %bb.782:
	global_store_b8 v[2:3], v4, off
.LBB23_783:
	s_mov_b32 s44, -1
.LBB23_784:
	s_delay_alu instid0(SALU_CYCLE_1)
	s_and_not1_b32 vcc_lo, exec_lo, s44
	s_cbranch_vccnz .LBB23_786
; %bb.785:
	v_add_nc_u32_e32 v0, 0x80, v0
	s_mov_b32 s46, -1
	s_branch .LBB23_788
.LBB23_786:
	s_mov_b32 s46, 0
.LBB23_787:
                                        ; implicit-def: $vgpr0
.LBB23_788:
	s_and_not1_b32 s42, s38, exec_lo
	s_and_b32 s0, s0, exec_lo
	s_and_b32 s25, s25, exec_lo
	s_or_b32 s43, s42, s0
	s_and_not1_b32 s0, s39, exec_lo
	s_and_not1_b32 s42, s40, exec_lo
	s_and_b32 s24, s24, exec_lo
	s_or_b32 s44, s0, s25
	s_or_b32 s42, s42, s24
	s_or_not1_b32 s47, s46, exec_lo
.LBB23_789:
	s_wait_xcnt 0x0
	s_or_b32 exec_lo, exec_lo, s45
	s_mov_b32 s25, 0
	s_mov_b32 s46, 0
	;; [unrolled: 1-line block ×3, first 2 shown]
                                        ; implicit-def: $sgpr0
                                        ; implicit-def: $vgpr6_vgpr7
                                        ; implicit-def: $vgpr4
                                        ; implicit-def: $vgpr2
                                        ; implicit-def: $vgpr3
	s_and_saveexec_b32 s45, s47
	s_cbranch_execz .LBB23_1280
; %bb.790:
	s_mov_b32 s51, -1
	s_mov_b32 s47, s42
	s_mov_b32 s49, s44
	;; [unrolled: 1-line block ×3, first 2 shown]
	s_mov_b32 s46, exec_lo
	v_cmpx_gt_i32_e64 s36, v0
	s_cbranch_execz .LBB23_1188
; %bb.791:
	s_and_not1_b32 vcc_lo, exec_lo, s29
	s_cbranch_vccnz .LBB23_797
; %bb.792:
	s_and_not1_b32 vcc_lo, exec_lo, s37
	s_cbranch_vccnz .LBB23_798
; %bb.793:
	s_wait_loadcnt 0x0
	v_dual_mov_b32 v2, 0 :: v_dual_mov_b32 v1, v0
	v_dual_mov_b32 v6, 0 :: v_dual_mov_b32 v4, 0
	s_add_co_i32 s0, s35, 1
	s_mov_b64 s[24:25], 0xffffffffffffffe8
	s_and_b32 s0, s0, 30
	s_add_nc_u64 s[24:25], s[2:3], s[24:25]
.LBB23_794:                             ; =>This Inner Loop Header: Depth=1
	s_clause 0x1
	s_load_b128 s[48:51], s[24:25], 0x1c
	s_load_b64 s[56:57], s[24:25], 0x2c
	s_add_co_i32 s0, s0, -2
	s_delay_alu instid0(SALU_CYCLE_1) | instskip(SKIP_2) | instid1(VALU_DEP_1)
	s_cmp_eq_u32 s0, 0
	s_wait_kmcnt 0x0
	v_mul_hi_u32 v3, s49, v1
	v_add_nc_u32_e32 v3, v1, v3
	s_delay_alu instid0(VALU_DEP_1) | instskip(NEXT) | instid1(VALU_DEP_1)
	v_lshrrev_b32_e32 v3, s50, v3
	v_mul_hi_u32 v5, s56, v3
	v_mul_lo_u32 v7, v3, s48
	s_clause 0x1
	s_load_b128 s[52:55], s[24:25], 0xdc
	s_load_b64 s[48:49], s[24:25], 0xec
	s_wait_xcnt 0x0
	s_add_nc_u64 s[24:25], s[24:25], 24
	s_delay_alu instid0(VALU_DEP_1) | instskip(NEXT) | instid1(VALU_DEP_1)
	v_dual_add_nc_u32 v5, v3, v5 :: v_dual_sub_nc_u32 v7, v1, v7
	v_lshrrev_b32_e32 v1, s57, v5
	s_wait_kmcnt 0x0
	s_delay_alu instid0(VALU_DEP_2) | instskip(NEXT) | instid1(VALU_DEP_2)
	v_mad_u32 v2, v7, s52, v2
	v_mul_lo_u32 v5, v1, s51
	v_mad_u32 v4, v7, s54, v4
	v_mad_u32 v6, v7, s53, v6
	s_delay_alu instid0(VALU_DEP_3) | instskip(NEXT) | instid1(VALU_DEP_1)
	v_sub_nc_u32_e32 v3, v3, v5
	v_mad_u32 v2, v3, s55, v2
	s_delay_alu instid0(VALU_DEP_4) | instskip(NEXT) | instid1(VALU_DEP_4)
	v_mad_u32 v4, v3, s49, v4
	v_mad_u32 v6, v3, s48, v6
	s_cbranch_scc0 .LBB23_794
; %bb.795:
	s_bitcmp1_b32 s35, 0
	s_cselect_b32 s0, -1, 0
	s_delay_alu instid0(SALU_CYCLE_1)
	s_and_b32 vcc_lo, exec_lo, s0
	s_cbranch_vccnz .LBB23_799
; %bb.796:
	s_clause 0x1
	s_load_b96 s[48:50], s[24:25], 0x1c
	s_load_b96 s[52:54], s[24:25], 0xdc
	s_wait_kmcnt 0x0
	v_mul_hi_u32 v3, s49, v1
	s_delay_alu instid0(VALU_DEP_1) | instskip(NEXT) | instid1(VALU_DEP_1)
	v_add_nc_u32_e32 v3, v1, v3
	v_lshrrev_b32_e32 v3, s50, v3
	s_delay_alu instid0(VALU_DEP_1) | instskip(NEXT) | instid1(VALU_DEP_1)
	v_mul_lo_u32 v3, v3, s48
	v_sub_nc_u32_e32 v1, v1, v3
	s_delay_alu instid0(VALU_DEP_1)
	v_mad_u32 v2, v1, s52, v2
	v_mad_u32 v6, v1, s53, v6
	;; [unrolled: 1-line block ×3, first 2 shown]
	s_branch .LBB23_799
.LBB23_797:
	s_mov_b32 s0, -1
                                        ; implicit-def: $vgpr4
                                        ; implicit-def: $vgpr6
                                        ; implicit-def: $vgpr2
	s_branch .LBB23_800
.LBB23_798:
	v_dual_mov_b32 v4, 0 :: v_dual_mov_b32 v6, 0
	v_mov_b32_e32 v2, 0
.LBB23_799:
	s_mov_b32 s0, 0
.LBB23_800:
	s_delay_alu instid0(SALU_CYCLE_1)
	s_and_not1_b32 vcc_lo, exec_lo, s0
	s_cbranch_vccnz .LBB23_803
; %bb.801:
	s_wait_loadcnt 0x0
	v_mov_b32_e32 v1, 0
	s_and_not1_b32 vcc_lo, exec_lo, s34
	s_delay_alu instid0(VALU_DEP_1) | instskip(NEXT) | instid1(VALU_DEP_1)
	v_mul_u64_e32 v[2:3], s[18:19], v[0:1]
	v_add_nc_u32_e32 v2, v0, v3
	s_delay_alu instid0(VALU_DEP_1) | instskip(NEXT) | instid1(VALU_DEP_1)
	v_lshrrev_b32_e32 v8, s10, v2
	v_mul_lo_u32 v2, v8, s8
	s_delay_alu instid0(VALU_DEP_1) | instskip(NEXT) | instid1(VALU_DEP_1)
	v_sub_nc_u32_e32 v3, v0, v2
	v_mul_lo_u32 v2, v3, s12
	v_mul_lo_u32 v4, v3, s14
	;; [unrolled: 1-line block ×3, first 2 shown]
	s_cbranch_vccnz .LBB23_803
; %bb.802:
	v_mov_b32_e32 v9, v1
	s_delay_alu instid0(VALU_DEP_1) | instskip(NEXT) | instid1(VALU_DEP_1)
	v_mul_u64_e32 v[10:11], s[22:23], v[8:9]
	v_add_nc_u32_e32 v1, v8, v11
	s_delay_alu instid0(VALU_DEP_1) | instskip(NEXT) | instid1(VALU_DEP_1)
	v_lshrrev_b32_e32 v1, s1, v1
	v_mul_lo_u32 v1, v1, s11
	s_delay_alu instid0(VALU_DEP_1) | instskip(NEXT) | instid1(VALU_DEP_1)
	v_sub_nc_u32_e32 v1, v8, v1
	v_mad_u32 v2, v1, s15, v2
	v_mad_u32 v6, v1, s20, v6
	;; [unrolled: 1-line block ×3, first 2 shown]
.LBB23_803:
	v_mov_b32_e32 v7, 0
	s_and_b32 s0, s33, 0xff
	s_delay_alu instid0(SALU_CYCLE_1) | instskip(NEXT) | instid1(VALU_DEP_1)
	s_cmp_lt_i32 s0, 11
	v_add_nc_u64_e32 v[6:7], s[6:7], v[6:7]
	s_cbranch_scc1 .LBB23_810
; %bb.804:
	s_and_b32 s25, 0xffff, s0
	s_delay_alu instid0(SALU_CYCLE_1)
	s_cmp_gt_i32 s25, 25
	s_cbranch_scc0 .LBB23_811
; %bb.805:
	s_cmp_gt_i32 s25, 28
	s_cbranch_scc0 .LBB23_812
; %bb.806:
	;; [unrolled: 3-line block ×4, first 2 shown]
	s_cmp_eq_u32 s25, 46
	s_mov_b32 s48, 0
	s_cbranch_scc0 .LBB23_817
; %bb.809:
	s_wait_loadcnt 0x0
	global_load_b32 v1, v[6:7], off
	s_mov_b32 s47, -1
	s_mov_b32 s24, 0
	s_wait_loadcnt 0x0
	v_lshlrev_b32_e32 v1, 16, v1
	s_delay_alu instid0(VALU_DEP_1)
	v_cvt_i32_f32_e32 v1, v1
	s_branch .LBB23_819
.LBB23_810:
	s_mov_b32 s25, -1
	s_mov_b32 s47, 0
	s_mov_b32 s24, s42
                                        ; implicit-def: $vgpr1
	s_branch .LBB23_880
.LBB23_811:
	s_mov_b32 s48, -1
	s_mov_b32 s47, 0
	s_mov_b32 s24, s42
                                        ; implicit-def: $vgpr1
	s_branch .LBB23_846
.LBB23_812:
	s_mov_b32 s48, -1
	s_mov_b32 s47, 0
	s_mov_b32 s24, s42
                                        ; implicit-def: $vgpr1
	s_branch .LBB23_829
.LBB23_813:
	s_mov_b32 s48, -1
	s_mov_b32 s47, 0
	s_mov_b32 s24, s42
                                        ; implicit-def: $vgpr1
	s_branch .LBB23_824
.LBB23_814:
	s_mov_b32 s48, -1
	s_mov_b32 s47, 0
	s_mov_b32 s24, s42
	s_branch .LBB23_818
.LBB23_815:
	s_and_not1_saveexec_b32 s47, s47
	s_cbranch_execz .LBB23_697
.LBB23_816:
	v_add_f32_e32 v1, 0x46000000, v5
	s_and_not1_b32 s46, s46, exec_lo
	s_delay_alu instid0(VALU_DEP_1) | instskip(NEXT) | instid1(VALU_DEP_1)
	v_and_b32_e32 v1, 0xff, v1
	v_cmp_ne_u32_e32 vcc_lo, 0, v1
	s_and_b32 s48, vcc_lo, exec_lo
	s_delay_alu instid0(SALU_CYCLE_1)
	s_or_b32 s46, s46, s48
	s_or_b32 exec_lo, exec_lo, s47
	v_mov_b32_e32 v6, 0
	s_and_saveexec_b32 s47, s46
	s_cbranch_execnz .LBB23_698
	s_branch .LBB23_699
.LBB23_817:
	s_mov_b32 s24, -1
	s_mov_b32 s47, 0
.LBB23_818:
                                        ; implicit-def: $vgpr1
.LBB23_819:
	s_and_b32 vcc_lo, exec_lo, s48
	s_cbranch_vccz .LBB23_823
; %bb.820:
	s_cmp_eq_u32 s25, 44
	s_cbranch_scc0 .LBB23_822
; %bb.821:
	s_wait_loadcnt 0x0
	global_load_u8 v1, v[6:7], off
	s_mov_b32 s24, 0
	s_mov_b32 s47, -1
	s_wait_loadcnt 0x0
	v_lshlrev_b32_e32 v3, 23, v1
	v_cmp_ne_u32_e32 vcc_lo, 0, v1
	s_delay_alu instid0(VALU_DEP_2) | instskip(NEXT) | instid1(VALU_DEP_1)
	v_cvt_i32_f32_e32 v3, v3
	v_cndmask_b32_e32 v1, 0, v3, vcc_lo
	s_branch .LBB23_823
.LBB23_822:
	s_mov_b32 s24, -1
                                        ; implicit-def: $vgpr1
.LBB23_823:
	s_mov_b32 s48, 0
.LBB23_824:
	s_delay_alu instid0(SALU_CYCLE_1)
	s_and_b32 vcc_lo, exec_lo, s48
	s_cbranch_vccz .LBB23_828
; %bb.825:
	s_cmp_eq_u32 s25, 29
	s_cbranch_scc0 .LBB23_827
; %bb.826:
	s_wait_loadcnt 0x0
	global_load_b32 v1, v[6:7], off
	s_mov_b32 s47, -1
	s_mov_b32 s24, 0
	s_branch .LBB23_828
.LBB23_827:
	s_mov_b32 s24, -1
                                        ; implicit-def: $vgpr1
.LBB23_828:
	s_mov_b32 s48, 0
.LBB23_829:
	s_delay_alu instid0(SALU_CYCLE_1)
	s_and_b32 vcc_lo, exec_lo, s48
	s_cbranch_vccz .LBB23_845
; %bb.830:
	s_cmp_lt_i32 s25, 27
	s_cbranch_scc1 .LBB23_833
; %bb.831:
	s_cmp_gt_i32 s25, 27
	s_cbranch_scc0 .LBB23_834
; %bb.832:
	s_wait_loadcnt 0x0
	global_load_b32 v1, v[6:7], off
	s_mov_b32 s47, 0
	s_branch .LBB23_835
.LBB23_833:
	s_mov_b32 s47, -1
                                        ; implicit-def: $vgpr1
	s_branch .LBB23_838
.LBB23_834:
	s_mov_b32 s47, -1
                                        ; implicit-def: $vgpr1
.LBB23_835:
	s_delay_alu instid0(SALU_CYCLE_1)
	s_and_not1_b32 vcc_lo, exec_lo, s47
	s_cbranch_vccnz .LBB23_837
; %bb.836:
	s_wait_loadcnt 0x0
	global_load_u16 v1, v[6:7], off
.LBB23_837:
	s_mov_b32 s47, 0
.LBB23_838:
	s_delay_alu instid0(SALU_CYCLE_1)
	s_and_not1_b32 vcc_lo, exec_lo, s47
	s_cbranch_vccnz .LBB23_844
; %bb.839:
	s_wait_loadcnt 0x0
	global_load_u8 v3, v[6:7], off
	s_mov_b32 s48, 0
	s_mov_b32 s47, exec_lo
	s_wait_loadcnt 0x0
	v_cmpx_lt_i16_e32 0x7f, v3
	s_xor_b32 s47, exec_lo, s47
	s_cbranch_execz .LBB23_856
; %bb.840:
	v_cmp_ne_u16_e32 vcc_lo, 0x80, v3
	s_and_b32 s48, vcc_lo, exec_lo
	s_and_not1_saveexec_b32 s47, s47
	s_cbranch_execnz .LBB23_857
.LBB23_841:
	s_or_b32 exec_lo, exec_lo, s47
	v_mov_b32_e32 v1, 0
	s_and_saveexec_b32 s47, s48
	s_cbranch_execz .LBB23_843
.LBB23_842:
	v_and_b32_e32 v1, 0xffff, v3
	s_delay_alu instid0(VALU_DEP_1) | instskip(SKIP_1) | instid1(VALU_DEP_2)
	v_and_b32_e32 v5, 7, v1
	v_bfe_u32 v10, v1, 3, 4
	v_clz_i32_u32_e32 v8, v5
	s_delay_alu instid0(VALU_DEP_2) | instskip(NEXT) | instid1(VALU_DEP_2)
	v_cmp_eq_u32_e32 vcc_lo, 0, v10
	v_min_u32_e32 v8, 32, v8
	s_delay_alu instid0(VALU_DEP_1) | instskip(NEXT) | instid1(VALU_DEP_1)
	v_subrev_nc_u32_e32 v9, 28, v8
	v_dual_lshlrev_b32 v1, v9, v1 :: v_dual_sub_nc_u32 v8, 29, v8
	s_delay_alu instid0(VALU_DEP_1) | instskip(NEXT) | instid1(VALU_DEP_1)
	v_dual_lshlrev_b32 v3, 24, v3 :: v_dual_bitop2_b32 v1, 7, v1 bitop3:0x40
	v_dual_cndmask_b32 v8, v10, v8 :: v_dual_cndmask_b32 v1, v5, v1
	s_delay_alu instid0(VALU_DEP_2) | instskip(NEXT) | instid1(VALU_DEP_2)
	v_and_b32_e32 v3, 0x80000000, v3
	v_lshl_add_u32 v5, v8, 23, 0x3b800000
	s_delay_alu instid0(VALU_DEP_3) | instskip(NEXT) | instid1(VALU_DEP_1)
	v_lshlrev_b32_e32 v1, 20, v1
	v_or3_b32 v1, v3, v5, v1
	s_delay_alu instid0(VALU_DEP_1)
	v_cvt_i32_f32_e32 v1, v1
.LBB23_843:
	s_or_b32 exec_lo, exec_lo, s47
.LBB23_844:
	s_mov_b32 s47, -1
.LBB23_845:
	s_mov_b32 s48, 0
.LBB23_846:
	s_delay_alu instid0(SALU_CYCLE_1)
	s_and_b32 vcc_lo, exec_lo, s48
	s_cbranch_vccz .LBB23_879
; %bb.847:
	s_cmp_gt_i32 s25, 22
	s_cbranch_scc0 .LBB23_855
; %bb.848:
	s_cmp_lt_i32 s25, 24
	s_cbranch_scc1 .LBB23_858
; %bb.849:
	s_cmp_gt_i32 s25, 24
	s_cbranch_scc0 .LBB23_859
; %bb.850:
	s_wait_loadcnt 0x0
	global_load_u8 v3, v[6:7], off
	s_mov_b32 s48, 0
	s_mov_b32 s47, exec_lo
	s_wait_loadcnt 0x0
	v_cmpx_lt_i16_e32 0x7f, v3
	s_xor_b32 s47, exec_lo, s47
	s_cbranch_execz .LBB23_871
; %bb.851:
	v_cmp_ne_u16_e32 vcc_lo, 0x80, v3
	s_and_b32 s48, vcc_lo, exec_lo
	s_and_not1_saveexec_b32 s47, s47
	s_cbranch_execnz .LBB23_872
.LBB23_852:
	s_or_b32 exec_lo, exec_lo, s47
	v_mov_b32_e32 v1, 0
	s_and_saveexec_b32 s47, s48
	s_cbranch_execz .LBB23_854
.LBB23_853:
	v_and_b32_e32 v1, 0xffff, v3
	s_delay_alu instid0(VALU_DEP_1) | instskip(SKIP_1) | instid1(VALU_DEP_2)
	v_and_b32_e32 v5, 3, v1
	v_bfe_u32 v10, v1, 2, 5
	v_clz_i32_u32_e32 v8, v5
	s_delay_alu instid0(VALU_DEP_2) | instskip(NEXT) | instid1(VALU_DEP_2)
	v_cmp_eq_u32_e32 vcc_lo, 0, v10
	v_min_u32_e32 v8, 32, v8
	s_delay_alu instid0(VALU_DEP_1) | instskip(NEXT) | instid1(VALU_DEP_1)
	v_subrev_nc_u32_e32 v9, 29, v8
	v_dual_lshlrev_b32 v1, v9, v1 :: v_dual_sub_nc_u32 v8, 30, v8
	s_delay_alu instid0(VALU_DEP_1) | instskip(NEXT) | instid1(VALU_DEP_1)
	v_dual_lshlrev_b32 v3, 24, v3 :: v_dual_bitop2_b32 v1, 3, v1 bitop3:0x40
	v_dual_cndmask_b32 v8, v10, v8 :: v_dual_cndmask_b32 v1, v5, v1
	s_delay_alu instid0(VALU_DEP_2) | instskip(NEXT) | instid1(VALU_DEP_2)
	v_and_b32_e32 v3, 0x80000000, v3
	v_lshl_add_u32 v5, v8, 23, 0x37800000
	s_delay_alu instid0(VALU_DEP_3) | instskip(NEXT) | instid1(VALU_DEP_1)
	v_lshlrev_b32_e32 v1, 21, v1
	v_or3_b32 v1, v3, v5, v1
	s_delay_alu instid0(VALU_DEP_1)
	v_cvt_i32_f32_e32 v1, v1
.LBB23_854:
	s_or_b32 exec_lo, exec_lo, s47
	s_mov_b32 s47, 0
	s_branch .LBB23_860
.LBB23_855:
	s_mov_b32 s48, -1
                                        ; implicit-def: $vgpr1
	s_branch .LBB23_866
.LBB23_856:
	s_and_not1_saveexec_b32 s47, s47
	s_cbranch_execz .LBB23_841
.LBB23_857:
	v_cmp_ne_u16_e32 vcc_lo, 0, v3
	s_and_not1_b32 s48, s48, exec_lo
	s_and_b32 s49, vcc_lo, exec_lo
	s_delay_alu instid0(SALU_CYCLE_1)
	s_or_b32 s48, s48, s49
	s_or_b32 exec_lo, exec_lo, s47
	v_mov_b32_e32 v1, 0
	s_and_saveexec_b32 s47, s48
	s_cbranch_execnz .LBB23_842
	s_branch .LBB23_843
.LBB23_858:
	s_mov_b32 s47, -1
                                        ; implicit-def: $vgpr1
	s_branch .LBB23_863
.LBB23_859:
	s_mov_b32 s47, -1
                                        ; implicit-def: $vgpr1
.LBB23_860:
	s_delay_alu instid0(SALU_CYCLE_1)
	s_and_b32 vcc_lo, exec_lo, s47
	s_cbranch_vccz .LBB23_862
; %bb.861:
	s_wait_loadcnt 0x0
	global_load_u8 v1, v[6:7], off
	s_wait_loadcnt 0x0
	v_lshlrev_b32_e32 v1, 24, v1
	s_delay_alu instid0(VALU_DEP_1) | instskip(NEXT) | instid1(VALU_DEP_1)
	v_and_b32_e32 v3, 0x7f000000, v1
	v_clz_i32_u32_e32 v5, v3
	v_add_nc_u32_e32 v9, 0x1000000, v3
	v_cmp_ne_u32_e32 vcc_lo, 0, v3
	s_delay_alu instid0(VALU_DEP_3) | instskip(NEXT) | instid1(VALU_DEP_1)
	v_min_u32_e32 v5, 32, v5
	v_sub_nc_u32_e64 v5, v5, 4 clamp
	s_delay_alu instid0(VALU_DEP_1) | instskip(NEXT) | instid1(VALU_DEP_1)
	v_dual_lshlrev_b32 v8, v5, v3 :: v_dual_lshlrev_b32 v5, 23, v5
	v_lshrrev_b32_e32 v8, 4, v8
	s_delay_alu instid0(VALU_DEP_1) | instskip(SKIP_1) | instid1(VALU_DEP_2)
	v_sub_nc_u32_e32 v5, v8, v5
	v_ashrrev_i32_e32 v8, 8, v9
	v_add_nc_u32_e32 v5, 0x3c000000, v5
	s_delay_alu instid0(VALU_DEP_1) | instskip(NEXT) | instid1(VALU_DEP_1)
	v_and_or_b32 v5, 0x7f800000, v8, v5
	v_cndmask_b32_e32 v3, 0, v5, vcc_lo
	s_delay_alu instid0(VALU_DEP_1) | instskip(NEXT) | instid1(VALU_DEP_1)
	v_and_or_b32 v1, 0x80000000, v1, v3
	v_cvt_i32_f32_e32 v1, v1
.LBB23_862:
	s_mov_b32 s47, 0
.LBB23_863:
	s_delay_alu instid0(SALU_CYCLE_1)
	s_and_not1_b32 vcc_lo, exec_lo, s47
	s_cbranch_vccnz .LBB23_865
; %bb.864:
	s_wait_loadcnt 0x0
	global_load_u8 v1, v[6:7], off
	s_wait_loadcnt 0x0
	v_lshlrev_b32_e32 v3, 25, v1
	v_lshlrev_b16 v1, 8, v1
	s_delay_alu instid0(VALU_DEP_1) | instskip(SKIP_1) | instid1(VALU_DEP_2)
	v_and_or_b32 v8, 0x7f00, v1, 0.5
	v_bfe_i32 v1, v1, 0, 16
	v_dual_add_f32 v8, -0.5, v8 :: v_dual_lshrrev_b32 v5, 4, v3
	v_cmp_gt_u32_e32 vcc_lo, 0x8000000, v3
	s_delay_alu instid0(VALU_DEP_2) | instskip(NEXT) | instid1(VALU_DEP_1)
	v_or_b32_e32 v5, 0x70000000, v5
	v_mul_f32_e32 v5, 0x7800000, v5
	s_delay_alu instid0(VALU_DEP_1) | instskip(NEXT) | instid1(VALU_DEP_1)
	v_cndmask_b32_e32 v3, v5, v8, vcc_lo
	v_and_or_b32 v1, 0x80000000, v1, v3
	s_delay_alu instid0(VALU_DEP_1)
	v_cvt_i32_f32_e32 v1, v1
.LBB23_865:
	s_mov_b32 s48, 0
	s_mov_b32 s47, -1
.LBB23_866:
	s_and_not1_b32 vcc_lo, exec_lo, s48
	s_cbranch_vccnz .LBB23_879
; %bb.867:
	s_cmp_gt_i32 s25, 14
	s_cbranch_scc0 .LBB23_870
; %bb.868:
	s_cmp_eq_u32 s25, 15
	s_cbranch_scc0 .LBB23_873
; %bb.869:
	s_wait_loadcnt 0x0
	global_load_u16 v1, v[6:7], off
	s_mov_b32 s47, -1
	s_mov_b32 s24, 0
	s_wait_loadcnt 0x0
	v_lshlrev_b32_e32 v1, 16, v1
	s_delay_alu instid0(VALU_DEP_1)
	v_cvt_i32_f32_e32 v1, v1
	s_branch .LBB23_874
.LBB23_870:
	s_mov_b32 s48, -1
                                        ; implicit-def: $vgpr1
	s_branch .LBB23_875
.LBB23_871:
	s_and_not1_saveexec_b32 s47, s47
	s_cbranch_execz .LBB23_852
.LBB23_872:
	v_cmp_ne_u16_e32 vcc_lo, 0, v3
	s_and_not1_b32 s48, s48, exec_lo
	s_and_b32 s49, vcc_lo, exec_lo
	s_delay_alu instid0(SALU_CYCLE_1)
	s_or_b32 s48, s48, s49
	s_or_b32 exec_lo, exec_lo, s47
	v_mov_b32_e32 v1, 0
	s_and_saveexec_b32 s47, s48
	s_cbranch_execnz .LBB23_853
	s_branch .LBB23_854
.LBB23_873:
	s_mov_b32 s24, -1
                                        ; implicit-def: $vgpr1
.LBB23_874:
	s_mov_b32 s48, 0
.LBB23_875:
	s_delay_alu instid0(SALU_CYCLE_1)
	s_and_b32 vcc_lo, exec_lo, s48
	s_cbranch_vccz .LBB23_879
; %bb.876:
	s_cmp_eq_u32 s25, 11
	s_cbranch_scc0 .LBB23_878
; %bb.877:
	s_wait_loadcnt 0x0
	global_load_u8 v1, v[6:7], off
	s_mov_b32 s24, 0
	s_mov_b32 s47, -1
	s_wait_loadcnt 0x0
	v_cmp_ne_u16_e32 vcc_lo, 0, v1
	v_cndmask_b32_e64 v1, 0, 1, vcc_lo
	s_branch .LBB23_879
.LBB23_878:
	s_mov_b32 s24, -1
                                        ; implicit-def: $vgpr1
.LBB23_879:
	s_mov_b32 s25, 0
.LBB23_880:
	s_delay_alu instid0(SALU_CYCLE_1)
	s_and_b32 vcc_lo, exec_lo, s25
	s_cbranch_vccz .LBB23_929
; %bb.881:
	s_and_b32 s0, 0xffff, s0
	s_delay_alu instid0(SALU_CYCLE_1)
	s_cmp_lt_i32 s0, 5
	s_cbranch_scc1 .LBB23_886
; %bb.882:
	s_cmp_lt_i32 s0, 8
	s_cbranch_scc1 .LBB23_887
; %bb.883:
	;; [unrolled: 3-line block ×3, first 2 shown]
	s_cmp_gt_i32 s0, 9
	s_cbranch_scc0 .LBB23_889
; %bb.885:
	global_load_b64 v[8:9], v[6:7], off
	s_mov_b32 s25, 0
	s_wait_loadcnt 0x0
	v_cvt_i32_f64_e32 v1, v[8:9]
	s_branch .LBB23_890
.LBB23_886:
	s_mov_b32 s25, -1
                                        ; implicit-def: $vgpr1
	s_branch .LBB23_908
.LBB23_887:
	s_mov_b32 s25, -1
                                        ; implicit-def: $vgpr1
	s_branch .LBB23_896
.LBB23_888:
	s_mov_b32 s25, -1
                                        ; implicit-def: $vgpr1
	s_branch .LBB23_893
.LBB23_889:
	s_mov_b32 s25, -1
                                        ; implicit-def: $vgpr1
.LBB23_890:
	s_delay_alu instid0(SALU_CYCLE_1)
	s_and_not1_b32 vcc_lo, exec_lo, s25
	s_cbranch_vccnz .LBB23_892
; %bb.891:
	s_wait_loadcnt 0x0
	global_load_b32 v1, v[6:7], off
	s_wait_loadcnt 0x0
	v_cvt_i32_f32_e32 v1, v1
.LBB23_892:
	s_mov_b32 s25, 0
.LBB23_893:
	s_delay_alu instid0(SALU_CYCLE_1)
	s_and_not1_b32 vcc_lo, exec_lo, s25
	s_cbranch_vccnz .LBB23_895
; %bb.894:
	s_wait_loadcnt 0x0
	global_load_b32 v1, v[6:7], off
	s_wait_loadcnt 0x0
	v_cvt_f32_f16_e32 v1, v1
	s_delay_alu instid0(VALU_DEP_1)
	v_cvt_i32_f32_e32 v1, v1
.LBB23_895:
	s_mov_b32 s25, 0
.LBB23_896:
	s_delay_alu instid0(SALU_CYCLE_1)
	s_and_not1_b32 vcc_lo, exec_lo, s25
	s_cbranch_vccnz .LBB23_907
; %bb.897:
	s_cmp_lt_i32 s0, 6
	s_cbranch_scc1 .LBB23_900
; %bb.898:
	s_cmp_gt_i32 s0, 6
	s_cbranch_scc0 .LBB23_901
; %bb.899:
	global_load_b64 v[8:9], v[6:7], off
	s_mov_b32 s25, 0
	s_wait_loadcnt 0x0
	v_cvt_i32_f64_e32 v1, v[8:9]
	s_branch .LBB23_902
.LBB23_900:
	s_mov_b32 s25, -1
                                        ; implicit-def: $vgpr1
	s_branch .LBB23_905
.LBB23_901:
	s_mov_b32 s25, -1
                                        ; implicit-def: $vgpr1
.LBB23_902:
	s_delay_alu instid0(SALU_CYCLE_1)
	s_and_not1_b32 vcc_lo, exec_lo, s25
	s_cbranch_vccnz .LBB23_904
; %bb.903:
	s_wait_loadcnt 0x0
	global_load_b32 v1, v[6:7], off
	s_wait_loadcnt 0x0
	v_cvt_i32_f32_e32 v1, v1
.LBB23_904:
	s_mov_b32 s25, 0
.LBB23_905:
	s_delay_alu instid0(SALU_CYCLE_1)
	s_and_not1_b32 vcc_lo, exec_lo, s25
	s_cbranch_vccnz .LBB23_907
; %bb.906:
	s_wait_loadcnt 0x0
	global_load_u16 v1, v[6:7], off
	s_wait_loadcnt 0x0
	v_cvt_f32_f16_e32 v1, v1
	s_delay_alu instid0(VALU_DEP_1)
	v_cvt_i32_f32_e32 v1, v1
.LBB23_907:
	s_mov_b32 s25, 0
.LBB23_908:
	s_delay_alu instid0(SALU_CYCLE_1)
	s_and_not1_b32 vcc_lo, exec_lo, s25
	s_cbranch_vccnz .LBB23_928
; %bb.909:
	s_cmp_lt_i32 s0, 2
	s_cbranch_scc1 .LBB23_913
; %bb.910:
	s_cmp_lt_i32 s0, 3
	s_cbranch_scc1 .LBB23_914
; %bb.911:
	s_cmp_gt_i32 s0, 3
	s_cbranch_scc0 .LBB23_915
; %bb.912:
	s_wait_loadcnt 0x0
	global_load_b32 v1, v[6:7], off
	s_mov_b32 s25, 0
	s_branch .LBB23_916
.LBB23_913:
	s_mov_b32 s25, -1
                                        ; implicit-def: $vgpr1
	s_branch .LBB23_922
.LBB23_914:
	s_mov_b32 s25, -1
                                        ; implicit-def: $vgpr1
	s_branch .LBB23_919
.LBB23_915:
	s_mov_b32 s25, -1
                                        ; implicit-def: $vgpr1
.LBB23_916:
	s_delay_alu instid0(SALU_CYCLE_1)
	s_and_not1_b32 vcc_lo, exec_lo, s25
	s_cbranch_vccnz .LBB23_918
; %bb.917:
	s_wait_loadcnt 0x0
	global_load_b32 v1, v[6:7], off
.LBB23_918:
	s_mov_b32 s25, 0
.LBB23_919:
	s_delay_alu instid0(SALU_CYCLE_1)
	s_and_not1_b32 vcc_lo, exec_lo, s25
	s_cbranch_vccnz .LBB23_921
; %bb.920:
	s_wait_loadcnt 0x0
	global_load_i16 v1, v[6:7], off
.LBB23_921:
	s_mov_b32 s25, 0
.LBB23_922:
	s_delay_alu instid0(SALU_CYCLE_1)
	s_and_not1_b32 vcc_lo, exec_lo, s25
	s_cbranch_vccnz .LBB23_928
; %bb.923:
	s_cmp_gt_i32 s0, 0
	s_mov_b32 s0, 0
	s_cbranch_scc0 .LBB23_925
; %bb.924:
	s_wait_loadcnt 0x0
	global_load_i8 v1, v[6:7], off
	s_branch .LBB23_926
.LBB23_925:
	s_mov_b32 s0, -1
                                        ; implicit-def: $vgpr1
.LBB23_926:
	s_delay_alu instid0(SALU_CYCLE_1)
	s_and_not1_b32 vcc_lo, exec_lo, s0
	s_cbranch_vccnz .LBB23_928
; %bb.927:
	s_wait_loadcnt 0x0
	global_load_u8 v1, v[6:7], off
.LBB23_928:
	s_mov_b32 s47, -1
.LBB23_929:
	s_delay_alu instid0(SALU_CYCLE_1)
	s_and_not1_b32 vcc_lo, exec_lo, s47
	s_cbranch_vccnz .LBB23_937
; %bb.930:
	v_mov_b32_e32 v5, 0
	s_and_b32 s0, s9, 0xff
	s_delay_alu instid0(SALU_CYCLE_1) | instskip(NEXT) | instid1(VALU_DEP_1)
	s_cmp_lt_i32 s0, 11
	v_add_nc_u64_e32 v[4:5], s[16:17], v[4:5]
	s_cbranch_scc1 .LBB23_938
; %bb.931:
	s_and_b32 s47, 0xffff, s0
	s_delay_alu instid0(SALU_CYCLE_1)
	s_cmp_gt_i32 s47, 25
	s_cbranch_scc0 .LBB23_939
; %bb.932:
	s_cmp_gt_i32 s47, 28
	s_cbranch_scc0 .LBB23_940
; %bb.933:
	;; [unrolled: 3-line block ×4, first 2 shown]
	s_cmp_eq_u32 s47, 46
	s_mov_b32 s49, 0
	s_cbranch_scc0 .LBB23_945
; %bb.936:
	s_wait_loadcnt 0x0
	global_load_b32 v3, v[4:5], off
	s_mov_b32 s48, -1
	s_mov_b32 s25, 0
	s_wait_loadcnt 0x0
	v_lshlrev_b32_e32 v3, 16, v3
	s_delay_alu instid0(VALU_DEP_1)
	v_cvt_i32_f32_e32 v3, v3
	s_branch .LBB23_947
.LBB23_937:
	s_mov_b32 s50, 0
	s_mov_b32 s0, s43
	;; [unrolled: 1-line block ×3, first 2 shown]
	s_branch .LBB23_1186
.LBB23_938:
	s_mov_b32 s47, -1
	s_mov_b32 s48, 0
	s_mov_b32 s25, s44
                                        ; implicit-def: $vgpr3
	s_branch .LBB23_1008
.LBB23_939:
	s_mov_b32 s49, -1
	s_mov_b32 s48, 0
	s_mov_b32 s25, s44
                                        ; implicit-def: $vgpr3
	s_branch .LBB23_974
.LBB23_940:
	s_mov_b32 s49, -1
	s_mov_b32 s48, 0
	s_mov_b32 s25, s44
                                        ; implicit-def: $vgpr3
	s_branch .LBB23_957
.LBB23_941:
	s_mov_b32 s49, -1
	s_mov_b32 s48, 0
	s_mov_b32 s25, s44
                                        ; implicit-def: $vgpr3
	s_branch .LBB23_952
.LBB23_942:
	s_mov_b32 s49, -1
	s_mov_b32 s48, 0
	s_mov_b32 s25, s44
	s_branch .LBB23_946
.LBB23_943:
	s_and_not1_saveexec_b32 s47, s47
	s_cbranch_execz .LBB23_710
.LBB23_944:
	v_add_f32_e32 v1, 0x42800000, v5
	s_and_not1_b32 s46, s46, exec_lo
	s_delay_alu instid0(VALU_DEP_1) | instskip(NEXT) | instid1(VALU_DEP_1)
	v_and_b32_e32 v1, 0xff, v1
	v_cmp_ne_u32_e32 vcc_lo, 0, v1
	s_and_b32 s48, vcc_lo, exec_lo
	s_delay_alu instid0(SALU_CYCLE_1)
	s_or_b32 s46, s46, s48
	s_or_b32 exec_lo, exec_lo, s47
	v_mov_b32_e32 v6, 0
	s_and_saveexec_b32 s47, s46
	s_cbranch_execnz .LBB23_711
	s_branch .LBB23_712
.LBB23_945:
	s_mov_b32 s25, -1
	s_mov_b32 s48, 0
.LBB23_946:
                                        ; implicit-def: $vgpr3
.LBB23_947:
	s_and_b32 vcc_lo, exec_lo, s49
	s_cbranch_vccz .LBB23_951
; %bb.948:
	s_cmp_eq_u32 s47, 44
	s_cbranch_scc0 .LBB23_950
; %bb.949:
	s_wait_loadcnt 0x0
	global_load_u8 v3, v[4:5], off
	s_mov_b32 s25, 0
	s_mov_b32 s48, -1
	s_wait_loadcnt 0x0
	s_wait_xcnt 0x1
	v_lshlrev_b32_e32 v6, 23, v3
	v_cmp_ne_u32_e32 vcc_lo, 0, v3
	s_delay_alu instid0(VALU_DEP_2) | instskip(NEXT) | instid1(VALU_DEP_1)
	v_cvt_i32_f32_e32 v6, v6
	v_cndmask_b32_e32 v3, 0, v6, vcc_lo
	s_branch .LBB23_951
.LBB23_950:
	s_mov_b32 s25, -1
                                        ; implicit-def: $vgpr3
.LBB23_951:
	s_mov_b32 s49, 0
.LBB23_952:
	s_delay_alu instid0(SALU_CYCLE_1)
	s_and_b32 vcc_lo, exec_lo, s49
	s_cbranch_vccz .LBB23_956
; %bb.953:
	s_cmp_eq_u32 s47, 29
	s_cbranch_scc0 .LBB23_955
; %bb.954:
	s_wait_loadcnt 0x0
	global_load_b32 v3, v[4:5], off
	s_mov_b32 s48, -1
	s_mov_b32 s25, 0
	s_branch .LBB23_956
.LBB23_955:
	s_mov_b32 s25, -1
                                        ; implicit-def: $vgpr3
.LBB23_956:
	s_mov_b32 s49, 0
.LBB23_957:
	s_delay_alu instid0(SALU_CYCLE_1)
	s_and_b32 vcc_lo, exec_lo, s49
	s_cbranch_vccz .LBB23_973
; %bb.958:
	s_cmp_lt_i32 s47, 27
	s_cbranch_scc1 .LBB23_961
; %bb.959:
	s_cmp_gt_i32 s47, 27
	s_cbranch_scc0 .LBB23_962
; %bb.960:
	s_wait_loadcnt 0x0
	global_load_b32 v3, v[4:5], off
	s_mov_b32 s48, 0
	s_branch .LBB23_963
.LBB23_961:
	s_mov_b32 s48, -1
                                        ; implicit-def: $vgpr3
	s_branch .LBB23_966
.LBB23_962:
	s_mov_b32 s48, -1
                                        ; implicit-def: $vgpr3
.LBB23_963:
	s_delay_alu instid0(SALU_CYCLE_1)
	s_and_not1_b32 vcc_lo, exec_lo, s48
	s_cbranch_vccnz .LBB23_965
; %bb.964:
	s_wait_loadcnt 0x0
	global_load_u16 v3, v[4:5], off
.LBB23_965:
	s_mov_b32 s48, 0
.LBB23_966:
	s_delay_alu instid0(SALU_CYCLE_1)
	s_and_not1_b32 vcc_lo, exec_lo, s48
	s_cbranch_vccnz .LBB23_972
; %bb.967:
	global_load_u8 v6, v[4:5], off
	s_mov_b32 s49, 0
	s_mov_b32 s48, exec_lo
	s_wait_loadcnt 0x0
	v_cmpx_lt_i16_e32 0x7f, v6
	s_xor_b32 s48, exec_lo, s48
	s_cbranch_execz .LBB23_984
; %bb.968:
	v_cmp_ne_u16_e32 vcc_lo, 0x80, v6
	s_and_b32 s49, vcc_lo, exec_lo
	s_and_not1_saveexec_b32 s48, s48
	s_cbranch_execnz .LBB23_985
.LBB23_969:
	s_or_b32 exec_lo, exec_lo, s48
	v_mov_b32_e32 v3, 0
	s_and_saveexec_b32 s48, s49
	s_cbranch_execz .LBB23_971
.LBB23_970:
	v_and_b32_e32 v3, 0xffff, v6
	s_delay_alu instid0(VALU_DEP_1) | instskip(SKIP_1) | instid1(VALU_DEP_2)
	v_and_b32_e32 v7, 7, v3
	v_bfe_u32 v10, v3, 3, 4
	v_clz_i32_u32_e32 v8, v7
	s_delay_alu instid0(VALU_DEP_2) | instskip(NEXT) | instid1(VALU_DEP_2)
	v_cmp_eq_u32_e32 vcc_lo, 0, v10
	v_min_u32_e32 v8, 32, v8
	s_delay_alu instid0(VALU_DEP_1) | instskip(NEXT) | instid1(VALU_DEP_1)
	v_subrev_nc_u32_e32 v9, 28, v8
	v_dual_lshlrev_b32 v3, v9, v3 :: v_dual_sub_nc_u32 v8, 29, v8
	s_delay_alu instid0(VALU_DEP_1) | instskip(NEXT) | instid1(VALU_DEP_1)
	v_dual_lshlrev_b32 v6, 24, v6 :: v_dual_bitop2_b32 v3, 7, v3 bitop3:0x40
	v_dual_cndmask_b32 v8, v10, v8 :: v_dual_cndmask_b32 v3, v7, v3
	s_delay_alu instid0(VALU_DEP_2) | instskip(NEXT) | instid1(VALU_DEP_2)
	v_and_b32_e32 v6, 0x80000000, v6
	v_lshl_add_u32 v7, v8, 23, 0x3b800000
	s_delay_alu instid0(VALU_DEP_3) | instskip(NEXT) | instid1(VALU_DEP_1)
	v_lshlrev_b32_e32 v3, 20, v3
	v_or3_b32 v3, v6, v7, v3
	s_delay_alu instid0(VALU_DEP_1)
	v_cvt_i32_f32_e32 v3, v3
.LBB23_971:
	s_or_b32 exec_lo, exec_lo, s48
.LBB23_972:
	s_mov_b32 s48, -1
.LBB23_973:
	s_mov_b32 s49, 0
.LBB23_974:
	s_delay_alu instid0(SALU_CYCLE_1)
	s_and_b32 vcc_lo, exec_lo, s49
	s_cbranch_vccz .LBB23_1007
; %bb.975:
	s_cmp_gt_i32 s47, 22
	s_cbranch_scc0 .LBB23_983
; %bb.976:
	s_cmp_lt_i32 s47, 24
	s_cbranch_scc1 .LBB23_986
; %bb.977:
	s_cmp_gt_i32 s47, 24
	s_cbranch_scc0 .LBB23_987
; %bb.978:
	global_load_u8 v6, v[4:5], off
	s_mov_b32 s49, 0
	s_mov_b32 s48, exec_lo
	s_wait_loadcnt 0x0
	v_cmpx_lt_i16_e32 0x7f, v6
	s_xor_b32 s48, exec_lo, s48
	s_cbranch_execz .LBB23_999
; %bb.979:
	v_cmp_ne_u16_e32 vcc_lo, 0x80, v6
	s_and_b32 s49, vcc_lo, exec_lo
	s_and_not1_saveexec_b32 s48, s48
	s_cbranch_execnz .LBB23_1000
.LBB23_980:
	s_or_b32 exec_lo, exec_lo, s48
	v_mov_b32_e32 v3, 0
	s_and_saveexec_b32 s48, s49
	s_cbranch_execz .LBB23_982
.LBB23_981:
	v_and_b32_e32 v3, 0xffff, v6
	s_delay_alu instid0(VALU_DEP_1) | instskip(SKIP_1) | instid1(VALU_DEP_2)
	v_and_b32_e32 v7, 3, v3
	v_bfe_u32 v10, v3, 2, 5
	v_clz_i32_u32_e32 v8, v7
	s_delay_alu instid0(VALU_DEP_2) | instskip(NEXT) | instid1(VALU_DEP_2)
	v_cmp_eq_u32_e32 vcc_lo, 0, v10
	v_min_u32_e32 v8, 32, v8
	s_delay_alu instid0(VALU_DEP_1) | instskip(NEXT) | instid1(VALU_DEP_1)
	v_subrev_nc_u32_e32 v9, 29, v8
	v_dual_lshlrev_b32 v3, v9, v3 :: v_dual_sub_nc_u32 v8, 30, v8
	s_delay_alu instid0(VALU_DEP_1) | instskip(NEXT) | instid1(VALU_DEP_1)
	v_dual_lshlrev_b32 v6, 24, v6 :: v_dual_bitop2_b32 v3, 3, v3 bitop3:0x40
	v_dual_cndmask_b32 v8, v10, v8 :: v_dual_cndmask_b32 v3, v7, v3
	s_delay_alu instid0(VALU_DEP_2) | instskip(NEXT) | instid1(VALU_DEP_2)
	v_and_b32_e32 v6, 0x80000000, v6
	v_lshl_add_u32 v7, v8, 23, 0x37800000
	s_delay_alu instid0(VALU_DEP_3) | instskip(NEXT) | instid1(VALU_DEP_1)
	v_lshlrev_b32_e32 v3, 21, v3
	v_or3_b32 v3, v6, v7, v3
	s_delay_alu instid0(VALU_DEP_1)
	v_cvt_i32_f32_e32 v3, v3
.LBB23_982:
	s_or_b32 exec_lo, exec_lo, s48
	s_mov_b32 s48, 0
	s_branch .LBB23_988
.LBB23_983:
	s_mov_b32 s49, -1
                                        ; implicit-def: $vgpr3
	s_branch .LBB23_994
.LBB23_984:
	s_and_not1_saveexec_b32 s48, s48
	s_cbranch_execz .LBB23_969
.LBB23_985:
	v_cmp_ne_u16_e32 vcc_lo, 0, v6
	s_and_not1_b32 s49, s49, exec_lo
	s_and_b32 s50, vcc_lo, exec_lo
	s_delay_alu instid0(SALU_CYCLE_1)
	s_or_b32 s49, s49, s50
	s_or_b32 exec_lo, exec_lo, s48
	v_mov_b32_e32 v3, 0
	s_and_saveexec_b32 s48, s49
	s_cbranch_execnz .LBB23_970
	s_branch .LBB23_971
.LBB23_986:
	s_mov_b32 s48, -1
                                        ; implicit-def: $vgpr3
	s_branch .LBB23_991
.LBB23_987:
	s_mov_b32 s48, -1
                                        ; implicit-def: $vgpr3
.LBB23_988:
	s_delay_alu instid0(SALU_CYCLE_1)
	s_and_b32 vcc_lo, exec_lo, s48
	s_cbranch_vccz .LBB23_990
; %bb.989:
	s_wait_loadcnt 0x0
	global_load_u8 v3, v[4:5], off
	s_wait_loadcnt 0x0
	v_lshlrev_b32_e32 v3, 24, v3
	s_wait_xcnt 0x1
	s_delay_alu instid0(VALU_DEP_1) | instskip(NEXT) | instid1(VALU_DEP_1)
	v_and_b32_e32 v6, 0x7f000000, v3
	v_clz_i32_u32_e32 v7, v6
	v_cmp_ne_u32_e32 vcc_lo, 0, v6
	v_add_nc_u32_e32 v9, 0x1000000, v6
	s_delay_alu instid0(VALU_DEP_3) | instskip(NEXT) | instid1(VALU_DEP_1)
	v_min_u32_e32 v7, 32, v7
	v_sub_nc_u32_e64 v7, v7, 4 clamp
	s_delay_alu instid0(VALU_DEP_1) | instskip(NEXT) | instid1(VALU_DEP_1)
	v_dual_lshlrev_b32 v8, v7, v6 :: v_dual_lshlrev_b32 v7, 23, v7
	v_lshrrev_b32_e32 v8, 4, v8
	s_delay_alu instid0(VALU_DEP_1) | instskip(NEXT) | instid1(VALU_DEP_1)
	v_dual_sub_nc_u32 v7, v8, v7 :: v_dual_ashrrev_i32 v8, 8, v9
	v_add_nc_u32_e32 v7, 0x3c000000, v7
	s_delay_alu instid0(VALU_DEP_1) | instskip(NEXT) | instid1(VALU_DEP_1)
	v_and_or_b32 v7, 0x7f800000, v8, v7
	v_cndmask_b32_e32 v6, 0, v7, vcc_lo
	s_delay_alu instid0(VALU_DEP_1) | instskip(NEXT) | instid1(VALU_DEP_1)
	v_and_or_b32 v3, 0x80000000, v3, v6
	v_cvt_i32_f32_e32 v3, v3
.LBB23_990:
	s_mov_b32 s48, 0
.LBB23_991:
	s_delay_alu instid0(SALU_CYCLE_1)
	s_and_not1_b32 vcc_lo, exec_lo, s48
	s_cbranch_vccnz .LBB23_993
; %bb.992:
	s_wait_loadcnt 0x0
	global_load_u8 v3, v[4:5], off
	s_wait_loadcnt 0x0
	s_wait_xcnt 0x1
	v_lshlrev_b32_e32 v6, 25, v3
	v_lshlrev_b16 v3, 8, v3
	s_delay_alu instid0(VALU_DEP_1) | instskip(SKIP_1) | instid1(VALU_DEP_2)
	v_and_or_b32 v8, 0x7f00, v3, 0.5
	v_bfe_i32 v3, v3, 0, 16
	v_dual_add_f32 v8, -0.5, v8 :: v_dual_lshrrev_b32 v7, 4, v6
	v_cmp_gt_u32_e32 vcc_lo, 0x8000000, v6
	s_delay_alu instid0(VALU_DEP_2) | instskip(NEXT) | instid1(VALU_DEP_1)
	v_or_b32_e32 v7, 0x70000000, v7
	v_mul_f32_e32 v7, 0x7800000, v7
	s_delay_alu instid0(VALU_DEP_1) | instskip(NEXT) | instid1(VALU_DEP_1)
	v_cndmask_b32_e32 v6, v7, v8, vcc_lo
	v_and_or_b32 v3, 0x80000000, v3, v6
	s_delay_alu instid0(VALU_DEP_1)
	v_cvt_i32_f32_e32 v3, v3
.LBB23_993:
	s_mov_b32 s49, 0
	s_mov_b32 s48, -1
.LBB23_994:
	s_and_not1_b32 vcc_lo, exec_lo, s49
	s_cbranch_vccnz .LBB23_1007
; %bb.995:
	s_cmp_gt_i32 s47, 14
	s_cbranch_scc0 .LBB23_998
; %bb.996:
	s_cmp_eq_u32 s47, 15
	s_cbranch_scc0 .LBB23_1001
; %bb.997:
	s_wait_loadcnt 0x0
	global_load_u16 v3, v[4:5], off
	s_mov_b32 s48, -1
	s_mov_b32 s25, 0
	s_wait_loadcnt 0x0
	v_lshlrev_b32_e32 v3, 16, v3
	s_delay_alu instid0(VALU_DEP_1)
	v_cvt_i32_f32_e32 v3, v3
	s_branch .LBB23_1002
.LBB23_998:
	s_mov_b32 s49, -1
                                        ; implicit-def: $vgpr3
	s_branch .LBB23_1003
.LBB23_999:
	s_and_not1_saveexec_b32 s48, s48
	s_cbranch_execz .LBB23_980
.LBB23_1000:
	v_cmp_ne_u16_e32 vcc_lo, 0, v6
	s_and_not1_b32 s49, s49, exec_lo
	s_and_b32 s50, vcc_lo, exec_lo
	s_delay_alu instid0(SALU_CYCLE_1)
	s_or_b32 s49, s49, s50
	s_or_b32 exec_lo, exec_lo, s48
	v_mov_b32_e32 v3, 0
	s_and_saveexec_b32 s48, s49
	s_cbranch_execnz .LBB23_981
	s_branch .LBB23_982
.LBB23_1001:
	s_mov_b32 s25, -1
                                        ; implicit-def: $vgpr3
.LBB23_1002:
	s_mov_b32 s49, 0
.LBB23_1003:
	s_delay_alu instid0(SALU_CYCLE_1)
	s_and_b32 vcc_lo, exec_lo, s49
	s_cbranch_vccz .LBB23_1007
; %bb.1004:
	s_cmp_eq_u32 s47, 11
	s_cbranch_scc0 .LBB23_1006
; %bb.1005:
	s_wait_loadcnt 0x0
	global_load_u8 v3, v[4:5], off
	s_mov_b32 s25, 0
	s_mov_b32 s48, -1
	s_wait_loadcnt 0x0
	v_cmp_ne_u16_e32 vcc_lo, 0, v3
	v_cndmask_b32_e64 v3, 0, 1, vcc_lo
	s_branch .LBB23_1007
.LBB23_1006:
	s_mov_b32 s25, -1
                                        ; implicit-def: $vgpr3
.LBB23_1007:
	s_mov_b32 s47, 0
.LBB23_1008:
	s_delay_alu instid0(SALU_CYCLE_1)
	s_and_b32 vcc_lo, exec_lo, s47
	s_cbranch_vccz .LBB23_1057
; %bb.1009:
	s_and_b32 s0, 0xffff, s0
	s_delay_alu instid0(SALU_CYCLE_1)
	s_cmp_lt_i32 s0, 5
	s_cbranch_scc1 .LBB23_1014
; %bb.1010:
	s_cmp_lt_i32 s0, 8
	s_cbranch_scc1 .LBB23_1015
; %bb.1011:
	;; [unrolled: 3-line block ×3, first 2 shown]
	s_cmp_gt_i32 s0, 9
	s_cbranch_scc0 .LBB23_1017
; %bb.1013:
	global_load_b64 v[6:7], v[4:5], off
	s_mov_b32 s47, 0
	s_wait_loadcnt 0x0
	v_cvt_i32_f64_e32 v3, v[6:7]
	s_branch .LBB23_1018
.LBB23_1014:
	s_mov_b32 s47, -1
                                        ; implicit-def: $vgpr3
	s_branch .LBB23_1036
.LBB23_1015:
	s_mov_b32 s47, -1
                                        ; implicit-def: $vgpr3
	s_branch .LBB23_1024
.LBB23_1016:
	s_mov_b32 s47, -1
                                        ; implicit-def: $vgpr3
	s_branch .LBB23_1021
.LBB23_1017:
	s_mov_b32 s47, -1
                                        ; implicit-def: $vgpr3
.LBB23_1018:
	s_delay_alu instid0(SALU_CYCLE_1)
	s_and_not1_b32 vcc_lo, exec_lo, s47
	s_cbranch_vccnz .LBB23_1020
; %bb.1019:
	s_wait_loadcnt 0x0
	global_load_b32 v3, v[4:5], off
	s_wait_loadcnt 0x0
	v_cvt_i32_f32_e32 v3, v3
.LBB23_1020:
	s_mov_b32 s47, 0
.LBB23_1021:
	s_delay_alu instid0(SALU_CYCLE_1)
	s_and_not1_b32 vcc_lo, exec_lo, s47
	s_cbranch_vccnz .LBB23_1023
; %bb.1022:
	s_wait_loadcnt 0x0
	global_load_b32 v3, v[4:5], off
	s_wait_loadcnt 0x0
	v_cvt_f32_f16_e32 v3, v3
	s_delay_alu instid0(VALU_DEP_1)
	v_cvt_i32_f32_e32 v3, v3
.LBB23_1023:
	s_mov_b32 s47, 0
.LBB23_1024:
	s_delay_alu instid0(SALU_CYCLE_1)
	s_and_not1_b32 vcc_lo, exec_lo, s47
	s_cbranch_vccnz .LBB23_1035
; %bb.1025:
	s_cmp_lt_i32 s0, 6
	s_cbranch_scc1 .LBB23_1028
; %bb.1026:
	s_cmp_gt_i32 s0, 6
	s_cbranch_scc0 .LBB23_1029
; %bb.1027:
	global_load_b64 v[6:7], v[4:5], off
	s_mov_b32 s47, 0
	s_wait_loadcnt 0x0
	v_cvt_i32_f64_e32 v3, v[6:7]
	s_branch .LBB23_1030
.LBB23_1028:
	s_mov_b32 s47, -1
                                        ; implicit-def: $vgpr3
	s_branch .LBB23_1033
.LBB23_1029:
	s_mov_b32 s47, -1
                                        ; implicit-def: $vgpr3
.LBB23_1030:
	s_delay_alu instid0(SALU_CYCLE_1)
	s_and_not1_b32 vcc_lo, exec_lo, s47
	s_cbranch_vccnz .LBB23_1032
; %bb.1031:
	s_wait_loadcnt 0x0
	global_load_b32 v3, v[4:5], off
	s_wait_loadcnt 0x0
	v_cvt_i32_f32_e32 v3, v3
.LBB23_1032:
	s_mov_b32 s47, 0
.LBB23_1033:
	s_delay_alu instid0(SALU_CYCLE_1)
	s_and_not1_b32 vcc_lo, exec_lo, s47
	s_cbranch_vccnz .LBB23_1035
; %bb.1034:
	s_wait_loadcnt 0x0
	global_load_u16 v3, v[4:5], off
	s_wait_loadcnt 0x0
	v_cvt_f32_f16_e32 v3, v3
	s_delay_alu instid0(VALU_DEP_1)
	v_cvt_i32_f32_e32 v3, v3
.LBB23_1035:
	s_mov_b32 s47, 0
.LBB23_1036:
	s_delay_alu instid0(SALU_CYCLE_1)
	s_and_not1_b32 vcc_lo, exec_lo, s47
	s_cbranch_vccnz .LBB23_1056
; %bb.1037:
	s_cmp_lt_i32 s0, 2
	s_cbranch_scc1 .LBB23_1041
; %bb.1038:
	s_cmp_lt_i32 s0, 3
	s_cbranch_scc1 .LBB23_1042
; %bb.1039:
	s_cmp_gt_i32 s0, 3
	s_cbranch_scc0 .LBB23_1043
; %bb.1040:
	s_wait_loadcnt 0x0
	global_load_b32 v3, v[4:5], off
	s_mov_b32 s47, 0
	s_branch .LBB23_1044
.LBB23_1041:
	s_mov_b32 s47, -1
                                        ; implicit-def: $vgpr3
	s_branch .LBB23_1050
.LBB23_1042:
	s_mov_b32 s47, -1
                                        ; implicit-def: $vgpr3
	s_branch .LBB23_1047
.LBB23_1043:
	s_mov_b32 s47, -1
                                        ; implicit-def: $vgpr3
.LBB23_1044:
	s_delay_alu instid0(SALU_CYCLE_1)
	s_and_not1_b32 vcc_lo, exec_lo, s47
	s_cbranch_vccnz .LBB23_1046
; %bb.1045:
	s_wait_loadcnt 0x0
	global_load_b32 v3, v[4:5], off
.LBB23_1046:
	s_mov_b32 s47, 0
.LBB23_1047:
	s_delay_alu instid0(SALU_CYCLE_1)
	s_and_not1_b32 vcc_lo, exec_lo, s47
	s_cbranch_vccnz .LBB23_1049
; %bb.1048:
	s_wait_loadcnt 0x0
	global_load_i16 v3, v[4:5], off
.LBB23_1049:
	s_mov_b32 s47, 0
.LBB23_1050:
	s_delay_alu instid0(SALU_CYCLE_1)
	s_and_not1_b32 vcc_lo, exec_lo, s47
	s_cbranch_vccnz .LBB23_1056
; %bb.1051:
	s_cmp_gt_i32 s0, 0
	s_mov_b32 s0, 0
	s_cbranch_scc0 .LBB23_1053
; %bb.1052:
	s_wait_loadcnt 0x0
	global_load_i8 v3, v[4:5], off
	s_branch .LBB23_1054
.LBB23_1053:
	s_mov_b32 s0, -1
                                        ; implicit-def: $vgpr3
.LBB23_1054:
	s_delay_alu instid0(SALU_CYCLE_1)
	s_and_not1_b32 vcc_lo, exec_lo, s0
	s_cbranch_vccnz .LBB23_1056
; %bb.1055:
	s_wait_loadcnt 0x0
	global_load_u8 v3, v[4:5], off
.LBB23_1056:
	s_mov_b32 s48, -1
.LBB23_1057:
	s_delay_alu instid0(SALU_CYCLE_1)
	s_and_not1_b32 vcc_lo, exec_lo, s48
	s_cbranch_vccnz .LBB23_1069
; %bb.1058:
	s_wait_loadcnt 0x0
	s_delay_alu instid0(VALU_DEP_1) | instskip(SKIP_2) | instid1(VALU_DEP_1)
	v_sub_nc_u32_e32 v4, 0, v3
	s_mov_b32 s47, 0
	s_mov_b32 s0, exec_lo
	v_max_i32_e32 v4, v3, v4
	v_cmpx_ne_u32_e32 0, v1
	s_cbranch_execz .LBB23_1062
; %bb.1059:
	v_sub_nc_u32_e32 v3, 0, v1
	s_delay_alu instid0(VALU_DEP_1)
	v_max_i32_e32 v3, v1, v3
.LBB23_1060:                            ; =>This Inner Loop Header: Depth=1
	s_delay_alu instid0(VALU_DEP_1) | instskip(NEXT) | instid1(VALU_DEP_1)
	v_mov_b32_e32 v1, v3
	v_cvt_f32_u32_e32 v3, v1
	v_sub_nc_u32_e32 v5, 0, v1
	s_delay_alu instid0(VALU_DEP_2) | instskip(SKIP_1) | instid1(TRANS32_DEP_1)
	v_rcp_iflag_f32_e32 v3, v3
	v_nop
	v_mul_f32_e32 v3, 0x4f7ffffe, v3
	s_delay_alu instid0(VALU_DEP_1) | instskip(NEXT) | instid1(VALU_DEP_1)
	v_cvt_u32_f32_e32 v3, v3
	v_mul_lo_u32 v5, v5, v3
	s_delay_alu instid0(VALU_DEP_1) | instskip(NEXT) | instid1(VALU_DEP_1)
	v_mul_hi_u32 v5, v3, v5
	v_add_nc_u32_e32 v3, v3, v5
	s_delay_alu instid0(VALU_DEP_1) | instskip(NEXT) | instid1(VALU_DEP_1)
	v_mul_hi_u32 v3, v4, v3
	v_mul_lo_u32 v3, v3, v1
	s_delay_alu instid0(VALU_DEP_1) | instskip(NEXT) | instid1(VALU_DEP_1)
	v_sub_nc_u32_e32 v3, v4, v3
	v_sub_nc_u32_e32 v4, v3, v1
	v_cmp_ge_u32_e32 vcc_lo, v3, v1
	s_delay_alu instid0(VALU_DEP_2) | instskip(NEXT) | instid1(VALU_DEP_1)
	v_cndmask_b32_e32 v3, v3, v4, vcc_lo
	v_sub_nc_u32_e32 v4, v3, v1
	v_cmp_ge_u32_e32 vcc_lo, v3, v1
	s_delay_alu instid0(VALU_DEP_2) | instskip(NEXT) | instid1(VALU_DEP_1)
	v_dual_cndmask_b32 v3, v3, v4 :: v_dual_mov_b32 v4, v1
	v_cmp_eq_u32_e32 vcc_lo, 0, v3
	s_or_b32 s47, vcc_lo, s47
	s_delay_alu instid0(SALU_CYCLE_1)
	s_and_not1_b32 exec_lo, exec_lo, s47
	s_cbranch_execnz .LBB23_1060
; %bb.1061:
	s_or_b32 exec_lo, exec_lo, s47
	v_mov_b32_e32 v4, v1
.LBB23_1062:
	s_or_b32 exec_lo, exec_lo, s0
	v_mov_b32_e32 v3, 0
	s_and_b32 s47, s31, 0xff
	s_delay_alu instid0(SALU_CYCLE_1) | instskip(NEXT) | instid1(VALU_DEP_1)
	s_cmp_lt_i32 s47, 11
	v_add_nc_u64_e32 v[2:3], s[4:5], v[2:3]
	s_cbranch_scc1 .LBB23_1070
; %bb.1063:
	s_and_b32 s48, 0xffff, s47
	s_delay_alu instid0(SALU_CYCLE_1)
	s_cmp_gt_i32 s48, 25
	s_cbranch_scc0 .LBB23_1071
; %bb.1064:
	s_cmp_gt_i32 s48, 28
	s_cbranch_scc0 .LBB23_1072
; %bb.1065:
	;; [unrolled: 3-line block ×4, first 2 shown]
	s_mov_b32 s50, 0
	s_mov_b32 s0, -1
	s_cmp_eq_u32 s48, 46
	s_mov_b32 s49, 0
	s_cbranch_scc0 .LBB23_1075
; %bb.1068:
	v_cvt_f32_u32_e32 v1, v4
	s_mov_b32 s49, -1
	s_mov_b32 s0, 0
	s_delay_alu instid0(VALU_DEP_1) | instskip(NEXT) | instid1(VALU_DEP_1)
	v_bfe_u32 v5, v1, 16, 1
	v_add3_u32 v1, v1, v5, 0x7fff
	s_delay_alu instid0(VALU_DEP_1)
	v_lshrrev_b32_e32 v1, 16, v1
	global_store_b32 v[2:3], v1, off
	s_branch .LBB23_1075
.LBB23_1069:
	s_mov_b32 s50, 0
	s_mov_b32 s0, s43
	s_branch .LBB23_1186
.LBB23_1070:
	s_mov_b32 s48, -1
	s_mov_b32 s49, 0
	s_mov_b32 s0, s43
	s_branch .LBB23_1144
.LBB23_1071:
	s_mov_b32 s50, -1
	s_mov_b32 s49, 0
	s_mov_b32 s0, s43
	s_branch .LBB23_1102
.LBB23_1072:
	s_mov_b32 s50, -1
	s_mov_b32 s49, 0
	s_mov_b32 s0, s43
	s_branch .LBB23_1085
.LBB23_1073:
	s_mov_b32 s50, -1
	s_mov_b32 s49, 0
	s_mov_b32 s0, s43
	s_branch .LBB23_1081
.LBB23_1074:
	s_mov_b32 s50, -1
	s_mov_b32 s49, 0
	s_mov_b32 s0, s43
.LBB23_1075:
	s_and_b32 vcc_lo, exec_lo, s50
	s_cbranch_vccz .LBB23_1080
; %bb.1076:
	s_cmp_eq_u32 s48, 44
	s_mov_b32 s0, -1
	s_cbranch_scc0 .LBB23_1080
; %bb.1077:
	v_cvt_f32_u32_e32 v6, v4
	v_mov_b32_e32 v5, 0xff
	s_mov_b32 s49, exec_lo
	s_wait_xcnt 0x0
	s_delay_alu instid0(VALU_DEP_2) | instskip(NEXT) | instid1(VALU_DEP_1)
	v_lshrrev_b32_e32 v1, 23, v6
	v_cmpx_ne_u32_e32 0xff, v1
; %bb.1078:
	v_and_b32_e32 v5, 0x400000, v6
	v_and_or_b32 v6, 0x3fffff, v6, v1
	s_delay_alu instid0(VALU_DEP_2) | instskip(NEXT) | instid1(VALU_DEP_2)
	v_cmp_ne_u32_e32 vcc_lo, 0, v5
	v_cmp_ne_u32_e64 s0, 0, v6
	s_and_b32 s0, vcc_lo, s0
	s_delay_alu instid0(SALU_CYCLE_1) | instskip(NEXT) | instid1(VALU_DEP_1)
	v_cndmask_b32_e64 v5, 0, 1, s0
	v_add_nc_u32_e32 v5, v1, v5
; %bb.1079:
	s_or_b32 exec_lo, exec_lo, s49
	s_mov_b32 s49, -1
	s_mov_b32 s0, 0
	global_store_b8 v[2:3], v5, off
.LBB23_1080:
	s_mov_b32 s50, 0
.LBB23_1081:
	s_delay_alu instid0(SALU_CYCLE_1)
	s_and_b32 vcc_lo, exec_lo, s50
	s_cbranch_vccz .LBB23_1084
; %bb.1082:
	s_cmp_eq_u32 s48, 29
	s_mov_b32 s0, -1
	s_cbranch_scc0 .LBB23_1084
; %bb.1083:
	s_wait_xcnt 0x0
	v_mov_b32_e32 v5, 0
	s_mov_b32 s49, -1
	s_mov_b32 s0, 0
	s_mov_b32 s50, 0
	global_store_b64 v[2:3], v[4:5], off
	s_branch .LBB23_1085
.LBB23_1084:
	s_mov_b32 s50, 0
.LBB23_1085:
	s_delay_alu instid0(SALU_CYCLE_1)
	s_and_b32 vcc_lo, exec_lo, s50
	s_cbranch_vccz .LBB23_1101
; %bb.1086:
	s_cmp_lt_i32 s48, 27
	s_mov_b32 s49, -1
	s_cbranch_scc1 .LBB23_1092
; %bb.1087:
	s_cmp_gt_i32 s48, 27
	s_cbranch_scc0 .LBB23_1089
; %bb.1088:
	s_mov_b32 s49, 0
	global_store_b32 v[2:3], v4, off
.LBB23_1089:
	s_and_not1_b32 vcc_lo, exec_lo, s49
	s_cbranch_vccnz .LBB23_1091
; %bb.1090:
	global_store_b16 v[2:3], v4, off
.LBB23_1091:
	s_mov_b32 s49, 0
.LBB23_1092:
	s_delay_alu instid0(SALU_CYCLE_1)
	s_and_not1_b32 vcc_lo, exec_lo, s49
	s_cbranch_vccnz .LBB23_1100
; %bb.1093:
	s_wait_xcnt 0x0
	v_cvt_f32_u32_e32 v5, v4
	v_mov_b32_e32 v6, 0x80
	s_mov_b32 s49, exec_lo
	s_delay_alu instid0(VALU_DEP_2)
	v_cmpx_gt_u32_e32 0x43800000, v5
	s_cbranch_execz .LBB23_1099
; %bb.1094:
	s_mov_b32 s50, 0
	s_mov_b32 s51, exec_lo
                                        ; implicit-def: $vgpr1
	v_cmpx_lt_u32_e32 0x3bffffff, v5
	s_xor_b32 s51, exec_lo, s51
	s_cbranch_execz .LBB23_1214
; %bb.1095:
	v_bfe_u32 v1, v5, 20, 1
	s_mov_b32 s50, exec_lo
	s_delay_alu instid0(VALU_DEP_1) | instskip(NEXT) | instid1(VALU_DEP_1)
	v_add3_u32 v1, v5, v1, 0x487ffff
                                        ; implicit-def: $vgpr5
	v_lshrrev_b32_e32 v1, 20, v1
	s_and_not1_saveexec_b32 s51, s51
	s_cbranch_execnz .LBB23_1215
.LBB23_1096:
	s_or_b32 exec_lo, exec_lo, s51
	v_mov_b32_e32 v6, 0
	s_and_saveexec_b32 s51, s50
.LBB23_1097:
	v_mov_b32_e32 v6, v1
.LBB23_1098:
	s_or_b32 exec_lo, exec_lo, s51
.LBB23_1099:
	s_delay_alu instid0(SALU_CYCLE_1)
	s_or_b32 exec_lo, exec_lo, s49
	global_store_b8 v[2:3], v6, off
.LBB23_1100:
	s_mov_b32 s49, -1
.LBB23_1101:
	s_mov_b32 s50, 0
.LBB23_1102:
	s_delay_alu instid0(SALU_CYCLE_1)
	s_and_b32 vcc_lo, exec_lo, s50
	s_cbranch_vccz .LBB23_1143
; %bb.1103:
	s_cmp_gt_i32 s48, 22
	s_mov_b32 s50, -1
	s_cbranch_scc0 .LBB23_1135
; %bb.1104:
	s_cmp_lt_i32 s48, 24
	s_mov_b32 s49, -1
	s_cbranch_scc1 .LBB23_1124
; %bb.1105:
	s_cmp_gt_i32 s48, 24
	s_cbranch_scc0 .LBB23_1113
; %bb.1106:
	s_wait_xcnt 0x0
	v_cvt_f32_u32_e32 v5, v4
	v_mov_b32_e32 v6, 0x80
	s_mov_b32 s49, exec_lo
	s_delay_alu instid0(VALU_DEP_2)
	v_cmpx_gt_u32_e32 0x47800000, v5
	s_cbranch_execz .LBB23_1112
; %bb.1107:
	s_mov_b32 s50, 0
	s_mov_b32 s51, exec_lo
                                        ; implicit-def: $vgpr1
	v_cmpx_lt_u32_e32 0x37ffffff, v5
	s_xor_b32 s51, exec_lo, s51
	s_cbranch_execz .LBB23_2269
; %bb.1108:
	v_bfe_u32 v1, v5, 21, 1
	s_mov_b32 s50, exec_lo
	s_delay_alu instid0(VALU_DEP_1) | instskip(NEXT) | instid1(VALU_DEP_1)
	v_add3_u32 v1, v5, v1, 0x88fffff
                                        ; implicit-def: $vgpr5
	v_lshrrev_b32_e32 v1, 21, v1
	s_and_not1_saveexec_b32 s51, s51
	s_cbranch_execnz .LBB23_2270
.LBB23_1109:
	s_or_b32 exec_lo, exec_lo, s51
	v_mov_b32_e32 v6, 0
	s_and_saveexec_b32 s51, s50
.LBB23_1110:
	v_mov_b32_e32 v6, v1
.LBB23_1111:
	s_or_b32 exec_lo, exec_lo, s51
.LBB23_1112:
	s_delay_alu instid0(SALU_CYCLE_1)
	s_or_b32 exec_lo, exec_lo, s49
	s_mov_b32 s49, 0
	global_store_b8 v[2:3], v6, off
.LBB23_1113:
	s_and_b32 vcc_lo, exec_lo, s49
	s_cbranch_vccz .LBB23_1123
; %bb.1114:
	s_wait_xcnt 0x0
	v_cvt_f32_u32_e32 v5, v4
	s_mov_b32 s49, exec_lo
                                        ; implicit-def: $vgpr1
	s_delay_alu instid0(VALU_DEP_1)
	v_cmpx_gt_u32_e32 0x43f00000, v5
	s_xor_b32 s49, exec_lo, s49
	s_cbranch_execz .LBB23_1120
; %bb.1115:
	s_mov_b32 s50, exec_lo
                                        ; implicit-def: $vgpr1
	v_cmpx_lt_u32_e32 0x3c7fffff, v5
	s_xor_b32 s50, exec_lo, s50
; %bb.1116:
	v_bfe_u32 v1, v5, 20, 1
	s_delay_alu instid0(VALU_DEP_1) | instskip(NEXT) | instid1(VALU_DEP_1)
	v_add3_u32 v1, v5, v1, 0x407ffff
	v_and_b32_e32 v5, 0xff00000, v1
	v_lshrrev_b32_e32 v1, 20, v1
	s_delay_alu instid0(VALU_DEP_2) | instskip(NEXT) | instid1(VALU_DEP_2)
	v_cmp_ne_u32_e32 vcc_lo, 0x7f00000, v5
                                        ; implicit-def: $vgpr5
	v_cndmask_b32_e32 v1, 0x7e, v1, vcc_lo
; %bb.1117:
	s_and_not1_saveexec_b32 s50, s50
; %bb.1118:
	v_add_f32_e32 v1, 0x46800000, v5
; %bb.1119:
	s_or_b32 exec_lo, exec_lo, s50
                                        ; implicit-def: $vgpr5
.LBB23_1120:
	s_and_not1_saveexec_b32 s49, s49
; %bb.1121:
	v_mov_b32_e32 v1, 0x7f
	v_cmp_lt_u32_e32 vcc_lo, 0x7f800000, v5
	s_delay_alu instid0(VALU_DEP_2)
	v_cndmask_b32_e32 v1, 0x7e, v1, vcc_lo
; %bb.1122:
	s_or_b32 exec_lo, exec_lo, s49
	global_store_b8 v[2:3], v1, off
.LBB23_1123:
	s_mov_b32 s49, 0
.LBB23_1124:
	s_delay_alu instid0(SALU_CYCLE_1)
	s_and_not1_b32 vcc_lo, exec_lo, s49
	s_cbranch_vccnz .LBB23_1134
; %bb.1125:
	s_wait_xcnt 0x0
	v_cvt_f32_u32_e32 v5, v4
	s_mov_b32 s49, exec_lo
                                        ; implicit-def: $vgpr1
	s_delay_alu instid0(VALU_DEP_1)
	v_cmpx_gt_u32_e32 0x47800000, v5
	s_xor_b32 s49, exec_lo, s49
	s_cbranch_execz .LBB23_1131
; %bb.1126:
	s_mov_b32 s50, exec_lo
                                        ; implicit-def: $vgpr1
	v_cmpx_lt_u32_e32 0x387fffff, v5
	s_xor_b32 s50, exec_lo, s50
; %bb.1127:
	v_bfe_u32 v1, v5, 21, 1
	s_delay_alu instid0(VALU_DEP_1) | instskip(NEXT) | instid1(VALU_DEP_1)
	v_add3_u32 v1, v5, v1, 0x80fffff
                                        ; implicit-def: $vgpr5
	v_lshrrev_b32_e32 v1, 21, v1
; %bb.1128:
	s_and_not1_saveexec_b32 s50, s50
; %bb.1129:
	v_add_f32_e32 v1, 0x43000000, v5
; %bb.1130:
	s_or_b32 exec_lo, exec_lo, s50
                                        ; implicit-def: $vgpr5
.LBB23_1131:
	s_and_not1_saveexec_b32 s49, s49
; %bb.1132:
	v_mov_b32_e32 v1, 0x7f
	v_cmp_lt_u32_e32 vcc_lo, 0x7f800000, v5
	s_delay_alu instid0(VALU_DEP_2)
	v_cndmask_b32_e32 v1, 0x7c, v1, vcc_lo
; %bb.1133:
	s_or_b32 exec_lo, exec_lo, s49
	global_store_b8 v[2:3], v1, off
.LBB23_1134:
	s_mov_b32 s50, 0
	s_mov_b32 s49, -1
.LBB23_1135:
	s_and_not1_b32 vcc_lo, exec_lo, s50
	s_cbranch_vccnz .LBB23_1143
; %bb.1136:
	s_cmp_gt_i32 s48, 14
	s_mov_b32 s50, -1
	s_cbranch_scc0 .LBB23_1140
; %bb.1137:
	s_cmp_eq_u32 s48, 15
	s_mov_b32 s0, -1
	s_cbranch_scc0 .LBB23_1139
; %bb.1138:
	s_wait_xcnt 0x0
	v_cvt_f32_u32_e32 v1, v4
	s_mov_b32 s49, -1
	s_mov_b32 s0, 0
	s_delay_alu instid0(VALU_DEP_1) | instskip(NEXT) | instid1(VALU_DEP_1)
	v_bfe_u32 v5, v1, 16, 1
	v_add3_u32 v1, v1, v5, 0x7fff
	global_store_d16_hi_b16 v[2:3], v1, off
.LBB23_1139:
	s_mov_b32 s50, 0
.LBB23_1140:
	s_delay_alu instid0(SALU_CYCLE_1)
	s_and_b32 vcc_lo, exec_lo, s50
	s_cbranch_vccz .LBB23_1143
; %bb.1141:
	s_cmp_eq_u32 s48, 11
	s_mov_b32 s0, -1
	s_cbranch_scc0 .LBB23_1143
; %bb.1142:
	v_cmp_ne_u32_e32 vcc_lo, 0, v4
	s_mov_b32 s0, 0
	s_mov_b32 s49, -1
	s_wait_xcnt 0x0
	v_cndmask_b32_e64 v1, 0, 1, vcc_lo
	global_store_b8 v[2:3], v1, off
.LBB23_1143:
	s_mov_b32 s48, 0
.LBB23_1144:
	s_delay_alu instid0(SALU_CYCLE_1)
	s_and_b32 vcc_lo, exec_lo, s48
	s_cbranch_vccz .LBB23_1183
; %bb.1145:
	s_and_b32 s47, 0xffff, s47
	s_mov_b32 s48, -1
	s_cmp_lt_i32 s47, 5
	s_cbranch_scc1 .LBB23_1166
; %bb.1146:
	s_cmp_lt_i32 s47, 8
	s_cbranch_scc1 .LBB23_1156
; %bb.1147:
	;; [unrolled: 3-line block ×3, first 2 shown]
	s_cmp_gt_i32 s47, 9
	s_cbranch_scc0 .LBB23_1150
; %bb.1149:
	s_wait_xcnt 0x0
	v_cvt_f64_u32_e32 v[6:7], v4
	v_mov_b32_e32 v8, 0
	s_mov_b32 s48, 0
	s_delay_alu instid0(VALU_DEP_1)
	v_mov_b32_e32 v9, v8
	global_store_b128 v[2:3], v[6:9], off
.LBB23_1150:
	s_and_not1_b32 vcc_lo, exec_lo, s48
	s_cbranch_vccnz .LBB23_1152
; %bb.1151:
	s_wait_xcnt 0x0
	v_cvt_f32_u32_e32 v6, v4
	v_mov_b32_e32 v7, 0
	global_store_b64 v[2:3], v[6:7], off
.LBB23_1152:
	s_mov_b32 s48, 0
.LBB23_1153:
	s_delay_alu instid0(SALU_CYCLE_1)
	s_and_not1_b32 vcc_lo, exec_lo, s48
	s_cbranch_vccnz .LBB23_1155
; %bb.1154:
	s_wait_xcnt 0x0
	v_cvt_f32_u32_e32 v1, v4
	s_delay_alu instid0(VALU_DEP_1) | instskip(NEXT) | instid1(VALU_DEP_1)
	v_cvt_f16_f32_e32 v1, v1
	v_and_b32_e32 v1, 0xffff, v1
	global_store_b32 v[2:3], v1, off
.LBB23_1155:
	s_mov_b32 s48, 0
.LBB23_1156:
	s_delay_alu instid0(SALU_CYCLE_1)
	s_and_not1_b32 vcc_lo, exec_lo, s48
	s_cbranch_vccnz .LBB23_1165
; %bb.1157:
	s_cmp_lt_i32 s47, 6
	s_mov_b32 s48, -1
	s_cbranch_scc1 .LBB23_1163
; %bb.1158:
	s_cmp_gt_i32 s47, 6
	s_cbranch_scc0 .LBB23_1160
; %bb.1159:
	s_wait_xcnt 0x0
	v_cvt_f64_u32_e32 v[6:7], v4
	s_mov_b32 s48, 0
	global_store_b64 v[2:3], v[6:7], off
.LBB23_1160:
	s_and_not1_b32 vcc_lo, exec_lo, s48
	s_cbranch_vccnz .LBB23_1162
; %bb.1161:
	s_wait_xcnt 0x0
	v_cvt_f32_u32_e32 v1, v4
	global_store_b32 v[2:3], v1, off
.LBB23_1162:
	s_mov_b32 s48, 0
.LBB23_1163:
	s_delay_alu instid0(SALU_CYCLE_1)
	s_and_not1_b32 vcc_lo, exec_lo, s48
	s_cbranch_vccnz .LBB23_1165
; %bb.1164:
	s_wait_xcnt 0x0
	v_cvt_f32_u32_e32 v1, v4
	s_delay_alu instid0(VALU_DEP_1)
	v_cvt_f16_f32_e32 v1, v1
	global_store_b16 v[2:3], v1, off
.LBB23_1165:
	s_mov_b32 s48, 0
.LBB23_1166:
	s_delay_alu instid0(SALU_CYCLE_1)
	s_and_not1_b32 vcc_lo, exec_lo, s48
	s_cbranch_vccnz .LBB23_1182
; %bb.1167:
	s_cmp_lt_i32 s47, 2
	s_mov_b32 s48, -1
	s_cbranch_scc1 .LBB23_1177
; %bb.1168:
	s_cmp_lt_i32 s47, 3
	s_cbranch_scc1 .LBB23_1174
; %bb.1169:
	s_cmp_gt_i32 s47, 3
	s_cbranch_scc0 .LBB23_1171
; %bb.1170:
	s_wait_xcnt 0x0
	v_mov_b32_e32 v5, 0
	s_mov_b32 s48, 0
	global_store_b64 v[2:3], v[4:5], off
.LBB23_1171:
	s_and_not1_b32 vcc_lo, exec_lo, s48
	s_cbranch_vccnz .LBB23_1173
; %bb.1172:
	global_store_b32 v[2:3], v4, off
.LBB23_1173:
	s_mov_b32 s48, 0
.LBB23_1174:
	s_delay_alu instid0(SALU_CYCLE_1)
	s_and_not1_b32 vcc_lo, exec_lo, s48
	s_cbranch_vccnz .LBB23_1176
; %bb.1175:
	global_store_b16 v[2:3], v4, off
.LBB23_1176:
	s_mov_b32 s48, 0
.LBB23_1177:
	s_delay_alu instid0(SALU_CYCLE_1)
	s_and_not1_b32 vcc_lo, exec_lo, s48
	s_cbranch_vccnz .LBB23_1182
; %bb.1178:
	s_cmp_gt_i32 s47, 0
	s_mov_b32 s47, -1
	s_cbranch_scc0 .LBB23_1180
; %bb.1179:
	s_mov_b32 s47, 0
	global_store_b8 v[2:3], v4, off
.LBB23_1180:
	s_and_not1_b32 vcc_lo, exec_lo, s47
	s_cbranch_vccnz .LBB23_1182
; %bb.1181:
	global_store_b8 v[2:3], v4, off
.LBB23_1182:
	s_mov_b32 s49, -1
.LBB23_1183:
	s_delay_alu instid0(SALU_CYCLE_1)
	s_and_not1_b32 vcc_lo, exec_lo, s49
	s_cbranch_vccnz .LBB23_1185
; %bb.1184:
	v_add_nc_u32_e32 v0, 0x80, v0
	s_mov_b32 s50, -1
	s_branch .LBB23_1187
.LBB23_1185:
	s_mov_b32 s50, 0
.LBB23_1186:
                                        ; implicit-def: $vgpr0
.LBB23_1187:
	s_and_not1_b32 s47, s43, exec_lo
	s_and_b32 s0, s0, exec_lo
	s_and_b32 s25, s25, exec_lo
	s_or_b32 s48, s47, s0
	s_and_not1_b32 s0, s44, exec_lo
	s_and_not1_b32 s47, s42, exec_lo
	s_and_b32 s24, s24, exec_lo
	s_or_b32 s49, s0, s25
	s_or_b32 s47, s47, s24
	s_or_not1_b32 s51, s50, exec_lo
.LBB23_1188:
	s_wait_xcnt 0x0
	s_or_b32 exec_lo, exec_lo, s46
	s_mov_b32 s25, 0
	s_mov_b32 s50, 0
	;; [unrolled: 1-line block ×3, first 2 shown]
                                        ; implicit-def: $sgpr0
                                        ; implicit-def: $vgpr6_vgpr7
                                        ; implicit-def: $vgpr4
                                        ; implicit-def: $vgpr2
                                        ; implicit-def: $vgpr3
	s_and_saveexec_b32 s46, s51
	s_cbranch_execz .LBB23_1279
; %bb.1189:
	v_cmp_gt_i32_e32 vcc_lo, s36, v0
	s_mov_b32 s51, s47
                                        ; implicit-def: $sgpr0
                                        ; implicit-def: $vgpr6_vgpr7
                                        ; implicit-def: $vgpr4
                                        ; implicit-def: $vgpr2
                                        ; implicit-def: $vgpr3
	s_and_saveexec_b32 s36, vcc_lo
	s_cbranch_execz .LBB23_1278
; %bb.1190:
	s_and_not1_b32 vcc_lo, exec_lo, s29
	s_cbranch_vccnz .LBB23_1196
; %bb.1191:
	s_and_not1_b32 vcc_lo, exec_lo, s37
	s_cbranch_vccnz .LBB23_1197
; %bb.1192:
	s_wait_loadcnt 0x0
	v_dual_mov_b32 v2, 0 :: v_dual_mov_b32 v1, v0
	v_dual_mov_b32 v6, 0 :: v_dual_mov_b32 v4, 0
	s_add_co_i32 s0, s35, 1
	s_mov_b64 s[24:25], 0xffffffffffffffe8
	s_and_b32 s0, s0, 30
	s_add_nc_u64 s[24:25], s[2:3], s[24:25]
.LBB23_1193:                            ; =>This Inner Loop Header: Depth=1
	s_clause 0x1
	s_load_b128 s[52:55], s[24:25], 0x1c
	s_load_b64 s[50:51], s[24:25], 0x2c
	s_add_co_i32 s0, s0, -2
	s_delay_alu instid0(SALU_CYCLE_1) | instskip(SKIP_2) | instid1(VALU_DEP_1)
	s_cmp_eq_u32 s0, 0
	s_wait_kmcnt 0x0
	v_mul_hi_u32 v3, s53, v1
	v_add_nc_u32_e32 v3, v1, v3
	s_delay_alu instid0(VALU_DEP_1) | instskip(NEXT) | instid1(VALU_DEP_1)
	v_lshrrev_b32_e32 v3, s54, v3
	v_mul_hi_u32 v5, s50, v3
	v_mul_lo_u32 v7, v3, s52
	s_clause 0x1
	s_load_b128 s[56:59], s[24:25], 0xdc
	s_load_b64 s[52:53], s[24:25], 0xec
	s_wait_xcnt 0x0
	s_add_nc_u64 s[24:25], s[24:25], 24
	s_delay_alu instid0(VALU_DEP_1) | instskip(NEXT) | instid1(VALU_DEP_1)
	v_dual_add_nc_u32 v5, v3, v5 :: v_dual_sub_nc_u32 v7, v1, v7
	v_lshrrev_b32_e32 v1, s51, v5
	s_wait_kmcnt 0x0
	s_delay_alu instid0(VALU_DEP_2) | instskip(NEXT) | instid1(VALU_DEP_2)
	v_mad_u32 v2, v7, s56, v2
	v_mul_lo_u32 v5, v1, s55
	v_mad_u32 v4, v7, s58, v4
	v_mad_u32 v6, v7, s57, v6
	s_delay_alu instid0(VALU_DEP_3) | instskip(NEXT) | instid1(VALU_DEP_1)
	v_sub_nc_u32_e32 v3, v3, v5
	v_mad_u32 v2, v3, s59, v2
	s_delay_alu instid0(VALU_DEP_4) | instskip(NEXT) | instid1(VALU_DEP_4)
	v_mad_u32 v4, v3, s53, v4
	v_mad_u32 v6, v3, s52, v6
	s_cbranch_scc0 .LBB23_1193
; %bb.1194:
	s_bitcmp1_b32 s35, 0
	s_cselect_b32 s0, -1, 0
	s_delay_alu instid0(SALU_CYCLE_1)
	s_and_b32 vcc_lo, exec_lo, s0
	s_cbranch_vccnz .LBB23_1198
; %bb.1195:
	s_clause 0x1
	s_load_b96 s[52:54], s[24:25], 0x1c
	s_load_b96 s[56:58], s[24:25], 0xdc
	s_wait_kmcnt 0x0
	v_mul_hi_u32 v3, s53, v1
	s_delay_alu instid0(VALU_DEP_1) | instskip(NEXT) | instid1(VALU_DEP_1)
	v_add_nc_u32_e32 v3, v1, v3
	v_lshrrev_b32_e32 v3, s54, v3
	s_delay_alu instid0(VALU_DEP_1) | instskip(NEXT) | instid1(VALU_DEP_1)
	v_mul_lo_u32 v3, v3, s52
	v_sub_nc_u32_e32 v1, v1, v3
	s_delay_alu instid0(VALU_DEP_1)
	v_mad_u32 v2, v1, s56, v2
	v_mad_u32 v6, v1, s57, v6
	v_mad_u32 v4, v1, s58, v4
	s_branch .LBB23_1198
.LBB23_1196:
	s_mov_b32 s0, -1
                                        ; implicit-def: $vgpr4
                                        ; implicit-def: $vgpr6
                                        ; implicit-def: $vgpr2
	s_branch .LBB23_1199
.LBB23_1197:
	v_dual_mov_b32 v4, 0 :: v_dual_mov_b32 v6, 0
	v_mov_b32_e32 v2, 0
.LBB23_1198:
	s_mov_b32 s0, 0
.LBB23_1199:
	s_delay_alu instid0(SALU_CYCLE_1)
	s_and_not1_b32 vcc_lo, exec_lo, s0
	s_cbranch_vccnz .LBB23_1202
; %bb.1200:
	s_wait_loadcnt 0x0
	v_mov_b32_e32 v1, 0
	s_and_not1_b32 vcc_lo, exec_lo, s34
	s_delay_alu instid0(VALU_DEP_1) | instskip(NEXT) | instid1(VALU_DEP_1)
	v_mul_u64_e32 v[2:3], s[18:19], v[0:1]
	v_add_nc_u32_e32 v2, v0, v3
	s_delay_alu instid0(VALU_DEP_1) | instskip(NEXT) | instid1(VALU_DEP_1)
	v_lshrrev_b32_e32 v8, s10, v2
	v_mul_lo_u32 v2, v8, s8
	s_delay_alu instid0(VALU_DEP_1) | instskip(NEXT) | instid1(VALU_DEP_1)
	v_sub_nc_u32_e32 v0, v0, v2
	v_mul_lo_u32 v2, v0, s12
	v_mul_lo_u32 v4, v0, s14
	;; [unrolled: 1-line block ×3, first 2 shown]
	s_cbranch_vccnz .LBB23_1202
; %bb.1201:
	v_mov_b32_e32 v9, v1
	s_delay_alu instid0(VALU_DEP_1) | instskip(NEXT) | instid1(VALU_DEP_1)
	v_mul_u64_e32 v[0:1], s[22:23], v[8:9]
	v_add_nc_u32_e32 v0, v8, v1
	s_delay_alu instid0(VALU_DEP_1) | instskip(NEXT) | instid1(VALU_DEP_1)
	v_lshrrev_b32_e32 v0, s1, v0
	v_mul_lo_u32 v0, v0, s11
	s_delay_alu instid0(VALU_DEP_1) | instskip(NEXT) | instid1(VALU_DEP_1)
	v_sub_nc_u32_e32 v0, v8, v0
	v_mad_u32 v2, v0, s15, v2
	v_mad_u32 v6, v0, s20, v6
	v_mad_u32 v4, v0, s21, v4
.LBB23_1202:
	v_mov_b32_e32 v7, 0
	s_and_b32 s0, s33, 0xff
	s_delay_alu instid0(SALU_CYCLE_1) | instskip(NEXT) | instid1(VALU_DEP_1)
	s_cmp_lt_i32 s0, 11
	v_add_nc_u64_e32 v[6:7], s[6:7], v[6:7]
	s_cbranch_scc1 .LBB23_1209
; %bb.1203:
	s_and_b32 s6, 0xffff, s0
	s_mov_b32 s7, 0
	s_cmp_gt_i32 s6, 25
	s_cbranch_scc0 .LBB23_1210
; %bb.1204:
	s_cmp_gt_i32 s6, 28
	s_cbranch_scc0 .LBB23_1211
; %bb.1205:
	;; [unrolled: 3-line block ×4, first 2 shown]
	s_cmp_eq_u32 s6, 46
	s_mov_b32 s10, 0
	s_cbranch_scc0 .LBB23_1216
; %bb.1208:
	global_load_b32 v0, v[6:7], off
	s_mov_b32 s1, 0
	s_mov_b32 s8, -1
	s_wait_loadcnt 0x0
	v_lshlrev_b32_e32 v0, 16, v0
	s_delay_alu instid0(VALU_DEP_1)
	v_cvt_i32_f32_e32 v3, v0
	s_branch .LBB23_1218
.LBB23_1209:
	s_mov_b32 s6, -1
	s_mov_b32 s8, 0
	s_mov_b32 s7, 0
	s_mov_b32 s1, s47
                                        ; implicit-def: $vgpr3
	s_branch .LBB23_1277
.LBB23_1210:
	s_mov_b32 s10, -1
	s_mov_b32 s8, 0
	s_mov_b32 s1, s47
                                        ; implicit-def: $vgpr3
	s_branch .LBB23_1245
.LBB23_1211:
	s_mov_b32 s10, -1
	s_mov_b32 s8, 0
	s_mov_b32 s1, s47
                                        ; implicit-def: $vgpr3
	s_branch .LBB23_1228
.LBB23_1212:
	s_mov_b32 s10, -1
	s_mov_b32 s8, 0
	s_mov_b32 s1, s47
                                        ; implicit-def: $vgpr3
	s_branch .LBB23_1223
.LBB23_1213:
	s_mov_b32 s10, -1
	s_mov_b32 s8, 0
	s_mov_b32 s1, s47
	s_branch .LBB23_1217
.LBB23_1214:
	s_and_not1_saveexec_b32 s51, s51
	s_cbranch_execz .LBB23_1096
.LBB23_1215:
	v_add_f32_e32 v1, 0x46000000, v5
	s_and_not1_b32 s50, s50, exec_lo
	s_delay_alu instid0(VALU_DEP_1) | instskip(NEXT) | instid1(VALU_DEP_1)
	v_and_b32_e32 v1, 0xff, v1
	v_cmp_ne_u32_e32 vcc_lo, 0, v1
	s_and_b32 s52, vcc_lo, exec_lo
	s_delay_alu instid0(SALU_CYCLE_1)
	s_or_b32 s50, s50, s52
	s_or_b32 exec_lo, exec_lo, s51
	v_mov_b32_e32 v6, 0
	s_and_saveexec_b32 s51, s50
	s_cbranch_execnz .LBB23_1097
	s_branch .LBB23_1098
.LBB23_1216:
	s_mov_b32 s1, -1
	s_mov_b32 s8, 0
.LBB23_1217:
                                        ; implicit-def: $vgpr3
.LBB23_1218:
	s_and_b32 vcc_lo, exec_lo, s10
	s_cbranch_vccz .LBB23_1222
; %bb.1219:
	s_cmp_eq_u32 s6, 44
	s_cbranch_scc0 .LBB23_1221
; %bb.1220:
	global_load_u8 v0, v[6:7], off
	s_mov_b32 s1, 0
	s_mov_b32 s8, -1
	s_wait_loadcnt 0x0
	v_lshlrev_b32_e32 v1, 23, v0
	v_cmp_ne_u32_e32 vcc_lo, 0, v0
	s_delay_alu instid0(VALU_DEP_2) | instskip(NEXT) | instid1(VALU_DEP_1)
	v_cvt_i32_f32_e32 v1, v1
	v_cndmask_b32_e32 v3, 0, v1, vcc_lo
	s_branch .LBB23_1222
.LBB23_1221:
	s_mov_b32 s1, -1
                                        ; implicit-def: $vgpr3
.LBB23_1222:
	s_mov_b32 s10, 0
.LBB23_1223:
	s_delay_alu instid0(SALU_CYCLE_1)
	s_and_b32 vcc_lo, exec_lo, s10
	s_cbranch_vccz .LBB23_1227
; %bb.1224:
	s_cmp_eq_u32 s6, 29
	s_cbranch_scc0 .LBB23_1226
; %bb.1225:
	s_wait_loadcnt 0x0
	global_load_b32 v3, v[6:7], off
	s_mov_b32 s1, 0
	s_mov_b32 s8, -1
	s_branch .LBB23_1227
.LBB23_1226:
	s_mov_b32 s1, -1
                                        ; implicit-def: $vgpr3
.LBB23_1227:
	s_mov_b32 s10, 0
.LBB23_1228:
	s_delay_alu instid0(SALU_CYCLE_1)
	s_and_b32 vcc_lo, exec_lo, s10
	s_cbranch_vccz .LBB23_1244
; %bb.1229:
	s_cmp_lt_i32 s6, 27
	s_cbranch_scc1 .LBB23_1232
; %bb.1230:
	s_cmp_gt_i32 s6, 27
	s_cbranch_scc0 .LBB23_1233
; %bb.1231:
	s_wait_loadcnt 0x0
	global_load_b32 v3, v[6:7], off
	s_mov_b32 s8, 0
	s_branch .LBB23_1234
.LBB23_1232:
	s_mov_b32 s8, -1
                                        ; implicit-def: $vgpr3
	s_branch .LBB23_1237
.LBB23_1233:
	s_mov_b32 s8, -1
                                        ; implicit-def: $vgpr3
.LBB23_1234:
	s_delay_alu instid0(SALU_CYCLE_1)
	s_and_not1_b32 vcc_lo, exec_lo, s8
	s_cbranch_vccnz .LBB23_1236
; %bb.1235:
	s_wait_loadcnt 0x0
	global_load_u16 v3, v[6:7], off
.LBB23_1236:
	s_mov_b32 s8, 0
.LBB23_1237:
	s_delay_alu instid0(SALU_CYCLE_1)
	s_and_not1_b32 vcc_lo, exec_lo, s8
	s_cbranch_vccnz .LBB23_1243
; %bb.1238:
	global_load_u8 v0, v[6:7], off
	s_mov_b32 s10, 0
	s_mov_b32 s8, exec_lo
	s_wait_loadcnt 0x0
	v_cmpx_lt_i16_e32 0x7f, v0
	s_xor_b32 s8, exec_lo, s8
	s_cbranch_execz .LBB23_1255
; %bb.1239:
	v_cmp_ne_u16_e32 vcc_lo, 0x80, v0
	s_and_b32 s10, vcc_lo, exec_lo
	s_and_not1_saveexec_b32 s8, s8
	s_cbranch_execnz .LBB23_1256
.LBB23_1240:
	s_or_b32 exec_lo, exec_lo, s8
	v_mov_b32_e32 v3, 0
	s_and_saveexec_b32 s8, s10
	s_cbranch_execz .LBB23_1242
.LBB23_1241:
	v_and_b32_e32 v1, 0xffff, v0
	s_delay_alu instid0(VALU_DEP_1) | instskip(SKIP_1) | instid1(VALU_DEP_2)
	v_dual_lshlrev_b32 v0, 24, v0 :: v_dual_bitop2_b32 v3, 7, v1 bitop3:0x40
	v_bfe_u32 v9, v1, 3, 4
	v_and_b32_e32 v0, 0x80000000, v0
	s_delay_alu instid0(VALU_DEP_3) | instskip(NEXT) | instid1(VALU_DEP_3)
	v_clz_i32_u32_e32 v5, v3
	v_cmp_eq_u32_e32 vcc_lo, 0, v9
	s_delay_alu instid0(VALU_DEP_2) | instskip(NEXT) | instid1(VALU_DEP_1)
	v_min_u32_e32 v5, 32, v5
	v_subrev_nc_u32_e32 v8, 28, v5
	v_sub_nc_u32_e32 v5, 29, v5
	s_delay_alu instid0(VALU_DEP_2) | instskip(NEXT) | instid1(VALU_DEP_2)
	v_lshlrev_b32_e32 v1, v8, v1
	v_cndmask_b32_e32 v5, v9, v5, vcc_lo
	s_delay_alu instid0(VALU_DEP_2) | instskip(NEXT) | instid1(VALU_DEP_1)
	v_and_b32_e32 v1, 7, v1
	v_cndmask_b32_e32 v1, v3, v1, vcc_lo
	s_delay_alu instid0(VALU_DEP_3) | instskip(NEXT) | instid1(VALU_DEP_2)
	v_lshl_add_u32 v3, v5, 23, 0x3b800000
	v_lshlrev_b32_e32 v1, 20, v1
	s_delay_alu instid0(VALU_DEP_1) | instskip(NEXT) | instid1(VALU_DEP_1)
	v_or3_b32 v0, v0, v3, v1
	v_cvt_i32_f32_e32 v3, v0
.LBB23_1242:
	s_or_b32 exec_lo, exec_lo, s8
.LBB23_1243:
	s_mov_b32 s8, -1
.LBB23_1244:
	s_mov_b32 s10, 0
.LBB23_1245:
	s_delay_alu instid0(SALU_CYCLE_1)
	s_and_b32 vcc_lo, exec_lo, s10
	s_cbranch_vccz .LBB23_1276
; %bb.1246:
	s_cmp_gt_i32 s6, 22
	s_cbranch_scc0 .LBB23_1254
; %bb.1247:
	s_cmp_lt_i32 s6, 24
	s_cbranch_scc1 .LBB23_1257
; %bb.1248:
	s_cmp_gt_i32 s6, 24
	s_cbranch_scc0 .LBB23_1258
; %bb.1249:
	global_load_u8 v0, v[6:7], off
	s_mov_b32 s8, 0
	s_mov_b32 s7, exec_lo
	s_wait_loadcnt 0x0
	v_cmpx_lt_i16_e32 0x7f, v0
	s_xor_b32 s7, exec_lo, s7
	s_cbranch_execz .LBB23_1270
; %bb.1250:
	v_cmp_ne_u16_e32 vcc_lo, 0x80, v0
	s_and_b32 s8, vcc_lo, exec_lo
	s_and_not1_saveexec_b32 s7, s7
	s_cbranch_execnz .LBB23_1271
.LBB23_1251:
	s_or_b32 exec_lo, exec_lo, s7
	v_mov_b32_e32 v3, 0
	s_and_saveexec_b32 s7, s8
	s_cbranch_execz .LBB23_1253
.LBB23_1252:
	v_and_b32_e32 v1, 0xffff, v0
	s_delay_alu instid0(VALU_DEP_1) | instskip(SKIP_1) | instid1(VALU_DEP_2)
	v_dual_lshlrev_b32 v0, 24, v0 :: v_dual_bitop2_b32 v3, 3, v1 bitop3:0x40
	v_bfe_u32 v9, v1, 2, 5
	v_and_b32_e32 v0, 0x80000000, v0
	s_delay_alu instid0(VALU_DEP_3) | instskip(NEXT) | instid1(VALU_DEP_3)
	v_clz_i32_u32_e32 v5, v3
	v_cmp_eq_u32_e32 vcc_lo, 0, v9
	s_delay_alu instid0(VALU_DEP_2) | instskip(NEXT) | instid1(VALU_DEP_1)
	v_min_u32_e32 v5, 32, v5
	v_subrev_nc_u32_e32 v8, 29, v5
	v_sub_nc_u32_e32 v5, 30, v5
	s_delay_alu instid0(VALU_DEP_2) | instskip(NEXT) | instid1(VALU_DEP_2)
	v_lshlrev_b32_e32 v1, v8, v1
	v_cndmask_b32_e32 v5, v9, v5, vcc_lo
	s_delay_alu instid0(VALU_DEP_2) | instskip(NEXT) | instid1(VALU_DEP_1)
	v_and_b32_e32 v1, 3, v1
	v_cndmask_b32_e32 v1, v3, v1, vcc_lo
	s_delay_alu instid0(VALU_DEP_3) | instskip(NEXT) | instid1(VALU_DEP_2)
	v_lshl_add_u32 v3, v5, 23, 0x37800000
	v_lshlrev_b32_e32 v1, 21, v1
	s_delay_alu instid0(VALU_DEP_1) | instskip(NEXT) | instid1(VALU_DEP_1)
	v_or3_b32 v0, v0, v3, v1
	v_cvt_i32_f32_e32 v3, v0
.LBB23_1253:
	s_or_b32 exec_lo, exec_lo, s7
	s_mov_b32 s7, 0
	s_branch .LBB23_1259
.LBB23_1254:
	s_mov_b32 s7, -1
                                        ; implicit-def: $vgpr3
	s_branch .LBB23_1265
.LBB23_1255:
	s_and_not1_saveexec_b32 s8, s8
	s_cbranch_execz .LBB23_1240
.LBB23_1256:
	v_cmp_ne_u16_e32 vcc_lo, 0, v0
	s_and_not1_b32 s10, s10, exec_lo
	s_and_b32 s11, vcc_lo, exec_lo
	s_delay_alu instid0(SALU_CYCLE_1)
	s_or_b32 s10, s10, s11
	s_or_b32 exec_lo, exec_lo, s8
	v_mov_b32_e32 v3, 0
	s_and_saveexec_b32 s8, s10
	s_cbranch_execnz .LBB23_1241
	s_branch .LBB23_1242
.LBB23_1257:
	s_mov_b32 s7, -1
                                        ; implicit-def: $vgpr3
	s_branch .LBB23_1262
.LBB23_1258:
	s_mov_b32 s7, -1
                                        ; implicit-def: $vgpr3
.LBB23_1259:
	s_delay_alu instid0(SALU_CYCLE_1)
	s_and_b32 vcc_lo, exec_lo, s7
	s_cbranch_vccz .LBB23_1261
; %bb.1260:
	global_load_u8 v0, v[6:7], off
	s_wait_loadcnt 0x0
	v_lshlrev_b32_e32 v0, 24, v0
	s_delay_alu instid0(VALU_DEP_1) | instskip(NEXT) | instid1(VALU_DEP_1)
	v_and_b32_e32 v1, 0x7f000000, v0
	v_clz_i32_u32_e32 v3, v1
	v_cmp_ne_u32_e32 vcc_lo, 0, v1
	v_add_nc_u32_e32 v8, 0x1000000, v1
	s_delay_alu instid0(VALU_DEP_3) | instskip(NEXT) | instid1(VALU_DEP_1)
	v_min_u32_e32 v3, 32, v3
	v_sub_nc_u32_e64 v3, v3, 4 clamp
	s_delay_alu instid0(VALU_DEP_1) | instskip(NEXT) | instid1(VALU_DEP_1)
	v_dual_lshlrev_b32 v5, v3, v1 :: v_dual_lshlrev_b32 v3, 23, v3
	v_lshrrev_b32_e32 v5, 4, v5
	s_delay_alu instid0(VALU_DEP_1) | instskip(NEXT) | instid1(VALU_DEP_1)
	v_dual_sub_nc_u32 v3, v5, v3 :: v_dual_ashrrev_i32 v5, 8, v8
	v_add_nc_u32_e32 v3, 0x3c000000, v3
	s_delay_alu instid0(VALU_DEP_1) | instskip(NEXT) | instid1(VALU_DEP_1)
	v_and_or_b32 v3, 0x7f800000, v5, v3
	v_cndmask_b32_e32 v1, 0, v3, vcc_lo
	s_delay_alu instid0(VALU_DEP_1) | instskip(NEXT) | instid1(VALU_DEP_1)
	v_and_or_b32 v0, 0x80000000, v0, v1
	v_cvt_i32_f32_e32 v3, v0
.LBB23_1261:
	s_mov_b32 s7, 0
.LBB23_1262:
	s_delay_alu instid0(SALU_CYCLE_1)
	s_and_not1_b32 vcc_lo, exec_lo, s7
	s_cbranch_vccnz .LBB23_1264
; %bb.1263:
	global_load_u8 v0, v[6:7], off
	s_wait_loadcnt 0x0
	v_lshlrev_b32_e32 v1, 25, v0
	v_lshlrev_b16 v0, 8, v0
	s_delay_alu instid0(VALU_DEP_1) | instskip(SKIP_1) | instid1(VALU_DEP_2)
	v_and_or_b32 v5, 0x7f00, v0, 0.5
	v_bfe_i32 v0, v0, 0, 16
	v_add_f32_e32 v5, -0.5, v5
	v_lshrrev_b32_e32 v3, 4, v1
	v_cmp_gt_u32_e32 vcc_lo, 0x8000000, v1
	s_delay_alu instid0(VALU_DEP_2) | instskip(NEXT) | instid1(VALU_DEP_1)
	v_or_b32_e32 v3, 0x70000000, v3
	v_mul_f32_e32 v3, 0x7800000, v3
	s_delay_alu instid0(VALU_DEP_1) | instskip(NEXT) | instid1(VALU_DEP_1)
	v_cndmask_b32_e32 v1, v3, v5, vcc_lo
	v_and_or_b32 v0, 0x80000000, v0, v1
	s_delay_alu instid0(VALU_DEP_1)
	v_cvt_i32_f32_e32 v3, v0
.LBB23_1264:
	s_mov_b32 s7, 0
	s_mov_b32 s8, -1
.LBB23_1265:
	s_and_not1_b32 vcc_lo, exec_lo, s7
	s_mov_b32 s7, 0
	s_cbranch_vccnz .LBB23_1276
; %bb.1266:
	s_cmp_gt_i32 s6, 14
	s_cbranch_scc0 .LBB23_1269
; %bb.1267:
	s_cmp_eq_u32 s6, 15
	s_cbranch_scc0 .LBB23_1272
; %bb.1268:
	global_load_u16 v0, v[6:7], off
	s_mov_b32 s1, 0
	s_mov_b32 s8, -1
	s_wait_loadcnt 0x0
	v_lshlrev_b32_e32 v0, 16, v0
	s_delay_alu instid0(VALU_DEP_1)
	v_cvt_i32_f32_e32 v3, v0
	s_branch .LBB23_1274
.LBB23_1269:
	s_mov_b32 s7, -1
	s_branch .LBB23_1273
.LBB23_1270:
	s_and_not1_saveexec_b32 s7, s7
	s_cbranch_execz .LBB23_1251
.LBB23_1271:
	v_cmp_ne_u16_e32 vcc_lo, 0, v0
	s_and_not1_b32 s8, s8, exec_lo
	s_and_b32 s10, vcc_lo, exec_lo
	s_delay_alu instid0(SALU_CYCLE_1)
	s_or_b32 s8, s8, s10
	s_or_b32 exec_lo, exec_lo, s7
	v_mov_b32_e32 v3, 0
	s_and_saveexec_b32 s7, s8
	s_cbranch_execnz .LBB23_1252
	s_branch .LBB23_1253
.LBB23_1272:
	s_mov_b32 s1, -1
.LBB23_1273:
                                        ; implicit-def: $vgpr3
.LBB23_1274:
	s_and_b32 vcc_lo, exec_lo, s7
	s_mov_b32 s7, 0
	s_cbranch_vccz .LBB23_1276
; %bb.1275:
	s_cmp_lg_u32 s6, 11
	s_mov_b32 s7, -1
	s_cselect_b32 s6, -1, 0
	s_and_not1_b32 s1, s1, exec_lo
	s_and_b32 s6, s6, exec_lo
	s_delay_alu instid0(SALU_CYCLE_1)
	s_or_b32 s1, s1, s6
.LBB23_1276:
	s_mov_b32 s6, 0
.LBB23_1277:
	s_delay_alu instid0(SALU_CYCLE_1)
	s_and_b32 s50, s6, exec_lo
	s_and_not1_b32 s6, s47, exec_lo
	s_and_b32 s1, s1, exec_lo
	s_and_b32 s24, s8, exec_lo
	;; [unrolled: 1-line block ×3, first 2 shown]
	s_or_b32 s51, s6, s1
.LBB23_1278:
	s_wait_xcnt 0x0
	s_or_b32 exec_lo, exec_lo, s36
	s_delay_alu instid0(SALU_CYCLE_1)
	s_and_not1_b32 s1, s47, exec_lo
	s_and_b32 s6, s51, exec_lo
	s_and_b32 s24, s24, exec_lo
	;; [unrolled: 1-line block ×4, first 2 shown]
	s_or_b32 s47, s1, s6
.LBB23_1279:
	s_or_b32 exec_lo, exec_lo, s46
	s_delay_alu instid0(SALU_CYCLE_1)
	s_and_not1_b32 s1, s43, exec_lo
	s_and_b32 s6, s48, exec_lo
	s_and_not1_b32 s7, s44, exec_lo
	s_and_b32 s8, s49, exec_lo
	s_or_b32 s43, s1, s6
	s_and_not1_b32 s1, s42, exec_lo
	s_and_b32 s6, s47, exec_lo
	s_or_b32 s44, s7, s8
	s_and_b32 s24, s24, exec_lo
	s_and_b32 s46, s50, exec_lo
	;; [unrolled: 1-line block ×3, first 2 shown]
	s_or_b32 s42, s1, s6
.LBB23_1280:
	s_or_b32 exec_lo, exec_lo, s45
	s_delay_alu instid0(SALU_CYCLE_1)
	s_and_not1_b32 s1, s38, exec_lo
	s_and_b32 s6, s43, exec_lo
	s_and_not1_b32 s7, s39, exec_lo
	s_and_b32 s8, s44, exec_lo
	s_or_b32 s38, s1, s6
	s_and_not1_b32 s1, s40, exec_lo
	s_and_b32 s6, s42, exec_lo
	s_or_b32 s39, s7, s8
	s_and_b32 s24, s24, exec_lo
	s_and_b32 s43, s46, exec_lo
	s_and_b32 s19, s25, exec_lo
	s_or_b32 s40, s1, s6
	s_or_b32 exec_lo, exec_lo, s41
	s_mov_b32 s1, 0
	s_and_saveexec_b32 s6, s40
	s_cbranch_execz .LBB23_398
.LBB23_1281:
	s_mov_b32 s1, exec_lo
	s_and_not1_b32 s19, s19, exec_lo
	s_trap 2
	s_or_b32 exec_lo, exec_lo, s6
	s_and_saveexec_b32 s6, s19
	s_delay_alu instid0(SALU_CYCLE_1)
	s_xor_b32 s6, exec_lo, s6
	s_cbranch_execnz .LBB23_399
.LBB23_1282:
	s_or_b32 exec_lo, exec_lo, s6
	s_and_saveexec_b32 s6, s43
	s_cbranch_execz .LBB23_1328
.LBB23_1283:
	s_sext_i32_i16 s7, s0
	s_delay_alu instid0(SALU_CYCLE_1)
	s_cmp_lt_i32 s7, 5
	s_cbranch_scc1 .LBB23_1288
; %bb.1284:
	s_cmp_lt_i32 s7, 8
	s_cbranch_scc1 .LBB23_1289
; %bb.1285:
	s_cmp_lt_i32 s7, 9
	s_cbranch_scc1 .LBB23_1290
; %bb.1286:
	s_cmp_gt_i32 s7, 9
	s_cbranch_scc0 .LBB23_1291
; %bb.1287:
	s_wait_loadcnt 0x0
	global_load_b64 v[0:1], v[6:7], off
	s_mov_b32 s7, 0
	s_wait_loadcnt 0x0
	v_cvt_i32_f64_e32 v3, v[0:1]
	s_branch .LBB23_1292
.LBB23_1288:
                                        ; implicit-def: $vgpr3
	s_branch .LBB23_1309
.LBB23_1289:
                                        ; implicit-def: $vgpr3
	s_branch .LBB23_1298
.LBB23_1290:
	s_mov_b32 s7, -1
                                        ; implicit-def: $vgpr3
	s_branch .LBB23_1295
.LBB23_1291:
	s_mov_b32 s7, -1
                                        ; implicit-def: $vgpr3
.LBB23_1292:
	s_delay_alu instid0(SALU_CYCLE_1)
	s_and_not1_b32 vcc_lo, exec_lo, s7
	s_cbranch_vccnz .LBB23_1294
; %bb.1293:
	global_load_b32 v0, v[6:7], off
	s_wait_loadcnt 0x0
	v_cvt_i32_f32_e32 v3, v0
.LBB23_1294:
	s_mov_b32 s7, 0
.LBB23_1295:
	s_delay_alu instid0(SALU_CYCLE_1)
	s_and_not1_b32 vcc_lo, exec_lo, s7
	s_cbranch_vccnz .LBB23_1297
; %bb.1296:
	global_load_b32 v0, v[6:7], off
	s_wait_loadcnt 0x0
	v_cvt_f32_f16_e32 v0, v0
	s_delay_alu instid0(VALU_DEP_1)
	v_cvt_i32_f32_e32 v3, v0
.LBB23_1297:
	s_cbranch_execnz .LBB23_1308
.LBB23_1298:
	s_sext_i32_i16 s7, s0
	s_delay_alu instid0(SALU_CYCLE_1)
	s_cmp_lt_i32 s7, 6
	s_cbranch_scc1 .LBB23_1301
; %bb.1299:
	s_cmp_gt_i32 s7, 6
	s_cbranch_scc0 .LBB23_1302
; %bb.1300:
	s_wait_loadcnt 0x0
	global_load_b64 v[0:1], v[6:7], off
	s_mov_b32 s7, 0
	s_wait_loadcnt 0x0
	v_cvt_i32_f64_e32 v3, v[0:1]
	s_branch .LBB23_1303
.LBB23_1301:
	s_mov_b32 s7, -1
                                        ; implicit-def: $vgpr3
	s_branch .LBB23_1306
.LBB23_1302:
	s_mov_b32 s7, -1
                                        ; implicit-def: $vgpr3
.LBB23_1303:
	s_delay_alu instid0(SALU_CYCLE_1)
	s_and_not1_b32 vcc_lo, exec_lo, s7
	s_cbranch_vccnz .LBB23_1305
; %bb.1304:
	global_load_b32 v0, v[6:7], off
	s_wait_loadcnt 0x0
	v_cvt_i32_f32_e32 v3, v0
.LBB23_1305:
	s_mov_b32 s7, 0
.LBB23_1306:
	s_delay_alu instid0(SALU_CYCLE_1)
	s_and_not1_b32 vcc_lo, exec_lo, s7
	s_cbranch_vccnz .LBB23_1308
; %bb.1307:
	global_load_u16 v0, v[6:7], off
	s_wait_loadcnt 0x0
	v_cvt_f32_f16_e32 v0, v0
	s_delay_alu instid0(VALU_DEP_1)
	v_cvt_i32_f32_e32 v3, v0
.LBB23_1308:
	s_cbranch_execnz .LBB23_1327
.LBB23_1309:
	s_sext_i32_i16 s7, s0
	s_delay_alu instid0(SALU_CYCLE_1)
	s_cmp_lt_i32 s7, 2
	s_cbranch_scc1 .LBB23_1313
; %bb.1310:
	s_cmp_lt_i32 s7, 3
	s_cbranch_scc1 .LBB23_1314
; %bb.1311:
	s_cmp_gt_i32 s7, 3
	s_cbranch_scc0 .LBB23_1315
; %bb.1312:
	s_wait_loadcnt 0x0
	global_load_b32 v3, v[6:7], off
	s_mov_b32 s7, 0
	s_branch .LBB23_1316
.LBB23_1313:
                                        ; implicit-def: $vgpr3
	s_branch .LBB23_1322
.LBB23_1314:
	s_mov_b32 s7, -1
                                        ; implicit-def: $vgpr3
	s_branch .LBB23_1319
.LBB23_1315:
	s_mov_b32 s7, -1
                                        ; implicit-def: $vgpr3
.LBB23_1316:
	s_delay_alu instid0(SALU_CYCLE_1)
	s_and_not1_b32 vcc_lo, exec_lo, s7
	s_cbranch_vccnz .LBB23_1318
; %bb.1317:
	s_wait_loadcnt 0x0
	global_load_b32 v3, v[6:7], off
.LBB23_1318:
	s_mov_b32 s7, 0
.LBB23_1319:
	s_delay_alu instid0(SALU_CYCLE_1)
	s_and_not1_b32 vcc_lo, exec_lo, s7
	s_cbranch_vccnz .LBB23_1321
; %bb.1320:
	s_wait_loadcnt 0x0
	global_load_i16 v3, v[6:7], off
.LBB23_1321:
	s_cbranch_execnz .LBB23_1327
.LBB23_1322:
	s_sext_i32_i16 s0, s0
	s_delay_alu instid0(SALU_CYCLE_1)
	s_cmp_gt_i32 s0, 0
	s_mov_b32 s0, 0
	s_cbranch_scc0 .LBB23_1324
; %bb.1323:
	s_wait_loadcnt 0x0
	global_load_i8 v3, v[6:7], off
	s_branch .LBB23_1325
.LBB23_1324:
	s_mov_b32 s0, -1
                                        ; implicit-def: $vgpr3
.LBB23_1325:
	s_delay_alu instid0(SALU_CYCLE_1)
	s_and_not1_b32 vcc_lo, exec_lo, s0
	s_cbranch_vccnz .LBB23_1327
; %bb.1326:
	s_wait_loadcnt 0x0
	global_load_u8 v3, v[6:7], off
.LBB23_1327:
	s_or_b32 s24, s24, exec_lo
.LBB23_1328:
	s_wait_xcnt 0x0
	s_or_b32 exec_lo, exec_lo, s6
	s_mov_b32 s7, 0
	s_mov_b32 s10, 0
	;; [unrolled: 1-line block ×3, first 2 shown]
                                        ; implicit-def: $sgpr0
                                        ; implicit-def: $vgpr0_vgpr1
                                        ; implicit-def: $vgpr6
	s_and_saveexec_b32 s6, s24
	s_cbranch_execz .LBB23_1336
; %bb.1329:
	v_mov_b32_e32 v5, 0
	s_and_b32 s0, s9, 0xff
	s_delay_alu instid0(SALU_CYCLE_1) | instskip(SKIP_1) | instid1(VALU_DEP_1)
	s_cmp_lt_i32 s0, 11
	s_wait_loadcnt 0x0
	v_add_nc_u64_e32 v[0:1], s[16:17], v[4:5]
	s_cbranch_scc1 .LBB23_1339
; %bb.1330:
	s_and_b32 s8, 0xffff, s0
	s_mov_b32 s9, 0
	s_cmp_gt_i32 s8, 25
	s_cbranch_scc0 .LBB23_1340
; %bb.1331:
	s_cmp_gt_i32 s8, 28
	s_cbranch_scc0 .LBB23_1341
; %bb.1332:
	;; [unrolled: 3-line block ×4, first 2 shown]
	s_cmp_eq_u32 s8, 46
	s_mov_b32 s11, 0
	s_cbranch_scc0 .LBB23_1344
; %bb.1335:
	global_load_b32 v4, v[0:1], off
	s_mov_b32 s10, -1
	s_wait_loadcnt 0x0
	v_lshlrev_b32_e32 v4, 16, v4
	s_delay_alu instid0(VALU_DEP_1)
	v_cvt_i32_f32_e32 v6, v4
	s_branch .LBB23_1346
.LBB23_1336:
	s_or_b32 exec_lo, exec_lo, s6
	s_and_saveexec_b32 s6, s39
	s_cbranch_execnz .LBB23_1405
.LBB23_1337:
	s_or_b32 exec_lo, exec_lo, s6
	s_and_saveexec_b32 s6, s7
	s_delay_alu instid0(SALU_CYCLE_1)
	s_xor_b32 s6, exec_lo, s6
	s_cbranch_execz .LBB23_1406
.LBB23_1338:
	s_wait_loadcnt 0x0
	global_load_u8 v4, v[0:1], off
	s_or_b32 s8, s8, exec_lo
	s_wait_loadcnt 0x0
	v_cmp_ne_u16_e32 vcc_lo, 0, v4
	v_cndmask_b32_e64 v6, 0, 1, vcc_lo
	s_wait_xcnt 0x0
	s_or_b32 exec_lo, exec_lo, s6
	s_and_saveexec_b32 s6, s10
	s_cbranch_execz .LBB23_1452
	s_branch .LBB23_1407
.LBB23_1339:
	s_mov_b32 s11, -1
	s_mov_b32 s9, 0
	s_mov_b32 s7, s39
                                        ; implicit-def: $vgpr6
	s_branch .LBB23_1404
.LBB23_1340:
	s_mov_b32 s7, s39
                                        ; implicit-def: $vgpr6
	s_cbranch_execnz .LBB23_1373
	s_branch .LBB23_1403
.LBB23_1341:
	s_mov_b32 s11, -1
	s_mov_b32 s7, s39
                                        ; implicit-def: $vgpr6
	s_branch .LBB23_1356
.LBB23_1342:
	s_mov_b32 s11, -1
	s_mov_b32 s7, s39
                                        ; implicit-def: $vgpr6
	s_branch .LBB23_1351
.LBB23_1343:
	s_mov_b32 s11, -1
	s_mov_b32 s7, s39
	s_branch .LBB23_1345
.LBB23_1344:
	s_mov_b32 s7, -1
.LBB23_1345:
                                        ; implicit-def: $vgpr6
.LBB23_1346:
	s_and_b32 vcc_lo, exec_lo, s11
	s_cbranch_vccz .LBB23_1350
; %bb.1347:
	s_cmp_eq_u32 s8, 44
	s_cbranch_scc0 .LBB23_1349
; %bb.1348:
	global_load_u8 v4, v[0:1], off
	s_mov_b32 s7, 0
	s_mov_b32 s10, -1
	s_wait_loadcnt 0x0
	v_lshlrev_b32_e32 v5, 23, v4
	v_cmp_ne_u32_e32 vcc_lo, 0, v4
	s_delay_alu instid0(VALU_DEP_2) | instskip(NEXT) | instid1(VALU_DEP_1)
	v_cvt_i32_f32_e32 v5, v5
	v_cndmask_b32_e32 v6, 0, v5, vcc_lo
	s_branch .LBB23_1350
.LBB23_1349:
	s_mov_b32 s7, -1
                                        ; implicit-def: $vgpr6
.LBB23_1350:
	s_mov_b32 s11, 0
.LBB23_1351:
	s_delay_alu instid0(SALU_CYCLE_1)
	s_and_b32 vcc_lo, exec_lo, s11
	s_cbranch_vccz .LBB23_1355
; %bb.1352:
	s_cmp_eq_u32 s8, 29
	s_cbranch_scc0 .LBB23_1354
; %bb.1353:
	global_load_b32 v6, v[0:1], off
	s_mov_b32 s7, 0
	s_mov_b32 s10, -1
	s_branch .LBB23_1355
.LBB23_1354:
	s_mov_b32 s7, -1
                                        ; implicit-def: $vgpr6
.LBB23_1355:
	s_mov_b32 s11, 0
.LBB23_1356:
	s_delay_alu instid0(SALU_CYCLE_1)
	s_and_b32 vcc_lo, exec_lo, s11
	s_cbranch_vccz .LBB23_1372
; %bb.1357:
	s_cmp_lt_i32 s8, 27
	s_cbranch_scc1 .LBB23_1360
; %bb.1358:
	s_cmp_gt_i32 s8, 27
	s_cbranch_scc0 .LBB23_1361
; %bb.1359:
	s_wait_loadcnt 0x0
	global_load_b32 v6, v[0:1], off
	s_mov_b32 s10, 0
	s_branch .LBB23_1362
.LBB23_1360:
	s_mov_b32 s10, -1
                                        ; implicit-def: $vgpr6
	s_branch .LBB23_1365
.LBB23_1361:
	s_mov_b32 s10, -1
                                        ; implicit-def: $vgpr6
.LBB23_1362:
	s_delay_alu instid0(SALU_CYCLE_1)
	s_and_not1_b32 vcc_lo, exec_lo, s10
	s_cbranch_vccnz .LBB23_1364
; %bb.1363:
	s_wait_loadcnt 0x0
	global_load_u16 v6, v[0:1], off
.LBB23_1364:
	s_mov_b32 s10, 0
.LBB23_1365:
	s_delay_alu instid0(SALU_CYCLE_1)
	s_and_not1_b32 vcc_lo, exec_lo, s10
	s_cbranch_vccnz .LBB23_1371
; %bb.1366:
	global_load_u8 v4, v[0:1], off
	s_mov_b32 s11, 0
	s_mov_b32 s10, exec_lo
	s_wait_loadcnt 0x0
	v_cmpx_lt_i16_e32 0x7f, v4
	s_xor_b32 s10, exec_lo, s10
	s_cbranch_execz .LBB23_1382
; %bb.1367:
	v_cmp_ne_u16_e32 vcc_lo, 0x80, v4
	s_and_b32 s11, vcc_lo, exec_lo
	s_and_not1_saveexec_b32 s10, s10
	s_cbranch_execnz .LBB23_1383
.LBB23_1368:
	s_or_b32 exec_lo, exec_lo, s10
	v_mov_b32_e32 v6, 0
	s_and_saveexec_b32 s10, s11
	s_cbranch_execz .LBB23_1370
.LBB23_1369:
	v_and_b32_e32 v5, 0xffff, v4
	s_delay_alu instid0(VALU_DEP_1) | instskip(SKIP_1) | instid1(VALU_DEP_2)
	v_and_b32_e32 v6, 7, v5
	v_bfe_u32 v9, v5, 3, 4
	v_clz_i32_u32_e32 v7, v6
	s_delay_alu instid0(VALU_DEP_2) | instskip(NEXT) | instid1(VALU_DEP_2)
	v_cmp_eq_u32_e32 vcc_lo, 0, v9
	v_min_u32_e32 v7, 32, v7
	s_delay_alu instid0(VALU_DEP_1) | instskip(NEXT) | instid1(VALU_DEP_1)
	v_subrev_nc_u32_e32 v8, 28, v7
	v_dual_lshlrev_b32 v5, v8, v5 :: v_dual_sub_nc_u32 v7, 29, v7
	s_delay_alu instid0(VALU_DEP_1) | instskip(NEXT) | instid1(VALU_DEP_1)
	v_dual_lshlrev_b32 v4, 24, v4 :: v_dual_bitop2_b32 v5, 7, v5 bitop3:0x40
	v_dual_cndmask_b32 v7, v9, v7, vcc_lo :: v_dual_cndmask_b32 v5, v6, v5, vcc_lo
	s_delay_alu instid0(VALU_DEP_2) | instskip(NEXT) | instid1(VALU_DEP_2)
	v_and_b32_e32 v4, 0x80000000, v4
	v_lshl_add_u32 v6, v7, 23, 0x3b800000
	s_delay_alu instid0(VALU_DEP_3) | instskip(NEXT) | instid1(VALU_DEP_1)
	v_lshlrev_b32_e32 v5, 20, v5
	v_or3_b32 v4, v4, v6, v5
	s_delay_alu instid0(VALU_DEP_1)
	v_cvt_i32_f32_e32 v6, v4
.LBB23_1370:
	s_or_b32 exec_lo, exec_lo, s10
.LBB23_1371:
	s_mov_b32 s10, -1
.LBB23_1372:
	s_branch .LBB23_1403
.LBB23_1373:
	s_cmp_gt_i32 s8, 22
	s_cbranch_scc0 .LBB23_1381
; %bb.1374:
	s_cmp_lt_i32 s8, 24
	s_cbranch_scc1 .LBB23_1384
; %bb.1375:
	s_cmp_gt_i32 s8, 24
	s_cbranch_scc0 .LBB23_1385
; %bb.1376:
	global_load_u8 v4, v[0:1], off
	s_mov_b32 s10, 0
	s_mov_b32 s9, exec_lo
	s_wait_loadcnt 0x0
	v_cmpx_lt_i16_e32 0x7f, v4
	s_xor_b32 s9, exec_lo, s9
	s_cbranch_execz .LBB23_1397
; %bb.1377:
	v_cmp_ne_u16_e32 vcc_lo, 0x80, v4
	s_and_b32 s10, vcc_lo, exec_lo
	s_and_not1_saveexec_b32 s9, s9
	s_cbranch_execnz .LBB23_1398
.LBB23_1378:
	s_or_b32 exec_lo, exec_lo, s9
	v_mov_b32_e32 v6, 0
	s_and_saveexec_b32 s9, s10
	s_cbranch_execz .LBB23_1380
.LBB23_1379:
	v_and_b32_e32 v5, 0xffff, v4
	s_delay_alu instid0(VALU_DEP_1) | instskip(SKIP_1) | instid1(VALU_DEP_2)
	v_and_b32_e32 v6, 3, v5
	v_bfe_u32 v9, v5, 2, 5
	v_clz_i32_u32_e32 v7, v6
	s_delay_alu instid0(VALU_DEP_2) | instskip(NEXT) | instid1(VALU_DEP_2)
	v_cmp_eq_u32_e32 vcc_lo, 0, v9
	v_min_u32_e32 v7, 32, v7
	s_delay_alu instid0(VALU_DEP_1) | instskip(NEXT) | instid1(VALU_DEP_1)
	v_subrev_nc_u32_e32 v8, 29, v7
	v_dual_lshlrev_b32 v5, v8, v5 :: v_dual_sub_nc_u32 v7, 30, v7
	s_delay_alu instid0(VALU_DEP_1) | instskip(NEXT) | instid1(VALU_DEP_1)
	v_dual_lshlrev_b32 v4, 24, v4 :: v_dual_bitop2_b32 v5, 3, v5 bitop3:0x40
	v_dual_cndmask_b32 v7, v9, v7, vcc_lo :: v_dual_cndmask_b32 v5, v6, v5, vcc_lo
	s_delay_alu instid0(VALU_DEP_2) | instskip(NEXT) | instid1(VALU_DEP_2)
	v_and_b32_e32 v4, 0x80000000, v4
	v_lshl_add_u32 v6, v7, 23, 0x37800000
	s_delay_alu instid0(VALU_DEP_3) | instskip(NEXT) | instid1(VALU_DEP_1)
	v_lshlrev_b32_e32 v5, 21, v5
	v_or3_b32 v4, v4, v6, v5
	s_delay_alu instid0(VALU_DEP_1)
	v_cvt_i32_f32_e32 v6, v4
.LBB23_1380:
	s_or_b32 exec_lo, exec_lo, s9
	s_mov_b32 s9, 0
	s_branch .LBB23_1386
.LBB23_1381:
	s_mov_b32 s9, -1
                                        ; implicit-def: $vgpr6
	s_branch .LBB23_1392
.LBB23_1382:
	s_and_not1_saveexec_b32 s10, s10
	s_cbranch_execz .LBB23_1368
.LBB23_1383:
	v_cmp_ne_u16_e32 vcc_lo, 0, v4
	s_and_not1_b32 s11, s11, exec_lo
	s_and_b32 s12, vcc_lo, exec_lo
	s_delay_alu instid0(SALU_CYCLE_1)
	s_or_b32 s11, s11, s12
	s_or_b32 exec_lo, exec_lo, s10
	v_mov_b32_e32 v6, 0
	s_and_saveexec_b32 s10, s11
	s_cbranch_execnz .LBB23_1369
	s_branch .LBB23_1370
.LBB23_1384:
	s_mov_b32 s9, -1
                                        ; implicit-def: $vgpr6
	s_branch .LBB23_1389
.LBB23_1385:
	s_mov_b32 s9, -1
                                        ; implicit-def: $vgpr6
.LBB23_1386:
	s_delay_alu instid0(SALU_CYCLE_1)
	s_and_b32 vcc_lo, exec_lo, s9
	s_cbranch_vccz .LBB23_1388
; %bb.1387:
	global_load_u8 v4, v[0:1], off
	s_wait_loadcnt 0x0
	v_lshlrev_b32_e32 v4, 24, v4
	s_delay_alu instid0(VALU_DEP_1) | instskip(NEXT) | instid1(VALU_DEP_1)
	v_and_b32_e32 v5, 0x7f000000, v4
	v_clz_i32_u32_e32 v6, v5
	v_cmp_ne_u32_e32 vcc_lo, 0, v5
	v_add_nc_u32_e32 v8, 0x1000000, v5
	s_delay_alu instid0(VALU_DEP_3) | instskip(NEXT) | instid1(VALU_DEP_1)
	v_min_u32_e32 v6, 32, v6
	v_sub_nc_u32_e64 v6, v6, 4 clamp
	s_delay_alu instid0(VALU_DEP_1) | instskip(NEXT) | instid1(VALU_DEP_1)
	v_dual_lshlrev_b32 v7, v6, v5 :: v_dual_lshlrev_b32 v6, 23, v6
	v_lshrrev_b32_e32 v7, 4, v7
	s_delay_alu instid0(VALU_DEP_1) | instskip(NEXT) | instid1(VALU_DEP_1)
	v_dual_sub_nc_u32 v6, v7, v6 :: v_dual_ashrrev_i32 v7, 8, v8
	v_add_nc_u32_e32 v6, 0x3c000000, v6
	s_delay_alu instid0(VALU_DEP_1) | instskip(NEXT) | instid1(VALU_DEP_1)
	v_and_or_b32 v6, 0x7f800000, v7, v6
	v_cndmask_b32_e32 v5, 0, v6, vcc_lo
	s_delay_alu instid0(VALU_DEP_1) | instskip(NEXT) | instid1(VALU_DEP_1)
	v_and_or_b32 v4, 0x80000000, v4, v5
	v_cvt_i32_f32_e32 v6, v4
.LBB23_1388:
	s_mov_b32 s9, 0
.LBB23_1389:
	s_delay_alu instid0(SALU_CYCLE_1)
	s_and_not1_b32 vcc_lo, exec_lo, s9
	s_cbranch_vccnz .LBB23_1391
; %bb.1390:
	global_load_u8 v4, v[0:1], off
	s_wait_loadcnt 0x0
	v_lshlrev_b32_e32 v5, 25, v4
	v_lshlrev_b16 v4, 8, v4
	s_delay_alu instid0(VALU_DEP_1) | instskip(SKIP_1) | instid1(VALU_DEP_2)
	v_and_or_b32 v7, 0x7f00, v4, 0.5
	v_bfe_i32 v4, v4, 0, 16
	v_dual_add_f32 v7, -0.5, v7 :: v_dual_lshrrev_b32 v6, 4, v5
	v_cmp_gt_u32_e32 vcc_lo, 0x8000000, v5
	s_delay_alu instid0(VALU_DEP_2) | instskip(NEXT) | instid1(VALU_DEP_1)
	v_or_b32_e32 v6, 0x70000000, v6
	v_mul_f32_e32 v6, 0x7800000, v6
	s_delay_alu instid0(VALU_DEP_1) | instskip(NEXT) | instid1(VALU_DEP_1)
	v_cndmask_b32_e32 v5, v6, v7, vcc_lo
	v_and_or_b32 v4, 0x80000000, v4, v5
	s_delay_alu instid0(VALU_DEP_1)
	v_cvt_i32_f32_e32 v6, v4
.LBB23_1391:
	s_mov_b32 s9, 0
	s_mov_b32 s10, -1
.LBB23_1392:
	s_and_not1_b32 vcc_lo, exec_lo, s9
	s_mov_b32 s9, 0
	s_cbranch_vccnz .LBB23_1403
; %bb.1393:
	s_cmp_gt_i32 s8, 14
	s_cbranch_scc0 .LBB23_1396
; %bb.1394:
	s_cmp_eq_u32 s8, 15
	s_cbranch_scc0 .LBB23_1399
; %bb.1395:
	global_load_u16 v4, v[0:1], off
	s_mov_b32 s7, 0
	s_mov_b32 s10, -1
	s_wait_loadcnt 0x0
	v_lshlrev_b32_e32 v4, 16, v4
	s_delay_alu instid0(VALU_DEP_1)
	v_cvt_i32_f32_e32 v6, v4
	s_branch .LBB23_1401
.LBB23_1396:
	s_mov_b32 s9, -1
	s_branch .LBB23_1400
.LBB23_1397:
	s_and_not1_saveexec_b32 s9, s9
	s_cbranch_execz .LBB23_1378
.LBB23_1398:
	v_cmp_ne_u16_e32 vcc_lo, 0, v4
	s_and_not1_b32 s10, s10, exec_lo
	s_and_b32 s11, vcc_lo, exec_lo
	s_delay_alu instid0(SALU_CYCLE_1)
	s_or_b32 s10, s10, s11
	s_or_b32 exec_lo, exec_lo, s9
	v_mov_b32_e32 v6, 0
	s_and_saveexec_b32 s9, s10
	s_cbranch_execnz .LBB23_1379
	s_branch .LBB23_1380
.LBB23_1399:
	s_mov_b32 s7, -1
.LBB23_1400:
                                        ; implicit-def: $vgpr6
.LBB23_1401:
	s_and_b32 vcc_lo, exec_lo, s9
	s_mov_b32 s9, 0
	s_cbranch_vccz .LBB23_1403
; %bb.1402:
	s_cmp_lg_u32 s8, 11
	s_mov_b32 s9, -1
	s_cselect_b32 s8, -1, 0
	s_and_not1_b32 s7, s7, exec_lo
	s_and_b32 s8, s8, exec_lo
	s_delay_alu instid0(SALU_CYCLE_1)
	s_or_b32 s7, s7, s8
.LBB23_1403:
	s_mov_b32 s11, 0
.LBB23_1404:
	s_and_b32 s8, s10, exec_lo
	s_and_b32 s10, s11, exec_lo
	s_and_not1_b32 s11, s39, exec_lo
	s_and_b32 s12, s7, exec_lo
	s_and_b32 s7, s9, exec_lo
	s_or_b32 s39, s11, s12
	s_wait_xcnt 0x0
	s_or_b32 exec_lo, exec_lo, s6
	s_and_saveexec_b32 s6, s39
	s_cbranch_execz .LBB23_1337
.LBB23_1405:
	s_or_b32 s1, s1, exec_lo
	s_and_not1_b32 s7, s7, exec_lo
	s_trap 2
	s_or_b32 exec_lo, exec_lo, s6
	s_and_saveexec_b32 s6, s7
	s_delay_alu instid0(SALU_CYCLE_1)
	s_xor_b32 s6, exec_lo, s6
	s_cbranch_execnz .LBB23_1338
.LBB23_1406:
	s_or_b32 exec_lo, exec_lo, s6
	s_and_saveexec_b32 s6, s10
	s_cbranch_execz .LBB23_1452
.LBB23_1407:
	s_sext_i32_i16 s7, s0
	s_delay_alu instid0(SALU_CYCLE_1)
	s_cmp_lt_i32 s7, 5
	s_cbranch_scc1 .LBB23_1412
; %bb.1408:
	s_cmp_lt_i32 s7, 8
	s_cbranch_scc1 .LBB23_1413
; %bb.1409:
	;; [unrolled: 3-line block ×3, first 2 shown]
	s_cmp_gt_i32 s7, 9
	s_cbranch_scc0 .LBB23_1415
; %bb.1411:
	s_wait_loadcnt 0x0
	global_load_b64 v[4:5], v[0:1], off
	s_mov_b32 s7, 0
	s_wait_loadcnt 0x0
	v_cvt_i32_f64_e32 v6, v[4:5]
	s_branch .LBB23_1416
.LBB23_1412:
                                        ; implicit-def: $vgpr6
	s_branch .LBB23_1433
.LBB23_1413:
                                        ; implicit-def: $vgpr6
	s_branch .LBB23_1422
.LBB23_1414:
	s_mov_b32 s7, -1
                                        ; implicit-def: $vgpr6
	s_branch .LBB23_1419
.LBB23_1415:
	s_mov_b32 s7, -1
                                        ; implicit-def: $vgpr6
.LBB23_1416:
	s_delay_alu instid0(SALU_CYCLE_1)
	s_and_not1_b32 vcc_lo, exec_lo, s7
	s_cbranch_vccnz .LBB23_1418
; %bb.1417:
	s_wait_loadcnt 0x0
	global_load_b32 v4, v[0:1], off
	s_wait_loadcnt 0x0
	v_cvt_i32_f32_e32 v6, v4
.LBB23_1418:
	s_mov_b32 s7, 0
.LBB23_1419:
	s_delay_alu instid0(SALU_CYCLE_1)
	s_and_not1_b32 vcc_lo, exec_lo, s7
	s_cbranch_vccnz .LBB23_1421
; %bb.1420:
	s_wait_loadcnt 0x0
	global_load_b32 v4, v[0:1], off
	s_wait_loadcnt 0x0
	v_cvt_f32_f16_e32 v4, v4
	s_delay_alu instid0(VALU_DEP_1)
	v_cvt_i32_f32_e32 v6, v4
.LBB23_1421:
	s_cbranch_execnz .LBB23_1432
.LBB23_1422:
	s_sext_i32_i16 s7, s0
	s_delay_alu instid0(SALU_CYCLE_1)
	s_cmp_lt_i32 s7, 6
	s_cbranch_scc1 .LBB23_1425
; %bb.1423:
	s_cmp_gt_i32 s7, 6
	s_cbranch_scc0 .LBB23_1426
; %bb.1424:
	s_wait_loadcnt 0x0
	global_load_b64 v[4:5], v[0:1], off
	s_mov_b32 s7, 0
	s_wait_loadcnt 0x0
	v_cvt_i32_f64_e32 v6, v[4:5]
	s_branch .LBB23_1427
.LBB23_1425:
	s_mov_b32 s7, -1
                                        ; implicit-def: $vgpr6
	s_branch .LBB23_1430
.LBB23_1426:
	s_mov_b32 s7, -1
                                        ; implicit-def: $vgpr6
.LBB23_1427:
	s_delay_alu instid0(SALU_CYCLE_1)
	s_and_not1_b32 vcc_lo, exec_lo, s7
	s_cbranch_vccnz .LBB23_1429
; %bb.1428:
	s_wait_loadcnt 0x0
	global_load_b32 v4, v[0:1], off
	s_wait_loadcnt 0x0
	v_cvt_i32_f32_e32 v6, v4
.LBB23_1429:
	s_mov_b32 s7, 0
.LBB23_1430:
	s_delay_alu instid0(SALU_CYCLE_1)
	s_and_not1_b32 vcc_lo, exec_lo, s7
	s_cbranch_vccnz .LBB23_1432
; %bb.1431:
	s_wait_loadcnt 0x0
	global_load_u16 v4, v[0:1], off
	s_wait_loadcnt 0x0
	v_cvt_f32_f16_e32 v4, v4
	s_delay_alu instid0(VALU_DEP_1)
	v_cvt_i32_f32_e32 v6, v4
.LBB23_1432:
	s_cbranch_execnz .LBB23_1451
.LBB23_1433:
	s_sext_i32_i16 s7, s0
	s_delay_alu instid0(SALU_CYCLE_1)
	s_cmp_lt_i32 s7, 2
	s_cbranch_scc1 .LBB23_1437
; %bb.1434:
	s_cmp_lt_i32 s7, 3
	s_cbranch_scc1 .LBB23_1438
; %bb.1435:
	s_cmp_gt_i32 s7, 3
	s_cbranch_scc0 .LBB23_1439
; %bb.1436:
	s_wait_loadcnt 0x0
	global_load_b32 v6, v[0:1], off
	s_mov_b32 s7, 0
	s_branch .LBB23_1440
.LBB23_1437:
                                        ; implicit-def: $vgpr6
	s_branch .LBB23_1446
.LBB23_1438:
	s_mov_b32 s7, -1
                                        ; implicit-def: $vgpr6
	s_branch .LBB23_1443
.LBB23_1439:
	s_mov_b32 s7, -1
                                        ; implicit-def: $vgpr6
.LBB23_1440:
	s_delay_alu instid0(SALU_CYCLE_1)
	s_and_not1_b32 vcc_lo, exec_lo, s7
	s_cbranch_vccnz .LBB23_1442
; %bb.1441:
	s_wait_loadcnt 0x0
	global_load_b32 v6, v[0:1], off
.LBB23_1442:
	s_mov_b32 s7, 0
.LBB23_1443:
	s_delay_alu instid0(SALU_CYCLE_1)
	s_and_not1_b32 vcc_lo, exec_lo, s7
	s_cbranch_vccnz .LBB23_1445
; %bb.1444:
	s_wait_loadcnt 0x0
	global_load_i16 v6, v[0:1], off
.LBB23_1445:
	s_cbranch_execnz .LBB23_1451
.LBB23_1446:
	s_sext_i32_i16 s0, s0
	s_delay_alu instid0(SALU_CYCLE_1)
	s_cmp_gt_i32 s0, 0
	s_mov_b32 s0, 0
	s_cbranch_scc0 .LBB23_1448
; %bb.1447:
	s_wait_loadcnt 0x0
	global_load_i8 v6, v[0:1], off
	s_branch .LBB23_1449
.LBB23_1448:
	s_mov_b32 s0, -1
                                        ; implicit-def: $vgpr6
.LBB23_1449:
	s_delay_alu instid0(SALU_CYCLE_1)
	s_and_not1_b32 vcc_lo, exec_lo, s0
	s_cbranch_vccnz .LBB23_1451
; %bb.1450:
	s_wait_loadcnt 0x0
	global_load_u8 v6, v[0:1], off
.LBB23_1451:
	s_or_b32 s8, s8, exec_lo
.LBB23_1452:
	s_wait_xcnt 0x0
	s_or_b32 exec_lo, exec_lo, s6
	s_mov_b32 s0, 0
	s_mov_b32 s9, 0
                                        ; implicit-def: $sgpr6
                                        ; implicit-def: $vgpr4_vgpr5
                                        ; implicit-def: $vgpr0
	s_and_saveexec_b32 s7, s8
	s_cbranch_execz .LBB23_1464
; %bb.1453:
	s_wait_loadcnt 0x0
	s_delay_alu instid0(VALU_DEP_1) | instskip(SKIP_2) | instid1(VALU_DEP_1)
	v_sub_nc_u32_e32 v0, 0, v6
	s_mov_b32 s6, 0
	s_mov_b32 s0, exec_lo
	v_max_i32_e32 v0, v6, v0
	v_cmpx_ne_u32_e32 0, v3
	s_cbranch_execz .LBB23_1457
; %bb.1454:
	v_sub_nc_u32_e32 v1, 0, v3
	s_delay_alu instid0(VALU_DEP_1)
	v_max_i32_e32 v3, v3, v1
.LBB23_1455:                            ; =>This Inner Loop Header: Depth=1
	s_delay_alu instid0(VALU_DEP_1) | instskip(NEXT) | instid1(VALU_DEP_1)
	v_mov_b32_e32 v1, v3
	v_cvt_f32_u32_e32 v3, v1
	v_sub_nc_u32_e32 v4, 0, v1
	s_delay_alu instid0(VALU_DEP_2) | instskip(SKIP_1) | instid1(TRANS32_DEP_1)
	v_rcp_iflag_f32_e32 v3, v3
	v_nop
	v_mul_f32_e32 v3, 0x4f7ffffe, v3
	s_delay_alu instid0(VALU_DEP_1) | instskip(NEXT) | instid1(VALU_DEP_1)
	v_cvt_u32_f32_e32 v3, v3
	v_mul_lo_u32 v4, v4, v3
	s_delay_alu instid0(VALU_DEP_1) | instskip(NEXT) | instid1(VALU_DEP_1)
	v_mul_hi_u32 v4, v3, v4
	v_add_nc_u32_e32 v3, v3, v4
	s_delay_alu instid0(VALU_DEP_1) | instskip(NEXT) | instid1(VALU_DEP_1)
	v_mul_hi_u32 v3, v0, v3
	v_mul_lo_u32 v3, v3, v1
	s_delay_alu instid0(VALU_DEP_1) | instskip(NEXT) | instid1(VALU_DEP_1)
	v_sub_nc_u32_e32 v0, v0, v3
	v_sub_nc_u32_e32 v3, v0, v1
	v_cmp_ge_u32_e32 vcc_lo, v0, v1
	s_delay_alu instid0(VALU_DEP_2) | instskip(NEXT) | instid1(VALU_DEP_1)
	v_cndmask_b32_e32 v0, v0, v3, vcc_lo
	v_sub_nc_u32_e32 v3, v0, v1
	v_cmp_ge_u32_e32 vcc_lo, v0, v1
	s_delay_alu instid0(VALU_DEP_2) | instskip(NEXT) | instid1(VALU_DEP_1)
	v_dual_cndmask_b32 v3, v0, v3 :: v_dual_mov_b32 v0, v1
	v_cmp_eq_u32_e32 vcc_lo, 0, v3
	s_or_b32 s6, vcc_lo, s6
	s_delay_alu instid0(SALU_CYCLE_1)
	s_and_not1_b32 exec_lo, exec_lo, s6
	s_cbranch_execnz .LBB23_1455
; %bb.1456:
	s_or_b32 exec_lo, exec_lo, s6
	v_mov_b32_e32 v0, v1
.LBB23_1457:
	s_or_b32 exec_lo, exec_lo, s0
	v_mov_b32_e32 v3, 0
	s_and_b32 s6, s31, 0xff
	s_delay_alu instid0(SALU_CYCLE_1) | instskip(NEXT) | instid1(VALU_DEP_1)
	s_cmp_lt_i32 s6, 11
	v_add_nc_u64_e32 v[4:5], s[4:5], v[2:3]
	s_cbranch_scc1 .LBB23_1467
; %bb.1458:
	s_and_b32 s4, 0xffff, s6
	s_mov_b32 s5, -1
	s_cmp_gt_i32 s4, 25
	s_mov_b32 s0, s38
	s_cbranch_scc0 .LBB23_1495
; %bb.1459:
	s_cmp_gt_i32 s4, 28
	s_mov_b32 s0, s38
	s_cbranch_scc0 .LBB23_1479
; %bb.1460:
	;; [unrolled: 4-line block ×4, first 2 shown]
	s_cmp_eq_u32 s4, 46
	s_mov_b32 s0, -1
	s_cbranch_scc0 .LBB23_1468
; %bb.1463:
	v_cvt_f32_u32_e32 v1, v0
	s_mov_b32 s0, 0
	s_mov_b32 s5, 0
	s_delay_alu instid0(VALU_DEP_1) | instskip(NEXT) | instid1(VALU_DEP_1)
	v_bfe_u32 v2, v1, 16, 1
	v_add3_u32 v1, v1, v2, 0x7fff
	s_delay_alu instid0(VALU_DEP_1)
	v_lshrrev_b32_e32 v1, 16, v1
	global_store_b32 v[4:5], v1, off
	s_branch .LBB23_1469
.LBB23_1464:
	s_or_b32 exec_lo, exec_lo, s7
	s_and_saveexec_b32 s4, s38
	s_cbranch_execnz .LBB23_1537
.LBB23_1465:
	s_or_b32 exec_lo, exec_lo, s4
	s_and_saveexec_b32 s4, s0
	s_delay_alu instid0(SALU_CYCLE_1)
	s_xor_b32 s0, exec_lo, s4
	s_cbranch_execz .LBB23_1538
.LBB23_1466:
	v_cmp_ne_u32_e32 vcc_lo, 0, v0
	s_wait_loadcnt 0x0
	v_cndmask_b32_e64 v1, 0, 1, vcc_lo
	global_store_b8 v[4:5], v1, off
	s_wait_xcnt 0x0
	s_or_b32 exec_lo, exec_lo, s0
	s_and_saveexec_b32 s0, s9
	s_delay_alu instid0(SALU_CYCLE_1)
	s_xor_b32 s0, exec_lo, s0
	s_cbranch_execz .LBB23_1576
	s_branch .LBB23_1539
.LBB23_1467:
	s_mov_b32 s8, 0
	s_mov_b32 s5, -1
	s_mov_b32 s0, s38
	s_branch .LBB23_1536
.LBB23_1468:
	s_mov_b32 s5, 0
.LBB23_1469:
	s_delay_alu instid0(SALU_CYCLE_1)
	s_and_b32 vcc_lo, exec_lo, s5
	s_cbranch_vccz .LBB23_1474
; %bb.1470:
	s_cmp_eq_u32 s4, 44
	s_mov_b32 s0, -1
	s_cbranch_scc0 .LBB23_1474
; %bb.1471:
	v_cvt_f32_u32_e32 v3, v0
	s_mov_b32 s5, exec_lo
	s_wait_xcnt 0x0
	s_delay_alu instid0(VALU_DEP_1) | instskip(NEXT) | instid1(VALU_DEP_1)
	v_dual_mov_b32 v2, 0xff :: v_dual_lshrrev_b32 v1, 23, v3
	v_cmpx_ne_u32_e32 0xff, v1
; %bb.1472:
	v_and_b32_e32 v2, 0x400000, v3
	v_and_or_b32 v3, 0x3fffff, v3, v1
	s_delay_alu instid0(VALU_DEP_2) | instskip(NEXT) | instid1(VALU_DEP_2)
	v_cmp_ne_u32_e32 vcc_lo, 0, v2
	v_cmp_ne_u32_e64 s0, 0, v3
	s_and_b32 s0, vcc_lo, s0
	s_delay_alu instid0(SALU_CYCLE_1) | instskip(NEXT) | instid1(VALU_DEP_1)
	v_cndmask_b32_e64 v2, 0, 1, s0
	v_add_nc_u32_e32 v2, v1, v2
; %bb.1473:
	s_or_b32 exec_lo, exec_lo, s5
	s_mov_b32 s0, 0
	global_store_b8 v[4:5], v2, off
.LBB23_1474:
	s_mov_b32 s5, 0
.LBB23_1475:
	s_delay_alu instid0(SALU_CYCLE_1)
	s_and_b32 vcc_lo, exec_lo, s5
	s_cbranch_vccz .LBB23_1478
; %bb.1476:
	s_cmp_eq_u32 s4, 29
	s_mov_b32 s0, -1
	s_cbranch_scc0 .LBB23_1478
; %bb.1477:
	s_wait_xcnt 0x0
	v_mov_b32_e32 v1, 0
	s_mov_b32 s0, 0
	s_mov_b32 s5, 0
	global_store_b64 v[4:5], v[0:1], off
	s_branch .LBB23_1479
.LBB23_1478:
	s_mov_b32 s5, 0
.LBB23_1479:
	s_delay_alu instid0(SALU_CYCLE_1)
	s_and_b32 vcc_lo, exec_lo, s5
	s_cbranch_vccz .LBB23_1494
; %bb.1480:
	s_cmp_lt_i32 s4, 27
	s_mov_b32 s5, -1
	s_cbranch_scc1 .LBB23_1486
; %bb.1481:
	s_cmp_gt_i32 s4, 27
	s_cbranch_scc0 .LBB23_1483
; %bb.1482:
	s_mov_b32 s5, 0
	global_store_b32 v[4:5], v0, off
.LBB23_1483:
	s_and_not1_b32 vcc_lo, exec_lo, s5
	s_cbranch_vccnz .LBB23_1485
; %bb.1484:
	global_store_b16 v[4:5], v0, off
.LBB23_1485:
	s_mov_b32 s5, 0
.LBB23_1486:
	s_delay_alu instid0(SALU_CYCLE_1)
	s_and_not1_b32 vcc_lo, exec_lo, s5
	s_cbranch_vccnz .LBB23_1494
; %bb.1487:
	s_wait_xcnt 0x0
	v_cvt_f32_u32_e32 v2, v0
	v_mov_b32_e32 v3, 0x80
	s_mov_b32 s5, exec_lo
	s_delay_alu instid0(VALU_DEP_2)
	v_cmpx_gt_u32_e32 0x43800000, v2
	s_cbranch_execz .LBB23_1493
; %bb.1488:
	s_mov_b32 s8, 0
	s_mov_b32 s9, exec_lo
                                        ; implicit-def: $vgpr1
	v_cmpx_lt_u32_e32 0x3bffffff, v2
	s_xor_b32 s9, exec_lo, s9
	s_cbranch_execz .LBB23_1635
; %bb.1489:
	v_bfe_u32 v1, v2, 20, 1
	s_mov_b32 s8, exec_lo
	s_delay_alu instid0(VALU_DEP_1) | instskip(NEXT) | instid1(VALU_DEP_1)
	v_add3_u32 v1, v2, v1, 0x487ffff
                                        ; implicit-def: $vgpr2
	v_lshrrev_b32_e32 v1, 20, v1
	s_and_not1_saveexec_b32 s9, s9
	s_cbranch_execnz .LBB23_1636
.LBB23_1490:
	s_or_b32 exec_lo, exec_lo, s9
	v_mov_b32_e32 v3, 0
	s_and_saveexec_b32 s9, s8
.LBB23_1491:
	v_mov_b32_e32 v3, v1
.LBB23_1492:
	s_or_b32 exec_lo, exec_lo, s9
.LBB23_1493:
	s_delay_alu instid0(SALU_CYCLE_1)
	s_or_b32 exec_lo, exec_lo, s5
	global_store_b8 v[4:5], v3, off
.LBB23_1494:
	s_mov_b32 s5, 0
.LBB23_1495:
	s_delay_alu instid0(SALU_CYCLE_1)
	s_and_b32 vcc_lo, exec_lo, s5
	s_mov_b32 s5, 0
	s_cbranch_vccz .LBB23_1535
; %bb.1496:
	s_cmp_gt_i32 s4, 22
	s_mov_b32 s8, -1
	s_cbranch_scc0 .LBB23_1528
; %bb.1497:
	s_cmp_lt_i32 s4, 24
	s_cbranch_scc1 .LBB23_1517
; %bb.1498:
	s_cmp_gt_i32 s4, 24
	s_cbranch_scc0 .LBB23_1506
; %bb.1499:
	s_wait_xcnt 0x0
	v_cvt_f32_u32_e32 v2, v0
	v_mov_b32_e32 v3, 0x80
	s_mov_b32 s8, exec_lo
	s_delay_alu instid0(VALU_DEP_2)
	v_cmpx_gt_u32_e32 0x47800000, v2
	s_cbranch_execz .LBB23_1505
; %bb.1500:
	s_mov_b32 s9, 0
	s_mov_b32 s10, exec_lo
                                        ; implicit-def: $vgpr1
	v_cmpx_lt_u32_e32 0x37ffffff, v2
	s_xor_b32 s10, exec_lo, s10
	s_cbranch_execz .LBB23_1756
; %bb.1501:
	v_bfe_u32 v1, v2, 21, 1
	s_mov_b32 s9, exec_lo
	s_delay_alu instid0(VALU_DEP_1) | instskip(NEXT) | instid1(VALU_DEP_1)
	v_add3_u32 v1, v2, v1, 0x88fffff
                                        ; implicit-def: $vgpr2
	v_lshrrev_b32_e32 v1, 21, v1
	s_and_not1_saveexec_b32 s10, s10
	s_cbranch_execnz .LBB23_1757
.LBB23_1502:
	s_or_b32 exec_lo, exec_lo, s10
	v_mov_b32_e32 v3, 0
	s_and_saveexec_b32 s10, s9
.LBB23_1503:
	v_mov_b32_e32 v3, v1
.LBB23_1504:
	s_or_b32 exec_lo, exec_lo, s10
.LBB23_1505:
	s_delay_alu instid0(SALU_CYCLE_1)
	s_or_b32 exec_lo, exec_lo, s8
	s_mov_b32 s8, 0
	global_store_b8 v[4:5], v3, off
.LBB23_1506:
	s_and_b32 vcc_lo, exec_lo, s8
	s_cbranch_vccz .LBB23_1516
; %bb.1507:
	s_wait_xcnt 0x0
	v_cvt_f32_u32_e32 v2, v0
	s_mov_b32 s8, exec_lo
                                        ; implicit-def: $vgpr1
	s_delay_alu instid0(VALU_DEP_1)
	v_cmpx_gt_u32_e32 0x43f00000, v2
	s_xor_b32 s8, exec_lo, s8
	s_cbranch_execz .LBB23_1513
; %bb.1508:
	s_mov_b32 s9, exec_lo
                                        ; implicit-def: $vgpr1
	v_cmpx_lt_u32_e32 0x3c7fffff, v2
	s_xor_b32 s9, exec_lo, s9
; %bb.1509:
	v_bfe_u32 v1, v2, 20, 1
	s_delay_alu instid0(VALU_DEP_1) | instskip(NEXT) | instid1(VALU_DEP_1)
	v_add3_u32 v1, v2, v1, 0x407ffff
	v_and_b32_e32 v2, 0xff00000, v1
	v_lshrrev_b32_e32 v1, 20, v1
	s_delay_alu instid0(VALU_DEP_2) | instskip(NEXT) | instid1(VALU_DEP_2)
	v_cmp_ne_u32_e32 vcc_lo, 0x7f00000, v2
                                        ; implicit-def: $vgpr2
	v_cndmask_b32_e32 v1, 0x7e, v1, vcc_lo
; %bb.1510:
	s_and_not1_saveexec_b32 s9, s9
; %bb.1511:
	v_add_f32_e32 v1, 0x46800000, v2
; %bb.1512:
	s_or_b32 exec_lo, exec_lo, s9
                                        ; implicit-def: $vgpr2
.LBB23_1513:
	s_and_not1_saveexec_b32 s8, s8
; %bb.1514:
	v_mov_b32_e32 v1, 0x7f
	v_cmp_lt_u32_e32 vcc_lo, 0x7f800000, v2
	s_delay_alu instid0(VALU_DEP_2)
	v_cndmask_b32_e32 v1, 0x7e, v1, vcc_lo
; %bb.1515:
	s_or_b32 exec_lo, exec_lo, s8
	global_store_b8 v[4:5], v1, off
.LBB23_1516:
	s_mov_b32 s8, 0
.LBB23_1517:
	s_delay_alu instid0(SALU_CYCLE_1)
	s_and_not1_b32 vcc_lo, exec_lo, s8
	s_cbranch_vccnz .LBB23_1527
; %bb.1518:
	s_wait_xcnt 0x0
	v_cvt_f32_u32_e32 v2, v0
	s_mov_b32 s8, exec_lo
                                        ; implicit-def: $vgpr1
	s_delay_alu instid0(VALU_DEP_1)
	v_cmpx_gt_u32_e32 0x47800000, v2
	s_xor_b32 s8, exec_lo, s8
	s_cbranch_execz .LBB23_1524
; %bb.1519:
	s_mov_b32 s9, exec_lo
                                        ; implicit-def: $vgpr1
	v_cmpx_lt_u32_e32 0x387fffff, v2
	s_xor_b32 s9, exec_lo, s9
; %bb.1520:
	v_bfe_u32 v1, v2, 21, 1
	s_delay_alu instid0(VALU_DEP_1) | instskip(NEXT) | instid1(VALU_DEP_1)
	v_add3_u32 v1, v2, v1, 0x80fffff
                                        ; implicit-def: $vgpr2
	v_lshrrev_b32_e32 v1, 21, v1
; %bb.1521:
	s_and_not1_saveexec_b32 s9, s9
; %bb.1522:
	v_add_f32_e32 v1, 0x43000000, v2
; %bb.1523:
	s_or_b32 exec_lo, exec_lo, s9
                                        ; implicit-def: $vgpr2
.LBB23_1524:
	s_and_not1_saveexec_b32 s8, s8
; %bb.1525:
	v_mov_b32_e32 v1, 0x7f
	v_cmp_lt_u32_e32 vcc_lo, 0x7f800000, v2
	s_delay_alu instid0(VALU_DEP_2)
	v_cndmask_b32_e32 v1, 0x7c, v1, vcc_lo
; %bb.1526:
	s_or_b32 exec_lo, exec_lo, s8
	global_store_b8 v[4:5], v1, off
.LBB23_1527:
	s_mov_b32 s8, 0
.LBB23_1528:
	s_delay_alu instid0(SALU_CYCLE_1)
	s_and_not1_b32 vcc_lo, exec_lo, s8
	s_mov_b32 s8, 0
	s_cbranch_vccnz .LBB23_1536
; %bb.1529:
	s_cmp_gt_i32 s4, 14
	s_mov_b32 s8, -1
	s_cbranch_scc0 .LBB23_1533
; %bb.1530:
	s_cmp_eq_u32 s4, 15
	s_mov_b32 s0, -1
	s_cbranch_scc0 .LBB23_1532
; %bb.1531:
	s_wait_xcnt 0x0
	v_cvt_f32_u32_e32 v1, v0
	s_mov_b32 s0, 0
	s_delay_alu instid0(VALU_DEP_1) | instskip(NEXT) | instid1(VALU_DEP_1)
	v_bfe_u32 v2, v1, 16, 1
	v_add3_u32 v1, v1, v2, 0x7fff
	global_store_d16_hi_b16 v[4:5], v1, off
.LBB23_1532:
	s_mov_b32 s8, 0
.LBB23_1533:
	s_delay_alu instid0(SALU_CYCLE_1)
	s_and_b32 vcc_lo, exec_lo, s8
	s_mov_b32 s8, 0
	s_cbranch_vccz .LBB23_1536
; %bb.1534:
	s_cmp_lg_u32 s4, 11
	s_mov_b32 s8, -1
	s_cselect_b32 s4, -1, 0
	s_and_not1_b32 s0, s0, exec_lo
	s_and_b32 s4, s4, exec_lo
	s_delay_alu instid0(SALU_CYCLE_1)
	s_or_b32 s0, s0, s4
	s_branch .LBB23_1536
.LBB23_1535:
	s_mov_b32 s8, 0
.LBB23_1536:
	s_and_b32 s9, s5, exec_lo
	s_and_not1_b32 s4, s38, exec_lo
	s_and_b32 s5, s0, exec_lo
	s_and_b32 s0, s8, exec_lo
	s_or_b32 s38, s4, s5
	s_wait_xcnt 0x0
	s_or_b32 exec_lo, exec_lo, s7
	s_and_saveexec_b32 s4, s38
	s_cbranch_execz .LBB23_1465
.LBB23_1537:
	s_or_b32 s1, s1, exec_lo
	s_and_not1_b32 s0, s0, exec_lo
	s_trap 2
	s_or_b32 exec_lo, exec_lo, s4
	s_and_saveexec_b32 s4, s0
	s_delay_alu instid0(SALU_CYCLE_1)
	s_xor_b32 s0, exec_lo, s4
	s_cbranch_execnz .LBB23_1466
.LBB23_1538:
	s_or_b32 exec_lo, exec_lo, s0
	s_and_saveexec_b32 s0, s9
	s_delay_alu instid0(SALU_CYCLE_1)
	s_xor_b32 s0, exec_lo, s0
	s_cbranch_execz .LBB23_1576
.LBB23_1539:
	s_sext_i32_i16 s5, s6
	s_mov_b32 s4, -1
	s_cmp_lt_i32 s5, 5
	s_cbranch_scc1 .LBB23_1560
; %bb.1540:
	s_cmp_lt_i32 s5, 8
	s_cbranch_scc1 .LBB23_1550
; %bb.1541:
	;; [unrolled: 3-line block ×3, first 2 shown]
	s_cmp_gt_i32 s5, 9
	s_cbranch_scc0 .LBB23_1544
; %bb.1543:
	s_wait_loadcnt 0x0
	v_cvt_f64_u32_e32 v[6:7], v0
	v_mov_b32_e32 v8, 0
	s_mov_b32 s4, 0
	s_delay_alu instid0(VALU_DEP_1)
	v_mov_b32_e32 v9, v8
	global_store_b128 v[4:5], v[6:9], off
.LBB23_1544:
	s_and_not1_b32 vcc_lo, exec_lo, s4
	s_cbranch_vccnz .LBB23_1546
; %bb.1545:
	v_cvt_f32_u32_e32 v2, v0
	s_wait_loadcnt 0x0
	v_mov_b32_e32 v3, 0
	global_store_b64 v[4:5], v[2:3], off
.LBB23_1546:
	s_mov_b32 s4, 0
.LBB23_1547:
	s_delay_alu instid0(SALU_CYCLE_1)
	s_and_not1_b32 vcc_lo, exec_lo, s4
	s_cbranch_vccnz .LBB23_1549
; %bb.1548:
	s_wait_loadcnt 0x0
	v_cvt_f32_u32_e32 v1, v0
	s_delay_alu instid0(VALU_DEP_1) | instskip(NEXT) | instid1(VALU_DEP_1)
	v_cvt_f16_f32_e32 v1, v1
	v_and_b32_e32 v1, 0xffff, v1
	global_store_b32 v[4:5], v1, off
.LBB23_1549:
	s_mov_b32 s4, 0
.LBB23_1550:
	s_delay_alu instid0(SALU_CYCLE_1)
	s_and_not1_b32 vcc_lo, exec_lo, s4
	s_cbranch_vccnz .LBB23_1559
; %bb.1551:
	s_sext_i32_i16 s5, s6
	s_mov_b32 s4, -1
	s_cmp_lt_i32 s5, 6
	s_cbranch_scc1 .LBB23_1557
; %bb.1552:
	s_cmp_gt_i32 s5, 6
	s_cbranch_scc0 .LBB23_1554
; %bb.1553:
	s_wait_loadcnt 0x0
	v_cvt_f64_u32_e32 v[2:3], v0
	s_mov_b32 s4, 0
	global_store_b64 v[4:5], v[2:3], off
.LBB23_1554:
	s_and_not1_b32 vcc_lo, exec_lo, s4
	s_cbranch_vccnz .LBB23_1556
; %bb.1555:
	s_wait_loadcnt 0x0
	v_cvt_f32_u32_e32 v1, v0
	global_store_b32 v[4:5], v1, off
.LBB23_1556:
	s_mov_b32 s4, 0
.LBB23_1557:
	s_delay_alu instid0(SALU_CYCLE_1)
	s_and_not1_b32 vcc_lo, exec_lo, s4
	s_cbranch_vccnz .LBB23_1559
; %bb.1558:
	s_wait_loadcnt 0x0
	v_cvt_f32_u32_e32 v1, v0
	s_delay_alu instid0(VALU_DEP_1)
	v_cvt_f16_f32_e32 v1, v1
	global_store_b16 v[4:5], v1, off
.LBB23_1559:
	s_mov_b32 s4, 0
.LBB23_1560:
	s_delay_alu instid0(SALU_CYCLE_1)
	s_and_not1_b32 vcc_lo, exec_lo, s4
	s_cbranch_vccnz .LBB23_1576
; %bb.1561:
	s_sext_i32_i16 s5, s6
	s_mov_b32 s4, -1
	s_cmp_lt_i32 s5, 2
	s_cbranch_scc1 .LBB23_1571
; %bb.1562:
	s_cmp_lt_i32 s5, 3
	s_cbranch_scc1 .LBB23_1568
; %bb.1563:
	s_cmp_gt_i32 s5, 3
	s_cbranch_scc0 .LBB23_1565
; %bb.1564:
	s_wait_loadcnt 0x0
	v_mov_b32_e32 v1, 0
	s_mov_b32 s4, 0
	global_store_b64 v[4:5], v[0:1], off
.LBB23_1565:
	s_and_not1_b32 vcc_lo, exec_lo, s4
	s_cbranch_vccnz .LBB23_1567
; %bb.1566:
	global_store_b32 v[4:5], v0, off
.LBB23_1567:
	s_mov_b32 s4, 0
.LBB23_1568:
	s_delay_alu instid0(SALU_CYCLE_1)
	s_and_not1_b32 vcc_lo, exec_lo, s4
	s_cbranch_vccnz .LBB23_1570
; %bb.1569:
	global_store_b16 v[4:5], v0, off
.LBB23_1570:
	s_mov_b32 s4, 0
.LBB23_1571:
	s_delay_alu instid0(SALU_CYCLE_1)
	s_and_not1_b32 vcc_lo, exec_lo, s4
	s_cbranch_vccnz .LBB23_1576
; %bb.1572:
	s_sext_i32_i16 s4, s6
	s_delay_alu instid0(SALU_CYCLE_1)
	s_cmp_gt_i32 s4, 0
	s_mov_b32 s4, -1
	s_cbranch_scc0 .LBB23_1574
; %bb.1573:
	s_mov_b32 s4, 0
	global_store_b8 v[4:5], v0, off
.LBB23_1574:
	s_and_not1_b32 vcc_lo, exec_lo, s4
	s_cbranch_vccnz .LBB23_1576
; %bb.1575:
	global_store_b8 v[4:5], v0, off
.LBB23_1576:
	s_wait_xcnt 0x0
	s_or_b32 exec_lo, exec_lo, s0
	s_delay_alu instid0(SALU_CYCLE_1)
	s_and_b32 s8, s1, exec_lo
                                        ; implicit-def: $vgpr1
                                        ; implicit-def: $vgpr0
.LBB23_1577:
	s_or_saveexec_b32 s9, s30
	s_mov_b32 s0, 0
                                        ; implicit-def: $vgpr2_vgpr3
                                        ; implicit-def: $sgpr1
                                        ; implicit-def: $vgpr8
	s_xor_b32 exec_lo, exec_lo, s9
	s_cbranch_execz .LBB23_2727
; %bb.1578:
	s_wait_loadcnt 0x0
	v_cndmask_b32_e64 v3, 0, 1, s29
	s_and_not1_b32 vcc_lo, exec_lo, s29
	s_cbranch_vccnz .LBB23_1584
; %bb.1579:
	s_cmp_lg_u32 s26, 0
	s_mov_b32 s4, 0
	s_cbranch_scc0 .LBB23_1588
; %bb.1580:
	s_min_u32 s5, s27, 15
	v_dual_mov_b32 v6, 0 :: v_dual_mov_b32 v2, v0
	v_dual_mov_b32 v22, 0 :: v_dual_mov_b32 v10, 0
	s_add_co_i32 s6, s5, 1
	s_mov_b64 s[0:1], 0xffffffffffffffe8
	s_and_b32 s6, s6, 30
	s_add_nc_u64 s[0:1], s[2:3], s[0:1]
.LBB23_1581:                            ; =>This Inner Loop Header: Depth=1
	s_clause 0x1
	s_load_b128 s[12:15], s[0:1], 0x1c
	s_load_b64 s[10:11], s[0:1], 0x2c
	s_add_co_i32 s6, s6, -2
	s_delay_alu instid0(SALU_CYCLE_1) | instskip(SKIP_2) | instid1(VALU_DEP_1)
	s_cmp_lg_u32 s6, 0
	s_wait_kmcnt 0x0
	v_mul_hi_u32 v4, s13, v2
	v_add_nc_u32_e32 v4, v2, v4
	s_delay_alu instid0(VALU_DEP_1) | instskip(NEXT) | instid1(VALU_DEP_1)
	v_lshrrev_b32_e32 v4, s14, v4
	v_mul_hi_u32 v5, s10, v4
	v_mul_lo_u32 v7, v4, s12
	s_clause 0x1
	s_load_b128 s[16:19], s[0:1], 0xdc
	s_load_b64 s[12:13], s[0:1], 0xec
	s_wait_xcnt 0x0
	s_add_nc_u64 s[0:1], s[0:1], 24
	s_delay_alu instid0(VALU_DEP_1) | instskip(NEXT) | instid1(VALU_DEP_1)
	v_dual_add_nc_u32 v5, v4, v5 :: v_dual_sub_nc_u32 v7, v2, v7
	v_lshrrev_b32_e32 v2, s11, v5
	s_wait_kmcnt 0x0
	s_delay_alu instid0(VALU_DEP_2) | instskip(NEXT) | instid1(VALU_DEP_2)
	v_mad_u32 v6, v7, s16, v6
	v_mul_lo_u32 v5, v2, s15
	v_mad_u32 v8, v7, s18, v10
	v_mad_u32 v7, v7, s17, v22
	s_delay_alu instid0(VALU_DEP_3) | instskip(NEXT) | instid1(VALU_DEP_1)
	v_sub_nc_u32_e32 v4, v4, v5
	v_mad_u32 v6, v4, s19, v6
	s_delay_alu instid0(VALU_DEP_4) | instskip(NEXT) | instid1(VALU_DEP_4)
	v_mad_u32 v10, v4, s13, v8
	v_mad_u32 v22, v4, s12, v7
	s_cbranch_scc1 .LBB23_1581
; %bb.1582:
	s_bitcmp1_b32 s5, 0
	s_cselect_b32 s5, -1, 0
	s_delay_alu instid0(SALU_CYCLE_1)
	s_and_b32 vcc_lo, exec_lo, s5
	s_cbranch_vccnz .LBB23_1585
; %bb.1583:
	s_clause 0x1
	s_load_b96 s[12:14], s[0:1], 0x1c
	s_load_b96 s[16:18], s[0:1], 0xdc
	s_wait_kmcnt 0x0
	v_mul_hi_u32 v4, s13, v2
	s_delay_alu instid0(VALU_DEP_1) | instskip(NEXT) | instid1(VALU_DEP_1)
	v_add_nc_u32_e32 v4, v2, v4
	v_lshrrev_b32_e32 v4, s14, v4
	s_delay_alu instid0(VALU_DEP_1) | instskip(NEXT) | instid1(VALU_DEP_1)
	v_mul_lo_u32 v4, v4, s12
	v_sub_nc_u32_e32 v2, v2, v4
	s_delay_alu instid0(VALU_DEP_1)
	v_mad_u32 v6, v2, s16, v6
	v_mad_u32 v22, v2, s17, v22
	v_mad_u32 v10, v2, s18, v10
	s_and_not1_b32 vcc_lo, exec_lo, s4
	s_cbranch_vccz .LBB23_1586
	s_branch .LBB23_1589
.LBB23_1584:
	s_mov_b32 s4, -1
                                        ; implicit-def: $vgpr10
                                        ; implicit-def: $vgpr22
                                        ; implicit-def: $vgpr6
.LBB23_1585:
	s_delay_alu instid0(SALU_CYCLE_1)
	s_and_not1_b32 vcc_lo, exec_lo, s4
	s_cbranch_vccnz .LBB23_1589
.LBB23_1586:
	s_clause 0x1
	s_load_b96 s[4:6], s[2:3], 0x4
	s_load_b96 s[12:14], s[2:3], 0xc4
	s_cmp_lt_u32 s26, 2
	s_wait_kmcnt 0x0
	v_mul_hi_u32 v2, s5, v0
	s_delay_alu instid0(VALU_DEP_1) | instskip(NEXT) | instid1(VALU_DEP_1)
	v_add_nc_u32_e32 v2, v0, v2
	v_lshrrev_b32_e32 v2, s6, v2
	s_delay_alu instid0(VALU_DEP_1) | instskip(NEXT) | instid1(VALU_DEP_1)
	v_mul_lo_u32 v4, v2, s4
	v_sub_nc_u32_e32 v4, v0, v4
	s_delay_alu instid0(VALU_DEP_1)
	v_mul_lo_u32 v6, v4, s12
	v_mul_lo_u32 v10, v4, s14
	;; [unrolled: 1-line block ×3, first 2 shown]
	s_cbranch_scc1 .LBB23_1589
; %bb.1587:
	s_clause 0x1
	s_load_b96 s[4:6], s[2:3], 0x10
	s_load_b96 s[12:14], s[2:3], 0xd0
	s_wait_kmcnt 0x0
	v_mul_hi_u32 v4, s5, v2
	s_delay_alu instid0(VALU_DEP_1) | instskip(NEXT) | instid1(VALU_DEP_1)
	v_add_nc_u32_e32 v4, v2, v4
	v_lshrrev_b32_e32 v4, s6, v4
	s_delay_alu instid0(VALU_DEP_1) | instskip(NEXT) | instid1(VALU_DEP_1)
	v_mul_lo_u32 v4, v4, s4
	v_sub_nc_u32_e32 v2, v2, v4
	s_delay_alu instid0(VALU_DEP_1)
	v_mad_u32 v6, v2, s12, v6
	v_mad_u32 v22, v2, s13, v22
	v_mad_u32 v10, v2, s14, v10
	s_branch .LBB23_1589
.LBB23_1588:
	v_dual_mov_b32 v10, 0 :: v_dual_mov_b32 v22, 0
	v_mov_b32_e32 v6, 0
	s_and_not1_b32 vcc_lo, exec_lo, s4
	s_cbranch_vccz .LBB23_1586
.LBB23_1589:
	v_cmp_ne_u32_e32 vcc_lo, 1, v3
	v_add_nc_u32_e32 v2, 0x80, v0
	s_cbranch_vccnz .LBB23_1595
; %bb.1590:
	s_cmp_lg_u32 s26, 0
	s_mov_b32 s4, 0
	s_cbranch_scc0 .LBB23_1599
; %bb.1591:
	s_min_u32 s5, s27, 15
	v_dual_mov_b32 v4, 0 :: v_dual_mov_b32 v5, v2
	v_dual_mov_b32 v20, 0 :: v_dual_mov_b32 v14, 0
	s_add_co_i32 s6, s5, 1
	s_mov_b64 s[0:1], 0xffffffffffffffe8
	s_and_b32 s6, s6, 30
	s_add_nc_u64 s[0:1], s[2:3], s[0:1]
.LBB23_1592:                            ; =>This Inner Loop Header: Depth=1
	s_clause 0x1
	s_load_b128 s[12:15], s[0:1], 0x1c
	s_load_b64 s[10:11], s[0:1], 0x2c
	s_add_co_i32 s6, s6, -2
	s_delay_alu instid0(SALU_CYCLE_1) | instskip(SKIP_2) | instid1(VALU_DEP_1)
	s_cmp_lg_u32 s6, 0
	s_wait_kmcnt 0x0
	v_mul_hi_u32 v7, s13, v5
	v_add_nc_u32_e32 v7, v5, v7
	s_delay_alu instid0(VALU_DEP_1) | instskip(NEXT) | instid1(VALU_DEP_1)
	v_lshrrev_b32_e32 v7, s14, v7
	v_mul_hi_u32 v8, s10, v7
	v_mul_lo_u32 v9, v7, s12
	s_clause 0x1
	s_load_b128 s[16:19], s[0:1], 0xdc
	s_load_b64 s[12:13], s[0:1], 0xec
	s_wait_xcnt 0x0
	s_add_nc_u64 s[0:1], s[0:1], 24
	s_delay_alu instid0(VALU_DEP_1) | instskip(NEXT) | instid1(VALU_DEP_1)
	v_dual_add_nc_u32 v8, v7, v8 :: v_dual_sub_nc_u32 v9, v5, v9
	v_lshrrev_b32_e32 v5, s11, v8
	s_wait_kmcnt 0x0
	s_delay_alu instid0(VALU_DEP_2) | instskip(NEXT) | instid1(VALU_DEP_2)
	v_mad_u32 v4, v9, s16, v4
	v_mul_lo_u32 v8, v5, s15
	v_mad_u32 v11, v9, s18, v14
	v_mad_u32 v9, v9, s17, v20
	s_delay_alu instid0(VALU_DEP_3) | instskip(NEXT) | instid1(VALU_DEP_1)
	v_sub_nc_u32_e32 v7, v7, v8
	v_mad_u32 v4, v7, s19, v4
	s_delay_alu instid0(VALU_DEP_4) | instskip(NEXT) | instid1(VALU_DEP_4)
	v_mad_u32 v14, v7, s13, v11
	v_mad_u32 v20, v7, s12, v9
	s_cbranch_scc1 .LBB23_1592
; %bb.1593:
	s_bitcmp1_b32 s5, 0
	s_cselect_b32 s5, -1, 0
	s_delay_alu instid0(SALU_CYCLE_1)
	s_and_b32 vcc_lo, exec_lo, s5
	s_cbranch_vccnz .LBB23_1596
; %bb.1594:
	s_clause 0x1
	s_load_b96 s[12:14], s[0:1], 0x1c
	s_load_b96 s[16:18], s[0:1], 0xdc
	s_wait_kmcnt 0x0
	v_mul_hi_u32 v7, s13, v5
	s_delay_alu instid0(VALU_DEP_1) | instskip(NEXT) | instid1(VALU_DEP_1)
	v_add_nc_u32_e32 v7, v5, v7
	v_lshrrev_b32_e32 v7, s14, v7
	s_delay_alu instid0(VALU_DEP_1) | instskip(NEXT) | instid1(VALU_DEP_1)
	v_mul_lo_u32 v7, v7, s12
	v_sub_nc_u32_e32 v5, v5, v7
	s_delay_alu instid0(VALU_DEP_1)
	v_mad_u32 v4, v5, s16, v4
	v_mad_u32 v20, v5, s17, v20
	;; [unrolled: 1-line block ×3, first 2 shown]
	s_and_not1_b32 vcc_lo, exec_lo, s4
	s_cbranch_vccz .LBB23_1597
	s_branch .LBB23_1600
.LBB23_1595:
	s_mov_b32 s4, -1
                                        ; implicit-def: $vgpr14
                                        ; implicit-def: $vgpr20
                                        ; implicit-def: $vgpr4
.LBB23_1596:
	s_delay_alu instid0(SALU_CYCLE_1)
	s_and_not1_b32 vcc_lo, exec_lo, s4
	s_cbranch_vccnz .LBB23_1600
.LBB23_1597:
	s_clause 0x1
	s_load_b96 s[4:6], s[2:3], 0x4
	s_load_b96 s[12:14], s[2:3], 0xc4
	s_cmp_lt_u32 s26, 2
	s_wait_kmcnt 0x0
	v_mul_hi_u32 v4, s5, v2
	s_delay_alu instid0(VALU_DEP_1) | instskip(NEXT) | instid1(VALU_DEP_1)
	v_add_nc_u32_e32 v4, v2, v4
	v_lshrrev_b32_e32 v5, s6, v4
	s_delay_alu instid0(VALU_DEP_1) | instskip(NEXT) | instid1(VALU_DEP_1)
	v_mul_lo_u32 v4, v5, s4
	v_sub_nc_u32_e32 v2, v2, v4
	s_delay_alu instid0(VALU_DEP_1)
	v_mul_lo_u32 v4, v2, s12
	v_mul_lo_u32 v14, v2, s14
	;; [unrolled: 1-line block ×3, first 2 shown]
	s_cbranch_scc1 .LBB23_1600
; %bb.1598:
	s_clause 0x1
	s_load_b96 s[4:6], s[2:3], 0x10
	s_load_b96 s[12:14], s[2:3], 0xd0
	s_wait_kmcnt 0x0
	v_mul_hi_u32 v2, s5, v5
	s_delay_alu instid0(VALU_DEP_1) | instskip(NEXT) | instid1(VALU_DEP_1)
	v_add_nc_u32_e32 v2, v5, v2
	v_lshrrev_b32_e32 v2, s6, v2
	s_delay_alu instid0(VALU_DEP_1) | instskip(NEXT) | instid1(VALU_DEP_1)
	v_mul_lo_u32 v2, v2, s4
	v_sub_nc_u32_e32 v2, v5, v2
	s_delay_alu instid0(VALU_DEP_1)
	v_mad_u32 v4, v2, s12, v4
	v_mad_u32 v20, v2, s13, v20
	;; [unrolled: 1-line block ×3, first 2 shown]
	s_branch .LBB23_1600
.LBB23_1599:
	v_dual_mov_b32 v14, 0 :: v_dual_mov_b32 v20, 0
	v_mov_b32_e32 v4, 0
	s_and_not1_b32 vcc_lo, exec_lo, s4
	s_cbranch_vccz .LBB23_1597
.LBB23_1600:
	v_cmp_ne_u32_e32 vcc_lo, 1, v3
	v_add_nc_u32_e32 v0, 0x100, v0
	s_cbranch_vccnz .LBB23_1606
; %bb.1601:
	s_cmp_lg_u32 s26, 0
	s_mov_b32 s4, 0
	s_cbranch_scc0 .LBB23_1610
; %bb.1602:
	s_min_u32 s5, s27, 15
	v_dual_mov_b32 v2, 0 :: v_dual_mov_b32 v5, v0
	v_dual_mov_b32 v18, 0 :: v_dual_mov_b32 v16, 0
	s_add_co_i32 s6, s5, 1
	s_mov_b64 s[0:1], 0xffffffffffffffe8
	s_and_b32 s6, s6, 30
	s_add_nc_u64 s[0:1], s[2:3], s[0:1]
.LBB23_1603:                            ; =>This Inner Loop Header: Depth=1
	s_clause 0x1
	s_load_b128 s[12:15], s[0:1], 0x1c
	s_load_b64 s[10:11], s[0:1], 0x2c
	s_add_co_i32 s6, s6, -2
	s_delay_alu instid0(SALU_CYCLE_1) | instskip(SKIP_2) | instid1(VALU_DEP_1)
	s_cmp_lg_u32 s6, 0
	s_wait_kmcnt 0x0
	v_mul_hi_u32 v7, s13, v5
	v_add_nc_u32_e32 v7, v5, v7
	s_delay_alu instid0(VALU_DEP_1) | instskip(NEXT) | instid1(VALU_DEP_1)
	v_lshrrev_b32_e32 v7, s14, v7
	v_mul_hi_u32 v8, s10, v7
	v_mul_lo_u32 v9, v7, s12
	s_clause 0x1
	s_load_b128 s[16:19], s[0:1], 0xdc
	s_load_b64 s[12:13], s[0:1], 0xec
	s_wait_xcnt 0x0
	s_add_nc_u64 s[0:1], s[0:1], 24
	s_delay_alu instid0(VALU_DEP_1) | instskip(NEXT) | instid1(VALU_DEP_1)
	v_dual_add_nc_u32 v8, v7, v8 :: v_dual_sub_nc_u32 v9, v5, v9
	v_lshrrev_b32_e32 v5, s11, v8
	s_wait_kmcnt 0x0
	s_delay_alu instid0(VALU_DEP_2) | instskip(NEXT) | instid1(VALU_DEP_2)
	v_mad_u32 v2, v9, s16, v2
	v_mul_lo_u32 v8, v5, s15
	v_mad_u32 v11, v9, s18, v16
	v_mad_u32 v9, v9, s17, v18
	s_delay_alu instid0(VALU_DEP_3) | instskip(NEXT) | instid1(VALU_DEP_1)
	v_sub_nc_u32_e32 v7, v7, v8
	v_mad_u32 v2, v7, s19, v2
	s_delay_alu instid0(VALU_DEP_4) | instskip(NEXT) | instid1(VALU_DEP_4)
	v_mad_u32 v16, v7, s13, v11
	v_mad_u32 v18, v7, s12, v9
	s_cbranch_scc1 .LBB23_1603
; %bb.1604:
	s_bitcmp1_b32 s5, 0
	s_cselect_b32 s5, -1, 0
	s_delay_alu instid0(SALU_CYCLE_1)
	s_and_b32 vcc_lo, exec_lo, s5
	s_cbranch_vccnz .LBB23_1607
; %bb.1605:
	s_clause 0x1
	s_load_b96 s[12:14], s[0:1], 0x1c
	s_load_b96 s[16:18], s[0:1], 0xdc
	s_wait_kmcnt 0x0
	v_mul_hi_u32 v7, s13, v5
	s_delay_alu instid0(VALU_DEP_1) | instskip(NEXT) | instid1(VALU_DEP_1)
	v_add_nc_u32_e32 v7, v5, v7
	v_lshrrev_b32_e32 v7, s14, v7
	s_delay_alu instid0(VALU_DEP_1) | instskip(NEXT) | instid1(VALU_DEP_1)
	v_mul_lo_u32 v7, v7, s12
	v_sub_nc_u32_e32 v5, v5, v7
	s_delay_alu instid0(VALU_DEP_1)
	v_mad_u32 v2, v5, s16, v2
	v_mad_u32 v18, v5, s17, v18
	;; [unrolled: 1-line block ×3, first 2 shown]
	s_and_not1_b32 vcc_lo, exec_lo, s4
	s_cbranch_vccz .LBB23_1608
	s_branch .LBB23_1611
.LBB23_1606:
	s_mov_b32 s4, -1
                                        ; implicit-def: $vgpr16
                                        ; implicit-def: $vgpr18
                                        ; implicit-def: $vgpr2
.LBB23_1607:
	s_delay_alu instid0(SALU_CYCLE_1)
	s_and_not1_b32 vcc_lo, exec_lo, s4
	s_cbranch_vccnz .LBB23_1611
.LBB23_1608:
	s_clause 0x1
	s_load_b96 s[4:6], s[2:3], 0x4
	s_load_b96 s[12:14], s[2:3], 0xc4
	s_cmp_lt_u32 s26, 2
	s_wait_kmcnt 0x0
	v_mul_hi_u32 v2, s5, v0
	s_delay_alu instid0(VALU_DEP_1) | instskip(NEXT) | instid1(VALU_DEP_1)
	v_add_nc_u32_e32 v2, v0, v2
	v_lshrrev_b32_e32 v5, s6, v2
	s_delay_alu instid0(VALU_DEP_1) | instskip(NEXT) | instid1(VALU_DEP_1)
	v_mul_lo_u32 v2, v5, s4
	v_sub_nc_u32_e32 v0, v0, v2
	s_delay_alu instid0(VALU_DEP_1)
	v_mul_lo_u32 v2, v0, s12
	v_mul_lo_u32 v16, v0, s14
	;; [unrolled: 1-line block ×3, first 2 shown]
	s_cbranch_scc1 .LBB23_1611
; %bb.1609:
	s_clause 0x1
	s_load_b96 s[4:6], s[2:3], 0x10
	s_load_b96 s[12:14], s[2:3], 0xd0
	s_wait_kmcnt 0x0
	v_mul_hi_u32 v0, s5, v5
	s_delay_alu instid0(VALU_DEP_1) | instskip(NEXT) | instid1(VALU_DEP_1)
	v_add_nc_u32_e32 v0, v5, v0
	v_lshrrev_b32_e32 v0, s6, v0
	s_delay_alu instid0(VALU_DEP_1) | instskip(NEXT) | instid1(VALU_DEP_1)
	v_mul_lo_u32 v0, v0, s4
	v_sub_nc_u32_e32 v0, v5, v0
	s_delay_alu instid0(VALU_DEP_1)
	v_mad_u32 v2, v0, s12, v2
	v_mad_u32 v18, v0, s13, v18
	;; [unrolled: 1-line block ×3, first 2 shown]
	s_branch .LBB23_1611
.LBB23_1610:
	v_dual_mov_b32 v16, 0 :: v_dual_mov_b32 v18, 0
	v_mov_b32_e32 v2, 0
	s_and_not1_b32 vcc_lo, exec_lo, s4
	s_cbranch_vccz .LBB23_1608
.LBB23_1611:
	v_cmp_ne_u32_e32 vcc_lo, 1, v3
	s_cbranch_vccnz .LBB23_1617
; %bb.1612:
	s_cmp_lg_u32 s26, 0
	s_mov_b32 s4, 0
	s_cbranch_scc0 .LBB23_1621
; %bb.1613:
	s_min_u32 s5, s27, 15
	v_dual_mov_b32 v0, 0 :: v_dual_mov_b32 v3, v1
	v_dual_mov_b32 v12, 0 :: v_dual_mov_b32 v8, 0
	s_add_co_i32 s6, s5, 1
	s_mov_b64 s[0:1], 0xffffffffffffffe8
	s_and_b32 s6, s6, 30
	s_add_nc_u64 s[0:1], s[2:3], s[0:1]
.LBB23_1614:                            ; =>This Inner Loop Header: Depth=1
	s_clause 0x1
	s_load_b128 s[12:15], s[0:1], 0x1c
	s_load_b64 s[10:11], s[0:1], 0x2c
	s_add_co_i32 s6, s6, -2
	s_delay_alu instid0(SALU_CYCLE_1) | instskip(SKIP_2) | instid1(VALU_DEP_1)
	s_cmp_lg_u32 s6, 0
	s_wait_kmcnt 0x0
	v_mul_hi_u32 v5, s13, v3
	v_add_nc_u32_e32 v5, v3, v5
	s_delay_alu instid0(VALU_DEP_1) | instskip(NEXT) | instid1(VALU_DEP_1)
	v_lshrrev_b32_e32 v5, s14, v5
	v_mul_hi_u32 v7, s10, v5
	v_mul_lo_u32 v9, v5, s12
	s_clause 0x1
	s_load_b128 s[16:19], s[0:1], 0xdc
	s_load_b64 s[12:13], s[0:1], 0xec
	s_wait_xcnt 0x0
	s_add_nc_u64 s[0:1], s[0:1], 24
	s_delay_alu instid0(VALU_DEP_1) | instskip(NEXT) | instid1(VALU_DEP_1)
	v_dual_add_nc_u32 v7, v5, v7 :: v_dual_sub_nc_u32 v9, v3, v9
	v_lshrrev_b32_e32 v3, s11, v7
	s_wait_kmcnt 0x0
	s_delay_alu instid0(VALU_DEP_2) | instskip(NEXT) | instid1(VALU_DEP_2)
	v_mad_u32 v0, v9, s16, v0
	v_mul_lo_u32 v7, v3, s15
	v_mad_u32 v8, v9, s18, v8
	v_mad_u32 v9, v9, s17, v12
	s_delay_alu instid0(VALU_DEP_3) | instskip(NEXT) | instid1(VALU_DEP_1)
	v_sub_nc_u32_e32 v5, v5, v7
	v_mad_u32 v0, v5, s19, v0
	s_delay_alu instid0(VALU_DEP_4) | instskip(NEXT) | instid1(VALU_DEP_4)
	v_mad_u32 v8, v5, s13, v8
	v_mad_u32 v12, v5, s12, v9
	s_cbranch_scc1 .LBB23_1614
; %bb.1615:
	s_bitcmp1_b32 s5, 0
	s_cselect_b32 s5, -1, 0
	s_delay_alu instid0(SALU_CYCLE_1)
	s_and_b32 vcc_lo, exec_lo, s5
	s_cbranch_vccnz .LBB23_1618
; %bb.1616:
	s_clause 0x1
	s_load_b96 s[12:14], s[0:1], 0x1c
	s_load_b96 s[16:18], s[0:1], 0xdc
	s_wait_kmcnt 0x0
	v_mul_hi_u32 v5, s13, v3
	s_delay_alu instid0(VALU_DEP_1) | instskip(NEXT) | instid1(VALU_DEP_1)
	v_add_nc_u32_e32 v5, v3, v5
	v_lshrrev_b32_e32 v5, s14, v5
	s_delay_alu instid0(VALU_DEP_1) | instskip(NEXT) | instid1(VALU_DEP_1)
	v_mul_lo_u32 v5, v5, s12
	v_sub_nc_u32_e32 v3, v3, v5
	s_delay_alu instid0(VALU_DEP_1)
	v_mad_u32 v0, v3, s16, v0
	v_mad_u32 v12, v3, s17, v12
	;; [unrolled: 1-line block ×3, first 2 shown]
	s_and_not1_b32 vcc_lo, exec_lo, s4
	s_cbranch_vccz .LBB23_1619
	s_branch .LBB23_1622
.LBB23_1617:
	s_mov_b32 s4, -1
                                        ; implicit-def: $vgpr8
                                        ; implicit-def: $vgpr12
                                        ; implicit-def: $vgpr0
.LBB23_1618:
	s_delay_alu instid0(SALU_CYCLE_1)
	s_and_not1_b32 vcc_lo, exec_lo, s4
	s_cbranch_vccnz .LBB23_1622
.LBB23_1619:
	s_clause 0x1
	s_load_b96 s[4:6], s[2:3], 0x4
	s_load_b96 s[12:14], s[2:3], 0xc4
	s_cmp_lt_u32 s26, 2
	s_wait_kmcnt 0x0
	v_mul_hi_u32 v0, s5, v1
	s_delay_alu instid0(VALU_DEP_1) | instskip(NEXT) | instid1(VALU_DEP_1)
	v_add_nc_u32_e32 v0, v1, v0
	v_lshrrev_b32_e32 v3, s6, v0
	s_delay_alu instid0(VALU_DEP_1) | instskip(NEXT) | instid1(VALU_DEP_1)
	v_mul_lo_u32 v0, v3, s4
	v_sub_nc_u32_e32 v1, v1, v0
	s_delay_alu instid0(VALU_DEP_1)
	v_mul_lo_u32 v0, v1, s12
	v_mul_lo_u32 v8, v1, s14
	;; [unrolled: 1-line block ×3, first 2 shown]
	s_cbranch_scc1 .LBB23_1622
; %bb.1620:
	s_clause 0x1
	s_load_b96 s[4:6], s[2:3], 0x10
	s_load_b96 s[12:14], s[2:3], 0xd0
	s_wait_kmcnt 0x0
	v_mul_hi_u32 v1, s5, v3
	s_delay_alu instid0(VALU_DEP_1) | instskip(NEXT) | instid1(VALU_DEP_1)
	v_add_nc_u32_e32 v1, v3, v1
	v_lshrrev_b32_e32 v1, s6, v1
	s_delay_alu instid0(VALU_DEP_1) | instskip(NEXT) | instid1(VALU_DEP_1)
	v_mul_lo_u32 v1, v1, s4
	v_sub_nc_u32_e32 v1, v3, v1
	s_delay_alu instid0(VALU_DEP_1)
	v_mad_u32 v0, v1, s12, v0
	v_mad_u32 v12, v1, s13, v12
	;; [unrolled: 1-line block ×3, first 2 shown]
	s_branch .LBB23_1622
.LBB23_1621:
	v_dual_mov_b32 v8, 0 :: v_dual_mov_b32 v12, 0
	v_mov_b32_e32 v0, 0
	s_and_not1_b32 vcc_lo, exec_lo, s4
	s_cbranch_vccz .LBB23_1619
.LBB23_1622:
	v_mov_b32_e32 v23, 0
	s_load_b128 s[4:7], s[2:3], 0x188
	global_load_u8 v1, v23, s[2:3] offset:418
	s_wait_kmcnt 0x0
	v_add_nc_u64_e32 v[22:23], s[6:7], v[22:23]
	s_wait_loadcnt 0x0
	v_and_b32_e32 v3, 0xffff, v1
	v_readfirstlane_b32 s11, v1
	s_delay_alu instid0(VALU_DEP_2)
	v_cmp_gt_i32_e32 vcc_lo, 11, v3
	s_cbranch_vccnz .LBB23_1629
; %bb.1623:
	s_and_b32 s0, 0xffff, s11
	s_mov_b32 s12, 0
	s_cmp_gt_i32 s0, 25
	s_cbranch_scc0 .LBB23_1631
; %bb.1624:
	s_cmp_gt_i32 s0, 28
	s_cbranch_scc0 .LBB23_1632
; %bb.1625:
	s_cmp_gt_i32 s0, 43
	s_cbranch_scc0 .LBB23_1633
; %bb.1626:
	s_cmp_gt_i32 s0, 45
	s_cbranch_scc0 .LBB23_1634
; %bb.1627:
	s_cmp_eq_u32 s0, 46
	s_mov_b32 s10, 0
	s_cbranch_scc0 .LBB23_1637
; %bb.1628:
	global_load_b32 v1, v[22:23], off
	s_mov_b32 s1, 0
	s_mov_b32 s13, -1
	s_wait_loadcnt 0x0
	v_lshlrev_b32_e32 v1, 16, v1
	s_delay_alu instid0(VALU_DEP_1)
	v_cvt_i32_f32_e32 v1, v1
	s_branch .LBB23_1639
.LBB23_1629:
	s_mov_b32 s13, 0
	s_mov_b32 s10, s8
                                        ; implicit-def: $vgpr1
	s_cbranch_execnz .LBB23_1697
.LBB23_1630:
	s_and_not1_b32 vcc_lo, exec_lo, s13
	s_cbranch_vccz .LBB23_1742
	s_branch .LBB23_2725
.LBB23_1631:
	s_mov_b32 s13, 0
	s_mov_b32 s1, 0
                                        ; implicit-def: $vgpr1
	s_cbranch_execnz .LBB23_1664
	s_branch .LBB23_1693
.LBB23_1632:
	s_mov_b32 s13, 0
	s_mov_b32 s1, 0
                                        ; implicit-def: $vgpr1
	s_cbranch_execz .LBB23_1663
	s_branch .LBB23_1648
.LBB23_1633:
	s_mov_b32 s13, 0
	s_mov_b32 s1, 0
                                        ; implicit-def: $vgpr1
	s_cbranch_execnz .LBB23_1644
	s_branch .LBB23_1647
.LBB23_1634:
	s_mov_b32 s10, -1
	s_mov_b32 s13, 0
	s_mov_b32 s1, 0
	s_branch .LBB23_1638
.LBB23_1635:
	s_and_not1_saveexec_b32 s9, s9
	s_cbranch_execz .LBB23_1490
.LBB23_1636:
	v_add_f32_e32 v1, 0x46000000, v2
	s_and_not1_b32 s8, s8, exec_lo
	s_delay_alu instid0(VALU_DEP_1) | instskip(NEXT) | instid1(VALU_DEP_1)
	v_and_b32_e32 v1, 0xff, v1
	v_cmp_ne_u32_e32 vcc_lo, 0, v1
	s_and_b32 s10, vcc_lo, exec_lo
	s_delay_alu instid0(SALU_CYCLE_1)
	s_or_b32 s8, s8, s10
	s_or_b32 exec_lo, exec_lo, s9
	v_mov_b32_e32 v3, 0
	s_and_saveexec_b32 s9, s8
	s_cbranch_execnz .LBB23_1491
	s_branch .LBB23_1492
.LBB23_1637:
	s_mov_b32 s1, -1
	s_mov_b32 s13, 0
.LBB23_1638:
                                        ; implicit-def: $vgpr1
.LBB23_1639:
	s_and_b32 vcc_lo, exec_lo, s10
	s_cbranch_vccz .LBB23_1642
; %bb.1640:
	s_cmp_eq_u32 s0, 44
	s_cbranch_scc0 .LBB23_1643
; %bb.1641:
	global_load_u8 v1, v[22:23], off
	s_mov_b32 s1, 0
	s_mov_b32 s13, -1
	s_wait_loadcnt 0x0
	v_lshlrev_b32_e32 v3, 23, v1
	v_cmp_ne_u32_e32 vcc_lo, 0, v1
	s_delay_alu instid0(VALU_DEP_2) | instskip(NEXT) | instid1(VALU_DEP_1)
	v_cvt_i32_f32_e32 v3, v3
	v_cndmask_b32_e32 v1, 0, v3, vcc_lo
.LBB23_1642:
	s_branch .LBB23_1647
.LBB23_1643:
	s_mov_b32 s1, -1
                                        ; implicit-def: $vgpr1
	s_branch .LBB23_1647
.LBB23_1644:
	s_cmp_eq_u32 s0, 29
	s_cbranch_scc0 .LBB23_1646
; %bb.1645:
	global_load_b32 v1, v[22:23], off
	s_mov_b32 s1, 0
	s_mov_b32 s13, -1
	s_branch .LBB23_1647
.LBB23_1646:
	s_mov_b32 s1, -1
                                        ; implicit-def: $vgpr1
.LBB23_1647:
	s_branch .LBB23_1663
.LBB23_1648:
	s_cmp_lt_i32 s0, 27
	s_cbranch_scc1 .LBB23_1651
; %bb.1649:
	s_cmp_gt_i32 s0, 27
	s_cbranch_scc0 .LBB23_1652
; %bb.1650:
	s_wait_loadcnt 0x0
	global_load_b32 v1, v[22:23], off
	s_mov_b32 s10, 0
	s_branch .LBB23_1653
.LBB23_1651:
	s_mov_b32 s10, -1
                                        ; implicit-def: $vgpr1
	s_branch .LBB23_1656
.LBB23_1652:
	s_mov_b32 s10, -1
                                        ; implicit-def: $vgpr1
.LBB23_1653:
	s_delay_alu instid0(SALU_CYCLE_1)
	s_and_not1_b32 vcc_lo, exec_lo, s10
	s_cbranch_vccnz .LBB23_1655
; %bb.1654:
	s_wait_loadcnt 0x0
	global_load_u16 v1, v[22:23], off
.LBB23_1655:
	s_mov_b32 s10, 0
.LBB23_1656:
	s_delay_alu instid0(SALU_CYCLE_1)
	s_and_not1_b32 vcc_lo, exec_lo, s10
	s_cbranch_vccnz .LBB23_1662
; %bb.1657:
	global_load_u8 v3, v[22:23], off
	s_mov_b32 s13, 0
	s_mov_b32 s10, exec_lo
	s_wait_loadcnt 0x0
	v_cmpx_lt_i16_e32 0x7f, v3
	s_xor_b32 s10, exec_lo, s10
	s_cbranch_execz .LBB23_1673
; %bb.1658:
	v_cmp_ne_u16_e32 vcc_lo, 0x80, v3
	s_and_b32 s13, vcc_lo, exec_lo
	s_and_not1_saveexec_b32 s10, s10
	s_cbranch_execnz .LBB23_1674
.LBB23_1659:
	s_or_b32 exec_lo, exec_lo, s10
	v_mov_b32_e32 v1, 0
	s_and_saveexec_b32 s10, s13
	s_cbranch_execz .LBB23_1661
.LBB23_1660:
	v_and_b32_e32 v1, 0xffff, v3
	s_delay_alu instid0(VALU_DEP_1) | instskip(SKIP_1) | instid1(VALU_DEP_2)
	v_and_b32_e32 v5, 7, v1
	v_bfe_u32 v11, v1, 3, 4
	v_clz_i32_u32_e32 v7, v5
	s_delay_alu instid0(VALU_DEP_2) | instskip(NEXT) | instid1(VALU_DEP_2)
	v_cmp_eq_u32_e32 vcc_lo, 0, v11
	v_min_u32_e32 v7, 32, v7
	s_delay_alu instid0(VALU_DEP_1) | instskip(NEXT) | instid1(VALU_DEP_1)
	v_subrev_nc_u32_e32 v9, 28, v7
	v_dual_lshlrev_b32 v1, v9, v1 :: v_dual_sub_nc_u32 v7, 29, v7
	s_delay_alu instid0(VALU_DEP_1) | instskip(NEXT) | instid1(VALU_DEP_1)
	v_dual_lshlrev_b32 v3, 24, v3 :: v_dual_bitop2_b32 v1, 7, v1 bitop3:0x40
	v_dual_cndmask_b32 v1, v5, v1, vcc_lo :: v_dual_cndmask_b32 v7, v11, v7, vcc_lo
	s_delay_alu instid0(VALU_DEP_2) | instskip(NEXT) | instid1(VALU_DEP_2)
	v_and_b32_e32 v3, 0x80000000, v3
	v_lshlrev_b32_e32 v1, 20, v1
	s_delay_alu instid0(VALU_DEP_3) | instskip(NEXT) | instid1(VALU_DEP_1)
	v_lshl_add_u32 v5, v7, 23, 0x3b800000
	v_or3_b32 v1, v3, v5, v1
	s_delay_alu instid0(VALU_DEP_1)
	v_cvt_i32_f32_e32 v1, v1
.LBB23_1661:
	s_or_b32 exec_lo, exec_lo, s10
.LBB23_1662:
	s_mov_b32 s13, -1
.LBB23_1663:
	s_branch .LBB23_1693
.LBB23_1664:
	s_cmp_gt_i32 s0, 22
	s_cbranch_scc0 .LBB23_1672
; %bb.1665:
	s_cmp_lt_i32 s0, 24
	s_cbranch_scc1 .LBB23_1675
; %bb.1666:
	s_cmp_gt_i32 s0, 24
	s_cbranch_scc0 .LBB23_1676
; %bb.1667:
	global_load_u8 v3, v[22:23], off
	s_mov_b32 s10, exec_lo
	s_wait_loadcnt 0x0
	v_cmpx_lt_i16_e32 0x7f, v3
	s_xor_b32 s10, exec_lo, s10
	s_cbranch_execz .LBB23_1687
; %bb.1668:
	v_cmp_ne_u16_e32 vcc_lo, 0x80, v3
	s_and_b32 s12, vcc_lo, exec_lo
	s_and_not1_saveexec_b32 s10, s10
	s_cbranch_execnz .LBB23_1688
.LBB23_1669:
	s_or_b32 exec_lo, exec_lo, s10
	v_mov_b32_e32 v1, 0
	s_and_saveexec_b32 s10, s12
	s_cbranch_execz .LBB23_1671
.LBB23_1670:
	v_and_b32_e32 v1, 0xffff, v3
	s_delay_alu instid0(VALU_DEP_1) | instskip(SKIP_1) | instid1(VALU_DEP_2)
	v_and_b32_e32 v5, 3, v1
	v_bfe_u32 v11, v1, 2, 5
	v_clz_i32_u32_e32 v7, v5
	s_delay_alu instid0(VALU_DEP_2) | instskip(NEXT) | instid1(VALU_DEP_2)
	v_cmp_eq_u32_e32 vcc_lo, 0, v11
	v_min_u32_e32 v7, 32, v7
	s_delay_alu instid0(VALU_DEP_1) | instskip(NEXT) | instid1(VALU_DEP_1)
	v_subrev_nc_u32_e32 v9, 29, v7
	v_dual_lshlrev_b32 v1, v9, v1 :: v_dual_sub_nc_u32 v7, 30, v7
	s_delay_alu instid0(VALU_DEP_1) | instskip(NEXT) | instid1(VALU_DEP_1)
	v_dual_lshlrev_b32 v3, 24, v3 :: v_dual_bitop2_b32 v1, 3, v1 bitop3:0x40
	v_dual_cndmask_b32 v1, v5, v1, vcc_lo :: v_dual_cndmask_b32 v7, v11, v7, vcc_lo
	s_delay_alu instid0(VALU_DEP_2) | instskip(NEXT) | instid1(VALU_DEP_2)
	v_and_b32_e32 v3, 0x80000000, v3
	v_lshlrev_b32_e32 v1, 21, v1
	s_delay_alu instid0(VALU_DEP_3) | instskip(NEXT) | instid1(VALU_DEP_1)
	v_lshl_add_u32 v5, v7, 23, 0x37800000
	v_or3_b32 v1, v3, v5, v1
	s_delay_alu instid0(VALU_DEP_1)
	v_cvt_i32_f32_e32 v1, v1
.LBB23_1671:
	s_or_b32 exec_lo, exec_lo, s10
	s_mov_b32 s10, 0
	s_branch .LBB23_1677
.LBB23_1672:
                                        ; implicit-def: $vgpr1
	s_mov_b32 s12, 0
	s_branch .LBB23_1683
.LBB23_1673:
	s_and_not1_saveexec_b32 s10, s10
	s_cbranch_execz .LBB23_1659
.LBB23_1674:
	v_cmp_ne_u16_e32 vcc_lo, 0, v3
	s_and_not1_b32 s13, s13, exec_lo
	s_and_b32 s14, vcc_lo, exec_lo
	s_delay_alu instid0(SALU_CYCLE_1)
	s_or_b32 s13, s13, s14
	s_or_b32 exec_lo, exec_lo, s10
	v_mov_b32_e32 v1, 0
	s_and_saveexec_b32 s10, s13
	s_cbranch_execnz .LBB23_1660
	s_branch .LBB23_1661
.LBB23_1675:
	s_mov_b32 s10, -1
                                        ; implicit-def: $vgpr1
	s_branch .LBB23_1680
.LBB23_1676:
	s_mov_b32 s10, -1
                                        ; implicit-def: $vgpr1
.LBB23_1677:
	s_delay_alu instid0(SALU_CYCLE_1)
	s_and_b32 vcc_lo, exec_lo, s10
	s_cbranch_vccz .LBB23_1679
; %bb.1678:
	s_wait_loadcnt 0x0
	global_load_u8 v1, v[22:23], off
	s_wait_loadcnt 0x0
	v_lshlrev_b32_e32 v1, 24, v1
	s_delay_alu instid0(VALU_DEP_1) | instskip(NEXT) | instid1(VALU_DEP_1)
	v_and_b32_e32 v3, 0x7f000000, v1
	v_clz_i32_u32_e32 v5, v3
	v_add_nc_u32_e32 v9, 0x1000000, v3
	v_cmp_ne_u32_e32 vcc_lo, 0, v3
	s_delay_alu instid0(VALU_DEP_3) | instskip(NEXT) | instid1(VALU_DEP_1)
	v_min_u32_e32 v5, 32, v5
	v_sub_nc_u32_e64 v5, v5, 4 clamp
	s_delay_alu instid0(VALU_DEP_1) | instskip(NEXT) | instid1(VALU_DEP_1)
	v_dual_lshlrev_b32 v7, v5, v3 :: v_dual_lshlrev_b32 v5, 23, v5
	v_lshrrev_b32_e32 v7, 4, v7
	s_delay_alu instid0(VALU_DEP_1) | instskip(SKIP_1) | instid1(VALU_DEP_2)
	v_sub_nc_u32_e32 v5, v7, v5
	v_ashrrev_i32_e32 v7, 8, v9
	v_add_nc_u32_e32 v5, 0x3c000000, v5
	s_delay_alu instid0(VALU_DEP_1) | instskip(NEXT) | instid1(VALU_DEP_1)
	v_and_or_b32 v5, 0x7f800000, v7, v5
	v_cndmask_b32_e32 v3, 0, v5, vcc_lo
	s_delay_alu instid0(VALU_DEP_1) | instskip(NEXT) | instid1(VALU_DEP_1)
	v_and_or_b32 v1, 0x80000000, v1, v3
	v_cvt_i32_f32_e32 v1, v1
.LBB23_1679:
	s_mov_b32 s10, 0
.LBB23_1680:
	s_delay_alu instid0(SALU_CYCLE_1)
	s_and_not1_b32 vcc_lo, exec_lo, s10
	s_cbranch_vccnz .LBB23_1682
; %bb.1681:
	s_wait_loadcnt 0x0
	global_load_u8 v1, v[22:23], off
	s_wait_loadcnt 0x0
	v_lshlrev_b32_e32 v3, 25, v1
	v_lshlrev_b16 v1, 8, v1
	s_delay_alu instid0(VALU_DEP_1) | instskip(SKIP_1) | instid1(VALU_DEP_2)
	v_and_or_b32 v7, 0x7f00, v1, 0.5
	v_bfe_i32 v1, v1, 0, 16
	v_add_f32_e32 v7, -0.5, v7
	v_lshrrev_b32_e32 v5, 4, v3
	v_cmp_gt_u32_e32 vcc_lo, 0x8000000, v3
	s_delay_alu instid0(VALU_DEP_2) | instskip(NEXT) | instid1(VALU_DEP_1)
	v_or_b32_e32 v5, 0x70000000, v5
	v_mul_f32_e32 v5, 0x7800000, v5
	s_delay_alu instid0(VALU_DEP_1) | instskip(NEXT) | instid1(VALU_DEP_1)
	v_cndmask_b32_e32 v3, v5, v7, vcc_lo
	v_and_or_b32 v1, 0x80000000, v1, v3
	s_delay_alu instid0(VALU_DEP_1)
	v_cvt_i32_f32_e32 v1, v1
.LBB23_1682:
	s_mov_b32 s13, -1
	s_mov_b32 s12, 0
	s_cbranch_execnz .LBB23_1693
.LBB23_1683:
	s_cmp_gt_i32 s0, 14
	s_cbranch_scc0 .LBB23_1686
; %bb.1684:
	s_cmp_eq_u32 s0, 15
	s_cbranch_scc0 .LBB23_1689
; %bb.1685:
	s_wait_loadcnt 0x0
	global_load_u16 v1, v[22:23], off
	s_mov_b32 s1, 0
	s_mov_b32 s13, -1
	s_wait_loadcnt 0x0
	v_lshlrev_b32_e32 v1, 16, v1
	s_delay_alu instid0(VALU_DEP_1)
	v_cvt_i32_f32_e32 v1, v1
	s_branch .LBB23_1690
.LBB23_1686:
	s_mov_b32 s10, -1
                                        ; implicit-def: $vgpr1
	s_branch .LBB23_1691
.LBB23_1687:
	s_and_not1_saveexec_b32 s10, s10
	s_cbranch_execz .LBB23_1669
.LBB23_1688:
	v_cmp_ne_u16_e32 vcc_lo, 0, v3
	s_and_not1_b32 s12, s12, exec_lo
	s_and_b32 s13, vcc_lo, exec_lo
	s_delay_alu instid0(SALU_CYCLE_1)
	s_or_b32 s12, s12, s13
	s_or_b32 exec_lo, exec_lo, s10
	v_mov_b32_e32 v1, 0
	s_and_saveexec_b32 s10, s12
	s_cbranch_execnz .LBB23_1670
	s_branch .LBB23_1671
.LBB23_1689:
	s_mov_b32 s1, -1
                                        ; implicit-def: $vgpr1
.LBB23_1690:
	s_mov_b32 s10, 0
.LBB23_1691:
	s_delay_alu instid0(SALU_CYCLE_1)
	s_and_b32 vcc_lo, exec_lo, s10
	s_cbranch_vccz .LBB23_1693
; %bb.1692:
	s_cmp_lg_u32 s0, 11
	s_mov_b32 s12, -1
	s_cselect_b32 s1, -1, 0
.LBB23_1693:
	s_delay_alu instid0(SALU_CYCLE_1)
	s_and_b32 vcc_lo, exec_lo, s1
	s_mov_b32 s10, s8
	s_cbranch_vccnz .LBB23_1754
; %bb.1694:
	s_and_not1_b32 vcc_lo, exec_lo, s12
	s_cbranch_vccnz .LBB23_1696
.LBB23_1695:
	s_wait_loadcnt 0x0
	global_load_u8 v1, v[22:23], off
	s_mov_b32 s13, -1
	s_wait_loadcnt 0x0
	v_cmp_ne_u16_e32 vcc_lo, 0, v1
	v_cndmask_b32_e64 v1, 0, 1, vcc_lo
.LBB23_1696:
	s_branch .LBB23_1630
.LBB23_1697:
	s_and_b32 s0, 0xffff, s11
	s_delay_alu instid0(SALU_CYCLE_1)
	s_cmp_lt_i32 s0, 5
	s_cbranch_scc1 .LBB23_1702
; %bb.1698:
	s_cmp_lt_i32 s0, 8
	s_cbranch_scc1 .LBB23_1703
; %bb.1699:
	;; [unrolled: 3-line block ×3, first 2 shown]
	s_cmp_gt_i32 s0, 9
	s_cbranch_scc0 .LBB23_1705
; %bb.1701:
	global_load_b64 v[24:25], v[22:23], off
	s_mov_b32 s1, 0
	s_wait_loadcnt 0x0
	v_cvt_i32_f64_e32 v1, v[24:25]
	s_branch .LBB23_1706
.LBB23_1702:
                                        ; implicit-def: $vgpr1
	s_branch .LBB23_1723
.LBB23_1703:
                                        ; implicit-def: $vgpr1
	s_branch .LBB23_1712
.LBB23_1704:
	s_mov_b32 s1, -1
                                        ; implicit-def: $vgpr1
	s_branch .LBB23_1709
.LBB23_1705:
	s_mov_b32 s1, -1
                                        ; implicit-def: $vgpr1
.LBB23_1706:
	s_delay_alu instid0(SALU_CYCLE_1)
	s_and_not1_b32 vcc_lo, exec_lo, s1
	s_cbranch_vccnz .LBB23_1708
; %bb.1707:
	s_wait_loadcnt 0x0
	global_load_b32 v1, v[22:23], off
	s_wait_loadcnt 0x0
	v_cvt_i32_f32_e32 v1, v1
.LBB23_1708:
	s_mov_b32 s1, 0
.LBB23_1709:
	s_delay_alu instid0(SALU_CYCLE_1)
	s_and_not1_b32 vcc_lo, exec_lo, s1
	s_cbranch_vccnz .LBB23_1711
; %bb.1710:
	s_wait_loadcnt 0x0
	global_load_b32 v1, v[22:23], off
	s_wait_loadcnt 0x0
	v_cvt_f32_f16_e32 v1, v1
	s_delay_alu instid0(VALU_DEP_1)
	v_cvt_i32_f32_e32 v1, v1
.LBB23_1711:
	s_cbranch_execnz .LBB23_1722
.LBB23_1712:
	s_cmp_lt_i32 s0, 6
	s_cbranch_scc1 .LBB23_1715
; %bb.1713:
	s_cmp_gt_i32 s0, 6
	s_cbranch_scc0 .LBB23_1716
; %bb.1714:
	global_load_b64 v[24:25], v[22:23], off
	s_mov_b32 s1, 0
	s_wait_loadcnt 0x0
	v_cvt_i32_f64_e32 v1, v[24:25]
	s_branch .LBB23_1717
.LBB23_1715:
	s_mov_b32 s1, -1
                                        ; implicit-def: $vgpr1
	s_branch .LBB23_1720
.LBB23_1716:
	s_mov_b32 s1, -1
                                        ; implicit-def: $vgpr1
.LBB23_1717:
	s_delay_alu instid0(SALU_CYCLE_1)
	s_and_not1_b32 vcc_lo, exec_lo, s1
	s_cbranch_vccnz .LBB23_1719
; %bb.1718:
	s_wait_loadcnt 0x0
	global_load_b32 v1, v[22:23], off
	s_wait_loadcnt 0x0
	v_cvt_i32_f32_e32 v1, v1
.LBB23_1719:
	s_mov_b32 s1, 0
.LBB23_1720:
	s_delay_alu instid0(SALU_CYCLE_1)
	s_and_not1_b32 vcc_lo, exec_lo, s1
	s_cbranch_vccnz .LBB23_1722
; %bb.1721:
	s_wait_loadcnt 0x0
	global_load_u16 v1, v[22:23], off
	s_wait_loadcnt 0x0
	v_cvt_f32_f16_e32 v1, v1
	s_delay_alu instid0(VALU_DEP_1)
	v_cvt_i32_f32_e32 v1, v1
.LBB23_1722:
	s_cbranch_execnz .LBB23_1741
.LBB23_1723:
	s_cmp_lt_i32 s0, 2
	s_cbranch_scc1 .LBB23_1727
; %bb.1724:
	s_cmp_lt_i32 s0, 3
	s_cbranch_scc1 .LBB23_1728
; %bb.1725:
	s_cmp_gt_i32 s0, 3
	s_cbranch_scc0 .LBB23_1729
; %bb.1726:
	s_wait_loadcnt 0x0
	global_load_b32 v1, v[22:23], off
	s_mov_b32 s1, 0
	s_branch .LBB23_1730
.LBB23_1727:
                                        ; implicit-def: $vgpr1
	s_branch .LBB23_1736
.LBB23_1728:
	s_mov_b32 s1, -1
                                        ; implicit-def: $vgpr1
	s_branch .LBB23_1733
.LBB23_1729:
	s_mov_b32 s1, -1
                                        ; implicit-def: $vgpr1
.LBB23_1730:
	s_delay_alu instid0(SALU_CYCLE_1)
	s_and_not1_b32 vcc_lo, exec_lo, s1
	s_cbranch_vccnz .LBB23_1732
; %bb.1731:
	s_wait_loadcnt 0x0
	global_load_b32 v1, v[22:23], off
.LBB23_1732:
	s_mov_b32 s1, 0
.LBB23_1733:
	s_delay_alu instid0(SALU_CYCLE_1)
	s_and_not1_b32 vcc_lo, exec_lo, s1
	s_cbranch_vccnz .LBB23_1735
; %bb.1734:
	s_wait_loadcnt 0x0
	global_load_i16 v1, v[22:23], off
.LBB23_1735:
	s_cbranch_execnz .LBB23_1741
.LBB23_1736:
	s_cmp_gt_i32 s0, 0
	s_mov_b32 s0, 0
	s_cbranch_scc0 .LBB23_1738
; %bb.1737:
	s_wait_loadcnt 0x0
	global_load_i8 v1, v[22:23], off
	s_branch .LBB23_1739
.LBB23_1738:
	s_mov_b32 s0, -1
                                        ; implicit-def: $vgpr1
.LBB23_1739:
	s_delay_alu instid0(SALU_CYCLE_1)
	s_and_not1_b32 vcc_lo, exec_lo, s0
	s_cbranch_vccnz .LBB23_1741
; %bb.1740:
	s_wait_loadcnt 0x0
	global_load_u8 v1, v[22:23], off
.LBB23_1741:
.LBB23_1742:
	v_mov_b32_e32 v11, 0
	s_load_b64 s[0:1], s[2:3], 0x198
	global_load_u8 v3, v11, s[2:3] offset:419
	s_wait_kmcnt 0x0
	v_add_nc_u64_e32 v[10:11], s[0:1], v[10:11]
	s_wait_loadcnt 0x0
	v_and_b32_e32 v5, 0xffff, v3
	v_readfirstlane_b32 s12, v3
	s_delay_alu instid0(VALU_DEP_2)
	v_cmp_gt_i32_e32 vcc_lo, 11, v5
	s_cbranch_vccnz .LBB23_1749
; %bb.1743:
	s_and_b32 s13, 0xffff, s12
	s_mov_b32 s15, 0
	s_cmp_gt_i32 s13, 25
	s_cbranch_scc0 .LBB23_1751
; %bb.1744:
	s_cmp_gt_i32 s13, 28
	s_cbranch_scc0 .LBB23_1752
; %bb.1745:
	;; [unrolled: 3-line block ×4, first 2 shown]
	s_cmp_eq_u32 s13, 46
	s_mov_b32 s17, 0
	s_cbranch_scc0 .LBB23_1758
; %bb.1748:
	global_load_b32 v3, v[10:11], off
	s_mov_b32 s14, 0
	s_mov_b32 s16, -1
	s_wait_loadcnt 0x0
	v_lshlrev_b32_e32 v3, 16, v3
	s_delay_alu instid0(VALU_DEP_1)
	v_cvt_i32_f32_e32 v3, v3
	s_branch .LBB23_1760
.LBB23_1749:
	s_mov_b32 s16, 0
                                        ; implicit-def: $vgpr3
	s_cbranch_execnz .LBB23_1821
.LBB23_1750:
	s_and_not1_b32 vcc_lo, exec_lo, s16
	s_cbranch_vccnz .LBB23_2725
	s_branch .LBB23_1868
.LBB23_1751:
	s_mov_b32 s16, 0
	s_mov_b32 s14, 0
                                        ; implicit-def: $vgpr3
	s_cbranch_execnz .LBB23_1787
	s_branch .LBB23_1817
.LBB23_1752:
	s_mov_b32 s17, -1
	s_mov_b32 s16, 0
	s_mov_b32 s14, 0
                                        ; implicit-def: $vgpr3
	s_branch .LBB23_1770
.LBB23_1753:
	s_mov_b32 s17, -1
	s_mov_b32 s16, 0
	s_mov_b32 s14, 0
                                        ; implicit-def: $vgpr3
	s_branch .LBB23_1765
.LBB23_1754:
	s_or_b32 s10, s8, exec_lo
	s_trap 2
	s_cbranch_execz .LBB23_1695
	s_branch .LBB23_1696
.LBB23_1755:
	s_mov_b32 s17, -1
	s_mov_b32 s16, 0
	s_mov_b32 s14, 0
	s_branch .LBB23_1759
.LBB23_1756:
	s_and_not1_saveexec_b32 s10, s10
	s_cbranch_execz .LBB23_1502
.LBB23_1757:
	v_add_f32_e32 v1, 0x42800000, v2
	s_and_not1_b32 s9, s9, exec_lo
	s_delay_alu instid0(VALU_DEP_1) | instskip(NEXT) | instid1(VALU_DEP_1)
	v_and_b32_e32 v1, 0xff, v1
	v_cmp_ne_u32_e32 vcc_lo, 0, v1
	s_and_b32 s11, vcc_lo, exec_lo
	s_delay_alu instid0(SALU_CYCLE_1)
	s_or_b32 s9, s9, s11
	s_or_b32 exec_lo, exec_lo, s10
	v_mov_b32_e32 v3, 0
	s_and_saveexec_b32 s10, s9
	s_cbranch_execnz .LBB23_1503
	s_branch .LBB23_1504
.LBB23_1758:
	s_mov_b32 s14, -1
	s_mov_b32 s16, 0
.LBB23_1759:
                                        ; implicit-def: $vgpr3
.LBB23_1760:
	s_and_b32 vcc_lo, exec_lo, s17
	s_cbranch_vccz .LBB23_1764
; %bb.1761:
	s_cmp_eq_u32 s13, 44
	s_cbranch_scc0 .LBB23_1763
; %bb.1762:
	global_load_u8 v3, v[10:11], off
	s_mov_b32 s14, 0
	s_mov_b32 s16, -1
	s_wait_loadcnt 0x0
	v_lshlrev_b32_e32 v5, 23, v3
	v_cmp_ne_u32_e32 vcc_lo, 0, v3
	s_delay_alu instid0(VALU_DEP_2) | instskip(NEXT) | instid1(VALU_DEP_1)
	v_cvt_i32_f32_e32 v5, v5
	v_cndmask_b32_e32 v3, 0, v5, vcc_lo
	s_branch .LBB23_1764
.LBB23_1763:
	s_mov_b32 s14, -1
                                        ; implicit-def: $vgpr3
.LBB23_1764:
	s_mov_b32 s17, 0
.LBB23_1765:
	s_delay_alu instid0(SALU_CYCLE_1)
	s_and_b32 vcc_lo, exec_lo, s17
	s_cbranch_vccz .LBB23_1769
; %bb.1766:
	s_cmp_eq_u32 s13, 29
	s_cbranch_scc0 .LBB23_1768
; %bb.1767:
	global_load_b32 v3, v[10:11], off
	s_mov_b32 s14, 0
	s_mov_b32 s16, -1
	s_branch .LBB23_1769
.LBB23_1768:
	s_mov_b32 s14, -1
                                        ; implicit-def: $vgpr3
.LBB23_1769:
	s_mov_b32 s17, 0
.LBB23_1770:
	s_delay_alu instid0(SALU_CYCLE_1)
	s_and_b32 vcc_lo, exec_lo, s17
	s_cbranch_vccz .LBB23_1786
; %bb.1771:
	s_cmp_lt_i32 s13, 27
	s_cbranch_scc1 .LBB23_1774
; %bb.1772:
	s_cmp_gt_i32 s13, 27
	s_cbranch_scc0 .LBB23_1775
; %bb.1773:
	s_wait_loadcnt 0x0
	global_load_b32 v3, v[10:11], off
	s_mov_b32 s16, 0
	s_branch .LBB23_1776
.LBB23_1774:
	s_mov_b32 s16, -1
                                        ; implicit-def: $vgpr3
	s_branch .LBB23_1779
.LBB23_1775:
	s_mov_b32 s16, -1
                                        ; implicit-def: $vgpr3
.LBB23_1776:
	s_delay_alu instid0(SALU_CYCLE_1)
	s_and_not1_b32 vcc_lo, exec_lo, s16
	s_cbranch_vccnz .LBB23_1778
; %bb.1777:
	s_wait_loadcnt 0x0
	global_load_u16 v3, v[10:11], off
.LBB23_1778:
	s_mov_b32 s16, 0
.LBB23_1779:
	s_delay_alu instid0(SALU_CYCLE_1)
	s_and_not1_b32 vcc_lo, exec_lo, s16
	s_cbranch_vccnz .LBB23_1785
; %bb.1780:
	global_load_u8 v5, v[10:11], off
	s_mov_b32 s17, 0
	s_mov_b32 s16, exec_lo
	s_wait_loadcnt 0x0
	v_cmpx_lt_i16_e32 0x7f, v5
	s_xor_b32 s16, exec_lo, s16
	s_cbranch_execz .LBB23_1796
; %bb.1781:
	v_cmp_ne_u16_e32 vcc_lo, 0x80, v5
	s_and_b32 s17, vcc_lo, exec_lo
	s_and_not1_saveexec_b32 s16, s16
	s_cbranch_execnz .LBB23_1797
.LBB23_1782:
	s_or_b32 exec_lo, exec_lo, s16
	v_mov_b32_e32 v3, 0
	s_and_saveexec_b32 s16, s17
	s_cbranch_execz .LBB23_1784
.LBB23_1783:
	v_and_b32_e32 v3, 0xffff, v5
	s_delay_alu instid0(VALU_DEP_1) | instskip(SKIP_1) | instid1(VALU_DEP_2)
	v_and_b32_e32 v7, 7, v3
	v_bfe_u32 v15, v3, 3, 4
	v_clz_i32_u32_e32 v9, v7
	s_delay_alu instid0(VALU_DEP_2) | instskip(NEXT) | instid1(VALU_DEP_2)
	v_cmp_eq_u32_e32 vcc_lo, 0, v15
	v_min_u32_e32 v9, 32, v9
	s_delay_alu instid0(VALU_DEP_1) | instskip(NEXT) | instid1(VALU_DEP_1)
	v_subrev_nc_u32_e32 v13, 28, v9
	v_dual_lshlrev_b32 v3, v13, v3 :: v_dual_sub_nc_u32 v9, 29, v9
	s_delay_alu instid0(VALU_DEP_1) | instskip(NEXT) | instid1(VALU_DEP_1)
	v_dual_lshlrev_b32 v5, 24, v5 :: v_dual_bitop2_b32 v3, 7, v3 bitop3:0x40
	v_cndmask_b32_e32 v3, v7, v3, vcc_lo
	s_delay_alu instid0(VALU_DEP_3) | instskip(NEXT) | instid1(VALU_DEP_3)
	v_cndmask_b32_e32 v9, v15, v9, vcc_lo
	v_and_b32_e32 v5, 0x80000000, v5
	s_delay_alu instid0(VALU_DEP_3) | instskip(NEXT) | instid1(VALU_DEP_3)
	v_lshlrev_b32_e32 v3, 20, v3
	v_lshl_add_u32 v7, v9, 23, 0x3b800000
	s_delay_alu instid0(VALU_DEP_1) | instskip(NEXT) | instid1(VALU_DEP_1)
	v_or3_b32 v3, v5, v7, v3
	v_cvt_i32_f32_e32 v3, v3
.LBB23_1784:
	s_or_b32 exec_lo, exec_lo, s16
.LBB23_1785:
	s_mov_b32 s16, -1
.LBB23_1786:
	s_branch .LBB23_1817
.LBB23_1787:
	s_cmp_gt_i32 s13, 22
	s_cbranch_scc0 .LBB23_1795
; %bb.1788:
	s_cmp_lt_i32 s13, 24
	s_cbranch_scc1 .LBB23_1798
; %bb.1789:
	s_cmp_gt_i32 s13, 24
	s_cbranch_scc0 .LBB23_1799
; %bb.1790:
	global_load_u8 v5, v[10:11], off
	s_mov_b32 s16, 0
	s_mov_b32 s15, exec_lo
	s_wait_loadcnt 0x0
	v_cmpx_lt_i16_e32 0x7f, v5
	s_xor_b32 s15, exec_lo, s15
	s_cbranch_execz .LBB23_1811
; %bb.1791:
	v_cmp_ne_u16_e32 vcc_lo, 0x80, v5
	s_and_b32 s16, vcc_lo, exec_lo
	s_and_not1_saveexec_b32 s15, s15
	s_cbranch_execnz .LBB23_1812
.LBB23_1792:
	s_or_b32 exec_lo, exec_lo, s15
	v_mov_b32_e32 v3, 0
	s_and_saveexec_b32 s15, s16
	s_cbranch_execz .LBB23_1794
.LBB23_1793:
	v_and_b32_e32 v3, 0xffff, v5
	s_delay_alu instid0(VALU_DEP_1) | instskip(SKIP_1) | instid1(VALU_DEP_2)
	v_and_b32_e32 v7, 3, v3
	v_bfe_u32 v15, v3, 2, 5
	v_clz_i32_u32_e32 v9, v7
	s_delay_alu instid0(VALU_DEP_2) | instskip(NEXT) | instid1(VALU_DEP_2)
	v_cmp_eq_u32_e32 vcc_lo, 0, v15
	v_min_u32_e32 v9, 32, v9
	s_delay_alu instid0(VALU_DEP_1) | instskip(NEXT) | instid1(VALU_DEP_1)
	v_subrev_nc_u32_e32 v13, 29, v9
	v_dual_lshlrev_b32 v3, v13, v3 :: v_dual_sub_nc_u32 v9, 30, v9
	s_delay_alu instid0(VALU_DEP_1) | instskip(NEXT) | instid1(VALU_DEP_1)
	v_dual_lshlrev_b32 v5, 24, v5 :: v_dual_bitop2_b32 v3, 3, v3 bitop3:0x40
	v_cndmask_b32_e32 v3, v7, v3, vcc_lo
	s_delay_alu instid0(VALU_DEP_3) | instskip(NEXT) | instid1(VALU_DEP_3)
	v_cndmask_b32_e32 v9, v15, v9, vcc_lo
	v_and_b32_e32 v5, 0x80000000, v5
	s_delay_alu instid0(VALU_DEP_3) | instskip(NEXT) | instid1(VALU_DEP_3)
	v_lshlrev_b32_e32 v3, 21, v3
	v_lshl_add_u32 v7, v9, 23, 0x37800000
	s_delay_alu instid0(VALU_DEP_1) | instskip(NEXT) | instid1(VALU_DEP_1)
	v_or3_b32 v3, v5, v7, v3
	v_cvt_i32_f32_e32 v3, v3
.LBB23_1794:
	s_or_b32 exec_lo, exec_lo, s15
	s_mov_b32 s15, 0
	s_branch .LBB23_1800
.LBB23_1795:
	s_mov_b32 s15, -1
                                        ; implicit-def: $vgpr3
	s_branch .LBB23_1806
.LBB23_1796:
	s_and_not1_saveexec_b32 s16, s16
	s_cbranch_execz .LBB23_1782
.LBB23_1797:
	v_cmp_ne_u16_e32 vcc_lo, 0, v5
	s_and_not1_b32 s17, s17, exec_lo
	s_and_b32 s18, vcc_lo, exec_lo
	s_delay_alu instid0(SALU_CYCLE_1)
	s_or_b32 s17, s17, s18
	s_or_b32 exec_lo, exec_lo, s16
	v_mov_b32_e32 v3, 0
	s_and_saveexec_b32 s16, s17
	s_cbranch_execnz .LBB23_1783
	s_branch .LBB23_1784
.LBB23_1798:
	s_mov_b32 s15, -1
                                        ; implicit-def: $vgpr3
	s_branch .LBB23_1803
.LBB23_1799:
	s_mov_b32 s15, -1
                                        ; implicit-def: $vgpr3
.LBB23_1800:
	s_delay_alu instid0(SALU_CYCLE_1)
	s_and_b32 vcc_lo, exec_lo, s15
	s_cbranch_vccz .LBB23_1802
; %bb.1801:
	s_wait_loadcnt 0x0
	global_load_u8 v3, v[10:11], off
	s_wait_loadcnt 0x0
	v_lshlrev_b32_e32 v3, 24, v3
	s_delay_alu instid0(VALU_DEP_1) | instskip(NEXT) | instid1(VALU_DEP_1)
	v_and_b32_e32 v5, 0x7f000000, v3
	v_clz_i32_u32_e32 v7, v5
	v_add_nc_u32_e32 v13, 0x1000000, v5
	v_cmp_ne_u32_e32 vcc_lo, 0, v5
	s_delay_alu instid0(VALU_DEP_3) | instskip(NEXT) | instid1(VALU_DEP_1)
	v_min_u32_e32 v7, 32, v7
	v_sub_nc_u32_e64 v7, v7, 4 clamp
	s_delay_alu instid0(VALU_DEP_1) | instskip(NEXT) | instid1(VALU_DEP_1)
	v_dual_lshlrev_b32 v9, v7, v5 :: v_dual_lshlrev_b32 v7, 23, v7
	v_lshrrev_b32_e32 v9, 4, v9
	s_delay_alu instid0(VALU_DEP_1) | instskip(NEXT) | instid1(VALU_DEP_1)
	v_dual_sub_nc_u32 v7, v9, v7 :: v_dual_ashrrev_i32 v9, 8, v13
	v_add_nc_u32_e32 v7, 0x3c000000, v7
	s_delay_alu instid0(VALU_DEP_1) | instskip(NEXT) | instid1(VALU_DEP_1)
	v_and_or_b32 v7, 0x7f800000, v9, v7
	v_cndmask_b32_e32 v5, 0, v7, vcc_lo
	s_delay_alu instid0(VALU_DEP_1) | instskip(NEXT) | instid1(VALU_DEP_1)
	v_and_or_b32 v3, 0x80000000, v3, v5
	v_cvt_i32_f32_e32 v3, v3
.LBB23_1802:
	s_mov_b32 s15, 0
.LBB23_1803:
	s_delay_alu instid0(SALU_CYCLE_1)
	s_and_not1_b32 vcc_lo, exec_lo, s15
	s_cbranch_vccnz .LBB23_1805
; %bb.1804:
	s_wait_loadcnt 0x0
	global_load_u8 v3, v[10:11], off
	s_wait_loadcnt 0x0
	v_lshlrev_b32_e32 v5, 25, v3
	v_lshlrev_b16 v3, 8, v3
	s_delay_alu instid0(VALU_DEP_1) | instskip(SKIP_1) | instid1(VALU_DEP_2)
	v_and_or_b32 v9, 0x7f00, v3, 0.5
	v_bfe_i32 v3, v3, 0, 16
	v_add_f32_e32 v9, -0.5, v9
	v_lshrrev_b32_e32 v7, 4, v5
	v_cmp_gt_u32_e32 vcc_lo, 0x8000000, v5
	s_delay_alu instid0(VALU_DEP_2) | instskip(NEXT) | instid1(VALU_DEP_1)
	v_or_b32_e32 v7, 0x70000000, v7
	v_mul_f32_e32 v7, 0x7800000, v7
	s_delay_alu instid0(VALU_DEP_1) | instskip(NEXT) | instid1(VALU_DEP_1)
	v_cndmask_b32_e32 v5, v7, v9, vcc_lo
	v_and_or_b32 v3, 0x80000000, v3, v5
	s_delay_alu instid0(VALU_DEP_1)
	v_cvt_i32_f32_e32 v3, v3
.LBB23_1805:
	s_mov_b32 s15, 0
	s_mov_b32 s16, -1
.LBB23_1806:
	s_and_not1_b32 vcc_lo, exec_lo, s15
	s_mov_b32 s15, 0
	s_cbranch_vccnz .LBB23_1817
; %bb.1807:
	s_cmp_gt_i32 s13, 14
	s_cbranch_scc0 .LBB23_1810
; %bb.1808:
	s_cmp_eq_u32 s13, 15
	s_cbranch_scc0 .LBB23_1813
; %bb.1809:
	s_wait_loadcnt 0x0
	global_load_u16 v3, v[10:11], off
	s_mov_b32 s14, 0
	s_mov_b32 s16, -1
	s_wait_loadcnt 0x0
	v_lshlrev_b32_e32 v3, 16, v3
	s_delay_alu instid0(VALU_DEP_1)
	v_cvt_i32_f32_e32 v3, v3
	s_branch .LBB23_1815
.LBB23_1810:
	s_mov_b32 s15, -1
	s_branch .LBB23_1814
.LBB23_1811:
	s_and_not1_saveexec_b32 s15, s15
	s_cbranch_execz .LBB23_1792
.LBB23_1812:
	v_cmp_ne_u16_e32 vcc_lo, 0, v5
	s_and_not1_b32 s16, s16, exec_lo
	s_and_b32 s17, vcc_lo, exec_lo
	s_delay_alu instid0(SALU_CYCLE_1)
	s_or_b32 s16, s16, s17
	s_or_b32 exec_lo, exec_lo, s15
	v_mov_b32_e32 v3, 0
	s_and_saveexec_b32 s15, s16
	s_cbranch_execnz .LBB23_1793
	s_branch .LBB23_1794
.LBB23_1813:
	s_mov_b32 s14, -1
.LBB23_1814:
                                        ; implicit-def: $vgpr3
.LBB23_1815:
	s_and_b32 vcc_lo, exec_lo, s15
	s_mov_b32 s15, 0
	s_cbranch_vccz .LBB23_1817
; %bb.1816:
	s_cmp_lg_u32 s13, 11
	s_mov_b32 s15, -1
	s_cselect_b32 s14, -1, 0
.LBB23_1817:
	s_delay_alu instid0(SALU_CYCLE_1)
	s_and_b32 vcc_lo, exec_lo, s14
	s_cbranch_vccnz .LBB23_1884
; %bb.1818:
	s_and_not1_b32 vcc_lo, exec_lo, s15
	s_cbranch_vccnz .LBB23_1820
.LBB23_1819:
	s_wait_loadcnt 0x0
	global_load_u8 v3, v[10:11], off
	s_mov_b32 s16, -1
	s_wait_loadcnt 0x0
	v_cmp_ne_u16_e32 vcc_lo, 0, v3
	v_cndmask_b32_e64 v3, 0, 1, vcc_lo
.LBB23_1820:
	s_branch .LBB23_1750
.LBB23_1821:
	s_and_b32 s13, 0xffff, s12
	s_delay_alu instid0(SALU_CYCLE_1)
	s_cmp_lt_i32 s13, 5
	s_cbranch_scc1 .LBB23_1826
; %bb.1822:
	s_cmp_lt_i32 s13, 8
	s_cbranch_scc1 .LBB23_1827
; %bb.1823:
	s_cmp_lt_i32 s13, 9
	s_cbranch_scc1 .LBB23_1828
; %bb.1824:
	s_cmp_gt_i32 s13, 9
	s_cbranch_scc0 .LBB23_1829
; %bb.1825:
	global_load_b64 v[22:23], v[10:11], off
	s_mov_b32 s14, 0
	s_wait_loadcnt 0x0
	v_cvt_i32_f64_e32 v3, v[22:23]
	s_branch .LBB23_1830
.LBB23_1826:
                                        ; implicit-def: $vgpr3
	s_branch .LBB23_1848
.LBB23_1827:
	s_mov_b32 s14, -1
                                        ; implicit-def: $vgpr3
	s_branch .LBB23_1836
.LBB23_1828:
	s_mov_b32 s14, -1
                                        ; implicit-def: $vgpr3
	s_branch .LBB23_1833
.LBB23_1829:
	s_mov_b32 s14, -1
                                        ; implicit-def: $vgpr3
.LBB23_1830:
	s_delay_alu instid0(SALU_CYCLE_1)
	s_and_not1_b32 vcc_lo, exec_lo, s14
	s_cbranch_vccnz .LBB23_1832
; %bb.1831:
	s_wait_loadcnt 0x0
	global_load_b32 v3, v[10:11], off
	s_wait_loadcnt 0x0
	v_cvt_i32_f32_e32 v3, v3
.LBB23_1832:
	s_mov_b32 s14, 0
.LBB23_1833:
	s_delay_alu instid0(SALU_CYCLE_1)
	s_and_not1_b32 vcc_lo, exec_lo, s14
	s_cbranch_vccnz .LBB23_1835
; %bb.1834:
	s_wait_loadcnt 0x0
	global_load_b32 v3, v[10:11], off
	s_wait_loadcnt 0x0
	v_cvt_f32_f16_e32 v3, v3
	s_delay_alu instid0(VALU_DEP_1)
	v_cvt_i32_f32_e32 v3, v3
.LBB23_1835:
	s_mov_b32 s14, 0
.LBB23_1836:
	s_delay_alu instid0(SALU_CYCLE_1)
	s_and_not1_b32 vcc_lo, exec_lo, s14
	s_cbranch_vccnz .LBB23_1847
; %bb.1837:
	s_cmp_lt_i32 s13, 6
	s_cbranch_scc1 .LBB23_1840
; %bb.1838:
	s_cmp_gt_i32 s13, 6
	s_cbranch_scc0 .LBB23_1841
; %bb.1839:
	global_load_b64 v[22:23], v[10:11], off
	s_mov_b32 s14, 0
	s_wait_loadcnt 0x0
	v_cvt_i32_f64_e32 v3, v[22:23]
	s_branch .LBB23_1842
.LBB23_1840:
	s_mov_b32 s14, -1
                                        ; implicit-def: $vgpr3
	s_branch .LBB23_1845
.LBB23_1841:
	s_mov_b32 s14, -1
                                        ; implicit-def: $vgpr3
.LBB23_1842:
	s_delay_alu instid0(SALU_CYCLE_1)
	s_and_not1_b32 vcc_lo, exec_lo, s14
	s_cbranch_vccnz .LBB23_1844
; %bb.1843:
	s_wait_loadcnt 0x0
	global_load_b32 v3, v[10:11], off
	s_wait_loadcnt 0x0
	v_cvt_i32_f32_e32 v3, v3
.LBB23_1844:
	s_mov_b32 s14, 0
.LBB23_1845:
	s_delay_alu instid0(SALU_CYCLE_1)
	s_and_not1_b32 vcc_lo, exec_lo, s14
	s_cbranch_vccnz .LBB23_1847
; %bb.1846:
	s_wait_loadcnt 0x0
	global_load_u16 v3, v[10:11], off
	s_wait_loadcnt 0x0
	v_cvt_f32_f16_e32 v3, v3
	s_delay_alu instid0(VALU_DEP_1)
	v_cvt_i32_f32_e32 v3, v3
.LBB23_1847:
	s_cbranch_execnz .LBB23_1867
.LBB23_1848:
	s_cmp_lt_i32 s13, 2
	s_cbranch_scc1 .LBB23_1852
; %bb.1849:
	s_cmp_lt_i32 s13, 3
	s_cbranch_scc1 .LBB23_1853
; %bb.1850:
	s_cmp_gt_i32 s13, 3
	s_cbranch_scc0 .LBB23_1854
; %bb.1851:
	s_wait_loadcnt 0x0
	global_load_b32 v3, v[10:11], off
	s_mov_b32 s14, 0
	s_branch .LBB23_1855
.LBB23_1852:
	s_mov_b32 s14, -1
                                        ; implicit-def: $vgpr3
	s_branch .LBB23_1861
.LBB23_1853:
	s_mov_b32 s14, -1
                                        ; implicit-def: $vgpr3
	s_branch .LBB23_1858
.LBB23_1854:
	s_mov_b32 s14, -1
                                        ; implicit-def: $vgpr3
.LBB23_1855:
	s_delay_alu instid0(SALU_CYCLE_1)
	s_and_not1_b32 vcc_lo, exec_lo, s14
	s_cbranch_vccnz .LBB23_1857
; %bb.1856:
	s_wait_loadcnt 0x0
	global_load_b32 v3, v[10:11], off
.LBB23_1857:
	s_mov_b32 s14, 0
.LBB23_1858:
	s_delay_alu instid0(SALU_CYCLE_1)
	s_and_not1_b32 vcc_lo, exec_lo, s14
	s_cbranch_vccnz .LBB23_1860
; %bb.1859:
	s_wait_loadcnt 0x0
	global_load_i16 v3, v[10:11], off
.LBB23_1860:
	s_mov_b32 s14, 0
.LBB23_1861:
	s_delay_alu instid0(SALU_CYCLE_1)
	s_and_not1_b32 vcc_lo, exec_lo, s14
	s_cbranch_vccnz .LBB23_1867
; %bb.1862:
	s_cmp_gt_i32 s13, 0
	s_mov_b32 s13, 0
	s_cbranch_scc0 .LBB23_1864
; %bb.1863:
	s_wait_loadcnt 0x0
	global_load_i8 v3, v[10:11], off
	s_branch .LBB23_1865
.LBB23_1864:
	s_mov_b32 s13, -1
                                        ; implicit-def: $vgpr3
.LBB23_1865:
	s_delay_alu instid0(SALU_CYCLE_1)
	s_and_not1_b32 vcc_lo, exec_lo, s13
	s_cbranch_vccnz .LBB23_1867
; %bb.1866:
	s_wait_loadcnt 0x0
	global_load_u8 v3, v[10:11], off
.LBB23_1867:
.LBB23_1868:
	s_wait_loadcnt 0x0
	s_delay_alu instid0(VALU_DEP_1) | instskip(SKIP_3) | instid1(VALU_DEP_1)
	v_sub_nc_u32_e32 v5, 0, v3
	s_mov_b32 s14, 0
	s_mov_b32 s13, exec_lo
	s_wait_xcnt 0x0
	v_max_i32_e32 v10, v3, v5
	v_cmpx_ne_u32_e32 0, v1
	s_cbranch_execz .LBB23_1872
; %bb.1869:
	v_sub_nc_u32_e32 v3, 0, v1
	s_delay_alu instid0(VALU_DEP_1)
	v_max_i32_e32 v3, v1, v3
.LBB23_1870:                            ; =>This Inner Loop Header: Depth=1
	s_delay_alu instid0(VALU_DEP_1) | instskip(NEXT) | instid1(VALU_DEP_1)
	v_mov_b32_e32 v1, v3
	v_cvt_f32_u32_e32 v3, v1
	v_sub_nc_u32_e32 v5, 0, v1
	s_delay_alu instid0(VALU_DEP_2) | instskip(SKIP_1) | instid1(TRANS32_DEP_1)
	v_rcp_iflag_f32_e32 v3, v3
	v_nop
	v_mul_f32_e32 v3, 0x4f7ffffe, v3
	s_delay_alu instid0(VALU_DEP_1) | instskip(NEXT) | instid1(VALU_DEP_1)
	v_cvt_u32_f32_e32 v3, v3
	v_mul_lo_u32 v5, v5, v3
	s_delay_alu instid0(VALU_DEP_1) | instskip(NEXT) | instid1(VALU_DEP_1)
	v_mul_hi_u32 v5, v3, v5
	v_add_nc_u32_e32 v3, v3, v5
	s_delay_alu instid0(VALU_DEP_1) | instskip(NEXT) | instid1(VALU_DEP_1)
	v_mul_hi_u32 v3, v10, v3
	v_mul_lo_u32 v3, v3, v1
	s_delay_alu instid0(VALU_DEP_1) | instskip(NEXT) | instid1(VALU_DEP_1)
	v_dual_mov_b32 v10, v1 :: v_dual_sub_nc_u32 v3, v10, v3
	v_sub_nc_u32_e32 v5, v3, v1
	v_cmp_ge_u32_e32 vcc_lo, v3, v1
	s_delay_alu instid0(VALU_DEP_2) | instskip(NEXT) | instid1(VALU_DEP_1)
	v_cndmask_b32_e32 v3, v3, v5, vcc_lo
	v_sub_nc_u32_e32 v5, v3, v1
	v_cmp_ge_u32_e32 vcc_lo, v3, v1
	s_delay_alu instid0(VALU_DEP_2) | instskip(NEXT) | instid1(VALU_DEP_1)
	v_cndmask_b32_e32 v3, v3, v5, vcc_lo
	v_cmp_eq_u32_e32 vcc_lo, 0, v3
	s_or_b32 s14, vcc_lo, s14
	s_delay_alu instid0(SALU_CYCLE_1)
	s_and_not1_b32 exec_lo, exec_lo, s14
	s_cbranch_execnz .LBB23_1870
; %bb.1871:
	s_or_b32 exec_lo, exec_lo, s14
	v_mov_b32_e32 v10, v1
.LBB23_1872:
	s_or_b32 exec_lo, exec_lo, s13
	v_mov_b32_e32 v21, 0
	s_and_b32 s11, 0xffff, s11
	s_delay_alu instid0(SALU_CYCLE_1) | instskip(NEXT) | instid1(VALU_DEP_1)
	s_cmp_lt_i32 s11, 11
	v_add_nc_u64_e32 v[20:21], s[6:7], v[20:21]
	s_cbranch_scc1 .LBB23_1879
; %bb.1873:
	s_cmp_gt_i32 s11, 25
	s_mov_b32 s14, 0
	s_cbranch_scc0 .LBB23_1881
; %bb.1874:
	s_cmp_gt_i32 s11, 28
	s_cbranch_scc0 .LBB23_1882
; %bb.1875:
	s_cmp_gt_i32 s11, 43
	;; [unrolled: 3-line block ×3, first 2 shown]
	s_cbranch_scc0 .LBB23_1885
; %bb.1877:
	s_cmp_eq_u32 s11, 46
	s_mov_b32 s16, 0
	s_cbranch_scc0 .LBB23_1886
; %bb.1878:
	global_load_b32 v1, v[20:21], off
	s_mov_b32 s13, 0
	s_mov_b32 s15, -1
	s_wait_loadcnt 0x0
	v_lshlrev_b32_e32 v1, 16, v1
	s_delay_alu instid0(VALU_DEP_1)
	v_cvt_i32_f32_e32 v1, v1
	s_branch .LBB23_1888
.LBB23_1879:
	s_mov_b32 s15, 0
                                        ; implicit-def: $vgpr1
	s_cbranch_execnz .LBB23_1950
.LBB23_1880:
	s_and_not1_b32 vcc_lo, exec_lo, s15
	s_cbranch_vccnz .LBB23_2725
	s_branch .LBB23_1998
.LBB23_1881:
	s_mov_b32 s16, -1
	s_mov_b32 s15, 0
	s_mov_b32 s13, 0
                                        ; implicit-def: $vgpr1
	s_branch .LBB23_1915
.LBB23_1882:
	s_mov_b32 s16, -1
	s_mov_b32 s15, 0
	s_mov_b32 s13, 0
                                        ; implicit-def: $vgpr1
	s_branch .LBB23_1898
.LBB23_1883:
	s_mov_b32 s16, -1
	s_mov_b32 s15, 0
	s_mov_b32 s13, 0
                                        ; implicit-def: $vgpr1
	s_branch .LBB23_1893
.LBB23_1884:
	s_or_b32 s10, s10, exec_lo
	s_trap 2
	s_cbranch_execz .LBB23_1819
	s_branch .LBB23_1820
.LBB23_1885:
	s_mov_b32 s16, -1
	s_mov_b32 s15, 0
	s_mov_b32 s13, 0
	s_branch .LBB23_1887
.LBB23_1886:
	s_mov_b32 s13, -1
	s_mov_b32 s15, 0
.LBB23_1887:
                                        ; implicit-def: $vgpr1
.LBB23_1888:
	s_and_b32 vcc_lo, exec_lo, s16
	s_cbranch_vccz .LBB23_1892
; %bb.1889:
	s_cmp_eq_u32 s11, 44
	s_cbranch_scc0 .LBB23_1891
; %bb.1890:
	global_load_u8 v1, v[20:21], off
	s_mov_b32 s13, 0
	s_mov_b32 s15, -1
	s_wait_loadcnt 0x0
	v_lshlrev_b32_e32 v3, 23, v1
	v_cmp_ne_u32_e32 vcc_lo, 0, v1
	s_delay_alu instid0(VALU_DEP_2) | instskip(NEXT) | instid1(VALU_DEP_1)
	v_cvt_i32_f32_e32 v3, v3
	v_cndmask_b32_e32 v1, 0, v3, vcc_lo
	s_branch .LBB23_1892
.LBB23_1891:
	s_mov_b32 s13, -1
                                        ; implicit-def: $vgpr1
.LBB23_1892:
	s_mov_b32 s16, 0
.LBB23_1893:
	s_delay_alu instid0(SALU_CYCLE_1)
	s_and_b32 vcc_lo, exec_lo, s16
	s_cbranch_vccz .LBB23_1897
; %bb.1894:
	s_cmp_eq_u32 s11, 29
	s_cbranch_scc0 .LBB23_1896
; %bb.1895:
	global_load_b32 v1, v[20:21], off
	s_mov_b32 s13, 0
	s_mov_b32 s15, -1
	s_branch .LBB23_1897
.LBB23_1896:
	s_mov_b32 s13, -1
                                        ; implicit-def: $vgpr1
.LBB23_1897:
	s_mov_b32 s16, 0
.LBB23_1898:
	s_delay_alu instid0(SALU_CYCLE_1)
	s_and_b32 vcc_lo, exec_lo, s16
	s_cbranch_vccz .LBB23_1914
; %bb.1899:
	s_cmp_lt_i32 s11, 27
	s_cbranch_scc1 .LBB23_1902
; %bb.1900:
	s_cmp_gt_i32 s11, 27
	s_cbranch_scc0 .LBB23_1903
; %bb.1901:
	s_wait_loadcnt 0x0
	global_load_b32 v1, v[20:21], off
	s_mov_b32 s15, 0
	s_branch .LBB23_1904
.LBB23_1902:
	s_mov_b32 s15, -1
                                        ; implicit-def: $vgpr1
	s_branch .LBB23_1907
.LBB23_1903:
	s_mov_b32 s15, -1
                                        ; implicit-def: $vgpr1
.LBB23_1904:
	s_delay_alu instid0(SALU_CYCLE_1)
	s_and_not1_b32 vcc_lo, exec_lo, s15
	s_cbranch_vccnz .LBB23_1906
; %bb.1905:
	s_wait_loadcnt 0x0
	global_load_u16 v1, v[20:21], off
.LBB23_1906:
	s_mov_b32 s15, 0
.LBB23_1907:
	s_delay_alu instid0(SALU_CYCLE_1)
	s_and_not1_b32 vcc_lo, exec_lo, s15
	s_cbranch_vccnz .LBB23_1913
; %bb.1908:
	global_load_u8 v3, v[20:21], off
	s_mov_b32 s16, 0
	s_mov_b32 s15, exec_lo
	s_wait_loadcnt 0x0
	v_cmpx_lt_i16_e32 0x7f, v3
	s_xor_b32 s15, exec_lo, s15
	s_cbranch_execz .LBB23_1925
; %bb.1909:
	v_cmp_ne_u16_e32 vcc_lo, 0x80, v3
	s_and_b32 s16, vcc_lo, exec_lo
	s_and_not1_saveexec_b32 s15, s15
	s_cbranch_execnz .LBB23_1926
.LBB23_1910:
	s_or_b32 exec_lo, exec_lo, s15
	v_mov_b32_e32 v1, 0
	s_and_saveexec_b32 s15, s16
	s_cbranch_execz .LBB23_1912
.LBB23_1911:
	v_and_b32_e32 v1, 0xffff, v3
	s_delay_alu instid0(VALU_DEP_1) | instskip(SKIP_1) | instid1(VALU_DEP_2)
	v_and_b32_e32 v5, 7, v1
	v_bfe_u32 v11, v1, 3, 4
	v_clz_i32_u32_e32 v7, v5
	s_delay_alu instid0(VALU_DEP_2) | instskip(NEXT) | instid1(VALU_DEP_2)
	v_cmp_eq_u32_e32 vcc_lo, 0, v11
	v_min_u32_e32 v7, 32, v7
	s_delay_alu instid0(VALU_DEP_1) | instskip(NEXT) | instid1(VALU_DEP_1)
	v_subrev_nc_u32_e32 v9, 28, v7
	v_dual_lshlrev_b32 v1, v9, v1 :: v_dual_sub_nc_u32 v7, 29, v7
	s_delay_alu instid0(VALU_DEP_1) | instskip(NEXT) | instid1(VALU_DEP_1)
	v_dual_lshlrev_b32 v3, 24, v3 :: v_dual_bitop2_b32 v1, 7, v1 bitop3:0x40
	v_dual_cndmask_b32 v1, v5, v1, vcc_lo :: v_dual_cndmask_b32 v7, v11, v7, vcc_lo
	s_delay_alu instid0(VALU_DEP_2) | instskip(NEXT) | instid1(VALU_DEP_2)
	v_and_b32_e32 v3, 0x80000000, v3
	v_lshlrev_b32_e32 v1, 20, v1
	s_delay_alu instid0(VALU_DEP_3) | instskip(NEXT) | instid1(VALU_DEP_1)
	v_lshl_add_u32 v5, v7, 23, 0x3b800000
	v_or3_b32 v1, v3, v5, v1
	s_delay_alu instid0(VALU_DEP_1)
	v_cvt_i32_f32_e32 v1, v1
.LBB23_1912:
	s_or_b32 exec_lo, exec_lo, s15
.LBB23_1913:
	s_mov_b32 s15, -1
.LBB23_1914:
	s_mov_b32 s16, 0
.LBB23_1915:
	s_delay_alu instid0(SALU_CYCLE_1)
	s_and_b32 vcc_lo, exec_lo, s16
	s_cbranch_vccz .LBB23_1946
; %bb.1916:
	s_cmp_gt_i32 s11, 22
	s_cbranch_scc0 .LBB23_1924
; %bb.1917:
	s_cmp_lt_i32 s11, 24
	s_cbranch_scc1 .LBB23_1927
; %bb.1918:
	s_cmp_gt_i32 s11, 24
	s_cbranch_scc0 .LBB23_1928
; %bb.1919:
	global_load_u8 v3, v[20:21], off
	s_mov_b32 s15, 0
	s_mov_b32 s14, exec_lo
	s_wait_loadcnt 0x0
	v_cmpx_lt_i16_e32 0x7f, v3
	s_xor_b32 s14, exec_lo, s14
	s_cbranch_execz .LBB23_1940
; %bb.1920:
	v_cmp_ne_u16_e32 vcc_lo, 0x80, v3
	s_and_b32 s15, vcc_lo, exec_lo
	s_and_not1_saveexec_b32 s14, s14
	s_cbranch_execnz .LBB23_1941
.LBB23_1921:
	s_or_b32 exec_lo, exec_lo, s14
	v_mov_b32_e32 v1, 0
	s_and_saveexec_b32 s14, s15
	s_cbranch_execz .LBB23_1923
.LBB23_1922:
	v_and_b32_e32 v1, 0xffff, v3
	s_delay_alu instid0(VALU_DEP_1) | instskip(SKIP_1) | instid1(VALU_DEP_2)
	v_and_b32_e32 v5, 3, v1
	v_bfe_u32 v11, v1, 2, 5
	v_clz_i32_u32_e32 v7, v5
	s_delay_alu instid0(VALU_DEP_2) | instskip(NEXT) | instid1(VALU_DEP_2)
	v_cmp_eq_u32_e32 vcc_lo, 0, v11
	v_min_u32_e32 v7, 32, v7
	s_delay_alu instid0(VALU_DEP_1) | instskip(NEXT) | instid1(VALU_DEP_1)
	v_subrev_nc_u32_e32 v9, 29, v7
	v_dual_lshlrev_b32 v1, v9, v1 :: v_dual_sub_nc_u32 v7, 30, v7
	s_delay_alu instid0(VALU_DEP_1) | instskip(NEXT) | instid1(VALU_DEP_1)
	v_dual_lshlrev_b32 v3, 24, v3 :: v_dual_bitop2_b32 v1, 3, v1 bitop3:0x40
	v_dual_cndmask_b32 v1, v5, v1, vcc_lo :: v_dual_cndmask_b32 v7, v11, v7, vcc_lo
	s_delay_alu instid0(VALU_DEP_2) | instskip(NEXT) | instid1(VALU_DEP_2)
	v_and_b32_e32 v3, 0x80000000, v3
	v_lshlrev_b32_e32 v1, 21, v1
	s_delay_alu instid0(VALU_DEP_3) | instskip(NEXT) | instid1(VALU_DEP_1)
	v_lshl_add_u32 v5, v7, 23, 0x37800000
	v_or3_b32 v1, v3, v5, v1
	s_delay_alu instid0(VALU_DEP_1)
	v_cvt_i32_f32_e32 v1, v1
.LBB23_1923:
	s_or_b32 exec_lo, exec_lo, s14
	s_mov_b32 s14, 0
	s_branch .LBB23_1929
.LBB23_1924:
	s_mov_b32 s14, -1
                                        ; implicit-def: $vgpr1
	s_branch .LBB23_1935
.LBB23_1925:
	s_and_not1_saveexec_b32 s15, s15
	s_cbranch_execz .LBB23_1910
.LBB23_1926:
	v_cmp_ne_u16_e32 vcc_lo, 0, v3
	s_and_not1_b32 s16, s16, exec_lo
	s_and_b32 s17, vcc_lo, exec_lo
	s_delay_alu instid0(SALU_CYCLE_1)
	s_or_b32 s16, s16, s17
	s_or_b32 exec_lo, exec_lo, s15
	v_mov_b32_e32 v1, 0
	s_and_saveexec_b32 s15, s16
	s_cbranch_execnz .LBB23_1911
	s_branch .LBB23_1912
.LBB23_1927:
	s_mov_b32 s14, -1
                                        ; implicit-def: $vgpr1
	s_branch .LBB23_1932
.LBB23_1928:
	s_mov_b32 s14, -1
                                        ; implicit-def: $vgpr1
.LBB23_1929:
	s_delay_alu instid0(SALU_CYCLE_1)
	s_and_b32 vcc_lo, exec_lo, s14
	s_cbranch_vccz .LBB23_1931
; %bb.1930:
	s_wait_loadcnt 0x0
	global_load_u8 v1, v[20:21], off
	s_wait_loadcnt 0x0
	v_lshlrev_b32_e32 v1, 24, v1
	s_delay_alu instid0(VALU_DEP_1) | instskip(NEXT) | instid1(VALU_DEP_1)
	v_and_b32_e32 v3, 0x7f000000, v1
	v_clz_i32_u32_e32 v5, v3
	v_add_nc_u32_e32 v9, 0x1000000, v3
	v_cmp_ne_u32_e32 vcc_lo, 0, v3
	s_delay_alu instid0(VALU_DEP_3) | instskip(NEXT) | instid1(VALU_DEP_1)
	v_min_u32_e32 v5, 32, v5
	v_sub_nc_u32_e64 v5, v5, 4 clamp
	s_delay_alu instid0(VALU_DEP_1) | instskip(NEXT) | instid1(VALU_DEP_1)
	v_dual_lshlrev_b32 v7, v5, v3 :: v_dual_lshlrev_b32 v5, 23, v5
	v_lshrrev_b32_e32 v7, 4, v7
	s_delay_alu instid0(VALU_DEP_1) | instskip(SKIP_1) | instid1(VALU_DEP_2)
	v_sub_nc_u32_e32 v5, v7, v5
	v_ashrrev_i32_e32 v7, 8, v9
	v_add_nc_u32_e32 v5, 0x3c000000, v5
	s_delay_alu instid0(VALU_DEP_1) | instskip(NEXT) | instid1(VALU_DEP_1)
	v_and_or_b32 v5, 0x7f800000, v7, v5
	v_cndmask_b32_e32 v3, 0, v5, vcc_lo
	s_delay_alu instid0(VALU_DEP_1) | instskip(NEXT) | instid1(VALU_DEP_1)
	v_and_or_b32 v1, 0x80000000, v1, v3
	v_cvt_i32_f32_e32 v1, v1
.LBB23_1931:
	s_mov_b32 s14, 0
.LBB23_1932:
	s_delay_alu instid0(SALU_CYCLE_1)
	s_and_not1_b32 vcc_lo, exec_lo, s14
	s_cbranch_vccnz .LBB23_1934
; %bb.1933:
	s_wait_loadcnt 0x0
	global_load_u8 v1, v[20:21], off
	s_wait_loadcnt 0x0
	v_lshlrev_b32_e32 v3, 25, v1
	v_lshlrev_b16 v1, 8, v1
	s_delay_alu instid0(VALU_DEP_1) | instskip(SKIP_1) | instid1(VALU_DEP_2)
	v_and_or_b32 v7, 0x7f00, v1, 0.5
	v_bfe_i32 v1, v1, 0, 16
	v_add_f32_e32 v7, -0.5, v7
	v_lshrrev_b32_e32 v5, 4, v3
	v_cmp_gt_u32_e32 vcc_lo, 0x8000000, v3
	s_delay_alu instid0(VALU_DEP_2) | instskip(NEXT) | instid1(VALU_DEP_1)
	v_or_b32_e32 v5, 0x70000000, v5
	v_mul_f32_e32 v5, 0x7800000, v5
	s_delay_alu instid0(VALU_DEP_1) | instskip(NEXT) | instid1(VALU_DEP_1)
	v_cndmask_b32_e32 v3, v5, v7, vcc_lo
	v_and_or_b32 v1, 0x80000000, v1, v3
	s_delay_alu instid0(VALU_DEP_1)
	v_cvt_i32_f32_e32 v1, v1
.LBB23_1934:
	s_mov_b32 s14, 0
	s_mov_b32 s15, -1
.LBB23_1935:
	s_and_not1_b32 vcc_lo, exec_lo, s14
	s_mov_b32 s14, 0
	s_cbranch_vccnz .LBB23_1946
; %bb.1936:
	s_cmp_gt_i32 s11, 14
	s_cbranch_scc0 .LBB23_1939
; %bb.1937:
	s_cmp_eq_u32 s11, 15
	s_cbranch_scc0 .LBB23_1942
; %bb.1938:
	s_wait_loadcnt 0x0
	global_load_u16 v1, v[20:21], off
	s_mov_b32 s13, 0
	s_mov_b32 s15, -1
	s_wait_loadcnt 0x0
	v_lshlrev_b32_e32 v1, 16, v1
	s_delay_alu instid0(VALU_DEP_1)
	v_cvt_i32_f32_e32 v1, v1
	s_branch .LBB23_1944
.LBB23_1939:
	s_mov_b32 s14, -1
	s_branch .LBB23_1943
.LBB23_1940:
	s_and_not1_saveexec_b32 s14, s14
	s_cbranch_execz .LBB23_1921
.LBB23_1941:
	v_cmp_ne_u16_e32 vcc_lo, 0, v3
	s_and_not1_b32 s15, s15, exec_lo
	s_and_b32 s16, vcc_lo, exec_lo
	s_delay_alu instid0(SALU_CYCLE_1)
	s_or_b32 s15, s15, s16
	s_or_b32 exec_lo, exec_lo, s14
	v_mov_b32_e32 v1, 0
	s_and_saveexec_b32 s14, s15
	s_cbranch_execnz .LBB23_1922
	s_branch .LBB23_1923
.LBB23_1942:
	s_mov_b32 s13, -1
.LBB23_1943:
                                        ; implicit-def: $vgpr1
.LBB23_1944:
	s_and_b32 vcc_lo, exec_lo, s14
	s_mov_b32 s14, 0
	s_cbranch_vccz .LBB23_1946
; %bb.1945:
	s_cmp_lg_u32 s11, 11
	s_mov_b32 s14, -1
	s_cselect_b32 s13, -1, 0
.LBB23_1946:
	s_delay_alu instid0(SALU_CYCLE_1)
	s_and_b32 vcc_lo, exec_lo, s13
	s_cbranch_vccnz .LBB23_2009
; %bb.1947:
	s_and_not1_b32 vcc_lo, exec_lo, s14
	s_cbranch_vccnz .LBB23_1949
.LBB23_1948:
	s_wait_loadcnt 0x0
	global_load_u8 v1, v[20:21], off
	s_mov_b32 s15, -1
	s_wait_loadcnt 0x0
	v_cmp_ne_u16_e32 vcc_lo, 0, v1
	v_cndmask_b32_e64 v1, 0, 1, vcc_lo
.LBB23_1949:
	s_branch .LBB23_1880
.LBB23_1950:
	s_cmp_lt_i32 s11, 5
	s_cbranch_scc1 .LBB23_1955
; %bb.1951:
	s_cmp_lt_i32 s11, 8
	s_cbranch_scc1 .LBB23_1956
; %bb.1952:
	;; [unrolled: 3-line block ×3, first 2 shown]
	s_cmp_gt_i32 s11, 9
	s_cbranch_scc0 .LBB23_1958
; %bb.1954:
	global_load_b64 v[22:23], v[20:21], off
	s_mov_b32 s13, 0
	s_wait_loadcnt 0x0
	v_cvt_i32_f64_e32 v1, v[22:23]
	s_branch .LBB23_1959
.LBB23_1955:
	s_mov_b32 s13, -1
                                        ; implicit-def: $vgpr1
	s_branch .LBB23_1977
.LBB23_1956:
	s_mov_b32 s13, -1
                                        ; implicit-def: $vgpr1
	s_branch .LBB23_1965
.LBB23_1957:
	s_mov_b32 s13, -1
                                        ; implicit-def: $vgpr1
	s_branch .LBB23_1962
.LBB23_1958:
	s_mov_b32 s13, -1
                                        ; implicit-def: $vgpr1
.LBB23_1959:
	s_delay_alu instid0(SALU_CYCLE_1)
	s_and_not1_b32 vcc_lo, exec_lo, s13
	s_cbranch_vccnz .LBB23_1961
; %bb.1960:
	s_wait_loadcnt 0x0
	global_load_b32 v1, v[20:21], off
	s_wait_loadcnt 0x0
	v_cvt_i32_f32_e32 v1, v1
.LBB23_1961:
	s_mov_b32 s13, 0
.LBB23_1962:
	s_delay_alu instid0(SALU_CYCLE_1)
	s_and_not1_b32 vcc_lo, exec_lo, s13
	s_cbranch_vccnz .LBB23_1964
; %bb.1963:
	s_wait_loadcnt 0x0
	global_load_b32 v1, v[20:21], off
	s_wait_loadcnt 0x0
	v_cvt_f32_f16_e32 v1, v1
	s_delay_alu instid0(VALU_DEP_1)
	v_cvt_i32_f32_e32 v1, v1
.LBB23_1964:
	s_mov_b32 s13, 0
.LBB23_1965:
	s_delay_alu instid0(SALU_CYCLE_1)
	s_and_not1_b32 vcc_lo, exec_lo, s13
	s_cbranch_vccnz .LBB23_1976
; %bb.1966:
	s_cmp_lt_i32 s11, 6
	s_cbranch_scc1 .LBB23_1969
; %bb.1967:
	s_cmp_gt_i32 s11, 6
	s_cbranch_scc0 .LBB23_1970
; %bb.1968:
	global_load_b64 v[22:23], v[20:21], off
	s_mov_b32 s13, 0
	s_wait_loadcnt 0x0
	v_cvt_i32_f64_e32 v1, v[22:23]
	s_branch .LBB23_1971
.LBB23_1969:
	s_mov_b32 s13, -1
                                        ; implicit-def: $vgpr1
	s_branch .LBB23_1974
.LBB23_1970:
	s_mov_b32 s13, -1
                                        ; implicit-def: $vgpr1
.LBB23_1971:
	s_delay_alu instid0(SALU_CYCLE_1)
	s_and_not1_b32 vcc_lo, exec_lo, s13
	s_cbranch_vccnz .LBB23_1973
; %bb.1972:
	s_wait_loadcnt 0x0
	global_load_b32 v1, v[20:21], off
	s_wait_loadcnt 0x0
	v_cvt_i32_f32_e32 v1, v1
.LBB23_1973:
	s_mov_b32 s13, 0
.LBB23_1974:
	s_delay_alu instid0(SALU_CYCLE_1)
	s_and_not1_b32 vcc_lo, exec_lo, s13
	s_cbranch_vccnz .LBB23_1976
; %bb.1975:
	s_wait_loadcnt 0x0
	global_load_u16 v1, v[20:21], off
	s_wait_loadcnt 0x0
	v_cvt_f32_f16_e32 v1, v1
	s_delay_alu instid0(VALU_DEP_1)
	v_cvt_i32_f32_e32 v1, v1
.LBB23_1976:
	s_mov_b32 s13, 0
.LBB23_1977:
	s_delay_alu instid0(SALU_CYCLE_1)
	s_and_not1_b32 vcc_lo, exec_lo, s13
	s_cbranch_vccnz .LBB23_1997
; %bb.1978:
	s_cmp_lt_i32 s11, 2
	s_cbranch_scc1 .LBB23_1982
; %bb.1979:
	s_cmp_lt_i32 s11, 3
	s_cbranch_scc1 .LBB23_1983
; %bb.1980:
	s_cmp_gt_i32 s11, 3
	s_cbranch_scc0 .LBB23_1984
; %bb.1981:
	s_wait_loadcnt 0x0
	global_load_b32 v1, v[20:21], off
	s_mov_b32 s13, 0
	s_branch .LBB23_1985
.LBB23_1982:
	s_mov_b32 s13, -1
                                        ; implicit-def: $vgpr1
	s_branch .LBB23_1991
.LBB23_1983:
	s_mov_b32 s13, -1
                                        ; implicit-def: $vgpr1
	s_branch .LBB23_1988
.LBB23_1984:
	s_mov_b32 s13, -1
                                        ; implicit-def: $vgpr1
.LBB23_1985:
	s_delay_alu instid0(SALU_CYCLE_1)
	s_and_not1_b32 vcc_lo, exec_lo, s13
	s_cbranch_vccnz .LBB23_1987
; %bb.1986:
	s_wait_loadcnt 0x0
	global_load_b32 v1, v[20:21], off
.LBB23_1987:
	s_mov_b32 s13, 0
.LBB23_1988:
	s_delay_alu instid0(SALU_CYCLE_1)
	s_and_not1_b32 vcc_lo, exec_lo, s13
	s_cbranch_vccnz .LBB23_1990
; %bb.1989:
	s_wait_loadcnt 0x0
	global_load_i16 v1, v[20:21], off
.LBB23_1990:
	s_mov_b32 s13, 0
.LBB23_1991:
	s_delay_alu instid0(SALU_CYCLE_1)
	s_and_not1_b32 vcc_lo, exec_lo, s13
	s_cbranch_vccnz .LBB23_1997
; %bb.1992:
	s_cmp_gt_i32 s11, 0
	s_mov_b32 s13, 0
	s_cbranch_scc0 .LBB23_1994
; %bb.1993:
	s_wait_loadcnt 0x0
	global_load_i8 v1, v[20:21], off
	s_branch .LBB23_1995
.LBB23_1994:
	s_mov_b32 s13, -1
                                        ; implicit-def: $vgpr1
.LBB23_1995:
	s_delay_alu instid0(SALU_CYCLE_1)
	s_and_not1_b32 vcc_lo, exec_lo, s13
	s_cbranch_vccnz .LBB23_1997
; %bb.1996:
	s_wait_loadcnt 0x0
	global_load_u8 v1, v[20:21], off
.LBB23_1997:
.LBB23_1998:
	v_mov_b32_e32 v15, 0
	s_and_b32 s12, 0xffff, s12
	s_delay_alu instid0(SALU_CYCLE_1) | instskip(NEXT) | instid1(VALU_DEP_1)
	s_cmp_lt_i32 s12, 11
	v_add_nc_u64_e32 v[14:15], s[0:1], v[14:15]
	s_cbranch_scc1 .LBB23_2005
; %bb.1999:
	s_cmp_gt_i32 s12, 25
	s_mov_b32 s14, 0
	s_cbranch_scc0 .LBB23_2006
; %bb.2000:
	s_cmp_gt_i32 s12, 28
	s_cbranch_scc0 .LBB23_2007
; %bb.2001:
	s_cmp_gt_i32 s12, 43
	;; [unrolled: 3-line block ×3, first 2 shown]
	s_cbranch_scc0 .LBB23_2010
; %bb.2003:
	s_cmp_eq_u32 s12, 46
	s_mov_b32 s16, 0
	s_cbranch_scc0 .LBB23_2011
; %bb.2004:
	global_load_b32 v3, v[14:15], off
	s_mov_b32 s13, 0
	s_mov_b32 s15, -1
	s_wait_loadcnt 0x0
	v_lshlrev_b32_e32 v3, 16, v3
	s_delay_alu instid0(VALU_DEP_1)
	v_cvt_i32_f32_e32 v3, v3
	s_branch .LBB23_2013
.LBB23_2005:
	s_mov_b32 s13, -1
	s_mov_b32 s15, 0
                                        ; implicit-def: $vgpr3
	s_branch .LBB23_2075
.LBB23_2006:
	s_mov_b32 s16, -1
	s_mov_b32 s15, 0
	s_mov_b32 s13, 0
                                        ; implicit-def: $vgpr3
	s_branch .LBB23_2040
.LBB23_2007:
	s_mov_b32 s16, -1
	s_mov_b32 s15, 0
	s_mov_b32 s13, 0
                                        ; implicit-def: $vgpr3
	s_branch .LBB23_2023
.LBB23_2008:
	s_mov_b32 s16, -1
	s_mov_b32 s15, 0
	s_mov_b32 s13, 0
                                        ; implicit-def: $vgpr3
	s_branch .LBB23_2018
.LBB23_2009:
	s_or_b32 s10, s10, exec_lo
	s_trap 2
	s_cbranch_execz .LBB23_1948
	s_branch .LBB23_1949
.LBB23_2010:
	s_mov_b32 s16, -1
	s_mov_b32 s15, 0
	s_mov_b32 s13, 0
	s_branch .LBB23_2012
.LBB23_2011:
	s_mov_b32 s13, -1
	s_mov_b32 s15, 0
.LBB23_2012:
                                        ; implicit-def: $vgpr3
.LBB23_2013:
	s_and_b32 vcc_lo, exec_lo, s16
	s_cbranch_vccz .LBB23_2017
; %bb.2014:
	s_cmp_eq_u32 s12, 44
	s_cbranch_scc0 .LBB23_2016
; %bb.2015:
	global_load_u8 v3, v[14:15], off
	s_mov_b32 s13, 0
	s_mov_b32 s15, -1
	s_wait_loadcnt 0x0
	v_lshlrev_b32_e32 v5, 23, v3
	v_cmp_ne_u32_e32 vcc_lo, 0, v3
	s_delay_alu instid0(VALU_DEP_2) | instskip(NEXT) | instid1(VALU_DEP_1)
	v_cvt_i32_f32_e32 v5, v5
	v_cndmask_b32_e32 v3, 0, v5, vcc_lo
	s_branch .LBB23_2017
.LBB23_2016:
	s_mov_b32 s13, -1
                                        ; implicit-def: $vgpr3
.LBB23_2017:
	s_mov_b32 s16, 0
.LBB23_2018:
	s_delay_alu instid0(SALU_CYCLE_1)
	s_and_b32 vcc_lo, exec_lo, s16
	s_cbranch_vccz .LBB23_2022
; %bb.2019:
	s_cmp_eq_u32 s12, 29
	s_cbranch_scc0 .LBB23_2021
; %bb.2020:
	global_load_b32 v3, v[14:15], off
	s_mov_b32 s13, 0
	s_mov_b32 s15, -1
	s_branch .LBB23_2022
.LBB23_2021:
	s_mov_b32 s13, -1
                                        ; implicit-def: $vgpr3
.LBB23_2022:
	s_mov_b32 s16, 0
.LBB23_2023:
	s_delay_alu instid0(SALU_CYCLE_1)
	s_and_b32 vcc_lo, exec_lo, s16
	s_cbranch_vccz .LBB23_2039
; %bb.2024:
	s_cmp_lt_i32 s12, 27
	s_cbranch_scc1 .LBB23_2027
; %bb.2025:
	s_cmp_gt_i32 s12, 27
	s_cbranch_scc0 .LBB23_2028
; %bb.2026:
	s_wait_loadcnt 0x0
	global_load_b32 v3, v[14:15], off
	s_mov_b32 s15, 0
	s_branch .LBB23_2029
.LBB23_2027:
	s_mov_b32 s15, -1
                                        ; implicit-def: $vgpr3
	s_branch .LBB23_2032
.LBB23_2028:
	s_mov_b32 s15, -1
                                        ; implicit-def: $vgpr3
.LBB23_2029:
	s_delay_alu instid0(SALU_CYCLE_1)
	s_and_not1_b32 vcc_lo, exec_lo, s15
	s_cbranch_vccnz .LBB23_2031
; %bb.2030:
	s_wait_loadcnt 0x0
	global_load_u16 v3, v[14:15], off
.LBB23_2031:
	s_mov_b32 s15, 0
.LBB23_2032:
	s_delay_alu instid0(SALU_CYCLE_1)
	s_and_not1_b32 vcc_lo, exec_lo, s15
	s_cbranch_vccnz .LBB23_2038
; %bb.2033:
	global_load_u8 v5, v[14:15], off
	s_mov_b32 s16, 0
	s_mov_b32 s15, exec_lo
	s_wait_loadcnt 0x0
	v_cmpx_lt_i16_e32 0x7f, v5
	s_xor_b32 s15, exec_lo, s15
	s_cbranch_execz .LBB23_2050
; %bb.2034:
	v_cmp_ne_u16_e32 vcc_lo, 0x80, v5
	s_and_b32 s16, vcc_lo, exec_lo
	s_and_not1_saveexec_b32 s15, s15
	s_cbranch_execnz .LBB23_2051
.LBB23_2035:
	s_or_b32 exec_lo, exec_lo, s15
	v_mov_b32_e32 v3, 0
	s_and_saveexec_b32 s15, s16
	s_cbranch_execz .LBB23_2037
.LBB23_2036:
	v_and_b32_e32 v3, 0xffff, v5
	s_delay_alu instid0(VALU_DEP_1) | instskip(SKIP_1) | instid1(VALU_DEP_2)
	v_and_b32_e32 v7, 7, v3
	v_bfe_u32 v13, v3, 3, 4
	v_clz_i32_u32_e32 v9, v7
	s_delay_alu instid0(VALU_DEP_2) | instskip(NEXT) | instid1(VALU_DEP_2)
	v_cmp_eq_u32_e32 vcc_lo, 0, v13
	v_min_u32_e32 v9, 32, v9
	s_delay_alu instid0(VALU_DEP_1) | instskip(NEXT) | instid1(VALU_DEP_1)
	v_subrev_nc_u32_e32 v11, 28, v9
	v_dual_lshlrev_b32 v3, v11, v3 :: v_dual_sub_nc_u32 v9, 29, v9
	s_delay_alu instid0(VALU_DEP_1) | instskip(NEXT) | instid1(VALU_DEP_1)
	v_dual_lshlrev_b32 v5, 24, v5 :: v_dual_bitop2_b32 v3, 7, v3 bitop3:0x40
	v_dual_cndmask_b32 v3, v7, v3, vcc_lo :: v_dual_cndmask_b32 v9, v13, v9, vcc_lo
	s_delay_alu instid0(VALU_DEP_2) | instskip(NEXT) | instid1(VALU_DEP_2)
	v_and_b32_e32 v5, 0x80000000, v5
	v_lshlrev_b32_e32 v3, 20, v3
	s_delay_alu instid0(VALU_DEP_3) | instskip(NEXT) | instid1(VALU_DEP_1)
	v_lshl_add_u32 v7, v9, 23, 0x3b800000
	v_or3_b32 v3, v5, v7, v3
	s_delay_alu instid0(VALU_DEP_1)
	v_cvt_i32_f32_e32 v3, v3
.LBB23_2037:
	s_or_b32 exec_lo, exec_lo, s15
.LBB23_2038:
	s_mov_b32 s15, -1
.LBB23_2039:
	s_mov_b32 s16, 0
.LBB23_2040:
	s_delay_alu instid0(SALU_CYCLE_1)
	s_and_b32 vcc_lo, exec_lo, s16
	s_cbranch_vccz .LBB23_2071
; %bb.2041:
	s_cmp_gt_i32 s12, 22
	s_cbranch_scc0 .LBB23_2049
; %bb.2042:
	s_cmp_lt_i32 s12, 24
	s_cbranch_scc1 .LBB23_2052
; %bb.2043:
	s_cmp_gt_i32 s12, 24
	s_cbranch_scc0 .LBB23_2053
; %bb.2044:
	global_load_u8 v5, v[14:15], off
	s_mov_b32 s15, 0
	s_mov_b32 s14, exec_lo
	s_wait_loadcnt 0x0
	v_cmpx_lt_i16_e32 0x7f, v5
	s_xor_b32 s14, exec_lo, s14
	s_cbranch_execz .LBB23_2065
; %bb.2045:
	v_cmp_ne_u16_e32 vcc_lo, 0x80, v5
	s_and_b32 s15, vcc_lo, exec_lo
	s_and_not1_saveexec_b32 s14, s14
	s_cbranch_execnz .LBB23_2066
.LBB23_2046:
	s_or_b32 exec_lo, exec_lo, s14
	v_mov_b32_e32 v3, 0
	s_and_saveexec_b32 s14, s15
	s_cbranch_execz .LBB23_2048
.LBB23_2047:
	v_and_b32_e32 v3, 0xffff, v5
	s_delay_alu instid0(VALU_DEP_1) | instskip(SKIP_1) | instid1(VALU_DEP_2)
	v_and_b32_e32 v7, 3, v3
	v_bfe_u32 v13, v3, 2, 5
	v_clz_i32_u32_e32 v9, v7
	s_delay_alu instid0(VALU_DEP_2) | instskip(NEXT) | instid1(VALU_DEP_2)
	v_cmp_eq_u32_e32 vcc_lo, 0, v13
	v_min_u32_e32 v9, 32, v9
	s_delay_alu instid0(VALU_DEP_1) | instskip(NEXT) | instid1(VALU_DEP_1)
	v_subrev_nc_u32_e32 v11, 29, v9
	v_dual_lshlrev_b32 v3, v11, v3 :: v_dual_sub_nc_u32 v9, 30, v9
	s_delay_alu instid0(VALU_DEP_1) | instskip(NEXT) | instid1(VALU_DEP_1)
	v_dual_lshlrev_b32 v5, 24, v5 :: v_dual_bitop2_b32 v3, 3, v3 bitop3:0x40
	v_dual_cndmask_b32 v3, v7, v3, vcc_lo :: v_dual_cndmask_b32 v9, v13, v9, vcc_lo
	s_delay_alu instid0(VALU_DEP_2) | instskip(NEXT) | instid1(VALU_DEP_2)
	v_and_b32_e32 v5, 0x80000000, v5
	v_lshlrev_b32_e32 v3, 21, v3
	s_delay_alu instid0(VALU_DEP_3) | instskip(NEXT) | instid1(VALU_DEP_1)
	v_lshl_add_u32 v7, v9, 23, 0x37800000
	v_or3_b32 v3, v5, v7, v3
	s_delay_alu instid0(VALU_DEP_1)
	v_cvt_i32_f32_e32 v3, v3
.LBB23_2048:
	s_or_b32 exec_lo, exec_lo, s14
	s_mov_b32 s14, 0
	s_branch .LBB23_2054
.LBB23_2049:
	s_mov_b32 s14, -1
                                        ; implicit-def: $vgpr3
	s_branch .LBB23_2060
.LBB23_2050:
	s_and_not1_saveexec_b32 s15, s15
	s_cbranch_execz .LBB23_2035
.LBB23_2051:
	v_cmp_ne_u16_e32 vcc_lo, 0, v5
	s_and_not1_b32 s16, s16, exec_lo
	s_and_b32 s17, vcc_lo, exec_lo
	s_delay_alu instid0(SALU_CYCLE_1)
	s_or_b32 s16, s16, s17
	s_or_b32 exec_lo, exec_lo, s15
	v_mov_b32_e32 v3, 0
	s_and_saveexec_b32 s15, s16
	s_cbranch_execnz .LBB23_2036
	s_branch .LBB23_2037
.LBB23_2052:
	s_mov_b32 s14, -1
                                        ; implicit-def: $vgpr3
	s_branch .LBB23_2057
.LBB23_2053:
	s_mov_b32 s14, -1
                                        ; implicit-def: $vgpr3
.LBB23_2054:
	s_delay_alu instid0(SALU_CYCLE_1)
	s_and_b32 vcc_lo, exec_lo, s14
	s_cbranch_vccz .LBB23_2056
; %bb.2055:
	s_wait_loadcnt 0x0
	global_load_u8 v3, v[14:15], off
	s_wait_loadcnt 0x0
	v_lshlrev_b32_e32 v3, 24, v3
	s_delay_alu instid0(VALU_DEP_1) | instskip(NEXT) | instid1(VALU_DEP_1)
	v_and_b32_e32 v5, 0x7f000000, v3
	v_clz_i32_u32_e32 v7, v5
	v_add_nc_u32_e32 v11, 0x1000000, v5
	v_cmp_ne_u32_e32 vcc_lo, 0, v5
	s_delay_alu instid0(VALU_DEP_3) | instskip(NEXT) | instid1(VALU_DEP_1)
	v_min_u32_e32 v7, 32, v7
	v_sub_nc_u32_e64 v7, v7, 4 clamp
	s_delay_alu instid0(VALU_DEP_1) | instskip(NEXT) | instid1(VALU_DEP_1)
	v_dual_lshlrev_b32 v9, v7, v5 :: v_dual_lshlrev_b32 v7, 23, v7
	v_lshrrev_b32_e32 v9, 4, v9
	s_delay_alu instid0(VALU_DEP_1) | instskip(SKIP_1) | instid1(VALU_DEP_2)
	v_sub_nc_u32_e32 v7, v9, v7
	v_ashrrev_i32_e32 v9, 8, v11
	v_add_nc_u32_e32 v7, 0x3c000000, v7
	s_delay_alu instid0(VALU_DEP_1) | instskip(NEXT) | instid1(VALU_DEP_1)
	v_and_or_b32 v7, 0x7f800000, v9, v7
	v_cndmask_b32_e32 v5, 0, v7, vcc_lo
	s_delay_alu instid0(VALU_DEP_1) | instskip(NEXT) | instid1(VALU_DEP_1)
	v_and_or_b32 v3, 0x80000000, v3, v5
	v_cvt_i32_f32_e32 v3, v3
.LBB23_2056:
	s_mov_b32 s14, 0
.LBB23_2057:
	s_delay_alu instid0(SALU_CYCLE_1)
	s_and_not1_b32 vcc_lo, exec_lo, s14
	s_cbranch_vccnz .LBB23_2059
; %bb.2058:
	s_wait_loadcnt 0x0
	global_load_u8 v3, v[14:15], off
	s_wait_loadcnt 0x0
	v_lshlrev_b32_e32 v5, 25, v3
	v_lshlrev_b16 v3, 8, v3
	s_delay_alu instid0(VALU_DEP_1) | instskip(SKIP_1) | instid1(VALU_DEP_2)
	v_and_or_b32 v9, 0x7f00, v3, 0.5
	v_bfe_i32 v3, v3, 0, 16
	v_add_f32_e32 v9, -0.5, v9
	v_lshrrev_b32_e32 v7, 4, v5
	v_cmp_gt_u32_e32 vcc_lo, 0x8000000, v5
	s_delay_alu instid0(VALU_DEP_2) | instskip(NEXT) | instid1(VALU_DEP_1)
	v_or_b32_e32 v7, 0x70000000, v7
	v_mul_f32_e32 v7, 0x7800000, v7
	s_delay_alu instid0(VALU_DEP_1) | instskip(NEXT) | instid1(VALU_DEP_1)
	v_cndmask_b32_e32 v5, v7, v9, vcc_lo
	v_and_or_b32 v3, 0x80000000, v3, v5
	s_delay_alu instid0(VALU_DEP_1)
	v_cvt_i32_f32_e32 v3, v3
.LBB23_2059:
	s_mov_b32 s14, 0
	s_mov_b32 s15, -1
.LBB23_2060:
	s_and_not1_b32 vcc_lo, exec_lo, s14
	s_mov_b32 s14, 0
	s_cbranch_vccnz .LBB23_2071
; %bb.2061:
	s_cmp_gt_i32 s12, 14
	s_cbranch_scc0 .LBB23_2064
; %bb.2062:
	s_cmp_eq_u32 s12, 15
	s_cbranch_scc0 .LBB23_2067
; %bb.2063:
	s_wait_loadcnt 0x0
	global_load_u16 v3, v[14:15], off
	s_mov_b32 s13, 0
	s_mov_b32 s15, -1
	s_wait_loadcnt 0x0
	v_lshlrev_b32_e32 v3, 16, v3
	s_delay_alu instid0(VALU_DEP_1)
	v_cvt_i32_f32_e32 v3, v3
	s_branch .LBB23_2069
.LBB23_2064:
	s_mov_b32 s14, -1
	s_branch .LBB23_2068
.LBB23_2065:
	s_and_not1_saveexec_b32 s14, s14
	s_cbranch_execz .LBB23_2046
.LBB23_2066:
	v_cmp_ne_u16_e32 vcc_lo, 0, v5
	s_and_not1_b32 s15, s15, exec_lo
	s_and_b32 s16, vcc_lo, exec_lo
	s_delay_alu instid0(SALU_CYCLE_1)
	s_or_b32 s15, s15, s16
	s_or_b32 exec_lo, exec_lo, s14
	v_mov_b32_e32 v3, 0
	s_and_saveexec_b32 s14, s15
	s_cbranch_execnz .LBB23_2047
	s_branch .LBB23_2048
.LBB23_2067:
	s_mov_b32 s13, -1
.LBB23_2068:
                                        ; implicit-def: $vgpr3
.LBB23_2069:
	s_and_b32 vcc_lo, exec_lo, s14
	s_mov_b32 s14, 0
	s_cbranch_vccz .LBB23_2071
; %bb.2070:
	s_cmp_lg_u32 s12, 11
	s_mov_b32 s14, -1
	s_cselect_b32 s13, -1, 0
.LBB23_2071:
	s_delay_alu instid0(SALU_CYCLE_1)
	s_and_b32 vcc_lo, exec_lo, s13
	s_cbranch_vccnz .LBB23_2140
; %bb.2072:
	s_and_not1_b32 vcc_lo, exec_lo, s14
	s_cbranch_vccnz .LBB23_2074
.LBB23_2073:
	s_wait_loadcnt 0x0
	global_load_u8 v3, v[14:15], off
	s_mov_b32 s15, -1
	s_wait_loadcnt 0x0
	v_cmp_ne_u16_e32 vcc_lo, 0, v3
	v_cndmask_b32_e64 v3, 0, 1, vcc_lo
.LBB23_2074:
	s_mov_b32 s13, 0
.LBB23_2075:
	s_delay_alu instid0(SALU_CYCLE_1)
	s_and_b32 vcc_lo, exec_lo, s13
	s_cbranch_vccz .LBB23_2124
; %bb.2076:
	s_cmp_lt_i32 s12, 5
	s_cbranch_scc1 .LBB23_2081
; %bb.2077:
	s_cmp_lt_i32 s12, 8
	s_cbranch_scc1 .LBB23_2082
; %bb.2078:
	s_cmp_lt_i32 s12, 9
	s_cbranch_scc1 .LBB23_2083
; %bb.2079:
	s_cmp_gt_i32 s12, 9
	s_cbranch_scc0 .LBB23_2084
; %bb.2080:
	global_load_b64 v[20:21], v[14:15], off
	s_mov_b32 s13, 0
	s_wait_loadcnt 0x0
	v_cvt_i32_f64_e32 v3, v[20:21]
	s_branch .LBB23_2085
.LBB23_2081:
	s_mov_b32 s13, -1
                                        ; implicit-def: $vgpr3
	s_branch .LBB23_2103
.LBB23_2082:
	s_mov_b32 s13, -1
                                        ; implicit-def: $vgpr3
	s_branch .LBB23_2091
.LBB23_2083:
	s_mov_b32 s13, -1
                                        ; implicit-def: $vgpr3
	s_branch .LBB23_2088
.LBB23_2084:
	s_mov_b32 s13, -1
                                        ; implicit-def: $vgpr3
.LBB23_2085:
	s_delay_alu instid0(SALU_CYCLE_1)
	s_and_not1_b32 vcc_lo, exec_lo, s13
	s_cbranch_vccnz .LBB23_2087
; %bb.2086:
	s_wait_loadcnt 0x0
	global_load_b32 v3, v[14:15], off
	s_wait_loadcnt 0x0
	v_cvt_i32_f32_e32 v3, v3
.LBB23_2087:
	s_mov_b32 s13, 0
.LBB23_2088:
	s_delay_alu instid0(SALU_CYCLE_1)
	s_and_not1_b32 vcc_lo, exec_lo, s13
	s_cbranch_vccnz .LBB23_2090
; %bb.2089:
	s_wait_loadcnt 0x0
	global_load_b32 v3, v[14:15], off
	s_wait_loadcnt 0x0
	v_cvt_f32_f16_e32 v3, v3
	s_delay_alu instid0(VALU_DEP_1)
	v_cvt_i32_f32_e32 v3, v3
.LBB23_2090:
	s_mov_b32 s13, 0
.LBB23_2091:
	s_delay_alu instid0(SALU_CYCLE_1)
	s_and_not1_b32 vcc_lo, exec_lo, s13
	s_cbranch_vccnz .LBB23_2102
; %bb.2092:
	s_cmp_lt_i32 s12, 6
	s_cbranch_scc1 .LBB23_2095
; %bb.2093:
	s_cmp_gt_i32 s12, 6
	s_cbranch_scc0 .LBB23_2096
; %bb.2094:
	global_load_b64 v[20:21], v[14:15], off
	s_mov_b32 s13, 0
	s_wait_loadcnt 0x0
	v_cvt_i32_f64_e32 v3, v[20:21]
	s_branch .LBB23_2097
.LBB23_2095:
	s_mov_b32 s13, -1
                                        ; implicit-def: $vgpr3
	s_branch .LBB23_2100
.LBB23_2096:
	s_mov_b32 s13, -1
                                        ; implicit-def: $vgpr3
.LBB23_2097:
	s_delay_alu instid0(SALU_CYCLE_1)
	s_and_not1_b32 vcc_lo, exec_lo, s13
	s_cbranch_vccnz .LBB23_2099
; %bb.2098:
	s_wait_loadcnt 0x0
	global_load_b32 v3, v[14:15], off
	s_wait_loadcnt 0x0
	v_cvt_i32_f32_e32 v3, v3
.LBB23_2099:
	s_mov_b32 s13, 0
.LBB23_2100:
	s_delay_alu instid0(SALU_CYCLE_1)
	s_and_not1_b32 vcc_lo, exec_lo, s13
	s_cbranch_vccnz .LBB23_2102
; %bb.2101:
	s_wait_loadcnt 0x0
	global_load_u16 v3, v[14:15], off
	s_wait_loadcnt 0x0
	v_cvt_f32_f16_e32 v3, v3
	s_delay_alu instid0(VALU_DEP_1)
	v_cvt_i32_f32_e32 v3, v3
.LBB23_2102:
	s_mov_b32 s13, 0
.LBB23_2103:
	s_delay_alu instid0(SALU_CYCLE_1)
	s_and_not1_b32 vcc_lo, exec_lo, s13
	s_cbranch_vccnz .LBB23_2123
; %bb.2104:
	s_cmp_lt_i32 s12, 2
	s_cbranch_scc1 .LBB23_2108
; %bb.2105:
	s_cmp_lt_i32 s12, 3
	s_cbranch_scc1 .LBB23_2109
; %bb.2106:
	s_cmp_gt_i32 s12, 3
	s_cbranch_scc0 .LBB23_2110
; %bb.2107:
	s_wait_loadcnt 0x0
	global_load_b32 v3, v[14:15], off
	s_mov_b32 s13, 0
	s_branch .LBB23_2111
.LBB23_2108:
	s_mov_b32 s13, -1
                                        ; implicit-def: $vgpr3
	s_branch .LBB23_2117
.LBB23_2109:
	s_mov_b32 s13, -1
                                        ; implicit-def: $vgpr3
	s_branch .LBB23_2114
.LBB23_2110:
	s_mov_b32 s13, -1
                                        ; implicit-def: $vgpr3
.LBB23_2111:
	s_delay_alu instid0(SALU_CYCLE_1)
	s_and_not1_b32 vcc_lo, exec_lo, s13
	s_cbranch_vccnz .LBB23_2113
; %bb.2112:
	s_wait_loadcnt 0x0
	global_load_b32 v3, v[14:15], off
.LBB23_2113:
	s_mov_b32 s13, 0
.LBB23_2114:
	s_delay_alu instid0(SALU_CYCLE_1)
	s_and_not1_b32 vcc_lo, exec_lo, s13
	s_cbranch_vccnz .LBB23_2116
; %bb.2115:
	s_wait_loadcnt 0x0
	global_load_i16 v3, v[14:15], off
.LBB23_2116:
	s_mov_b32 s13, 0
.LBB23_2117:
	s_delay_alu instid0(SALU_CYCLE_1)
	s_and_not1_b32 vcc_lo, exec_lo, s13
	s_cbranch_vccnz .LBB23_2123
; %bb.2118:
	s_cmp_gt_i32 s12, 0
	s_mov_b32 s13, 0
	s_cbranch_scc0 .LBB23_2120
; %bb.2119:
	s_wait_loadcnt 0x0
	global_load_i8 v3, v[14:15], off
	s_branch .LBB23_2121
.LBB23_2120:
	s_mov_b32 s13, -1
                                        ; implicit-def: $vgpr3
.LBB23_2121:
	s_delay_alu instid0(SALU_CYCLE_1)
	s_and_not1_b32 vcc_lo, exec_lo, s13
	s_cbranch_vccnz .LBB23_2123
; %bb.2122:
	s_wait_loadcnt 0x0
	global_load_u8 v3, v[14:15], off
.LBB23_2123:
	s_mov_b32 s15, -1
.LBB23_2124:
	s_delay_alu instid0(SALU_CYCLE_1)
	s_and_not1_b32 vcc_lo, exec_lo, s15
	s_cbranch_vccnz .LBB23_2725
; %bb.2125:
	s_wait_loadcnt 0x0
	s_delay_alu instid0(VALU_DEP_1) | instskip(SKIP_3) | instid1(VALU_DEP_1)
	v_sub_nc_u32_e32 v5, 0, v3
	s_mov_b32 s14, 0
	s_mov_b32 s13, exec_lo
	s_wait_xcnt 0x0
	v_max_i32_e32 v14, v3, v5
	v_cmpx_ne_u32_e32 0, v1
	s_cbranch_execz .LBB23_2129
; %bb.2126:
	v_sub_nc_u32_e32 v3, 0, v1
	s_delay_alu instid0(VALU_DEP_1)
	v_max_i32_e32 v3, v1, v3
.LBB23_2127:                            ; =>This Inner Loop Header: Depth=1
	s_delay_alu instid0(VALU_DEP_1) | instskip(NEXT) | instid1(VALU_DEP_1)
	v_mov_b32_e32 v1, v3
	v_cvt_f32_u32_e32 v3, v1
	v_sub_nc_u32_e32 v5, 0, v1
	s_delay_alu instid0(VALU_DEP_2) | instskip(SKIP_1) | instid1(TRANS32_DEP_1)
	v_rcp_iflag_f32_e32 v3, v3
	v_nop
	v_mul_f32_e32 v3, 0x4f7ffffe, v3
	s_delay_alu instid0(VALU_DEP_1) | instskip(NEXT) | instid1(VALU_DEP_1)
	v_cvt_u32_f32_e32 v3, v3
	v_mul_lo_u32 v5, v5, v3
	s_delay_alu instid0(VALU_DEP_1) | instskip(NEXT) | instid1(VALU_DEP_1)
	v_mul_hi_u32 v5, v3, v5
	v_add_nc_u32_e32 v3, v3, v5
	s_delay_alu instid0(VALU_DEP_1) | instskip(NEXT) | instid1(VALU_DEP_1)
	v_mul_hi_u32 v3, v14, v3
	v_mul_lo_u32 v3, v3, v1
	s_delay_alu instid0(VALU_DEP_1) | instskip(NEXT) | instid1(VALU_DEP_1)
	v_dual_mov_b32 v14, v1 :: v_dual_sub_nc_u32 v3, v14, v3
	v_sub_nc_u32_e32 v5, v3, v1
	v_cmp_ge_u32_e32 vcc_lo, v3, v1
	s_delay_alu instid0(VALU_DEP_2) | instskip(NEXT) | instid1(VALU_DEP_1)
	v_cndmask_b32_e32 v3, v3, v5, vcc_lo
	v_sub_nc_u32_e32 v5, v3, v1
	v_cmp_ge_u32_e32 vcc_lo, v3, v1
	s_delay_alu instid0(VALU_DEP_2) | instskip(NEXT) | instid1(VALU_DEP_1)
	v_cndmask_b32_e32 v3, v3, v5, vcc_lo
	v_cmp_eq_u32_e32 vcc_lo, 0, v3
	s_or_b32 s14, vcc_lo, s14
	s_delay_alu instid0(SALU_CYCLE_1)
	s_and_not1_b32 exec_lo, exec_lo, s14
	s_cbranch_execnz .LBB23_2127
; %bb.2128:
	s_or_b32 exec_lo, exec_lo, s14
	v_mov_b32_e32 v14, v1
.LBB23_2129:
	s_or_b32 exec_lo, exec_lo, s13
	v_mov_b32_e32 v19, 0
	s_cmp_lt_i32 s11, 11
	s_delay_alu instid0(VALU_DEP_1)
	v_add_nc_u64_e32 v[18:19], s[6:7], v[18:19]
	s_cbranch_scc1 .LBB23_2136
; %bb.2130:
	s_cmp_gt_i32 s11, 25
	s_mov_b32 s14, 0
	s_cbranch_scc0 .LBB23_2137
; %bb.2131:
	s_cmp_gt_i32 s11, 28
	s_cbranch_scc0 .LBB23_2138
; %bb.2132:
	s_cmp_gt_i32 s11, 43
	;; [unrolled: 3-line block ×3, first 2 shown]
	s_cbranch_scc0 .LBB23_2141
; %bb.2134:
	s_cmp_eq_u32 s11, 46
	s_mov_b32 s16, 0
	s_cbranch_scc0 .LBB23_2142
; %bb.2135:
	global_load_b32 v1, v[18:19], off
	s_mov_b32 s13, 0
	s_mov_b32 s15, -1
	s_wait_loadcnt 0x0
	v_lshlrev_b32_e32 v1, 16, v1
	s_delay_alu instid0(VALU_DEP_1)
	v_cvt_i32_f32_e32 v1, v1
	s_branch .LBB23_2144
.LBB23_2136:
	s_mov_b32 s13, -1
	s_mov_b32 s15, 0
                                        ; implicit-def: $vgpr1
	s_branch .LBB23_2206
.LBB23_2137:
	s_mov_b32 s16, -1
	s_mov_b32 s15, 0
	s_mov_b32 s13, 0
                                        ; implicit-def: $vgpr1
	s_branch .LBB23_2171
.LBB23_2138:
	s_mov_b32 s16, -1
	s_mov_b32 s15, 0
	s_mov_b32 s13, 0
                                        ; implicit-def: $vgpr1
	s_branch .LBB23_2154
.LBB23_2139:
	s_mov_b32 s16, -1
	s_mov_b32 s15, 0
	s_mov_b32 s13, 0
                                        ; implicit-def: $vgpr1
	s_branch .LBB23_2149
.LBB23_2140:
	s_or_b32 s10, s10, exec_lo
	s_trap 2
	s_cbranch_execz .LBB23_2073
	s_branch .LBB23_2074
.LBB23_2141:
	s_mov_b32 s16, -1
	s_mov_b32 s15, 0
	s_mov_b32 s13, 0
	s_branch .LBB23_2143
.LBB23_2142:
	s_mov_b32 s13, -1
	s_mov_b32 s15, 0
.LBB23_2143:
                                        ; implicit-def: $vgpr1
.LBB23_2144:
	s_and_b32 vcc_lo, exec_lo, s16
	s_cbranch_vccz .LBB23_2148
; %bb.2145:
	s_cmp_eq_u32 s11, 44
	s_cbranch_scc0 .LBB23_2147
; %bb.2146:
	global_load_u8 v1, v[18:19], off
	s_mov_b32 s13, 0
	s_mov_b32 s15, -1
	s_wait_loadcnt 0x0
	v_lshlrev_b32_e32 v3, 23, v1
	v_cmp_ne_u32_e32 vcc_lo, 0, v1
	s_delay_alu instid0(VALU_DEP_2) | instskip(NEXT) | instid1(VALU_DEP_1)
	v_cvt_i32_f32_e32 v3, v3
	v_cndmask_b32_e32 v1, 0, v3, vcc_lo
	s_branch .LBB23_2148
.LBB23_2147:
	s_mov_b32 s13, -1
                                        ; implicit-def: $vgpr1
.LBB23_2148:
	s_mov_b32 s16, 0
.LBB23_2149:
	s_delay_alu instid0(SALU_CYCLE_1)
	s_and_b32 vcc_lo, exec_lo, s16
	s_cbranch_vccz .LBB23_2153
; %bb.2150:
	s_cmp_eq_u32 s11, 29
	s_cbranch_scc0 .LBB23_2152
; %bb.2151:
	global_load_b32 v1, v[18:19], off
	s_mov_b32 s13, 0
	s_mov_b32 s15, -1
	s_branch .LBB23_2153
.LBB23_2152:
	s_mov_b32 s13, -1
                                        ; implicit-def: $vgpr1
.LBB23_2153:
	s_mov_b32 s16, 0
.LBB23_2154:
	s_delay_alu instid0(SALU_CYCLE_1)
	s_and_b32 vcc_lo, exec_lo, s16
	s_cbranch_vccz .LBB23_2170
; %bb.2155:
	s_cmp_lt_i32 s11, 27
	s_cbranch_scc1 .LBB23_2158
; %bb.2156:
	s_cmp_gt_i32 s11, 27
	s_cbranch_scc0 .LBB23_2159
; %bb.2157:
	s_wait_loadcnt 0x0
	global_load_b32 v1, v[18:19], off
	s_mov_b32 s15, 0
	s_branch .LBB23_2160
.LBB23_2158:
	s_mov_b32 s15, -1
                                        ; implicit-def: $vgpr1
	s_branch .LBB23_2163
.LBB23_2159:
	s_mov_b32 s15, -1
                                        ; implicit-def: $vgpr1
.LBB23_2160:
	s_delay_alu instid0(SALU_CYCLE_1)
	s_and_not1_b32 vcc_lo, exec_lo, s15
	s_cbranch_vccnz .LBB23_2162
; %bb.2161:
	s_wait_loadcnt 0x0
	global_load_u16 v1, v[18:19], off
.LBB23_2162:
	s_mov_b32 s15, 0
.LBB23_2163:
	s_delay_alu instid0(SALU_CYCLE_1)
	s_and_not1_b32 vcc_lo, exec_lo, s15
	s_cbranch_vccnz .LBB23_2169
; %bb.2164:
	global_load_u8 v3, v[18:19], off
	s_mov_b32 s16, 0
	s_mov_b32 s15, exec_lo
	s_wait_loadcnt 0x0
	v_cmpx_lt_i16_e32 0x7f, v3
	s_xor_b32 s15, exec_lo, s15
	s_cbranch_execz .LBB23_2181
; %bb.2165:
	v_cmp_ne_u16_e32 vcc_lo, 0x80, v3
	s_and_b32 s16, vcc_lo, exec_lo
	s_and_not1_saveexec_b32 s15, s15
	s_cbranch_execnz .LBB23_2182
.LBB23_2166:
	s_or_b32 exec_lo, exec_lo, s15
	v_mov_b32_e32 v1, 0
	s_and_saveexec_b32 s15, s16
	s_cbranch_execz .LBB23_2168
.LBB23_2167:
	v_and_b32_e32 v1, 0xffff, v3
	s_delay_alu instid0(VALU_DEP_1) | instskip(SKIP_1) | instid1(VALU_DEP_2)
	v_and_b32_e32 v5, 7, v1
	v_bfe_u32 v11, v1, 3, 4
	v_clz_i32_u32_e32 v7, v5
	s_delay_alu instid0(VALU_DEP_2) | instskip(NEXT) | instid1(VALU_DEP_2)
	v_cmp_eq_u32_e32 vcc_lo, 0, v11
	v_min_u32_e32 v7, 32, v7
	s_delay_alu instid0(VALU_DEP_1) | instskip(NEXT) | instid1(VALU_DEP_1)
	v_subrev_nc_u32_e32 v9, 28, v7
	v_dual_lshlrev_b32 v1, v9, v1 :: v_dual_sub_nc_u32 v7, 29, v7
	s_delay_alu instid0(VALU_DEP_1) | instskip(NEXT) | instid1(VALU_DEP_1)
	v_dual_lshlrev_b32 v3, 24, v3 :: v_dual_bitop2_b32 v1, 7, v1 bitop3:0x40
	v_dual_cndmask_b32 v1, v5, v1, vcc_lo :: v_dual_cndmask_b32 v7, v11, v7, vcc_lo
	s_delay_alu instid0(VALU_DEP_2) | instskip(NEXT) | instid1(VALU_DEP_2)
	v_and_b32_e32 v3, 0x80000000, v3
	v_lshlrev_b32_e32 v1, 20, v1
	s_delay_alu instid0(VALU_DEP_3) | instskip(NEXT) | instid1(VALU_DEP_1)
	v_lshl_add_u32 v5, v7, 23, 0x3b800000
	v_or3_b32 v1, v3, v5, v1
	s_delay_alu instid0(VALU_DEP_1)
	v_cvt_i32_f32_e32 v1, v1
.LBB23_2168:
	s_or_b32 exec_lo, exec_lo, s15
.LBB23_2169:
	s_mov_b32 s15, -1
.LBB23_2170:
	s_mov_b32 s16, 0
.LBB23_2171:
	s_delay_alu instid0(SALU_CYCLE_1)
	s_and_b32 vcc_lo, exec_lo, s16
	s_cbranch_vccz .LBB23_2202
; %bb.2172:
	s_cmp_gt_i32 s11, 22
	s_cbranch_scc0 .LBB23_2180
; %bb.2173:
	s_cmp_lt_i32 s11, 24
	s_cbranch_scc1 .LBB23_2183
; %bb.2174:
	s_cmp_gt_i32 s11, 24
	s_cbranch_scc0 .LBB23_2184
; %bb.2175:
	global_load_u8 v3, v[18:19], off
	s_mov_b32 s15, 0
	s_mov_b32 s14, exec_lo
	s_wait_loadcnt 0x0
	v_cmpx_lt_i16_e32 0x7f, v3
	s_xor_b32 s14, exec_lo, s14
	s_cbranch_execz .LBB23_2196
; %bb.2176:
	v_cmp_ne_u16_e32 vcc_lo, 0x80, v3
	s_and_b32 s15, vcc_lo, exec_lo
	s_and_not1_saveexec_b32 s14, s14
	s_cbranch_execnz .LBB23_2197
.LBB23_2177:
	s_or_b32 exec_lo, exec_lo, s14
	v_mov_b32_e32 v1, 0
	s_and_saveexec_b32 s14, s15
	s_cbranch_execz .LBB23_2179
.LBB23_2178:
	v_and_b32_e32 v1, 0xffff, v3
	s_delay_alu instid0(VALU_DEP_1) | instskip(SKIP_1) | instid1(VALU_DEP_2)
	v_and_b32_e32 v5, 3, v1
	v_bfe_u32 v11, v1, 2, 5
	v_clz_i32_u32_e32 v7, v5
	s_delay_alu instid0(VALU_DEP_2) | instskip(NEXT) | instid1(VALU_DEP_2)
	v_cmp_eq_u32_e32 vcc_lo, 0, v11
	v_min_u32_e32 v7, 32, v7
	s_delay_alu instid0(VALU_DEP_1) | instskip(NEXT) | instid1(VALU_DEP_1)
	v_subrev_nc_u32_e32 v9, 29, v7
	v_dual_lshlrev_b32 v1, v9, v1 :: v_dual_sub_nc_u32 v7, 30, v7
	s_delay_alu instid0(VALU_DEP_1) | instskip(NEXT) | instid1(VALU_DEP_1)
	v_dual_lshlrev_b32 v3, 24, v3 :: v_dual_bitop2_b32 v1, 3, v1 bitop3:0x40
	v_dual_cndmask_b32 v1, v5, v1, vcc_lo :: v_dual_cndmask_b32 v7, v11, v7, vcc_lo
	s_delay_alu instid0(VALU_DEP_2) | instskip(NEXT) | instid1(VALU_DEP_2)
	v_and_b32_e32 v3, 0x80000000, v3
	v_lshlrev_b32_e32 v1, 21, v1
	s_delay_alu instid0(VALU_DEP_3) | instskip(NEXT) | instid1(VALU_DEP_1)
	v_lshl_add_u32 v5, v7, 23, 0x37800000
	v_or3_b32 v1, v3, v5, v1
	s_delay_alu instid0(VALU_DEP_1)
	v_cvt_i32_f32_e32 v1, v1
.LBB23_2179:
	s_or_b32 exec_lo, exec_lo, s14
	s_mov_b32 s14, 0
	s_branch .LBB23_2185
.LBB23_2180:
	s_mov_b32 s14, -1
                                        ; implicit-def: $vgpr1
	s_branch .LBB23_2191
.LBB23_2181:
	s_and_not1_saveexec_b32 s15, s15
	s_cbranch_execz .LBB23_2166
.LBB23_2182:
	v_cmp_ne_u16_e32 vcc_lo, 0, v3
	s_and_not1_b32 s16, s16, exec_lo
	s_and_b32 s17, vcc_lo, exec_lo
	s_delay_alu instid0(SALU_CYCLE_1)
	s_or_b32 s16, s16, s17
	s_or_b32 exec_lo, exec_lo, s15
	v_mov_b32_e32 v1, 0
	s_and_saveexec_b32 s15, s16
	s_cbranch_execnz .LBB23_2167
	s_branch .LBB23_2168
.LBB23_2183:
	s_mov_b32 s14, -1
                                        ; implicit-def: $vgpr1
	s_branch .LBB23_2188
.LBB23_2184:
	s_mov_b32 s14, -1
                                        ; implicit-def: $vgpr1
.LBB23_2185:
	s_delay_alu instid0(SALU_CYCLE_1)
	s_and_b32 vcc_lo, exec_lo, s14
	s_cbranch_vccz .LBB23_2187
; %bb.2186:
	s_wait_loadcnt 0x0
	global_load_u8 v1, v[18:19], off
	s_wait_loadcnt 0x0
	v_lshlrev_b32_e32 v1, 24, v1
	s_delay_alu instid0(VALU_DEP_1) | instskip(NEXT) | instid1(VALU_DEP_1)
	v_and_b32_e32 v3, 0x7f000000, v1
	v_clz_i32_u32_e32 v5, v3
	v_add_nc_u32_e32 v9, 0x1000000, v3
	v_cmp_ne_u32_e32 vcc_lo, 0, v3
	s_delay_alu instid0(VALU_DEP_3) | instskip(NEXT) | instid1(VALU_DEP_1)
	v_min_u32_e32 v5, 32, v5
	v_sub_nc_u32_e64 v5, v5, 4 clamp
	s_delay_alu instid0(VALU_DEP_1) | instskip(NEXT) | instid1(VALU_DEP_1)
	v_dual_lshlrev_b32 v7, v5, v3 :: v_dual_lshlrev_b32 v5, 23, v5
	v_lshrrev_b32_e32 v7, 4, v7
	s_delay_alu instid0(VALU_DEP_1) | instskip(SKIP_1) | instid1(VALU_DEP_2)
	v_sub_nc_u32_e32 v5, v7, v5
	v_ashrrev_i32_e32 v7, 8, v9
	v_add_nc_u32_e32 v5, 0x3c000000, v5
	s_delay_alu instid0(VALU_DEP_1) | instskip(NEXT) | instid1(VALU_DEP_1)
	v_and_or_b32 v5, 0x7f800000, v7, v5
	v_cndmask_b32_e32 v3, 0, v5, vcc_lo
	s_delay_alu instid0(VALU_DEP_1) | instskip(NEXT) | instid1(VALU_DEP_1)
	v_and_or_b32 v1, 0x80000000, v1, v3
	v_cvt_i32_f32_e32 v1, v1
.LBB23_2187:
	s_mov_b32 s14, 0
.LBB23_2188:
	s_delay_alu instid0(SALU_CYCLE_1)
	s_and_not1_b32 vcc_lo, exec_lo, s14
	s_cbranch_vccnz .LBB23_2190
; %bb.2189:
	s_wait_loadcnt 0x0
	global_load_u8 v1, v[18:19], off
	s_wait_loadcnt 0x0
	v_lshlrev_b32_e32 v3, 25, v1
	v_lshlrev_b16 v1, 8, v1
	s_delay_alu instid0(VALU_DEP_1) | instskip(SKIP_1) | instid1(VALU_DEP_2)
	v_and_or_b32 v7, 0x7f00, v1, 0.5
	v_bfe_i32 v1, v1, 0, 16
	v_add_f32_e32 v7, -0.5, v7
	v_lshrrev_b32_e32 v5, 4, v3
	v_cmp_gt_u32_e32 vcc_lo, 0x8000000, v3
	s_delay_alu instid0(VALU_DEP_2) | instskip(NEXT) | instid1(VALU_DEP_1)
	v_or_b32_e32 v5, 0x70000000, v5
	v_mul_f32_e32 v5, 0x7800000, v5
	s_delay_alu instid0(VALU_DEP_1) | instskip(NEXT) | instid1(VALU_DEP_1)
	v_cndmask_b32_e32 v3, v5, v7, vcc_lo
	v_and_or_b32 v1, 0x80000000, v1, v3
	s_delay_alu instid0(VALU_DEP_1)
	v_cvt_i32_f32_e32 v1, v1
.LBB23_2190:
	s_mov_b32 s14, 0
	s_mov_b32 s15, -1
.LBB23_2191:
	s_and_not1_b32 vcc_lo, exec_lo, s14
	s_mov_b32 s14, 0
	s_cbranch_vccnz .LBB23_2202
; %bb.2192:
	s_cmp_gt_i32 s11, 14
	s_cbranch_scc0 .LBB23_2195
; %bb.2193:
	s_cmp_eq_u32 s11, 15
	s_cbranch_scc0 .LBB23_2198
; %bb.2194:
	s_wait_loadcnt 0x0
	global_load_u16 v1, v[18:19], off
	s_mov_b32 s13, 0
	s_mov_b32 s15, -1
	s_wait_loadcnt 0x0
	v_lshlrev_b32_e32 v1, 16, v1
	s_delay_alu instid0(VALU_DEP_1)
	v_cvt_i32_f32_e32 v1, v1
	s_branch .LBB23_2200
.LBB23_2195:
	s_mov_b32 s14, -1
	s_branch .LBB23_2199
.LBB23_2196:
	s_and_not1_saveexec_b32 s14, s14
	s_cbranch_execz .LBB23_2177
.LBB23_2197:
	v_cmp_ne_u16_e32 vcc_lo, 0, v3
	s_and_not1_b32 s15, s15, exec_lo
	s_and_b32 s16, vcc_lo, exec_lo
	s_delay_alu instid0(SALU_CYCLE_1)
	s_or_b32 s15, s15, s16
	s_or_b32 exec_lo, exec_lo, s14
	v_mov_b32_e32 v1, 0
	s_and_saveexec_b32 s14, s15
	s_cbranch_execnz .LBB23_2178
	s_branch .LBB23_2179
.LBB23_2198:
	s_mov_b32 s13, -1
.LBB23_2199:
                                        ; implicit-def: $vgpr1
.LBB23_2200:
	s_and_b32 vcc_lo, exec_lo, s14
	s_mov_b32 s14, 0
	s_cbranch_vccz .LBB23_2202
; %bb.2201:
	s_cmp_lg_u32 s11, 11
	s_mov_b32 s14, -1
	s_cselect_b32 s13, -1, 0
.LBB23_2202:
	s_delay_alu instid0(SALU_CYCLE_1)
	s_and_b32 vcc_lo, exec_lo, s13
	s_cbranch_vccnz .LBB23_2267
; %bb.2203:
	s_and_not1_b32 vcc_lo, exec_lo, s14
	s_cbranch_vccnz .LBB23_2205
.LBB23_2204:
	s_wait_loadcnt 0x0
	global_load_u8 v1, v[18:19], off
	s_mov_b32 s15, -1
	s_wait_loadcnt 0x0
	v_cmp_ne_u16_e32 vcc_lo, 0, v1
	v_cndmask_b32_e64 v1, 0, 1, vcc_lo
.LBB23_2205:
	s_mov_b32 s13, 0
.LBB23_2206:
	s_delay_alu instid0(SALU_CYCLE_1)
	s_and_b32 vcc_lo, exec_lo, s13
	s_cbranch_vccz .LBB23_2255
; %bb.2207:
	s_cmp_lt_i32 s11, 5
	s_cbranch_scc1 .LBB23_2212
; %bb.2208:
	s_cmp_lt_i32 s11, 8
	s_cbranch_scc1 .LBB23_2213
	;; [unrolled: 3-line block ×3, first 2 shown]
; %bb.2210:
	s_cmp_gt_i32 s11, 9
	s_cbranch_scc0 .LBB23_2215
; %bb.2211:
	global_load_b64 v[20:21], v[18:19], off
	s_mov_b32 s13, 0
	s_wait_loadcnt 0x0
	v_cvt_i32_f64_e32 v1, v[20:21]
	s_branch .LBB23_2216
.LBB23_2212:
	s_mov_b32 s13, -1
                                        ; implicit-def: $vgpr1
	s_branch .LBB23_2234
.LBB23_2213:
	s_mov_b32 s13, -1
                                        ; implicit-def: $vgpr1
	s_branch .LBB23_2222
.LBB23_2214:
	s_mov_b32 s13, -1
                                        ; implicit-def: $vgpr1
	s_branch .LBB23_2219
.LBB23_2215:
	s_mov_b32 s13, -1
                                        ; implicit-def: $vgpr1
.LBB23_2216:
	s_delay_alu instid0(SALU_CYCLE_1)
	s_and_not1_b32 vcc_lo, exec_lo, s13
	s_cbranch_vccnz .LBB23_2218
; %bb.2217:
	s_wait_loadcnt 0x0
	global_load_b32 v1, v[18:19], off
	s_wait_loadcnt 0x0
	v_cvt_i32_f32_e32 v1, v1
.LBB23_2218:
	s_mov_b32 s13, 0
.LBB23_2219:
	s_delay_alu instid0(SALU_CYCLE_1)
	s_and_not1_b32 vcc_lo, exec_lo, s13
	s_cbranch_vccnz .LBB23_2221
; %bb.2220:
	s_wait_loadcnt 0x0
	global_load_b32 v1, v[18:19], off
	s_wait_loadcnt 0x0
	v_cvt_f32_f16_e32 v1, v1
	s_delay_alu instid0(VALU_DEP_1)
	v_cvt_i32_f32_e32 v1, v1
.LBB23_2221:
	s_mov_b32 s13, 0
.LBB23_2222:
	s_delay_alu instid0(SALU_CYCLE_1)
	s_and_not1_b32 vcc_lo, exec_lo, s13
	s_cbranch_vccnz .LBB23_2233
; %bb.2223:
	s_cmp_lt_i32 s11, 6
	s_cbranch_scc1 .LBB23_2226
; %bb.2224:
	s_cmp_gt_i32 s11, 6
	s_cbranch_scc0 .LBB23_2227
; %bb.2225:
	global_load_b64 v[20:21], v[18:19], off
	s_mov_b32 s13, 0
	s_wait_loadcnt 0x0
	v_cvt_i32_f64_e32 v1, v[20:21]
	s_branch .LBB23_2228
.LBB23_2226:
	s_mov_b32 s13, -1
                                        ; implicit-def: $vgpr1
	s_branch .LBB23_2231
.LBB23_2227:
	s_mov_b32 s13, -1
                                        ; implicit-def: $vgpr1
.LBB23_2228:
	s_delay_alu instid0(SALU_CYCLE_1)
	s_and_not1_b32 vcc_lo, exec_lo, s13
	s_cbranch_vccnz .LBB23_2230
; %bb.2229:
	s_wait_loadcnt 0x0
	global_load_b32 v1, v[18:19], off
	s_wait_loadcnt 0x0
	v_cvt_i32_f32_e32 v1, v1
.LBB23_2230:
	s_mov_b32 s13, 0
.LBB23_2231:
	s_delay_alu instid0(SALU_CYCLE_1)
	s_and_not1_b32 vcc_lo, exec_lo, s13
	s_cbranch_vccnz .LBB23_2233
; %bb.2232:
	s_wait_loadcnt 0x0
	global_load_u16 v1, v[18:19], off
	s_wait_loadcnt 0x0
	v_cvt_f32_f16_e32 v1, v1
	s_delay_alu instid0(VALU_DEP_1)
	v_cvt_i32_f32_e32 v1, v1
.LBB23_2233:
	s_mov_b32 s13, 0
.LBB23_2234:
	s_delay_alu instid0(SALU_CYCLE_1)
	s_and_not1_b32 vcc_lo, exec_lo, s13
	s_cbranch_vccnz .LBB23_2254
; %bb.2235:
	s_cmp_lt_i32 s11, 2
	s_cbranch_scc1 .LBB23_2239
; %bb.2236:
	s_cmp_lt_i32 s11, 3
	s_cbranch_scc1 .LBB23_2240
; %bb.2237:
	s_cmp_gt_i32 s11, 3
	s_cbranch_scc0 .LBB23_2241
; %bb.2238:
	s_wait_loadcnt 0x0
	global_load_b32 v1, v[18:19], off
	s_mov_b32 s13, 0
	s_branch .LBB23_2242
.LBB23_2239:
	s_mov_b32 s13, -1
                                        ; implicit-def: $vgpr1
	s_branch .LBB23_2248
.LBB23_2240:
	s_mov_b32 s13, -1
                                        ; implicit-def: $vgpr1
	s_branch .LBB23_2245
.LBB23_2241:
	s_mov_b32 s13, -1
                                        ; implicit-def: $vgpr1
.LBB23_2242:
	s_delay_alu instid0(SALU_CYCLE_1)
	s_and_not1_b32 vcc_lo, exec_lo, s13
	s_cbranch_vccnz .LBB23_2244
; %bb.2243:
	s_wait_loadcnt 0x0
	global_load_b32 v1, v[18:19], off
.LBB23_2244:
	s_mov_b32 s13, 0
.LBB23_2245:
	s_delay_alu instid0(SALU_CYCLE_1)
	s_and_not1_b32 vcc_lo, exec_lo, s13
	s_cbranch_vccnz .LBB23_2247
; %bb.2246:
	s_wait_loadcnt 0x0
	global_load_i16 v1, v[18:19], off
.LBB23_2247:
	s_mov_b32 s13, 0
.LBB23_2248:
	s_delay_alu instid0(SALU_CYCLE_1)
	s_and_not1_b32 vcc_lo, exec_lo, s13
	s_cbranch_vccnz .LBB23_2254
; %bb.2249:
	s_cmp_gt_i32 s11, 0
	s_mov_b32 s13, 0
	s_cbranch_scc0 .LBB23_2251
; %bb.2250:
	s_wait_loadcnt 0x0
	global_load_i8 v1, v[18:19], off
	s_branch .LBB23_2252
.LBB23_2251:
	s_mov_b32 s13, -1
                                        ; implicit-def: $vgpr1
.LBB23_2252:
	s_delay_alu instid0(SALU_CYCLE_1)
	s_and_not1_b32 vcc_lo, exec_lo, s13
	s_cbranch_vccnz .LBB23_2254
; %bb.2253:
	s_wait_loadcnt 0x0
	global_load_u8 v1, v[18:19], off
.LBB23_2254:
	s_mov_b32 s15, -1
.LBB23_2255:
	s_delay_alu instid0(SALU_CYCLE_1)
	s_and_not1_b32 vcc_lo, exec_lo, s15
	s_cbranch_vccnz .LBB23_2725
; %bb.2256:
	v_mov_b32_e32 v17, 0
	s_cmp_lt_i32 s12, 11
	s_delay_alu instid0(VALU_DEP_1)
	v_add_nc_u64_e32 v[16:17], s[0:1], v[16:17]
	s_cbranch_scc1 .LBB23_2263
; %bb.2257:
	s_cmp_gt_i32 s12, 25
	s_mov_b32 s14, 0
	s_cbranch_scc0 .LBB23_2264
; %bb.2258:
	s_cmp_gt_i32 s12, 28
	s_cbranch_scc0 .LBB23_2265
; %bb.2259:
	s_cmp_gt_i32 s12, 43
	;; [unrolled: 3-line block ×3, first 2 shown]
	s_cbranch_scc0 .LBB23_2268
; %bb.2261:
	s_cmp_eq_u32 s12, 46
	s_mov_b32 s16, 0
	s_cbranch_scc0 .LBB23_2271
; %bb.2262:
	global_load_b32 v3, v[16:17], off
	s_mov_b32 s13, 0
	s_mov_b32 s15, -1
	s_wait_loadcnt 0x0
	v_lshlrev_b32_e32 v3, 16, v3
	s_delay_alu instid0(VALU_DEP_1)
	v_cvt_i32_f32_e32 v3, v3
	s_branch .LBB23_2273
.LBB23_2263:
	s_mov_b32 s13, -1
	s_mov_b32 s15, 0
                                        ; implicit-def: $vgpr3
	s_branch .LBB23_2335
.LBB23_2264:
	s_mov_b32 s16, -1
	s_mov_b32 s15, 0
	s_mov_b32 s13, 0
                                        ; implicit-def: $vgpr3
	s_branch .LBB23_2300
.LBB23_2265:
	s_mov_b32 s16, -1
	s_mov_b32 s15, 0
	s_mov_b32 s13, 0
                                        ; implicit-def: $vgpr3
	s_branch .LBB23_2283
.LBB23_2266:
	s_mov_b32 s16, -1
	s_mov_b32 s15, 0
	s_mov_b32 s13, 0
                                        ; implicit-def: $vgpr3
	s_branch .LBB23_2278
.LBB23_2267:
	s_or_b32 s10, s10, exec_lo
	s_trap 2
	s_cbranch_execz .LBB23_2204
	s_branch .LBB23_2205
.LBB23_2268:
	s_mov_b32 s16, -1
	s_mov_b32 s15, 0
	s_mov_b32 s13, 0
	s_branch .LBB23_2272
.LBB23_2269:
	s_and_not1_saveexec_b32 s51, s51
	s_cbranch_execz .LBB23_1109
.LBB23_2270:
	v_add_f32_e32 v1, 0x42800000, v5
	s_and_not1_b32 s50, s50, exec_lo
	s_delay_alu instid0(VALU_DEP_1) | instskip(NEXT) | instid1(VALU_DEP_1)
	v_and_b32_e32 v1, 0xff, v1
	v_cmp_ne_u32_e32 vcc_lo, 0, v1
	s_and_b32 s52, vcc_lo, exec_lo
	s_delay_alu instid0(SALU_CYCLE_1)
	s_or_b32 s50, s50, s52
	s_or_b32 exec_lo, exec_lo, s51
	v_mov_b32_e32 v6, 0
	s_and_saveexec_b32 s51, s50
	s_cbranch_execnz .LBB23_1110
	s_branch .LBB23_1111
.LBB23_2271:
	s_mov_b32 s13, -1
	s_mov_b32 s15, 0
.LBB23_2272:
                                        ; implicit-def: $vgpr3
.LBB23_2273:
	s_and_b32 vcc_lo, exec_lo, s16
	s_cbranch_vccz .LBB23_2277
; %bb.2274:
	s_cmp_eq_u32 s12, 44
	s_cbranch_scc0 .LBB23_2276
; %bb.2275:
	global_load_u8 v3, v[16:17], off
	s_mov_b32 s13, 0
	s_mov_b32 s15, -1
	s_wait_loadcnt 0x0
	v_lshlrev_b32_e32 v5, 23, v3
	v_cmp_ne_u32_e32 vcc_lo, 0, v3
	s_delay_alu instid0(VALU_DEP_2) | instskip(NEXT) | instid1(VALU_DEP_1)
	v_cvt_i32_f32_e32 v5, v5
	v_cndmask_b32_e32 v3, 0, v5, vcc_lo
	s_branch .LBB23_2277
.LBB23_2276:
	s_mov_b32 s13, -1
                                        ; implicit-def: $vgpr3
.LBB23_2277:
	s_mov_b32 s16, 0
.LBB23_2278:
	s_delay_alu instid0(SALU_CYCLE_1)
	s_and_b32 vcc_lo, exec_lo, s16
	s_cbranch_vccz .LBB23_2282
; %bb.2279:
	s_cmp_eq_u32 s12, 29
	s_cbranch_scc0 .LBB23_2281
; %bb.2280:
	global_load_b32 v3, v[16:17], off
	s_mov_b32 s13, 0
	s_mov_b32 s15, -1
	s_branch .LBB23_2282
.LBB23_2281:
	s_mov_b32 s13, -1
                                        ; implicit-def: $vgpr3
.LBB23_2282:
	s_mov_b32 s16, 0
.LBB23_2283:
	s_delay_alu instid0(SALU_CYCLE_1)
	s_and_b32 vcc_lo, exec_lo, s16
	s_cbranch_vccz .LBB23_2299
; %bb.2284:
	s_cmp_lt_i32 s12, 27
	s_cbranch_scc1 .LBB23_2287
; %bb.2285:
	s_cmp_gt_i32 s12, 27
	s_cbranch_scc0 .LBB23_2288
; %bb.2286:
	s_wait_loadcnt 0x0
	global_load_b32 v3, v[16:17], off
	s_mov_b32 s15, 0
	s_branch .LBB23_2289
.LBB23_2287:
	s_mov_b32 s15, -1
                                        ; implicit-def: $vgpr3
	s_branch .LBB23_2292
.LBB23_2288:
	s_mov_b32 s15, -1
                                        ; implicit-def: $vgpr3
.LBB23_2289:
	s_delay_alu instid0(SALU_CYCLE_1)
	s_and_not1_b32 vcc_lo, exec_lo, s15
	s_cbranch_vccnz .LBB23_2291
; %bb.2290:
	s_wait_loadcnt 0x0
	global_load_u16 v3, v[16:17], off
.LBB23_2291:
	s_mov_b32 s15, 0
.LBB23_2292:
	s_delay_alu instid0(SALU_CYCLE_1)
	s_and_not1_b32 vcc_lo, exec_lo, s15
	s_cbranch_vccnz .LBB23_2298
; %bb.2293:
	global_load_u8 v5, v[16:17], off
	s_mov_b32 s16, 0
	s_mov_b32 s15, exec_lo
	s_wait_loadcnt 0x0
	v_cmpx_lt_i16_e32 0x7f, v5
	s_xor_b32 s15, exec_lo, s15
	s_cbranch_execz .LBB23_2310
; %bb.2294:
	v_cmp_ne_u16_e32 vcc_lo, 0x80, v5
	s_and_b32 s16, vcc_lo, exec_lo
	s_and_not1_saveexec_b32 s15, s15
	s_cbranch_execnz .LBB23_2311
.LBB23_2295:
	s_or_b32 exec_lo, exec_lo, s15
	v_mov_b32_e32 v3, 0
	s_and_saveexec_b32 s15, s16
	s_cbranch_execz .LBB23_2297
.LBB23_2296:
	v_and_b32_e32 v3, 0xffff, v5
	s_delay_alu instid0(VALU_DEP_1) | instskip(SKIP_1) | instid1(VALU_DEP_2)
	v_and_b32_e32 v7, 7, v3
	v_bfe_u32 v13, v3, 3, 4
	v_clz_i32_u32_e32 v9, v7
	s_delay_alu instid0(VALU_DEP_2) | instskip(NEXT) | instid1(VALU_DEP_2)
	v_cmp_eq_u32_e32 vcc_lo, 0, v13
	v_min_u32_e32 v9, 32, v9
	s_delay_alu instid0(VALU_DEP_1) | instskip(NEXT) | instid1(VALU_DEP_1)
	v_subrev_nc_u32_e32 v11, 28, v9
	v_dual_lshlrev_b32 v3, v11, v3 :: v_dual_sub_nc_u32 v9, 29, v9
	s_delay_alu instid0(VALU_DEP_1) | instskip(NEXT) | instid1(VALU_DEP_1)
	v_dual_lshlrev_b32 v5, 24, v5 :: v_dual_bitop2_b32 v3, 7, v3 bitop3:0x40
	v_dual_cndmask_b32 v3, v7, v3, vcc_lo :: v_dual_cndmask_b32 v9, v13, v9, vcc_lo
	s_delay_alu instid0(VALU_DEP_2) | instskip(NEXT) | instid1(VALU_DEP_2)
	v_and_b32_e32 v5, 0x80000000, v5
	v_lshlrev_b32_e32 v3, 20, v3
	s_delay_alu instid0(VALU_DEP_3) | instskip(NEXT) | instid1(VALU_DEP_1)
	v_lshl_add_u32 v7, v9, 23, 0x3b800000
	v_or3_b32 v3, v5, v7, v3
	s_delay_alu instid0(VALU_DEP_1)
	v_cvt_i32_f32_e32 v3, v3
.LBB23_2297:
	s_or_b32 exec_lo, exec_lo, s15
.LBB23_2298:
	s_mov_b32 s15, -1
.LBB23_2299:
	s_mov_b32 s16, 0
.LBB23_2300:
	s_delay_alu instid0(SALU_CYCLE_1)
	s_and_b32 vcc_lo, exec_lo, s16
	s_cbranch_vccz .LBB23_2331
; %bb.2301:
	s_cmp_gt_i32 s12, 22
	s_cbranch_scc0 .LBB23_2309
; %bb.2302:
	s_cmp_lt_i32 s12, 24
	s_cbranch_scc1 .LBB23_2312
; %bb.2303:
	s_cmp_gt_i32 s12, 24
	s_cbranch_scc0 .LBB23_2313
; %bb.2304:
	global_load_u8 v5, v[16:17], off
	s_mov_b32 s15, 0
	s_mov_b32 s14, exec_lo
	s_wait_loadcnt 0x0
	v_cmpx_lt_i16_e32 0x7f, v5
	s_xor_b32 s14, exec_lo, s14
	s_cbranch_execz .LBB23_2325
; %bb.2305:
	v_cmp_ne_u16_e32 vcc_lo, 0x80, v5
	s_and_b32 s15, vcc_lo, exec_lo
	s_and_not1_saveexec_b32 s14, s14
	s_cbranch_execnz .LBB23_2326
.LBB23_2306:
	s_or_b32 exec_lo, exec_lo, s14
	v_mov_b32_e32 v3, 0
	s_and_saveexec_b32 s14, s15
	s_cbranch_execz .LBB23_2308
.LBB23_2307:
	v_and_b32_e32 v3, 0xffff, v5
	s_delay_alu instid0(VALU_DEP_1) | instskip(SKIP_1) | instid1(VALU_DEP_2)
	v_and_b32_e32 v7, 3, v3
	v_bfe_u32 v13, v3, 2, 5
	v_clz_i32_u32_e32 v9, v7
	s_delay_alu instid0(VALU_DEP_2) | instskip(NEXT) | instid1(VALU_DEP_2)
	v_cmp_eq_u32_e32 vcc_lo, 0, v13
	v_min_u32_e32 v9, 32, v9
	s_delay_alu instid0(VALU_DEP_1) | instskip(NEXT) | instid1(VALU_DEP_1)
	v_subrev_nc_u32_e32 v11, 29, v9
	v_dual_lshlrev_b32 v3, v11, v3 :: v_dual_sub_nc_u32 v9, 30, v9
	s_delay_alu instid0(VALU_DEP_1) | instskip(NEXT) | instid1(VALU_DEP_1)
	v_dual_lshlrev_b32 v5, 24, v5 :: v_dual_bitop2_b32 v3, 3, v3 bitop3:0x40
	v_dual_cndmask_b32 v3, v7, v3, vcc_lo :: v_dual_cndmask_b32 v9, v13, v9, vcc_lo
	s_delay_alu instid0(VALU_DEP_2) | instskip(NEXT) | instid1(VALU_DEP_2)
	v_and_b32_e32 v5, 0x80000000, v5
	v_lshlrev_b32_e32 v3, 21, v3
	s_delay_alu instid0(VALU_DEP_3) | instskip(NEXT) | instid1(VALU_DEP_1)
	v_lshl_add_u32 v7, v9, 23, 0x37800000
	v_or3_b32 v3, v5, v7, v3
	s_delay_alu instid0(VALU_DEP_1)
	v_cvt_i32_f32_e32 v3, v3
.LBB23_2308:
	s_or_b32 exec_lo, exec_lo, s14
	s_mov_b32 s14, 0
	s_branch .LBB23_2314
.LBB23_2309:
	s_mov_b32 s14, -1
                                        ; implicit-def: $vgpr3
	s_branch .LBB23_2320
.LBB23_2310:
	s_and_not1_saveexec_b32 s15, s15
	s_cbranch_execz .LBB23_2295
.LBB23_2311:
	v_cmp_ne_u16_e32 vcc_lo, 0, v5
	s_and_not1_b32 s16, s16, exec_lo
	s_and_b32 s17, vcc_lo, exec_lo
	s_delay_alu instid0(SALU_CYCLE_1)
	s_or_b32 s16, s16, s17
	s_or_b32 exec_lo, exec_lo, s15
	v_mov_b32_e32 v3, 0
	s_and_saveexec_b32 s15, s16
	s_cbranch_execnz .LBB23_2296
	s_branch .LBB23_2297
.LBB23_2312:
	s_mov_b32 s14, -1
                                        ; implicit-def: $vgpr3
	s_branch .LBB23_2317
.LBB23_2313:
	s_mov_b32 s14, -1
                                        ; implicit-def: $vgpr3
.LBB23_2314:
	s_delay_alu instid0(SALU_CYCLE_1)
	s_and_b32 vcc_lo, exec_lo, s14
	s_cbranch_vccz .LBB23_2316
; %bb.2315:
	s_wait_loadcnt 0x0
	global_load_u8 v3, v[16:17], off
	s_wait_loadcnt 0x0
	v_lshlrev_b32_e32 v3, 24, v3
	s_delay_alu instid0(VALU_DEP_1) | instskip(NEXT) | instid1(VALU_DEP_1)
	v_and_b32_e32 v5, 0x7f000000, v3
	v_clz_i32_u32_e32 v7, v5
	v_add_nc_u32_e32 v11, 0x1000000, v5
	v_cmp_ne_u32_e32 vcc_lo, 0, v5
	s_delay_alu instid0(VALU_DEP_3) | instskip(NEXT) | instid1(VALU_DEP_1)
	v_min_u32_e32 v7, 32, v7
	v_sub_nc_u32_e64 v7, v7, 4 clamp
	s_delay_alu instid0(VALU_DEP_1) | instskip(NEXT) | instid1(VALU_DEP_1)
	v_dual_lshlrev_b32 v9, v7, v5 :: v_dual_lshlrev_b32 v7, 23, v7
	v_lshrrev_b32_e32 v9, 4, v9
	s_delay_alu instid0(VALU_DEP_1) | instskip(SKIP_1) | instid1(VALU_DEP_2)
	v_sub_nc_u32_e32 v7, v9, v7
	v_ashrrev_i32_e32 v9, 8, v11
	v_add_nc_u32_e32 v7, 0x3c000000, v7
	s_delay_alu instid0(VALU_DEP_1) | instskip(NEXT) | instid1(VALU_DEP_1)
	v_and_or_b32 v7, 0x7f800000, v9, v7
	v_cndmask_b32_e32 v5, 0, v7, vcc_lo
	s_delay_alu instid0(VALU_DEP_1) | instskip(NEXT) | instid1(VALU_DEP_1)
	v_and_or_b32 v3, 0x80000000, v3, v5
	v_cvt_i32_f32_e32 v3, v3
.LBB23_2316:
	s_mov_b32 s14, 0
.LBB23_2317:
	s_delay_alu instid0(SALU_CYCLE_1)
	s_and_not1_b32 vcc_lo, exec_lo, s14
	s_cbranch_vccnz .LBB23_2319
; %bb.2318:
	s_wait_loadcnt 0x0
	global_load_u8 v3, v[16:17], off
	s_wait_loadcnt 0x0
	v_lshlrev_b32_e32 v5, 25, v3
	v_lshlrev_b16 v3, 8, v3
	s_delay_alu instid0(VALU_DEP_1) | instskip(SKIP_1) | instid1(VALU_DEP_2)
	v_and_or_b32 v9, 0x7f00, v3, 0.5
	v_bfe_i32 v3, v3, 0, 16
	v_add_f32_e32 v9, -0.5, v9
	v_lshrrev_b32_e32 v7, 4, v5
	v_cmp_gt_u32_e32 vcc_lo, 0x8000000, v5
	s_delay_alu instid0(VALU_DEP_2) | instskip(NEXT) | instid1(VALU_DEP_1)
	v_or_b32_e32 v7, 0x70000000, v7
	v_mul_f32_e32 v7, 0x7800000, v7
	s_delay_alu instid0(VALU_DEP_1) | instskip(NEXT) | instid1(VALU_DEP_1)
	v_cndmask_b32_e32 v5, v7, v9, vcc_lo
	v_and_or_b32 v3, 0x80000000, v3, v5
	s_delay_alu instid0(VALU_DEP_1)
	v_cvt_i32_f32_e32 v3, v3
.LBB23_2319:
	s_mov_b32 s14, 0
	s_mov_b32 s15, -1
.LBB23_2320:
	s_and_not1_b32 vcc_lo, exec_lo, s14
	s_mov_b32 s14, 0
	s_cbranch_vccnz .LBB23_2331
; %bb.2321:
	s_cmp_gt_i32 s12, 14
	s_cbranch_scc0 .LBB23_2324
; %bb.2322:
	s_cmp_eq_u32 s12, 15
	s_cbranch_scc0 .LBB23_2327
; %bb.2323:
	s_wait_loadcnt 0x0
	global_load_u16 v3, v[16:17], off
	s_mov_b32 s13, 0
	s_mov_b32 s15, -1
	s_wait_loadcnt 0x0
	v_lshlrev_b32_e32 v3, 16, v3
	s_delay_alu instid0(VALU_DEP_1)
	v_cvt_i32_f32_e32 v3, v3
	s_branch .LBB23_2329
.LBB23_2324:
	s_mov_b32 s14, -1
	s_branch .LBB23_2328
.LBB23_2325:
	s_and_not1_saveexec_b32 s14, s14
	s_cbranch_execz .LBB23_2306
.LBB23_2326:
	v_cmp_ne_u16_e32 vcc_lo, 0, v5
	s_and_not1_b32 s15, s15, exec_lo
	s_and_b32 s16, vcc_lo, exec_lo
	s_delay_alu instid0(SALU_CYCLE_1)
	s_or_b32 s15, s15, s16
	s_or_b32 exec_lo, exec_lo, s14
	v_mov_b32_e32 v3, 0
	s_and_saveexec_b32 s14, s15
	s_cbranch_execnz .LBB23_2307
	s_branch .LBB23_2308
.LBB23_2327:
	s_mov_b32 s13, -1
.LBB23_2328:
                                        ; implicit-def: $vgpr3
.LBB23_2329:
	s_and_b32 vcc_lo, exec_lo, s14
	s_mov_b32 s14, 0
	s_cbranch_vccz .LBB23_2331
; %bb.2330:
	s_cmp_lg_u32 s12, 11
	s_mov_b32 s14, -1
	s_cselect_b32 s13, -1, 0
.LBB23_2331:
	s_delay_alu instid0(SALU_CYCLE_1)
	s_and_b32 vcc_lo, exec_lo, s13
	s_cbranch_vccnz .LBB23_2400
; %bb.2332:
	s_and_not1_b32 vcc_lo, exec_lo, s14
	s_cbranch_vccnz .LBB23_2334
.LBB23_2333:
	s_wait_loadcnt 0x0
	global_load_u8 v3, v[16:17], off
	s_mov_b32 s15, -1
	s_wait_loadcnt 0x0
	v_cmp_ne_u16_e32 vcc_lo, 0, v3
	v_cndmask_b32_e64 v3, 0, 1, vcc_lo
.LBB23_2334:
	s_mov_b32 s13, 0
.LBB23_2335:
	s_delay_alu instid0(SALU_CYCLE_1)
	s_and_b32 vcc_lo, exec_lo, s13
	s_cbranch_vccz .LBB23_2384
; %bb.2336:
	s_cmp_lt_i32 s12, 5
	s_cbranch_scc1 .LBB23_2341
; %bb.2337:
	s_cmp_lt_i32 s12, 8
	s_cbranch_scc1 .LBB23_2342
; %bb.2338:
	s_cmp_lt_i32 s12, 9
	s_cbranch_scc1 .LBB23_2343
; %bb.2339:
	s_cmp_gt_i32 s12, 9
	s_cbranch_scc0 .LBB23_2344
; %bb.2340:
	global_load_b64 v[18:19], v[16:17], off
	s_mov_b32 s13, 0
	s_wait_loadcnt 0x0
	v_cvt_i32_f64_e32 v3, v[18:19]
	s_branch .LBB23_2345
.LBB23_2341:
	s_mov_b32 s13, -1
                                        ; implicit-def: $vgpr3
	s_branch .LBB23_2363
.LBB23_2342:
	s_mov_b32 s13, -1
                                        ; implicit-def: $vgpr3
	s_branch .LBB23_2351
.LBB23_2343:
	s_mov_b32 s13, -1
                                        ; implicit-def: $vgpr3
	s_branch .LBB23_2348
.LBB23_2344:
	s_mov_b32 s13, -1
                                        ; implicit-def: $vgpr3
.LBB23_2345:
	s_delay_alu instid0(SALU_CYCLE_1)
	s_and_not1_b32 vcc_lo, exec_lo, s13
	s_cbranch_vccnz .LBB23_2347
; %bb.2346:
	s_wait_loadcnt 0x0
	global_load_b32 v3, v[16:17], off
	s_wait_loadcnt 0x0
	v_cvt_i32_f32_e32 v3, v3
.LBB23_2347:
	s_mov_b32 s13, 0
.LBB23_2348:
	s_delay_alu instid0(SALU_CYCLE_1)
	s_and_not1_b32 vcc_lo, exec_lo, s13
	s_cbranch_vccnz .LBB23_2350
; %bb.2349:
	s_wait_loadcnt 0x0
	global_load_b32 v3, v[16:17], off
	s_wait_loadcnt 0x0
	v_cvt_f32_f16_e32 v3, v3
	s_delay_alu instid0(VALU_DEP_1)
	v_cvt_i32_f32_e32 v3, v3
.LBB23_2350:
	s_mov_b32 s13, 0
.LBB23_2351:
	s_delay_alu instid0(SALU_CYCLE_1)
	s_and_not1_b32 vcc_lo, exec_lo, s13
	s_cbranch_vccnz .LBB23_2362
; %bb.2352:
	s_cmp_lt_i32 s12, 6
	s_cbranch_scc1 .LBB23_2355
; %bb.2353:
	s_cmp_gt_i32 s12, 6
	s_cbranch_scc0 .LBB23_2356
; %bb.2354:
	global_load_b64 v[18:19], v[16:17], off
	s_mov_b32 s13, 0
	s_wait_loadcnt 0x0
	v_cvt_i32_f64_e32 v3, v[18:19]
	s_branch .LBB23_2357
.LBB23_2355:
	s_mov_b32 s13, -1
                                        ; implicit-def: $vgpr3
	s_branch .LBB23_2360
.LBB23_2356:
	s_mov_b32 s13, -1
                                        ; implicit-def: $vgpr3
.LBB23_2357:
	s_delay_alu instid0(SALU_CYCLE_1)
	s_and_not1_b32 vcc_lo, exec_lo, s13
	s_cbranch_vccnz .LBB23_2359
; %bb.2358:
	s_wait_loadcnt 0x0
	global_load_b32 v3, v[16:17], off
	s_wait_loadcnt 0x0
	v_cvt_i32_f32_e32 v3, v3
.LBB23_2359:
	s_mov_b32 s13, 0
.LBB23_2360:
	s_delay_alu instid0(SALU_CYCLE_1)
	s_and_not1_b32 vcc_lo, exec_lo, s13
	s_cbranch_vccnz .LBB23_2362
; %bb.2361:
	s_wait_loadcnt 0x0
	global_load_u16 v3, v[16:17], off
	s_wait_loadcnt 0x0
	v_cvt_f32_f16_e32 v3, v3
	s_delay_alu instid0(VALU_DEP_1)
	v_cvt_i32_f32_e32 v3, v3
.LBB23_2362:
	s_mov_b32 s13, 0
.LBB23_2363:
	s_delay_alu instid0(SALU_CYCLE_1)
	s_and_not1_b32 vcc_lo, exec_lo, s13
	s_cbranch_vccnz .LBB23_2383
; %bb.2364:
	s_cmp_lt_i32 s12, 2
	s_cbranch_scc1 .LBB23_2368
; %bb.2365:
	s_cmp_lt_i32 s12, 3
	s_cbranch_scc1 .LBB23_2369
; %bb.2366:
	s_cmp_gt_i32 s12, 3
	s_cbranch_scc0 .LBB23_2370
; %bb.2367:
	s_wait_loadcnt 0x0
	global_load_b32 v3, v[16:17], off
	s_mov_b32 s13, 0
	s_branch .LBB23_2371
.LBB23_2368:
	s_mov_b32 s13, -1
                                        ; implicit-def: $vgpr3
	s_branch .LBB23_2377
.LBB23_2369:
	s_mov_b32 s13, -1
                                        ; implicit-def: $vgpr3
	s_branch .LBB23_2374
.LBB23_2370:
	s_mov_b32 s13, -1
                                        ; implicit-def: $vgpr3
.LBB23_2371:
	s_delay_alu instid0(SALU_CYCLE_1)
	s_and_not1_b32 vcc_lo, exec_lo, s13
	s_cbranch_vccnz .LBB23_2373
; %bb.2372:
	s_wait_loadcnt 0x0
	global_load_b32 v3, v[16:17], off
.LBB23_2373:
	s_mov_b32 s13, 0
.LBB23_2374:
	s_delay_alu instid0(SALU_CYCLE_1)
	s_and_not1_b32 vcc_lo, exec_lo, s13
	s_cbranch_vccnz .LBB23_2376
; %bb.2375:
	s_wait_loadcnt 0x0
	global_load_i16 v3, v[16:17], off
.LBB23_2376:
	s_mov_b32 s13, 0
.LBB23_2377:
	s_delay_alu instid0(SALU_CYCLE_1)
	s_and_not1_b32 vcc_lo, exec_lo, s13
	s_cbranch_vccnz .LBB23_2383
; %bb.2378:
	s_cmp_gt_i32 s12, 0
	s_mov_b32 s13, 0
	s_cbranch_scc0 .LBB23_2380
; %bb.2379:
	s_wait_loadcnt 0x0
	global_load_i8 v3, v[16:17], off
	s_branch .LBB23_2381
.LBB23_2380:
	s_mov_b32 s13, -1
                                        ; implicit-def: $vgpr3
.LBB23_2381:
	s_delay_alu instid0(SALU_CYCLE_1)
	s_and_not1_b32 vcc_lo, exec_lo, s13
	s_cbranch_vccnz .LBB23_2383
; %bb.2382:
	s_wait_loadcnt 0x0
	global_load_u8 v3, v[16:17], off
.LBB23_2383:
	s_mov_b32 s15, -1
.LBB23_2384:
	s_delay_alu instid0(SALU_CYCLE_1)
	s_and_not1_b32 vcc_lo, exec_lo, s15
	s_cbranch_vccnz .LBB23_2725
; %bb.2385:
	s_wait_loadcnt 0x0
	s_delay_alu instid0(VALU_DEP_1) | instskip(SKIP_3) | instid1(VALU_DEP_1)
	v_sub_nc_u32_e32 v5, 0, v3
	s_mov_b32 s14, 0
	s_mov_b32 s13, exec_lo
	s_wait_xcnt 0x0
	v_max_i32_e32 v16, v3, v5
	v_cmpx_ne_u32_e32 0, v1
	s_cbranch_execz .LBB23_2389
; %bb.2386:
	v_sub_nc_u32_e32 v3, 0, v1
	s_delay_alu instid0(VALU_DEP_1)
	v_max_i32_e32 v3, v1, v3
.LBB23_2387:                            ; =>This Inner Loop Header: Depth=1
	s_delay_alu instid0(VALU_DEP_1) | instskip(NEXT) | instid1(VALU_DEP_1)
	v_mov_b32_e32 v1, v3
	v_cvt_f32_u32_e32 v3, v1
	v_sub_nc_u32_e32 v5, 0, v1
	s_delay_alu instid0(VALU_DEP_2) | instskip(SKIP_1) | instid1(TRANS32_DEP_1)
	v_rcp_iflag_f32_e32 v3, v3
	v_nop
	v_mul_f32_e32 v3, 0x4f7ffffe, v3
	s_delay_alu instid0(VALU_DEP_1) | instskip(NEXT) | instid1(VALU_DEP_1)
	v_cvt_u32_f32_e32 v3, v3
	v_mul_lo_u32 v5, v5, v3
	s_delay_alu instid0(VALU_DEP_1) | instskip(NEXT) | instid1(VALU_DEP_1)
	v_mul_hi_u32 v5, v3, v5
	v_add_nc_u32_e32 v3, v3, v5
	s_delay_alu instid0(VALU_DEP_1) | instskip(NEXT) | instid1(VALU_DEP_1)
	v_mul_hi_u32 v3, v16, v3
	v_mul_lo_u32 v3, v3, v1
	s_delay_alu instid0(VALU_DEP_1) | instskip(NEXT) | instid1(VALU_DEP_1)
	v_dual_mov_b32 v16, v1 :: v_dual_sub_nc_u32 v3, v16, v3
	v_sub_nc_u32_e32 v5, v3, v1
	v_cmp_ge_u32_e32 vcc_lo, v3, v1
	s_delay_alu instid0(VALU_DEP_2) | instskip(NEXT) | instid1(VALU_DEP_1)
	v_cndmask_b32_e32 v3, v3, v5, vcc_lo
	v_sub_nc_u32_e32 v5, v3, v1
	v_cmp_ge_u32_e32 vcc_lo, v3, v1
	s_delay_alu instid0(VALU_DEP_2) | instskip(NEXT) | instid1(VALU_DEP_1)
	v_cndmask_b32_e32 v3, v3, v5, vcc_lo
	v_cmp_eq_u32_e32 vcc_lo, 0, v3
	s_or_b32 s14, vcc_lo, s14
	s_delay_alu instid0(SALU_CYCLE_1)
	s_and_not1_b32 exec_lo, exec_lo, s14
	s_cbranch_execnz .LBB23_2387
; %bb.2388:
	s_or_b32 exec_lo, exec_lo, s14
	v_mov_b32_e32 v16, v1
.LBB23_2389:
	s_or_b32 exec_lo, exec_lo, s13
	v_mov_b32_e32 v13, 0
	s_cmp_lt_i32 s11, 11
	s_delay_alu instid0(VALU_DEP_1)
	v_add_nc_u64_e32 v[12:13], s[6:7], v[12:13]
	s_cbranch_scc1 .LBB23_2396
; %bb.2390:
	s_cmp_gt_i32 s11, 25
	s_mov_b32 s7, 0
	s_cbranch_scc0 .LBB23_2397
; %bb.2391:
	s_cmp_gt_i32 s11, 28
	s_cbranch_scc0 .LBB23_2398
; %bb.2392:
	s_cmp_gt_i32 s11, 43
	;; [unrolled: 3-line block ×3, first 2 shown]
	s_cbranch_scc0 .LBB23_2401
; %bb.2394:
	s_cmp_eq_u32 s11, 46
	s_mov_b32 s14, 0
	s_cbranch_scc0 .LBB23_2402
; %bb.2395:
	global_load_b32 v1, v[12:13], off
	s_mov_b32 s6, 0
	s_mov_b32 s13, -1
	s_wait_loadcnt 0x0
	v_lshlrev_b32_e32 v1, 16, v1
	s_delay_alu instid0(VALU_DEP_1)
	v_cvt_i32_f32_e32 v1, v1
	s_branch .LBB23_2404
.LBB23_2396:
	s_mov_b32 s6, -1
	s_mov_b32 s13, 0
                                        ; implicit-def: $vgpr1
	s_branch .LBB23_2466
.LBB23_2397:
	s_mov_b32 s14, -1
	s_mov_b32 s13, 0
	s_mov_b32 s6, 0
                                        ; implicit-def: $vgpr1
	s_branch .LBB23_2431
.LBB23_2398:
	s_mov_b32 s14, -1
	s_mov_b32 s13, 0
	s_mov_b32 s6, 0
                                        ; implicit-def: $vgpr1
	s_branch .LBB23_2414
.LBB23_2399:
	s_mov_b32 s14, -1
	s_mov_b32 s13, 0
	s_mov_b32 s6, 0
                                        ; implicit-def: $vgpr1
	s_branch .LBB23_2409
.LBB23_2400:
	s_or_b32 s10, s10, exec_lo
	s_trap 2
	s_cbranch_execz .LBB23_2333
	s_branch .LBB23_2334
.LBB23_2401:
	s_mov_b32 s14, -1
	s_mov_b32 s13, 0
	s_mov_b32 s6, 0
	s_branch .LBB23_2403
.LBB23_2402:
	s_mov_b32 s6, -1
	s_mov_b32 s13, 0
.LBB23_2403:
                                        ; implicit-def: $vgpr1
.LBB23_2404:
	s_and_b32 vcc_lo, exec_lo, s14
	s_cbranch_vccz .LBB23_2408
; %bb.2405:
	s_cmp_eq_u32 s11, 44
	s_cbranch_scc0 .LBB23_2407
; %bb.2406:
	global_load_u8 v1, v[12:13], off
	s_mov_b32 s6, 0
	s_mov_b32 s13, -1
	s_wait_loadcnt 0x0
	v_lshlrev_b32_e32 v3, 23, v1
	v_cmp_ne_u32_e32 vcc_lo, 0, v1
	s_delay_alu instid0(VALU_DEP_2) | instskip(NEXT) | instid1(VALU_DEP_1)
	v_cvt_i32_f32_e32 v3, v3
	v_cndmask_b32_e32 v1, 0, v3, vcc_lo
	s_branch .LBB23_2408
.LBB23_2407:
	s_mov_b32 s6, -1
                                        ; implicit-def: $vgpr1
.LBB23_2408:
	s_mov_b32 s14, 0
.LBB23_2409:
	s_delay_alu instid0(SALU_CYCLE_1)
	s_and_b32 vcc_lo, exec_lo, s14
	s_cbranch_vccz .LBB23_2413
; %bb.2410:
	s_cmp_eq_u32 s11, 29
	s_cbranch_scc0 .LBB23_2412
; %bb.2411:
	global_load_b32 v1, v[12:13], off
	s_mov_b32 s6, 0
	s_mov_b32 s13, -1
	s_branch .LBB23_2413
.LBB23_2412:
	s_mov_b32 s6, -1
                                        ; implicit-def: $vgpr1
.LBB23_2413:
	s_mov_b32 s14, 0
.LBB23_2414:
	s_delay_alu instid0(SALU_CYCLE_1)
	s_and_b32 vcc_lo, exec_lo, s14
	s_cbranch_vccz .LBB23_2430
; %bb.2415:
	s_cmp_lt_i32 s11, 27
	s_cbranch_scc1 .LBB23_2418
; %bb.2416:
	s_cmp_gt_i32 s11, 27
	s_cbranch_scc0 .LBB23_2419
; %bb.2417:
	s_wait_loadcnt 0x0
	global_load_b32 v1, v[12:13], off
	s_mov_b32 s13, 0
	s_branch .LBB23_2420
.LBB23_2418:
	s_mov_b32 s13, -1
                                        ; implicit-def: $vgpr1
	s_branch .LBB23_2423
.LBB23_2419:
	s_mov_b32 s13, -1
                                        ; implicit-def: $vgpr1
.LBB23_2420:
	s_delay_alu instid0(SALU_CYCLE_1)
	s_and_not1_b32 vcc_lo, exec_lo, s13
	s_cbranch_vccnz .LBB23_2422
; %bb.2421:
	s_wait_loadcnt 0x0
	global_load_u16 v1, v[12:13], off
.LBB23_2422:
	s_mov_b32 s13, 0
.LBB23_2423:
	s_delay_alu instid0(SALU_CYCLE_1)
	s_and_not1_b32 vcc_lo, exec_lo, s13
	s_cbranch_vccnz .LBB23_2429
; %bb.2424:
	global_load_u8 v3, v[12:13], off
	s_mov_b32 s14, 0
	s_mov_b32 s13, exec_lo
	s_wait_loadcnt 0x0
	v_cmpx_lt_i16_e32 0x7f, v3
	s_xor_b32 s13, exec_lo, s13
	s_cbranch_execz .LBB23_2441
; %bb.2425:
	v_cmp_ne_u16_e32 vcc_lo, 0x80, v3
	s_and_b32 s14, vcc_lo, exec_lo
	s_and_not1_saveexec_b32 s13, s13
	s_cbranch_execnz .LBB23_2442
.LBB23_2426:
	s_or_b32 exec_lo, exec_lo, s13
	v_mov_b32_e32 v1, 0
	s_and_saveexec_b32 s13, s14
	s_cbranch_execz .LBB23_2428
.LBB23_2427:
	v_and_b32_e32 v1, 0xffff, v3
	s_delay_alu instid0(VALU_DEP_1) | instskip(SKIP_1) | instid1(VALU_DEP_2)
	v_and_b32_e32 v5, 7, v1
	v_bfe_u32 v11, v1, 3, 4
	v_clz_i32_u32_e32 v7, v5
	s_delay_alu instid0(VALU_DEP_2) | instskip(NEXT) | instid1(VALU_DEP_2)
	v_cmp_eq_u32_e32 vcc_lo, 0, v11
	v_min_u32_e32 v7, 32, v7
	s_delay_alu instid0(VALU_DEP_1) | instskip(NEXT) | instid1(VALU_DEP_1)
	v_subrev_nc_u32_e32 v9, 28, v7
	v_dual_lshlrev_b32 v1, v9, v1 :: v_dual_sub_nc_u32 v7, 29, v7
	s_delay_alu instid0(VALU_DEP_1) | instskip(NEXT) | instid1(VALU_DEP_1)
	v_dual_lshlrev_b32 v3, 24, v3 :: v_dual_bitop2_b32 v1, 7, v1 bitop3:0x40
	v_dual_cndmask_b32 v1, v5, v1, vcc_lo :: v_dual_cndmask_b32 v7, v11, v7, vcc_lo
	s_delay_alu instid0(VALU_DEP_2) | instskip(NEXT) | instid1(VALU_DEP_2)
	v_and_b32_e32 v3, 0x80000000, v3
	v_lshlrev_b32_e32 v1, 20, v1
	s_delay_alu instid0(VALU_DEP_3) | instskip(NEXT) | instid1(VALU_DEP_1)
	v_lshl_add_u32 v5, v7, 23, 0x3b800000
	v_or3_b32 v1, v3, v5, v1
	s_delay_alu instid0(VALU_DEP_1)
	v_cvt_i32_f32_e32 v1, v1
.LBB23_2428:
	s_or_b32 exec_lo, exec_lo, s13
.LBB23_2429:
	s_mov_b32 s13, -1
.LBB23_2430:
	s_mov_b32 s14, 0
.LBB23_2431:
	s_delay_alu instid0(SALU_CYCLE_1)
	s_and_b32 vcc_lo, exec_lo, s14
	s_cbranch_vccz .LBB23_2462
; %bb.2432:
	s_cmp_gt_i32 s11, 22
	s_cbranch_scc0 .LBB23_2440
; %bb.2433:
	s_cmp_lt_i32 s11, 24
	s_cbranch_scc1 .LBB23_2443
; %bb.2434:
	s_cmp_gt_i32 s11, 24
	s_cbranch_scc0 .LBB23_2444
; %bb.2435:
	global_load_u8 v3, v[12:13], off
	s_mov_b32 s13, 0
	s_mov_b32 s7, exec_lo
	s_wait_loadcnt 0x0
	v_cmpx_lt_i16_e32 0x7f, v3
	s_xor_b32 s7, exec_lo, s7
	s_cbranch_execz .LBB23_2456
; %bb.2436:
	v_cmp_ne_u16_e32 vcc_lo, 0x80, v3
	s_and_b32 s13, vcc_lo, exec_lo
	s_and_not1_saveexec_b32 s7, s7
	s_cbranch_execnz .LBB23_2457
.LBB23_2437:
	s_or_b32 exec_lo, exec_lo, s7
	v_mov_b32_e32 v1, 0
	s_and_saveexec_b32 s7, s13
	s_cbranch_execz .LBB23_2439
.LBB23_2438:
	v_and_b32_e32 v1, 0xffff, v3
	s_delay_alu instid0(VALU_DEP_1) | instskip(SKIP_1) | instid1(VALU_DEP_2)
	v_and_b32_e32 v5, 3, v1
	v_bfe_u32 v11, v1, 2, 5
	v_clz_i32_u32_e32 v7, v5
	s_delay_alu instid0(VALU_DEP_2) | instskip(NEXT) | instid1(VALU_DEP_2)
	v_cmp_eq_u32_e32 vcc_lo, 0, v11
	v_min_u32_e32 v7, 32, v7
	s_delay_alu instid0(VALU_DEP_1) | instskip(NEXT) | instid1(VALU_DEP_1)
	v_subrev_nc_u32_e32 v9, 29, v7
	v_dual_lshlrev_b32 v1, v9, v1 :: v_dual_sub_nc_u32 v7, 30, v7
	s_delay_alu instid0(VALU_DEP_1) | instskip(NEXT) | instid1(VALU_DEP_1)
	v_dual_lshlrev_b32 v3, 24, v3 :: v_dual_bitop2_b32 v1, 3, v1 bitop3:0x40
	v_dual_cndmask_b32 v1, v5, v1, vcc_lo :: v_dual_cndmask_b32 v7, v11, v7, vcc_lo
	s_delay_alu instid0(VALU_DEP_2) | instskip(NEXT) | instid1(VALU_DEP_2)
	v_and_b32_e32 v3, 0x80000000, v3
	v_lshlrev_b32_e32 v1, 21, v1
	s_delay_alu instid0(VALU_DEP_3) | instskip(NEXT) | instid1(VALU_DEP_1)
	v_lshl_add_u32 v5, v7, 23, 0x37800000
	v_or3_b32 v1, v3, v5, v1
	s_delay_alu instid0(VALU_DEP_1)
	v_cvt_i32_f32_e32 v1, v1
.LBB23_2439:
	s_or_b32 exec_lo, exec_lo, s7
	s_mov_b32 s7, 0
	s_branch .LBB23_2445
.LBB23_2440:
	s_mov_b32 s7, -1
                                        ; implicit-def: $vgpr1
	s_branch .LBB23_2451
.LBB23_2441:
	s_and_not1_saveexec_b32 s13, s13
	s_cbranch_execz .LBB23_2426
.LBB23_2442:
	v_cmp_ne_u16_e32 vcc_lo, 0, v3
	s_and_not1_b32 s14, s14, exec_lo
	s_and_b32 s15, vcc_lo, exec_lo
	s_delay_alu instid0(SALU_CYCLE_1)
	s_or_b32 s14, s14, s15
	s_or_b32 exec_lo, exec_lo, s13
	v_mov_b32_e32 v1, 0
	s_and_saveexec_b32 s13, s14
	s_cbranch_execnz .LBB23_2427
	s_branch .LBB23_2428
.LBB23_2443:
	s_mov_b32 s7, -1
                                        ; implicit-def: $vgpr1
	s_branch .LBB23_2448
.LBB23_2444:
	s_mov_b32 s7, -1
                                        ; implicit-def: $vgpr1
.LBB23_2445:
	s_delay_alu instid0(SALU_CYCLE_1)
	s_and_b32 vcc_lo, exec_lo, s7
	s_cbranch_vccz .LBB23_2447
; %bb.2446:
	s_wait_loadcnt 0x0
	global_load_u8 v1, v[12:13], off
	s_wait_loadcnt 0x0
	v_lshlrev_b32_e32 v1, 24, v1
	s_delay_alu instid0(VALU_DEP_1) | instskip(NEXT) | instid1(VALU_DEP_1)
	v_and_b32_e32 v3, 0x7f000000, v1
	v_clz_i32_u32_e32 v5, v3
	v_add_nc_u32_e32 v9, 0x1000000, v3
	v_cmp_ne_u32_e32 vcc_lo, 0, v3
	s_delay_alu instid0(VALU_DEP_3) | instskip(NEXT) | instid1(VALU_DEP_1)
	v_min_u32_e32 v5, 32, v5
	v_sub_nc_u32_e64 v5, v5, 4 clamp
	s_delay_alu instid0(VALU_DEP_1) | instskip(NEXT) | instid1(VALU_DEP_1)
	v_dual_lshlrev_b32 v7, v5, v3 :: v_dual_lshlrev_b32 v5, 23, v5
	v_lshrrev_b32_e32 v7, 4, v7
	s_delay_alu instid0(VALU_DEP_1) | instskip(SKIP_1) | instid1(VALU_DEP_2)
	v_sub_nc_u32_e32 v5, v7, v5
	v_ashrrev_i32_e32 v7, 8, v9
	v_add_nc_u32_e32 v5, 0x3c000000, v5
	s_delay_alu instid0(VALU_DEP_1) | instskip(NEXT) | instid1(VALU_DEP_1)
	v_and_or_b32 v5, 0x7f800000, v7, v5
	v_cndmask_b32_e32 v3, 0, v5, vcc_lo
	s_delay_alu instid0(VALU_DEP_1) | instskip(NEXT) | instid1(VALU_DEP_1)
	v_and_or_b32 v1, 0x80000000, v1, v3
	v_cvt_i32_f32_e32 v1, v1
.LBB23_2447:
	s_mov_b32 s7, 0
.LBB23_2448:
	s_delay_alu instid0(SALU_CYCLE_1)
	s_and_not1_b32 vcc_lo, exec_lo, s7
	s_cbranch_vccnz .LBB23_2450
; %bb.2449:
	s_wait_loadcnt 0x0
	global_load_u8 v1, v[12:13], off
	s_wait_loadcnt 0x0
	v_lshlrev_b32_e32 v3, 25, v1
	v_lshlrev_b16 v1, 8, v1
	s_delay_alu instid0(VALU_DEP_1) | instskip(SKIP_1) | instid1(VALU_DEP_2)
	v_and_or_b32 v7, 0x7f00, v1, 0.5
	v_bfe_i32 v1, v1, 0, 16
	v_add_f32_e32 v7, -0.5, v7
	v_lshrrev_b32_e32 v5, 4, v3
	v_cmp_gt_u32_e32 vcc_lo, 0x8000000, v3
	s_delay_alu instid0(VALU_DEP_2) | instskip(NEXT) | instid1(VALU_DEP_1)
	v_or_b32_e32 v5, 0x70000000, v5
	v_mul_f32_e32 v5, 0x7800000, v5
	s_delay_alu instid0(VALU_DEP_1) | instskip(NEXT) | instid1(VALU_DEP_1)
	v_cndmask_b32_e32 v3, v5, v7, vcc_lo
	v_and_or_b32 v1, 0x80000000, v1, v3
	s_delay_alu instid0(VALU_DEP_1)
	v_cvt_i32_f32_e32 v1, v1
.LBB23_2450:
	s_mov_b32 s7, 0
	s_mov_b32 s13, -1
.LBB23_2451:
	s_and_not1_b32 vcc_lo, exec_lo, s7
	s_mov_b32 s7, 0
	s_cbranch_vccnz .LBB23_2462
; %bb.2452:
	s_cmp_gt_i32 s11, 14
	s_cbranch_scc0 .LBB23_2455
; %bb.2453:
	s_cmp_eq_u32 s11, 15
	s_cbranch_scc0 .LBB23_2458
; %bb.2454:
	s_wait_loadcnt 0x0
	global_load_u16 v1, v[12:13], off
	s_mov_b32 s6, 0
	s_mov_b32 s13, -1
	s_wait_loadcnt 0x0
	v_lshlrev_b32_e32 v1, 16, v1
	s_delay_alu instid0(VALU_DEP_1)
	v_cvt_i32_f32_e32 v1, v1
	s_branch .LBB23_2460
.LBB23_2455:
	s_mov_b32 s7, -1
	s_branch .LBB23_2459
.LBB23_2456:
	s_and_not1_saveexec_b32 s7, s7
	s_cbranch_execz .LBB23_2437
.LBB23_2457:
	v_cmp_ne_u16_e32 vcc_lo, 0, v3
	s_and_not1_b32 s13, s13, exec_lo
	s_and_b32 s14, vcc_lo, exec_lo
	s_delay_alu instid0(SALU_CYCLE_1)
	s_or_b32 s13, s13, s14
	s_or_b32 exec_lo, exec_lo, s7
	v_mov_b32_e32 v1, 0
	s_and_saveexec_b32 s7, s13
	s_cbranch_execnz .LBB23_2438
	s_branch .LBB23_2439
.LBB23_2458:
	s_mov_b32 s6, -1
.LBB23_2459:
                                        ; implicit-def: $vgpr1
.LBB23_2460:
	s_and_b32 vcc_lo, exec_lo, s7
	s_mov_b32 s7, 0
	s_cbranch_vccz .LBB23_2462
; %bb.2461:
	s_cmp_lg_u32 s11, 11
	s_mov_b32 s7, -1
	s_cselect_b32 s6, -1, 0
.LBB23_2462:
	s_delay_alu instid0(SALU_CYCLE_1)
	s_and_b32 vcc_lo, exec_lo, s6
	s_cbranch_vccnz .LBB23_2527
; %bb.2463:
	s_and_not1_b32 vcc_lo, exec_lo, s7
	s_cbranch_vccnz .LBB23_2465
.LBB23_2464:
	s_wait_loadcnt 0x0
	global_load_u8 v1, v[12:13], off
	s_mov_b32 s13, -1
	s_wait_loadcnt 0x0
	v_cmp_ne_u16_e32 vcc_lo, 0, v1
	v_cndmask_b32_e64 v1, 0, 1, vcc_lo
.LBB23_2465:
	s_mov_b32 s6, 0
.LBB23_2466:
	s_delay_alu instid0(SALU_CYCLE_1)
	s_and_b32 vcc_lo, exec_lo, s6
	s_cbranch_vccz .LBB23_2515
; %bb.2467:
	s_cmp_lt_i32 s11, 5
	s_cbranch_scc1 .LBB23_2472
; %bb.2468:
	s_cmp_lt_i32 s11, 8
	s_cbranch_scc1 .LBB23_2473
	;; [unrolled: 3-line block ×3, first 2 shown]
; %bb.2470:
	s_cmp_gt_i32 s11, 9
	s_cbranch_scc0 .LBB23_2475
; %bb.2471:
	global_load_b64 v[18:19], v[12:13], off
	s_mov_b32 s6, 0
	s_wait_loadcnt 0x0
	v_cvt_i32_f64_e32 v1, v[18:19]
	s_branch .LBB23_2476
.LBB23_2472:
	s_mov_b32 s6, -1
                                        ; implicit-def: $vgpr1
	s_branch .LBB23_2494
.LBB23_2473:
	s_mov_b32 s6, -1
                                        ; implicit-def: $vgpr1
	s_branch .LBB23_2482
.LBB23_2474:
	s_mov_b32 s6, -1
                                        ; implicit-def: $vgpr1
	s_branch .LBB23_2479
.LBB23_2475:
	s_mov_b32 s6, -1
                                        ; implicit-def: $vgpr1
.LBB23_2476:
	s_delay_alu instid0(SALU_CYCLE_1)
	s_and_not1_b32 vcc_lo, exec_lo, s6
	s_cbranch_vccnz .LBB23_2478
; %bb.2477:
	s_wait_loadcnt 0x0
	global_load_b32 v1, v[12:13], off
	s_wait_loadcnt 0x0
	v_cvt_i32_f32_e32 v1, v1
.LBB23_2478:
	s_mov_b32 s6, 0
.LBB23_2479:
	s_delay_alu instid0(SALU_CYCLE_1)
	s_and_not1_b32 vcc_lo, exec_lo, s6
	s_cbranch_vccnz .LBB23_2481
; %bb.2480:
	s_wait_loadcnt 0x0
	global_load_b32 v1, v[12:13], off
	s_wait_loadcnt 0x0
	v_cvt_f32_f16_e32 v1, v1
	s_delay_alu instid0(VALU_DEP_1)
	v_cvt_i32_f32_e32 v1, v1
.LBB23_2481:
	s_mov_b32 s6, 0
.LBB23_2482:
	s_delay_alu instid0(SALU_CYCLE_1)
	s_and_not1_b32 vcc_lo, exec_lo, s6
	s_cbranch_vccnz .LBB23_2493
; %bb.2483:
	s_cmp_lt_i32 s11, 6
	s_cbranch_scc1 .LBB23_2486
; %bb.2484:
	s_cmp_gt_i32 s11, 6
	s_cbranch_scc0 .LBB23_2487
; %bb.2485:
	global_load_b64 v[18:19], v[12:13], off
	s_mov_b32 s6, 0
	s_wait_loadcnt 0x0
	v_cvt_i32_f64_e32 v1, v[18:19]
	s_branch .LBB23_2488
.LBB23_2486:
	s_mov_b32 s6, -1
                                        ; implicit-def: $vgpr1
	s_branch .LBB23_2491
.LBB23_2487:
	s_mov_b32 s6, -1
                                        ; implicit-def: $vgpr1
.LBB23_2488:
	s_delay_alu instid0(SALU_CYCLE_1)
	s_and_not1_b32 vcc_lo, exec_lo, s6
	s_cbranch_vccnz .LBB23_2490
; %bb.2489:
	s_wait_loadcnt 0x0
	global_load_b32 v1, v[12:13], off
	s_wait_loadcnt 0x0
	v_cvt_i32_f32_e32 v1, v1
.LBB23_2490:
	s_mov_b32 s6, 0
.LBB23_2491:
	s_delay_alu instid0(SALU_CYCLE_1)
	s_and_not1_b32 vcc_lo, exec_lo, s6
	s_cbranch_vccnz .LBB23_2493
; %bb.2492:
	s_wait_loadcnt 0x0
	global_load_u16 v1, v[12:13], off
	s_wait_loadcnt 0x0
	v_cvt_f32_f16_e32 v1, v1
	s_delay_alu instid0(VALU_DEP_1)
	v_cvt_i32_f32_e32 v1, v1
.LBB23_2493:
	s_mov_b32 s6, 0
.LBB23_2494:
	s_delay_alu instid0(SALU_CYCLE_1)
	s_and_not1_b32 vcc_lo, exec_lo, s6
	s_cbranch_vccnz .LBB23_2514
; %bb.2495:
	s_cmp_lt_i32 s11, 2
	s_cbranch_scc1 .LBB23_2499
; %bb.2496:
	s_cmp_lt_i32 s11, 3
	s_cbranch_scc1 .LBB23_2500
; %bb.2497:
	s_cmp_gt_i32 s11, 3
	s_cbranch_scc0 .LBB23_2501
; %bb.2498:
	s_wait_loadcnt 0x0
	global_load_b32 v1, v[12:13], off
	s_mov_b32 s6, 0
	s_branch .LBB23_2502
.LBB23_2499:
	s_mov_b32 s6, -1
                                        ; implicit-def: $vgpr1
	s_branch .LBB23_2508
.LBB23_2500:
	s_mov_b32 s6, -1
                                        ; implicit-def: $vgpr1
	s_branch .LBB23_2505
.LBB23_2501:
	s_mov_b32 s6, -1
                                        ; implicit-def: $vgpr1
.LBB23_2502:
	s_delay_alu instid0(SALU_CYCLE_1)
	s_and_not1_b32 vcc_lo, exec_lo, s6
	s_cbranch_vccnz .LBB23_2504
; %bb.2503:
	s_wait_loadcnt 0x0
	global_load_b32 v1, v[12:13], off
.LBB23_2504:
	s_mov_b32 s6, 0
.LBB23_2505:
	s_delay_alu instid0(SALU_CYCLE_1)
	s_and_not1_b32 vcc_lo, exec_lo, s6
	s_cbranch_vccnz .LBB23_2507
; %bb.2506:
	s_wait_loadcnt 0x0
	global_load_i16 v1, v[12:13], off
.LBB23_2507:
	s_mov_b32 s6, 0
.LBB23_2508:
	s_delay_alu instid0(SALU_CYCLE_1)
	s_and_not1_b32 vcc_lo, exec_lo, s6
	s_cbranch_vccnz .LBB23_2514
; %bb.2509:
	s_cmp_gt_i32 s11, 0
	s_mov_b32 s6, 0
	s_cbranch_scc0 .LBB23_2511
; %bb.2510:
	s_wait_loadcnt 0x0
	global_load_i8 v1, v[12:13], off
	s_branch .LBB23_2512
.LBB23_2511:
	s_mov_b32 s6, -1
                                        ; implicit-def: $vgpr1
.LBB23_2512:
	s_delay_alu instid0(SALU_CYCLE_1)
	s_and_not1_b32 vcc_lo, exec_lo, s6
	s_cbranch_vccnz .LBB23_2514
; %bb.2513:
	s_wait_loadcnt 0x0
	global_load_u8 v1, v[12:13], off
.LBB23_2514:
	s_mov_b32 s13, -1
.LBB23_2515:
	s_delay_alu instid0(SALU_CYCLE_1)
	s_and_not1_b32 vcc_lo, exec_lo, s13
	s_cbranch_vccnz .LBB23_2725
; %bb.2516:
	v_mov_b32_e32 v9, 0
	s_cmp_lt_i32 s12, 11
	s_delay_alu instid0(VALU_DEP_1)
	v_add_nc_u64_e32 v[8:9], s[0:1], v[8:9]
	s_cbranch_scc1 .LBB23_2523
; %bb.2517:
	s_cmp_gt_i32 s12, 25
	s_mov_b32 s1, 0
	s_cbranch_scc0 .LBB23_2524
; %bb.2518:
	s_cmp_gt_i32 s12, 28
	s_cbranch_scc0 .LBB23_2525
; %bb.2519:
	s_cmp_gt_i32 s12, 43
	;; [unrolled: 3-line block ×3, first 2 shown]
	s_cbranch_scc0 .LBB23_2528
; %bb.2521:
	s_cmp_eq_u32 s12, 46
	s_mov_b32 s7, 0
	s_cbranch_scc0 .LBB23_2529
; %bb.2522:
	global_load_b32 v3, v[8:9], off
	s_mov_b32 s0, 0
	s_mov_b32 s6, -1
	s_wait_loadcnt 0x0
	v_lshlrev_b32_e32 v3, 16, v3
	s_delay_alu instid0(VALU_DEP_1)
	v_cvt_i32_f32_e32 v3, v3
	s_branch .LBB23_2531
.LBB23_2523:
	s_mov_b32 s0, -1
	s_mov_b32 s6, 0
                                        ; implicit-def: $vgpr3
	s_branch .LBB23_2593
.LBB23_2524:
	s_mov_b32 s7, -1
	s_mov_b32 s6, 0
	s_mov_b32 s0, 0
                                        ; implicit-def: $vgpr3
	s_branch .LBB23_2558
.LBB23_2525:
	s_mov_b32 s7, -1
	s_mov_b32 s6, 0
	s_mov_b32 s0, 0
                                        ; implicit-def: $vgpr3
	s_branch .LBB23_2541
.LBB23_2526:
	s_mov_b32 s7, -1
	s_mov_b32 s6, 0
	s_mov_b32 s0, 0
                                        ; implicit-def: $vgpr3
	s_branch .LBB23_2536
.LBB23_2527:
	s_or_b32 s10, s10, exec_lo
	s_trap 2
	s_cbranch_execz .LBB23_2464
	s_branch .LBB23_2465
.LBB23_2528:
	s_mov_b32 s7, -1
	s_mov_b32 s6, 0
	s_mov_b32 s0, 0
	s_branch .LBB23_2530
.LBB23_2529:
	s_mov_b32 s0, -1
	s_mov_b32 s6, 0
.LBB23_2530:
                                        ; implicit-def: $vgpr3
.LBB23_2531:
	s_and_b32 vcc_lo, exec_lo, s7
	s_cbranch_vccz .LBB23_2535
; %bb.2532:
	s_cmp_eq_u32 s12, 44
	s_cbranch_scc0 .LBB23_2534
; %bb.2533:
	global_load_u8 v3, v[8:9], off
	s_mov_b32 s0, 0
	s_mov_b32 s6, -1
	s_wait_loadcnt 0x0
	v_lshlrev_b32_e32 v5, 23, v3
	v_cmp_ne_u32_e32 vcc_lo, 0, v3
	s_delay_alu instid0(VALU_DEP_2) | instskip(NEXT) | instid1(VALU_DEP_1)
	v_cvt_i32_f32_e32 v5, v5
	v_cndmask_b32_e32 v3, 0, v5, vcc_lo
	s_branch .LBB23_2535
.LBB23_2534:
	s_mov_b32 s0, -1
                                        ; implicit-def: $vgpr3
.LBB23_2535:
	s_mov_b32 s7, 0
.LBB23_2536:
	s_delay_alu instid0(SALU_CYCLE_1)
	s_and_b32 vcc_lo, exec_lo, s7
	s_cbranch_vccz .LBB23_2540
; %bb.2537:
	s_cmp_eq_u32 s12, 29
	s_cbranch_scc0 .LBB23_2539
; %bb.2538:
	global_load_b32 v3, v[8:9], off
	s_mov_b32 s0, 0
	s_mov_b32 s6, -1
	s_branch .LBB23_2540
.LBB23_2539:
	s_mov_b32 s0, -1
                                        ; implicit-def: $vgpr3
.LBB23_2540:
	s_mov_b32 s7, 0
.LBB23_2541:
	s_delay_alu instid0(SALU_CYCLE_1)
	s_and_b32 vcc_lo, exec_lo, s7
	s_cbranch_vccz .LBB23_2557
; %bb.2542:
	s_cmp_lt_i32 s12, 27
	s_cbranch_scc1 .LBB23_2545
; %bb.2543:
	s_cmp_gt_i32 s12, 27
	s_cbranch_scc0 .LBB23_2546
; %bb.2544:
	s_wait_loadcnt 0x0
	global_load_b32 v3, v[8:9], off
	s_mov_b32 s6, 0
	s_branch .LBB23_2547
.LBB23_2545:
	s_mov_b32 s6, -1
                                        ; implicit-def: $vgpr3
	s_branch .LBB23_2550
.LBB23_2546:
	s_mov_b32 s6, -1
                                        ; implicit-def: $vgpr3
.LBB23_2547:
	s_delay_alu instid0(SALU_CYCLE_1)
	s_and_not1_b32 vcc_lo, exec_lo, s6
	s_cbranch_vccnz .LBB23_2549
; %bb.2548:
	s_wait_loadcnt 0x0
	global_load_u16 v3, v[8:9], off
.LBB23_2549:
	s_mov_b32 s6, 0
.LBB23_2550:
	s_delay_alu instid0(SALU_CYCLE_1)
	s_and_not1_b32 vcc_lo, exec_lo, s6
	s_cbranch_vccnz .LBB23_2556
; %bb.2551:
	global_load_u8 v5, v[8:9], off
	s_mov_b32 s7, 0
	s_mov_b32 s6, exec_lo
	s_wait_loadcnt 0x0
	v_cmpx_lt_i16_e32 0x7f, v5
	s_xor_b32 s6, exec_lo, s6
	s_cbranch_execz .LBB23_2568
; %bb.2552:
	v_cmp_ne_u16_e32 vcc_lo, 0x80, v5
	s_and_b32 s7, vcc_lo, exec_lo
	s_and_not1_saveexec_b32 s6, s6
	s_cbranch_execnz .LBB23_2569
.LBB23_2553:
	s_or_b32 exec_lo, exec_lo, s6
	v_mov_b32_e32 v3, 0
	s_and_saveexec_b32 s6, s7
	s_cbranch_execz .LBB23_2555
.LBB23_2554:
	v_and_b32_e32 v3, 0xffff, v5
	s_delay_alu instid0(VALU_DEP_1) | instskip(SKIP_1) | instid1(VALU_DEP_2)
	v_dual_lshlrev_b32 v5, 24, v5 :: v_dual_bitop2_b32 v7, 7, v3 bitop3:0x40
	v_bfe_u32 v13, v3, 3, 4
	v_and_b32_e32 v5, 0x80000000, v5
	s_delay_alu instid0(VALU_DEP_3) | instskip(NEXT) | instid1(VALU_DEP_3)
	v_clz_i32_u32_e32 v11, v7
	v_cmp_eq_u32_e32 vcc_lo, 0, v13
	s_delay_alu instid0(VALU_DEP_2) | instskip(NEXT) | instid1(VALU_DEP_1)
	v_min_u32_e32 v11, 32, v11
	v_subrev_nc_u32_e32 v12, 28, v11
	v_sub_nc_u32_e32 v11, 29, v11
	s_delay_alu instid0(VALU_DEP_2) | instskip(NEXT) | instid1(VALU_DEP_2)
	v_lshlrev_b32_e32 v3, v12, v3
	v_cndmask_b32_e32 v11, v13, v11, vcc_lo
	s_delay_alu instid0(VALU_DEP_2) | instskip(NEXT) | instid1(VALU_DEP_1)
	v_and_b32_e32 v3, 7, v3
	v_cndmask_b32_e32 v3, v7, v3, vcc_lo
	s_delay_alu instid0(VALU_DEP_3) | instskip(NEXT) | instid1(VALU_DEP_2)
	v_lshl_add_u32 v7, v11, 23, 0x3b800000
	v_lshlrev_b32_e32 v3, 20, v3
	s_delay_alu instid0(VALU_DEP_1) | instskip(NEXT) | instid1(VALU_DEP_1)
	v_or3_b32 v3, v5, v7, v3
	v_cvt_i32_f32_e32 v3, v3
.LBB23_2555:
	s_or_b32 exec_lo, exec_lo, s6
.LBB23_2556:
	s_mov_b32 s6, -1
.LBB23_2557:
	s_mov_b32 s7, 0
.LBB23_2558:
	s_delay_alu instid0(SALU_CYCLE_1)
	s_and_b32 vcc_lo, exec_lo, s7
	s_cbranch_vccz .LBB23_2589
; %bb.2559:
	s_cmp_gt_i32 s12, 22
	s_cbranch_scc0 .LBB23_2567
; %bb.2560:
	s_cmp_lt_i32 s12, 24
	s_cbranch_scc1 .LBB23_2570
; %bb.2561:
	s_cmp_gt_i32 s12, 24
	s_cbranch_scc0 .LBB23_2571
; %bb.2562:
	global_load_u8 v5, v[8:9], off
	s_mov_b32 s6, 0
	s_mov_b32 s1, exec_lo
	s_wait_loadcnt 0x0
	v_cmpx_lt_i16_e32 0x7f, v5
	s_xor_b32 s1, exec_lo, s1
	s_cbranch_execz .LBB23_2583
; %bb.2563:
	v_cmp_ne_u16_e32 vcc_lo, 0x80, v5
	s_and_b32 s6, vcc_lo, exec_lo
	s_and_not1_saveexec_b32 s1, s1
	s_cbranch_execnz .LBB23_2584
.LBB23_2564:
	s_or_b32 exec_lo, exec_lo, s1
	v_mov_b32_e32 v3, 0
	s_and_saveexec_b32 s1, s6
	s_cbranch_execz .LBB23_2566
.LBB23_2565:
	v_and_b32_e32 v3, 0xffff, v5
	s_delay_alu instid0(VALU_DEP_1) | instskip(SKIP_1) | instid1(VALU_DEP_2)
	v_dual_lshlrev_b32 v5, 24, v5 :: v_dual_bitop2_b32 v7, 3, v3 bitop3:0x40
	v_bfe_u32 v13, v3, 2, 5
	v_and_b32_e32 v5, 0x80000000, v5
	s_delay_alu instid0(VALU_DEP_3) | instskip(NEXT) | instid1(VALU_DEP_3)
	v_clz_i32_u32_e32 v11, v7
	v_cmp_eq_u32_e32 vcc_lo, 0, v13
	s_delay_alu instid0(VALU_DEP_2) | instskip(NEXT) | instid1(VALU_DEP_1)
	v_min_u32_e32 v11, 32, v11
	v_subrev_nc_u32_e32 v12, 29, v11
	v_sub_nc_u32_e32 v11, 30, v11
	s_delay_alu instid0(VALU_DEP_2) | instskip(NEXT) | instid1(VALU_DEP_2)
	v_lshlrev_b32_e32 v3, v12, v3
	v_cndmask_b32_e32 v11, v13, v11, vcc_lo
	s_delay_alu instid0(VALU_DEP_2) | instskip(NEXT) | instid1(VALU_DEP_1)
	v_and_b32_e32 v3, 3, v3
	v_cndmask_b32_e32 v3, v7, v3, vcc_lo
	s_delay_alu instid0(VALU_DEP_3) | instskip(NEXT) | instid1(VALU_DEP_2)
	v_lshl_add_u32 v7, v11, 23, 0x37800000
	v_lshlrev_b32_e32 v3, 21, v3
	s_delay_alu instid0(VALU_DEP_1) | instskip(NEXT) | instid1(VALU_DEP_1)
	v_or3_b32 v3, v5, v7, v3
	v_cvt_i32_f32_e32 v3, v3
.LBB23_2566:
	s_or_b32 exec_lo, exec_lo, s1
	s_mov_b32 s1, 0
	s_branch .LBB23_2572
.LBB23_2567:
	s_mov_b32 s1, -1
                                        ; implicit-def: $vgpr3
	s_branch .LBB23_2578
.LBB23_2568:
	s_and_not1_saveexec_b32 s6, s6
	s_cbranch_execz .LBB23_2553
.LBB23_2569:
	v_cmp_ne_u16_e32 vcc_lo, 0, v5
	s_and_not1_b32 s7, s7, exec_lo
	s_and_b32 s11, vcc_lo, exec_lo
	s_delay_alu instid0(SALU_CYCLE_1)
	s_or_b32 s7, s7, s11
	s_or_b32 exec_lo, exec_lo, s6
	v_mov_b32_e32 v3, 0
	s_and_saveexec_b32 s6, s7
	s_cbranch_execnz .LBB23_2554
	s_branch .LBB23_2555
.LBB23_2570:
	s_mov_b32 s1, -1
                                        ; implicit-def: $vgpr3
	s_branch .LBB23_2575
.LBB23_2571:
	s_mov_b32 s1, -1
                                        ; implicit-def: $vgpr3
.LBB23_2572:
	s_delay_alu instid0(SALU_CYCLE_1)
	s_and_b32 vcc_lo, exec_lo, s1
	s_cbranch_vccz .LBB23_2574
; %bb.2573:
	s_wait_loadcnt 0x0
	global_load_u8 v3, v[8:9], off
	s_wait_loadcnt 0x0
	v_lshlrev_b32_e32 v3, 24, v3
	s_delay_alu instid0(VALU_DEP_1) | instskip(NEXT) | instid1(VALU_DEP_1)
	v_and_b32_e32 v5, 0x7f000000, v3
	v_clz_i32_u32_e32 v7, v5
	v_cmp_ne_u32_e32 vcc_lo, 0, v5
	s_wait_xcnt 0x1
	v_add_nc_u32_e32 v12, 0x1000000, v5
	s_delay_alu instid0(VALU_DEP_3) | instskip(NEXT) | instid1(VALU_DEP_1)
	v_min_u32_e32 v7, 32, v7
	v_sub_nc_u32_e64 v7, v7, 4 clamp
	s_delay_alu instid0(VALU_DEP_1) | instskip(NEXT) | instid1(VALU_DEP_1)
	v_dual_lshlrev_b32 v11, v7, v5 :: v_dual_lshlrev_b32 v7, 23, v7
	v_lshrrev_b32_e32 v11, 4, v11
	s_delay_alu instid0(VALU_DEP_1) | instskip(NEXT) | instid1(VALU_DEP_1)
	v_dual_sub_nc_u32 v7, v11, v7 :: v_dual_ashrrev_i32 v11, 8, v12
	v_add_nc_u32_e32 v7, 0x3c000000, v7
	s_delay_alu instid0(VALU_DEP_1) | instskip(NEXT) | instid1(VALU_DEP_1)
	v_and_or_b32 v7, 0x7f800000, v11, v7
	v_cndmask_b32_e32 v5, 0, v7, vcc_lo
	s_delay_alu instid0(VALU_DEP_1) | instskip(NEXT) | instid1(VALU_DEP_1)
	v_and_or_b32 v3, 0x80000000, v3, v5
	v_cvt_i32_f32_e32 v3, v3
.LBB23_2574:
	s_mov_b32 s1, 0
.LBB23_2575:
	s_delay_alu instid0(SALU_CYCLE_1)
	s_and_not1_b32 vcc_lo, exec_lo, s1
	s_cbranch_vccnz .LBB23_2577
; %bb.2576:
	s_wait_loadcnt 0x0
	global_load_u8 v3, v[8:9], off
	s_wait_loadcnt 0x0
	v_lshlrev_b32_e32 v5, 25, v3
	v_lshlrev_b16 v3, 8, v3
	s_delay_alu instid0(VALU_DEP_2) | instskip(NEXT) | instid1(VALU_DEP_2)
	v_cmp_gt_u32_e32 vcc_lo, 0x8000000, v5
	v_and_or_b32 v11, 0x7f00, v3, 0.5
	v_lshrrev_b32_e32 v7, 4, v5
	v_bfe_i32 v3, v3, 0, 16
	s_delay_alu instid0(VALU_DEP_3) | instskip(NEXT) | instid1(VALU_DEP_3)
	v_add_f32_e32 v11, -0.5, v11
	v_or_b32_e32 v7, 0x70000000, v7
	s_delay_alu instid0(VALU_DEP_1) | instskip(NEXT) | instid1(VALU_DEP_1)
	v_mul_f32_e32 v7, 0x7800000, v7
	v_cndmask_b32_e32 v5, v7, v11, vcc_lo
	s_delay_alu instid0(VALU_DEP_1) | instskip(NEXT) | instid1(VALU_DEP_1)
	v_and_or_b32 v3, 0x80000000, v3, v5
	v_cvt_i32_f32_e32 v3, v3
.LBB23_2577:
	s_mov_b32 s1, 0
	s_mov_b32 s6, -1
.LBB23_2578:
	s_and_not1_b32 vcc_lo, exec_lo, s1
	s_mov_b32 s1, 0
	s_cbranch_vccnz .LBB23_2589
; %bb.2579:
	s_cmp_gt_i32 s12, 14
	s_cbranch_scc0 .LBB23_2582
; %bb.2580:
	s_cmp_eq_u32 s12, 15
	s_cbranch_scc0 .LBB23_2585
; %bb.2581:
	s_wait_loadcnt 0x0
	global_load_u16 v3, v[8:9], off
	s_mov_b32 s0, 0
	s_mov_b32 s6, -1
	s_wait_loadcnt 0x0
	v_lshlrev_b32_e32 v3, 16, v3
	s_delay_alu instid0(VALU_DEP_1)
	v_cvt_i32_f32_e32 v3, v3
	s_branch .LBB23_2587
.LBB23_2582:
	s_mov_b32 s1, -1
	s_branch .LBB23_2586
.LBB23_2583:
	s_and_not1_saveexec_b32 s1, s1
	s_cbranch_execz .LBB23_2564
.LBB23_2584:
	v_cmp_ne_u16_e32 vcc_lo, 0, v5
	s_and_not1_b32 s6, s6, exec_lo
	s_and_b32 s7, vcc_lo, exec_lo
	s_delay_alu instid0(SALU_CYCLE_1)
	s_or_b32 s6, s6, s7
	s_or_b32 exec_lo, exec_lo, s1
	v_mov_b32_e32 v3, 0
	s_and_saveexec_b32 s1, s6
	s_cbranch_execnz .LBB23_2565
	s_branch .LBB23_2566
.LBB23_2585:
	s_mov_b32 s0, -1
.LBB23_2586:
                                        ; implicit-def: $vgpr3
.LBB23_2587:
	s_and_b32 vcc_lo, exec_lo, s1
	s_mov_b32 s1, 0
	s_cbranch_vccz .LBB23_2589
; %bb.2588:
	s_cmp_lg_u32 s12, 11
	s_mov_b32 s1, -1
	s_cselect_b32 s0, -1, 0
.LBB23_2589:
	s_delay_alu instid0(SALU_CYCLE_1)
	s_and_b32 vcc_lo, exec_lo, s0
	s_cbranch_vccnz .LBB23_3127
; %bb.2590:
	s_and_not1_b32 vcc_lo, exec_lo, s1
	s_cbranch_vccnz .LBB23_2592
.LBB23_2591:
	s_wait_loadcnt 0x0
	global_load_u8 v3, v[8:9], off
	s_mov_b32 s6, -1
	s_wait_loadcnt 0x0
	v_cmp_ne_u16_e32 vcc_lo, 0, v3
	v_cndmask_b32_e64 v3, 0, 1, vcc_lo
.LBB23_2592:
	s_mov_b32 s0, 0
.LBB23_2593:
	s_delay_alu instid0(SALU_CYCLE_1)
	s_and_b32 vcc_lo, exec_lo, s0
	s_cbranch_vccz .LBB23_2642
; %bb.2594:
	s_cmp_lt_i32 s12, 5
	s_cbranch_scc1 .LBB23_2599
; %bb.2595:
	s_cmp_lt_i32 s12, 8
	s_cbranch_scc1 .LBB23_2600
	;; [unrolled: 3-line block ×3, first 2 shown]
; %bb.2597:
	s_cmp_gt_i32 s12, 9
	s_cbranch_scc0 .LBB23_2602
; %bb.2598:
	global_load_b64 v[12:13], v[8:9], off
	s_mov_b32 s0, 0
	s_wait_loadcnt 0x0
	v_cvt_i32_f64_e32 v3, v[12:13]
	s_branch .LBB23_2603
.LBB23_2599:
	s_mov_b32 s0, -1
                                        ; implicit-def: $vgpr3
	s_branch .LBB23_2621
.LBB23_2600:
	s_mov_b32 s0, -1
                                        ; implicit-def: $vgpr3
	s_branch .LBB23_2609
.LBB23_2601:
	s_mov_b32 s0, -1
                                        ; implicit-def: $vgpr3
	s_branch .LBB23_2606
.LBB23_2602:
	s_mov_b32 s0, -1
                                        ; implicit-def: $vgpr3
.LBB23_2603:
	s_delay_alu instid0(SALU_CYCLE_1)
	s_and_not1_b32 vcc_lo, exec_lo, s0
	s_cbranch_vccnz .LBB23_2605
; %bb.2604:
	s_wait_loadcnt 0x0
	global_load_b32 v3, v[8:9], off
	s_wait_loadcnt 0x0
	v_cvt_i32_f32_e32 v3, v3
.LBB23_2605:
	s_mov_b32 s0, 0
.LBB23_2606:
	s_delay_alu instid0(SALU_CYCLE_1)
	s_and_not1_b32 vcc_lo, exec_lo, s0
	s_cbranch_vccnz .LBB23_2608
; %bb.2607:
	s_wait_loadcnt 0x0
	global_load_b32 v3, v[8:9], off
	s_wait_loadcnt 0x0
	v_cvt_f32_f16_e32 v3, v3
	s_delay_alu instid0(VALU_DEP_1)
	v_cvt_i32_f32_e32 v3, v3
.LBB23_2608:
	s_mov_b32 s0, 0
.LBB23_2609:
	s_delay_alu instid0(SALU_CYCLE_1)
	s_and_not1_b32 vcc_lo, exec_lo, s0
	s_cbranch_vccnz .LBB23_2620
; %bb.2610:
	s_cmp_lt_i32 s12, 6
	s_cbranch_scc1 .LBB23_2613
; %bb.2611:
	s_cmp_gt_i32 s12, 6
	s_cbranch_scc0 .LBB23_2614
; %bb.2612:
	global_load_b64 v[12:13], v[8:9], off
	s_mov_b32 s0, 0
	s_wait_loadcnt 0x0
	v_cvt_i32_f64_e32 v3, v[12:13]
	s_branch .LBB23_2615
.LBB23_2613:
	s_mov_b32 s0, -1
                                        ; implicit-def: $vgpr3
	s_branch .LBB23_2618
.LBB23_2614:
	s_mov_b32 s0, -1
                                        ; implicit-def: $vgpr3
.LBB23_2615:
	s_delay_alu instid0(SALU_CYCLE_1)
	s_and_not1_b32 vcc_lo, exec_lo, s0
	s_cbranch_vccnz .LBB23_2617
; %bb.2616:
	s_wait_loadcnt 0x0
	global_load_b32 v3, v[8:9], off
	s_wait_loadcnt 0x0
	v_cvt_i32_f32_e32 v3, v3
.LBB23_2617:
	s_mov_b32 s0, 0
.LBB23_2618:
	s_delay_alu instid0(SALU_CYCLE_1)
	s_and_not1_b32 vcc_lo, exec_lo, s0
	s_cbranch_vccnz .LBB23_2620
; %bb.2619:
	s_wait_loadcnt 0x0
	global_load_u16 v3, v[8:9], off
	s_wait_loadcnt 0x0
	v_cvt_f32_f16_e32 v3, v3
	s_delay_alu instid0(VALU_DEP_1)
	v_cvt_i32_f32_e32 v3, v3
.LBB23_2620:
	s_mov_b32 s0, 0
.LBB23_2621:
	s_delay_alu instid0(SALU_CYCLE_1)
	s_and_not1_b32 vcc_lo, exec_lo, s0
	s_cbranch_vccnz .LBB23_2641
; %bb.2622:
	s_cmp_lt_i32 s12, 2
	s_cbranch_scc1 .LBB23_2626
; %bb.2623:
	s_cmp_lt_i32 s12, 3
	s_cbranch_scc1 .LBB23_2627
; %bb.2624:
	s_cmp_gt_i32 s12, 3
	s_cbranch_scc0 .LBB23_2628
; %bb.2625:
	s_wait_loadcnt 0x0
	global_load_b32 v3, v[8:9], off
	s_mov_b32 s0, 0
	s_branch .LBB23_2629
.LBB23_2626:
	s_mov_b32 s0, -1
                                        ; implicit-def: $vgpr3
	s_branch .LBB23_2635
.LBB23_2627:
	s_mov_b32 s0, -1
                                        ; implicit-def: $vgpr3
	s_branch .LBB23_2632
.LBB23_2628:
	s_mov_b32 s0, -1
                                        ; implicit-def: $vgpr3
.LBB23_2629:
	s_delay_alu instid0(SALU_CYCLE_1)
	s_and_not1_b32 vcc_lo, exec_lo, s0
	s_cbranch_vccnz .LBB23_2631
; %bb.2630:
	s_wait_loadcnt 0x0
	global_load_b32 v3, v[8:9], off
.LBB23_2631:
	s_mov_b32 s0, 0
.LBB23_2632:
	s_delay_alu instid0(SALU_CYCLE_1)
	s_and_not1_b32 vcc_lo, exec_lo, s0
	s_cbranch_vccnz .LBB23_2634
; %bb.2633:
	s_wait_loadcnt 0x0
	global_load_i16 v3, v[8:9], off
.LBB23_2634:
	s_mov_b32 s0, 0
.LBB23_2635:
	s_delay_alu instid0(SALU_CYCLE_1)
	s_and_not1_b32 vcc_lo, exec_lo, s0
	s_cbranch_vccnz .LBB23_2641
; %bb.2636:
	s_cmp_gt_i32 s12, 0
	s_mov_b32 s0, 0
	s_cbranch_scc0 .LBB23_2638
; %bb.2637:
	s_wait_loadcnt 0x0
	global_load_i8 v3, v[8:9], off
	s_branch .LBB23_2639
.LBB23_2638:
	s_mov_b32 s0, -1
                                        ; implicit-def: $vgpr3
.LBB23_2639:
	s_delay_alu instid0(SALU_CYCLE_1)
	s_and_not1_b32 vcc_lo, exec_lo, s0
	s_cbranch_vccnz .LBB23_2641
; %bb.2640:
	s_wait_loadcnt 0x0
	global_load_u8 v3, v[8:9], off
.LBB23_2641:
	s_mov_b32 s6, -1
.LBB23_2642:
	s_delay_alu instid0(SALU_CYCLE_1)
	s_and_not1_b32 vcc_lo, exec_lo, s6
	s_cbranch_vccnz .LBB23_2725
; %bb.2643:
	s_wait_loadcnt 0x0
	s_delay_alu instid0(VALU_DEP_1) | instskip(SKIP_3) | instid1(VALU_DEP_1)
	v_sub_nc_u32_e32 v5, 0, v3
	s_mov_b32 s1, 0
	s_mov_b32 s0, exec_lo
	s_wait_xcnt 0x0
	v_max_i32_e32 v8, v3, v5
	v_cmpx_ne_u32_e32 0, v1
	s_cbranch_execz .LBB23_2647
; %bb.2644:
	v_sub_nc_u32_e32 v3, 0, v1
	s_delay_alu instid0(VALU_DEP_1)
	v_max_i32_e32 v3, v1, v3
.LBB23_2645:                            ; =>This Inner Loop Header: Depth=1
	s_delay_alu instid0(VALU_DEP_1) | instskip(NEXT) | instid1(VALU_DEP_1)
	v_mov_b32_e32 v1, v3
	v_cvt_f32_u32_e32 v3, v1
	v_sub_nc_u32_e32 v5, 0, v1
	s_delay_alu instid0(VALU_DEP_2) | instskip(SKIP_1) | instid1(TRANS32_DEP_1)
	v_rcp_iflag_f32_e32 v3, v3
	v_nop
	v_mul_f32_e32 v3, 0x4f7ffffe, v3
	s_delay_alu instid0(VALU_DEP_1) | instskip(NEXT) | instid1(VALU_DEP_1)
	v_cvt_u32_f32_e32 v3, v3
	v_mul_lo_u32 v5, v5, v3
	s_delay_alu instid0(VALU_DEP_1) | instskip(NEXT) | instid1(VALU_DEP_1)
	v_mul_hi_u32 v5, v3, v5
	v_add_nc_u32_e32 v3, v3, v5
	s_delay_alu instid0(VALU_DEP_1) | instskip(NEXT) | instid1(VALU_DEP_1)
	v_mul_hi_u32 v3, v8, v3
	v_mul_lo_u32 v3, v3, v1
	s_delay_alu instid0(VALU_DEP_1) | instskip(NEXT) | instid1(VALU_DEP_1)
	v_dual_mov_b32 v8, v1 :: v_dual_sub_nc_u32 v3, v8, v3
	v_sub_nc_u32_e32 v5, v3, v1
	v_cmp_ge_u32_e32 vcc_lo, v3, v1
	s_delay_alu instid0(VALU_DEP_2) | instskip(NEXT) | instid1(VALU_DEP_1)
	v_cndmask_b32_e32 v3, v3, v5, vcc_lo
	v_sub_nc_u32_e32 v5, v3, v1
	v_cmp_ge_u32_e32 vcc_lo, v3, v1
	s_delay_alu instid0(VALU_DEP_2) | instskip(NEXT) | instid1(VALU_DEP_1)
	v_cndmask_b32_e32 v3, v3, v5, vcc_lo
	v_cmp_eq_u32_e32 vcc_lo, 0, v3
	s_or_b32 s1, vcc_lo, s1
	s_delay_alu instid0(SALU_CYCLE_1)
	s_and_not1_b32 exec_lo, exec_lo, s1
	s_cbranch_execnz .LBB23_2645
; %bb.2646:
	s_or_b32 exec_lo, exec_lo, s1
	v_mov_b32_e32 v8, v1
.LBB23_2647:
	s_or_b32 exec_lo, exec_lo, s0
	v_mov_b32_e32 v7, 0
	global_load_u8 v1, v7, s[2:3] offset:417
	s_wait_xcnt 0x0
	v_add_nc_u64_e32 v[6:7], s[4:5], v[6:7]
	s_wait_loadcnt 0x0
	v_and_b32_e32 v3, 0xffff, v1
	v_readfirstlane_b32 s1, v1
	s_delay_alu instid0(VALU_DEP_2)
	v_cmp_gt_i32_e32 vcc_lo, 11, v3
	s_cbranch_vccnz .LBB23_2770
; %bb.2648:
	s_and_b32 s2, 0xffff, s1
	s_mov_b32 s7, -1
	s_mov_b32 s3, 0
	s_cmp_gt_i32 s2, 25
	s_mov_b32 s6, 0
	s_mov_b32 s0, 0
	s_cbranch_scc0 .LBB23_2681
; %bb.2649:
	s_cmp_gt_i32 s2, 28
	s_cbranch_scc0 .LBB23_2664
; %bb.2650:
	s_cmp_gt_i32 s2, 43
	;; [unrolled: 3-line block ×3, first 2 shown]
	s_cbranch_scc0 .LBB23_2654
; %bb.2652:
	s_mov_b32 s0, -1
	s_mov_b32 s7, 0
	s_cmp_eq_u32 s2, 46
	s_cbranch_scc0 .LBB23_2654
; %bb.2653:
	v_cvt_f32_u32_e32 v1, v10
	s_mov_b32 s0, 0
	s_mov_b32 s6, -1
	s_delay_alu instid0(VALU_DEP_1) | instskip(NEXT) | instid1(VALU_DEP_1)
	v_bfe_u32 v3, v1, 16, 1
	v_add3_u32 v1, v1, v3, 0x7fff
	s_delay_alu instid0(VALU_DEP_1)
	v_lshrrev_b32_e32 v1, 16, v1
	global_store_b32 v[6:7], v1, off
.LBB23_2654:
	s_and_b32 vcc_lo, exec_lo, s7
	s_cbranch_vccz .LBB23_2659
; %bb.2655:
	s_cmp_eq_u32 s2, 44
	s_mov_b32 s0, -1
	s_cbranch_scc0 .LBB23_2659
; %bb.2656:
	v_cvt_f32_u32_e32 v5, v10
	v_mov_b32_e32 v3, 0xff
	s_mov_b32 s6, exec_lo
	s_wait_xcnt 0x0
	s_delay_alu instid0(VALU_DEP_2) | instskip(NEXT) | instid1(VALU_DEP_1)
	v_lshrrev_b32_e32 v1, 23, v5
	v_cmpx_ne_u32_e32 0xff, v1
; %bb.2657:
	v_and_b32_e32 v3, 0x400000, v5
	v_and_or_b32 v5, 0x3fffff, v5, v1
	s_delay_alu instid0(VALU_DEP_2) | instskip(NEXT) | instid1(VALU_DEP_2)
	v_cmp_ne_u32_e32 vcc_lo, 0, v3
	v_cmp_ne_u32_e64 s0, 0, v5
	s_and_b32 s0, vcc_lo, s0
	s_delay_alu instid0(SALU_CYCLE_1) | instskip(NEXT) | instid1(VALU_DEP_1)
	v_cndmask_b32_e64 v3, 0, 1, s0
	v_add_nc_u32_e32 v3, v1, v3
; %bb.2658:
	s_or_b32 exec_lo, exec_lo, s6
	s_mov_b32 s0, 0
	s_mov_b32 s6, -1
	global_store_b8 v[6:7], v3, off
.LBB23_2659:
	s_mov_b32 s7, 0
.LBB23_2660:
	s_delay_alu instid0(SALU_CYCLE_1)
	s_and_b32 vcc_lo, exec_lo, s7
	s_cbranch_vccz .LBB23_2663
; %bb.2661:
	s_cmp_eq_u32 s2, 29
	s_mov_b32 s0, -1
	s_cbranch_scc0 .LBB23_2663
; %bb.2662:
	v_mov_b32_e32 v11, 0
	s_mov_b32 s0, 0
	s_mov_b32 s6, -1
	global_store_b64 v[6:7], v[10:11], off
.LBB23_2663:
	s_mov_b32 s7, 0
.LBB23_2664:
	s_delay_alu instid0(SALU_CYCLE_1)
	s_and_b32 vcc_lo, exec_lo, s7
	s_cbranch_vccz .LBB23_2680
; %bb.2665:
	s_cmp_lt_i32 s2, 27
	s_mov_b32 s6, -1
	s_cbranch_scc1 .LBB23_2671
; %bb.2666:
	s_cmp_gt_i32 s2, 27
	s_cbranch_scc0 .LBB23_2668
; %bb.2667:
	s_mov_b32 s6, 0
	global_store_b32 v[6:7], v10, off
.LBB23_2668:
	s_and_not1_b32 vcc_lo, exec_lo, s6
	s_cbranch_vccnz .LBB23_2670
; %bb.2669:
	global_store_b16 v[6:7], v10, off
.LBB23_2670:
	s_mov_b32 s6, 0
.LBB23_2671:
	s_delay_alu instid0(SALU_CYCLE_1)
	s_and_not1_b32 vcc_lo, exec_lo, s6
	s_cbranch_vccnz .LBB23_2679
; %bb.2672:
	s_wait_xcnt 0x0
	v_cvt_f32_u32_e32 v3, v10
	v_mov_b32_e32 v5, 0x80
	s_mov_b32 s6, exec_lo
	s_delay_alu instid0(VALU_DEP_2)
	v_cmpx_gt_u32_e32 0x43800000, v3
	s_cbranch_execz .LBB23_2678
; %bb.2673:
	s_mov_b32 s7, 0
	s_mov_b32 s11, exec_lo
                                        ; implicit-def: $vgpr1
	v_cmpx_lt_u32_e32 0x3bffffff, v3
	s_xor_b32 s11, exec_lo, s11
	s_cbranch_execz .LBB23_3128
; %bb.2674:
	v_bfe_u32 v1, v3, 20, 1
	s_mov_b32 s7, exec_lo
	s_delay_alu instid0(VALU_DEP_1) | instskip(NEXT) | instid1(VALU_DEP_1)
	v_add3_u32 v1, v3, v1, 0x487ffff
                                        ; implicit-def: $vgpr3
	v_lshrrev_b32_e32 v1, 20, v1
	s_and_not1_saveexec_b32 s11, s11
	s_cbranch_execnz .LBB23_3129
.LBB23_2675:
	s_or_b32 exec_lo, exec_lo, s11
	v_mov_b32_e32 v5, 0
	s_and_saveexec_b32 s11, s7
.LBB23_2676:
	v_mov_b32_e32 v5, v1
.LBB23_2677:
	s_or_b32 exec_lo, exec_lo, s11
.LBB23_2678:
	s_delay_alu instid0(SALU_CYCLE_1)
	s_or_b32 exec_lo, exec_lo, s6
	global_store_b8 v[6:7], v5, off
.LBB23_2679:
	s_mov_b32 s6, -1
.LBB23_2680:
	s_mov_b32 s7, 0
.LBB23_2681:
	s_delay_alu instid0(SALU_CYCLE_1)
	s_and_b32 vcc_lo, exec_lo, s7
	s_cbranch_vccz .LBB23_2721
; %bb.2682:
	s_cmp_gt_i32 s2, 22
	s_mov_b32 s3, -1
	s_cbranch_scc0 .LBB23_2714
; %bb.2683:
	s_cmp_lt_i32 s2, 24
	s_cbranch_scc1 .LBB23_2703
; %bb.2684:
	s_cmp_gt_i32 s2, 24
	s_cbranch_scc0 .LBB23_2692
; %bb.2685:
	s_wait_xcnt 0x0
	v_cvt_f32_u32_e32 v3, v10
	v_mov_b32_e32 v5, 0x80
	s_mov_b32 s3, exec_lo
	s_delay_alu instid0(VALU_DEP_2)
	v_cmpx_gt_u32_e32 0x47800000, v3
	s_cbranch_execz .LBB23_2691
; %bb.2686:
	s_mov_b32 s6, 0
	s_mov_b32 s7, exec_lo
                                        ; implicit-def: $vgpr1
	v_cmpx_lt_u32_e32 0x37ffffff, v3
	s_xor_b32 s7, exec_lo, s7
	s_cbranch_execz .LBB23_3131
; %bb.2687:
	v_bfe_u32 v1, v3, 21, 1
	s_mov_b32 s6, exec_lo
	s_delay_alu instid0(VALU_DEP_1) | instskip(NEXT) | instid1(VALU_DEP_1)
	v_add3_u32 v1, v3, v1, 0x88fffff
                                        ; implicit-def: $vgpr3
	v_lshrrev_b32_e32 v1, 21, v1
	s_and_not1_saveexec_b32 s7, s7
	s_cbranch_execnz .LBB23_3132
.LBB23_2688:
	s_or_b32 exec_lo, exec_lo, s7
	v_mov_b32_e32 v5, 0
	s_and_saveexec_b32 s7, s6
.LBB23_2689:
	v_mov_b32_e32 v5, v1
.LBB23_2690:
	s_or_b32 exec_lo, exec_lo, s7
.LBB23_2691:
	s_delay_alu instid0(SALU_CYCLE_1)
	s_or_b32 exec_lo, exec_lo, s3
	s_mov_b32 s3, 0
	global_store_b8 v[6:7], v5, off
.LBB23_2692:
	s_and_b32 vcc_lo, exec_lo, s3
	s_cbranch_vccz .LBB23_2702
; %bb.2693:
	s_wait_xcnt 0x0
	v_cvt_f32_u32_e32 v3, v10
	s_mov_b32 s3, exec_lo
                                        ; implicit-def: $vgpr1
	s_delay_alu instid0(VALU_DEP_1)
	v_cmpx_gt_u32_e32 0x43f00000, v3
	s_xor_b32 s3, exec_lo, s3
	s_cbranch_execz .LBB23_2699
; %bb.2694:
	s_mov_b32 s6, exec_lo
                                        ; implicit-def: $vgpr1
	v_cmpx_lt_u32_e32 0x3c7fffff, v3
	s_xor_b32 s6, exec_lo, s6
; %bb.2695:
	v_bfe_u32 v1, v3, 20, 1
	s_delay_alu instid0(VALU_DEP_1) | instskip(NEXT) | instid1(VALU_DEP_1)
	v_add3_u32 v1, v3, v1, 0x407ffff
	v_and_b32_e32 v3, 0xff00000, v1
	v_lshrrev_b32_e32 v1, 20, v1
	s_delay_alu instid0(VALU_DEP_2) | instskip(NEXT) | instid1(VALU_DEP_2)
	v_cmp_ne_u32_e32 vcc_lo, 0x7f00000, v3
                                        ; implicit-def: $vgpr3
	v_cndmask_b32_e32 v1, 0x7e, v1, vcc_lo
; %bb.2696:
	s_and_not1_saveexec_b32 s6, s6
; %bb.2697:
	v_add_f32_e32 v1, 0x46800000, v3
; %bb.2698:
	s_or_b32 exec_lo, exec_lo, s6
                                        ; implicit-def: $vgpr3
.LBB23_2699:
	s_and_not1_saveexec_b32 s3, s3
; %bb.2700:
	v_mov_b32_e32 v1, 0x7f
	v_cmp_lt_u32_e32 vcc_lo, 0x7f800000, v3
	s_delay_alu instid0(VALU_DEP_2)
	v_cndmask_b32_e32 v1, 0x7e, v1, vcc_lo
; %bb.2701:
	s_or_b32 exec_lo, exec_lo, s3
	global_store_b8 v[6:7], v1, off
.LBB23_2702:
	s_mov_b32 s3, 0
.LBB23_2703:
	s_delay_alu instid0(SALU_CYCLE_1)
	s_and_not1_b32 vcc_lo, exec_lo, s3
	s_cbranch_vccnz .LBB23_2713
; %bb.2704:
	s_wait_xcnt 0x0
	v_cvt_f32_u32_e32 v3, v10
	s_mov_b32 s3, exec_lo
                                        ; implicit-def: $vgpr1
	s_delay_alu instid0(VALU_DEP_1)
	v_cmpx_gt_u32_e32 0x47800000, v3
	s_xor_b32 s3, exec_lo, s3
	s_cbranch_execz .LBB23_2710
; %bb.2705:
	s_mov_b32 s6, exec_lo
                                        ; implicit-def: $vgpr1
	v_cmpx_lt_u32_e32 0x387fffff, v3
	s_xor_b32 s6, exec_lo, s6
; %bb.2706:
	v_bfe_u32 v1, v3, 21, 1
	s_delay_alu instid0(VALU_DEP_1) | instskip(NEXT) | instid1(VALU_DEP_1)
	v_add3_u32 v1, v3, v1, 0x80fffff
                                        ; implicit-def: $vgpr3
	v_lshrrev_b32_e32 v1, 21, v1
; %bb.2707:
	s_and_not1_saveexec_b32 s6, s6
; %bb.2708:
	v_add_f32_e32 v1, 0x43000000, v3
; %bb.2709:
	s_or_b32 exec_lo, exec_lo, s6
                                        ; implicit-def: $vgpr3
.LBB23_2710:
	s_and_not1_saveexec_b32 s3, s3
; %bb.2711:
	v_mov_b32_e32 v1, 0x7f
	v_cmp_lt_u32_e32 vcc_lo, 0x7f800000, v3
	s_delay_alu instid0(VALU_DEP_2)
	v_cndmask_b32_e32 v1, 0x7c, v1, vcc_lo
; %bb.2712:
	s_or_b32 exec_lo, exec_lo, s3
	global_store_b8 v[6:7], v1, off
.LBB23_2713:
	s_mov_b32 s3, 0
	s_mov_b32 s6, -1
.LBB23_2714:
	s_and_not1_b32 vcc_lo, exec_lo, s3
	s_mov_b32 s3, 0
	s_cbranch_vccnz .LBB23_2721
; %bb.2715:
	s_cmp_gt_i32 s2, 14
	s_mov_b32 s3, -1
	s_cbranch_scc0 .LBB23_2719
; %bb.2716:
	s_cmp_eq_u32 s2, 15
	s_mov_b32 s0, -1
	s_cbranch_scc0 .LBB23_2718
; %bb.2717:
	s_wait_xcnt 0x0
	v_cvt_f32_u32_e32 v1, v10
	s_mov_b32 s0, 0
	s_mov_b32 s6, -1
	s_delay_alu instid0(VALU_DEP_1) | instskip(NEXT) | instid1(VALU_DEP_1)
	v_bfe_u32 v3, v1, 16, 1
	v_add3_u32 v1, v1, v3, 0x7fff
	global_store_d16_hi_b16 v[6:7], v1, off
.LBB23_2718:
	s_mov_b32 s3, 0
.LBB23_2719:
	s_delay_alu instid0(SALU_CYCLE_1)
	s_and_b32 vcc_lo, exec_lo, s3
	s_mov_b32 s3, 0
	s_cbranch_vccz .LBB23_2721
; %bb.2720:
	s_cmp_lg_u32 s2, 11
	s_mov_b32 s3, -1
	s_cselect_b32 s0, -1, 0
.LBB23_2721:
	s_delay_alu instid0(SALU_CYCLE_1)
	s_and_b32 vcc_lo, exec_lo, s0
	s_cbranch_vccnz .LBB23_3130
; %bb.2722:
	s_and_not1_b32 vcc_lo, exec_lo, s3
	s_cbranch_vccnz .LBB23_2724
.LBB23_2723:
	v_cmp_ne_u32_e32 vcc_lo, 0, v10
	s_mov_b32 s6, -1
	s_wait_xcnt 0x0
	v_cndmask_b32_e64 v1, 0, 1, vcc_lo
	global_store_b8 v[6:7], v1, off
.LBB23_2724:
	s_mov_b32 s0, 0
	s_branch .LBB23_2771
.LBB23_2725:
	s_mov_b32 s0, 0
	s_mov_b32 s3, 0
                                        ; implicit-def: $vgpr2_vgpr3
                                        ; implicit-def: $sgpr1
                                        ; implicit-def: $vgpr8
.LBB23_2726:
	s_and_not1_b32 s2, s8, exec_lo
	s_and_b32 s4, s10, exec_lo
	s_and_b32 s0, s0, exec_lo
	;; [unrolled: 1-line block ×3, first 2 shown]
	s_or_b32 s8, s2, s4
.LBB23_2727:
	s_wait_xcnt 0x0
	s_or_b32 exec_lo, exec_lo, s9
	s_and_saveexec_b32 s2, s8
	s_cbranch_execz .LBB23_2730
; %bb.2728:
	; divergent unreachable
	s_or_b32 exec_lo, exec_lo, s2
	s_and_saveexec_b32 s2, s28
	s_delay_alu instid0(SALU_CYCLE_1)
	s_xor_b32 s2, exec_lo, s2
	s_cbranch_execnz .LBB23_2731
.LBB23_2729:
	s_or_b32 exec_lo, exec_lo, s2
	s_and_saveexec_b32 s2, s0
	s_cbranch_execnz .LBB23_2732
	s_branch .LBB23_2769
.LBB23_2730:
	s_or_b32 exec_lo, exec_lo, s2
	s_and_saveexec_b32 s2, s28
	s_delay_alu instid0(SALU_CYCLE_1)
	s_xor_b32 s2, exec_lo, s2
	s_cbranch_execz .LBB23_2729
.LBB23_2731:
	v_cmp_ne_u32_e32 vcc_lo, 0, v8
	v_cndmask_b32_e64 v0, 0, 1, vcc_lo
	s_wait_loadcnt 0x0
	global_store_b8 v[2:3], v0, off
	s_wait_xcnt 0x0
	s_or_b32 exec_lo, exec_lo, s2
	s_and_saveexec_b32 s2, s0
	s_cbranch_execz .LBB23_2769
.LBB23_2732:
	s_sext_i32_i16 s2, s1
	s_mov_b32 s0, -1
	s_cmp_lt_i32 s2, 5
	s_cbranch_scc1 .LBB23_2753
; %bb.2733:
	s_cmp_lt_i32 s2, 8
	s_cbranch_scc1 .LBB23_2743
; %bb.2734:
	;; [unrolled: 3-line block ×3, first 2 shown]
	s_cmp_gt_i32 s2, 9
	s_cbranch_scc0 .LBB23_2737
; %bb.2736:
	v_cvt_f64_u32_e32 v[4:5], v8
	s_wait_loadcnt 0x0
	v_mov_b32_e32 v6, 0
	s_mov_b32 s0, 0
	s_delay_alu instid0(VALU_DEP_1)
	v_mov_b32_e32 v7, v6
	global_store_b128 v[2:3], v[4:7], off
.LBB23_2737:
	s_and_not1_b32 vcc_lo, exec_lo, s0
	s_cbranch_vccnz .LBB23_2739
; %bb.2738:
	v_cvt_f32_u32_e32 v0, v8
	s_wait_loadcnt 0x0
	v_mov_b32_e32 v1, 0
	global_store_b64 v[2:3], v[0:1], off
.LBB23_2739:
	s_mov_b32 s0, 0
.LBB23_2740:
	s_delay_alu instid0(SALU_CYCLE_1)
	s_and_not1_b32 vcc_lo, exec_lo, s0
	s_cbranch_vccnz .LBB23_2742
; %bb.2741:
	s_wait_xcnt 0x0
	v_cvt_f32_u32_e32 v0, v8
	s_delay_alu instid0(VALU_DEP_1) | instskip(NEXT) | instid1(VALU_DEP_1)
	v_cvt_f16_f32_e32 v0, v0
	v_and_b32_e32 v0, 0xffff, v0
	s_wait_loadcnt 0x0
	global_store_b32 v[2:3], v0, off
.LBB23_2742:
	s_mov_b32 s0, 0
.LBB23_2743:
	s_delay_alu instid0(SALU_CYCLE_1)
	s_and_not1_b32 vcc_lo, exec_lo, s0
	s_cbranch_vccnz .LBB23_2752
; %bb.2744:
	s_sext_i32_i16 s2, s1
	s_mov_b32 s0, -1
	s_cmp_lt_i32 s2, 6
	s_cbranch_scc1 .LBB23_2750
; %bb.2745:
	s_cmp_gt_i32 s2, 6
	s_cbranch_scc0 .LBB23_2747
; %bb.2746:
	s_wait_loadcnt 0x0
	v_cvt_f64_u32_e32 v[0:1], v8
	s_mov_b32 s0, 0
	global_store_b64 v[2:3], v[0:1], off
.LBB23_2747:
	s_and_not1_b32 vcc_lo, exec_lo, s0
	s_cbranch_vccnz .LBB23_2749
; %bb.2748:
	s_wait_xcnt 0x0
	v_cvt_f32_u32_e32 v0, v8
	s_wait_loadcnt 0x0
	global_store_b32 v[2:3], v0, off
.LBB23_2749:
	s_mov_b32 s0, 0
.LBB23_2750:
	s_delay_alu instid0(SALU_CYCLE_1)
	s_and_not1_b32 vcc_lo, exec_lo, s0
	s_cbranch_vccnz .LBB23_2752
; %bb.2751:
	s_wait_xcnt 0x0
	v_cvt_f32_u32_e32 v0, v8
	s_delay_alu instid0(VALU_DEP_1)
	v_cvt_f16_f32_e32 v0, v0
	s_wait_loadcnt 0x0
	global_store_b16 v[2:3], v0, off
.LBB23_2752:
	s_mov_b32 s0, 0
.LBB23_2753:
	s_delay_alu instid0(SALU_CYCLE_1)
	s_and_not1_b32 vcc_lo, exec_lo, s0
	s_cbranch_vccnz .LBB23_2769
; %bb.2754:
	s_sext_i32_i16 s2, s1
	s_mov_b32 s0, -1
	s_cmp_lt_i32 s2, 2
	s_cbranch_scc1 .LBB23_2764
; %bb.2755:
	s_cmp_lt_i32 s2, 3
	s_cbranch_scc1 .LBB23_2761
; %bb.2756:
	s_cmp_gt_i32 s2, 3
	s_cbranch_scc0 .LBB23_2758
; %bb.2757:
	v_mov_b32_e32 v9, 0
	s_mov_b32 s0, 0
	s_wait_loadcnt 0x0
	global_store_b64 v[2:3], v[8:9], off
.LBB23_2758:
	s_and_not1_b32 vcc_lo, exec_lo, s0
	s_cbranch_vccnz .LBB23_2760
; %bb.2759:
	s_wait_loadcnt 0x0
	global_store_b32 v[2:3], v8, off
.LBB23_2760:
	s_mov_b32 s0, 0
.LBB23_2761:
	s_delay_alu instid0(SALU_CYCLE_1)
	s_and_not1_b32 vcc_lo, exec_lo, s0
	s_cbranch_vccnz .LBB23_2763
; %bb.2762:
	s_wait_loadcnt 0x0
	global_store_b16 v[2:3], v8, off
.LBB23_2763:
	s_mov_b32 s0, 0
.LBB23_2764:
	s_delay_alu instid0(SALU_CYCLE_1)
	s_and_not1_b32 vcc_lo, exec_lo, s0
	s_cbranch_vccnz .LBB23_2769
; %bb.2765:
	s_sext_i32_i16 s0, s1
	s_delay_alu instid0(SALU_CYCLE_1)
	s_cmp_gt_i32 s0, 0
	s_mov_b32 s0, -1
	s_cbranch_scc0 .LBB23_2767
; %bb.2766:
	s_mov_b32 s0, 0
	s_wait_loadcnt 0x0
	global_store_b8 v[2:3], v8, off
.LBB23_2767:
	s_and_not1_b32 vcc_lo, exec_lo, s0
	s_cbranch_vccnz .LBB23_2769
; %bb.2768:
	s_wait_loadcnt 0x0
	global_store_b8 v[2:3], v8, off
	s_endpgm
.LBB23_2769:
	s_endpgm
.LBB23_2770:
	s_mov_b32 s0, -1
	s_mov_b32 s6, 0
.LBB23_2771:
	s_and_b32 vcc_lo, exec_lo, s0
	s_cbranch_vccz .LBB23_2810
; %bb.2772:
	s_and_b32 s0, 0xffff, s1
	s_mov_b32 s2, -1
	s_cmp_lt_i32 s0, 5
	s_cbranch_scc1 .LBB23_2793
; %bb.2773:
	s_cmp_lt_i32 s0, 8
	s_cbranch_scc1 .LBB23_2783
; %bb.2774:
	;; [unrolled: 3-line block ×3, first 2 shown]
	s_cmp_gt_i32 s0, 9
	s_cbranch_scc0 .LBB23_2777
; %bb.2776:
	v_cvt_f64_u32_e32 v[18:19], v10
	v_mov_b32_e32 v20, 0
	s_mov_b32 s2, 0
	s_delay_alu instid0(VALU_DEP_1)
	v_mov_b32_e32 v21, v20
	global_store_b128 v[6:7], v[18:21], off
.LBB23_2777:
	s_and_not1_b32 vcc_lo, exec_lo, s2
	s_cbranch_vccnz .LBB23_2779
; %bb.2778:
	v_cvt_f32_u32_e32 v12, v10
	v_mov_b32_e32 v13, 0
	global_store_b64 v[6:7], v[12:13], off
.LBB23_2779:
	s_mov_b32 s2, 0
.LBB23_2780:
	s_delay_alu instid0(SALU_CYCLE_1)
	s_and_not1_b32 vcc_lo, exec_lo, s2
	s_cbranch_vccnz .LBB23_2782
; %bb.2781:
	s_wait_xcnt 0x0
	v_cvt_f32_u32_e32 v1, v10
	s_delay_alu instid0(VALU_DEP_1) | instskip(NEXT) | instid1(VALU_DEP_1)
	v_cvt_f16_f32_e32 v1, v1
	v_and_b32_e32 v1, 0xffff, v1
	global_store_b32 v[6:7], v1, off
.LBB23_2782:
	s_mov_b32 s2, 0
.LBB23_2783:
	s_delay_alu instid0(SALU_CYCLE_1)
	s_and_not1_b32 vcc_lo, exec_lo, s2
	s_cbranch_vccnz .LBB23_2792
; %bb.2784:
	s_cmp_lt_i32 s0, 6
	s_mov_b32 s2, -1
	s_cbranch_scc1 .LBB23_2790
; %bb.2785:
	s_cmp_gt_i32 s0, 6
	s_cbranch_scc0 .LBB23_2787
; %bb.2786:
	s_wait_xcnt 0x0
	v_cvt_f64_u32_e32 v[12:13], v10
	s_mov_b32 s2, 0
	global_store_b64 v[6:7], v[12:13], off
.LBB23_2787:
	s_and_not1_b32 vcc_lo, exec_lo, s2
	s_cbranch_vccnz .LBB23_2789
; %bb.2788:
	s_wait_xcnt 0x0
	v_cvt_f32_u32_e32 v1, v10
	global_store_b32 v[6:7], v1, off
.LBB23_2789:
	s_mov_b32 s2, 0
.LBB23_2790:
	s_delay_alu instid0(SALU_CYCLE_1)
	s_and_not1_b32 vcc_lo, exec_lo, s2
	s_cbranch_vccnz .LBB23_2792
; %bb.2791:
	s_wait_xcnt 0x0
	v_cvt_f32_u32_e32 v1, v10
	s_delay_alu instid0(VALU_DEP_1)
	v_cvt_f16_f32_e32 v1, v1
	global_store_b16 v[6:7], v1, off
.LBB23_2792:
	s_mov_b32 s2, 0
.LBB23_2793:
	s_delay_alu instid0(SALU_CYCLE_1)
	s_and_not1_b32 vcc_lo, exec_lo, s2
	s_cbranch_vccnz .LBB23_2809
; %bb.2794:
	s_cmp_lt_i32 s0, 2
	s_mov_b32 s2, -1
	s_cbranch_scc1 .LBB23_2804
; %bb.2795:
	s_cmp_lt_i32 s0, 3
	s_cbranch_scc1 .LBB23_2801
; %bb.2796:
	s_cmp_gt_i32 s0, 3
	s_cbranch_scc0 .LBB23_2798
; %bb.2797:
	s_wait_xcnt 0x0
	v_mov_b32_e32 v11, 0
	s_mov_b32 s2, 0
	global_store_b64 v[6:7], v[10:11], off
.LBB23_2798:
	s_and_not1_b32 vcc_lo, exec_lo, s2
	s_cbranch_vccnz .LBB23_2800
; %bb.2799:
	global_store_b32 v[6:7], v10, off
.LBB23_2800:
	s_mov_b32 s2, 0
.LBB23_2801:
	s_delay_alu instid0(SALU_CYCLE_1)
	s_and_not1_b32 vcc_lo, exec_lo, s2
	s_cbranch_vccnz .LBB23_2803
; %bb.2802:
	global_store_b16 v[6:7], v10, off
.LBB23_2803:
	s_mov_b32 s2, 0
.LBB23_2804:
	s_delay_alu instid0(SALU_CYCLE_1)
	s_and_not1_b32 vcc_lo, exec_lo, s2
	s_cbranch_vccnz .LBB23_2809
; %bb.2805:
	s_cmp_gt_i32 s0, 0
	s_mov_b32 s0, -1
	s_cbranch_scc0 .LBB23_2807
; %bb.2806:
	s_mov_b32 s0, 0
	global_store_b8 v[6:7], v10, off
.LBB23_2807:
	s_and_not1_b32 vcc_lo, exec_lo, s0
	s_cbranch_vccnz .LBB23_2809
; %bb.2808:
	global_store_b8 v[6:7], v10, off
.LBB23_2809:
	s_mov_b32 s6, -1
.LBB23_2810:
	s_delay_alu instid0(SALU_CYCLE_1)
	s_and_not1_b32 vcc_lo, exec_lo, s6
	s_cbranch_vccnz .LBB23_3125
; %bb.2811:
	s_wait_xcnt 0x0
	v_mov_b32_e32 v5, 0
	s_and_b32 s2, 0xffff, s1
	s_delay_alu instid0(SALU_CYCLE_1) | instskip(NEXT) | instid1(VALU_DEP_1)
	s_cmp_lt_i32 s2, 11
	v_add_nc_u64_e32 v[4:5], s[4:5], v[4:5]
	s_cbranch_scc1 .LBB23_2889
; %bb.2812:
	s_mov_b32 s7, -1
	s_mov_b32 s3, 0
	s_cmp_gt_i32 s2, 25
	s_mov_b32 s6, 0
	s_mov_b32 s0, 0
	s_cbranch_scc0 .LBB23_2845
; %bb.2813:
	s_cmp_gt_i32 s2, 28
	s_cbranch_scc0 .LBB23_2828
; %bb.2814:
	s_cmp_gt_i32 s2, 43
	;; [unrolled: 3-line block ×3, first 2 shown]
	s_cbranch_scc0 .LBB23_2818
; %bb.2816:
	s_mov_b32 s0, -1
	s_mov_b32 s7, 0
	s_cmp_eq_u32 s2, 46
	s_cbranch_scc0 .LBB23_2818
; %bb.2817:
	v_cvt_f32_u32_e32 v1, v14
	s_mov_b32 s0, 0
	s_mov_b32 s6, -1
	s_delay_alu instid0(VALU_DEP_1) | instskip(NEXT) | instid1(VALU_DEP_1)
	v_bfe_u32 v3, v1, 16, 1
	v_add3_u32 v1, v1, v3, 0x7fff
	s_delay_alu instid0(VALU_DEP_1)
	v_lshrrev_b32_e32 v1, 16, v1
	global_store_b32 v[4:5], v1, off
.LBB23_2818:
	s_and_b32 vcc_lo, exec_lo, s7
	s_cbranch_vccz .LBB23_2823
; %bb.2819:
	s_cmp_eq_u32 s2, 44
	s_mov_b32 s0, -1
	s_cbranch_scc0 .LBB23_2823
; %bb.2820:
	v_cvt_f32_u32_e32 v6, v14
	v_mov_b32_e32 v3, 0xff
	s_mov_b32 s6, exec_lo
	s_wait_xcnt 0x0
	s_delay_alu instid0(VALU_DEP_2) | instskip(NEXT) | instid1(VALU_DEP_1)
	v_lshrrev_b32_e32 v1, 23, v6
	v_cmpx_ne_u32_e32 0xff, v1
; %bb.2821:
	v_and_b32_e32 v3, 0x400000, v6
	v_and_or_b32 v6, 0x3fffff, v6, v1
	s_delay_alu instid0(VALU_DEP_2) | instskip(NEXT) | instid1(VALU_DEP_2)
	v_cmp_ne_u32_e32 vcc_lo, 0, v3
	v_cmp_ne_u32_e64 s0, 0, v6
	s_and_b32 s0, vcc_lo, s0
	s_delay_alu instid0(SALU_CYCLE_1) | instskip(NEXT) | instid1(VALU_DEP_1)
	v_cndmask_b32_e64 v3, 0, 1, s0
	v_add_nc_u32_e32 v3, v1, v3
; %bb.2822:
	s_or_b32 exec_lo, exec_lo, s6
	s_mov_b32 s0, 0
	s_mov_b32 s6, -1
	global_store_b8 v[4:5], v3, off
.LBB23_2823:
	s_mov_b32 s7, 0
.LBB23_2824:
	s_delay_alu instid0(SALU_CYCLE_1)
	s_and_b32 vcc_lo, exec_lo, s7
	s_cbranch_vccz .LBB23_2827
; %bb.2825:
	s_cmp_eq_u32 s2, 29
	s_mov_b32 s0, -1
	s_cbranch_scc0 .LBB23_2827
; %bb.2826:
	v_mov_b32_e32 v15, 0
	s_mov_b32 s0, 0
	s_mov_b32 s6, -1
	global_store_b64 v[4:5], v[14:15], off
.LBB23_2827:
	s_mov_b32 s7, 0
.LBB23_2828:
	s_delay_alu instid0(SALU_CYCLE_1)
	s_and_b32 vcc_lo, exec_lo, s7
	s_cbranch_vccz .LBB23_2844
; %bb.2829:
	s_cmp_lt_i32 s2, 27
	s_mov_b32 s6, -1
	s_cbranch_scc1 .LBB23_2835
; %bb.2830:
	s_cmp_gt_i32 s2, 27
	s_cbranch_scc0 .LBB23_2832
; %bb.2831:
	s_mov_b32 s6, 0
	global_store_b32 v[4:5], v14, off
.LBB23_2832:
	s_and_not1_b32 vcc_lo, exec_lo, s6
	s_cbranch_vccnz .LBB23_2834
; %bb.2833:
	global_store_b16 v[4:5], v14, off
.LBB23_2834:
	s_mov_b32 s6, 0
.LBB23_2835:
	s_delay_alu instid0(SALU_CYCLE_1)
	s_and_not1_b32 vcc_lo, exec_lo, s6
	s_cbranch_vccnz .LBB23_2843
; %bb.2836:
	s_wait_xcnt 0x0
	v_cvt_f32_u32_e32 v3, v14
	v_mov_b32_e32 v6, 0x80
	s_mov_b32 s6, exec_lo
	s_delay_alu instid0(VALU_DEP_2)
	v_cmpx_gt_u32_e32 0x43800000, v3
	s_cbranch_execz .LBB23_2842
; %bb.2837:
	s_mov_b32 s7, 0
	s_mov_b32 s11, exec_lo
                                        ; implicit-def: $vgpr1
	v_cmpx_lt_u32_e32 0x3bffffff, v3
	s_xor_b32 s11, exec_lo, s11
	s_cbranch_execz .LBB23_3133
; %bb.2838:
	v_bfe_u32 v1, v3, 20, 1
	s_mov_b32 s7, exec_lo
	s_delay_alu instid0(VALU_DEP_1) | instskip(NEXT) | instid1(VALU_DEP_1)
	v_add3_u32 v1, v3, v1, 0x487ffff
                                        ; implicit-def: $vgpr3
	v_lshrrev_b32_e32 v1, 20, v1
	s_and_not1_saveexec_b32 s11, s11
	s_cbranch_execnz .LBB23_3134
.LBB23_2839:
	s_or_b32 exec_lo, exec_lo, s11
	v_mov_b32_e32 v6, 0
	s_and_saveexec_b32 s11, s7
.LBB23_2840:
	v_mov_b32_e32 v6, v1
.LBB23_2841:
	s_or_b32 exec_lo, exec_lo, s11
.LBB23_2842:
	s_delay_alu instid0(SALU_CYCLE_1)
	s_or_b32 exec_lo, exec_lo, s6
	global_store_b8 v[4:5], v6, off
.LBB23_2843:
	s_mov_b32 s6, -1
.LBB23_2844:
	s_mov_b32 s7, 0
.LBB23_2845:
	s_delay_alu instid0(SALU_CYCLE_1)
	s_and_b32 vcc_lo, exec_lo, s7
	s_cbranch_vccz .LBB23_2885
; %bb.2846:
	s_cmp_gt_i32 s2, 22
	s_mov_b32 s3, -1
	s_cbranch_scc0 .LBB23_2878
; %bb.2847:
	s_cmp_lt_i32 s2, 24
	s_cbranch_scc1 .LBB23_2867
; %bb.2848:
	s_cmp_gt_i32 s2, 24
	s_cbranch_scc0 .LBB23_2856
; %bb.2849:
	s_wait_xcnt 0x0
	v_cvt_f32_u32_e32 v3, v14
	v_mov_b32_e32 v6, 0x80
	s_mov_b32 s3, exec_lo
	s_delay_alu instid0(VALU_DEP_2)
	v_cmpx_gt_u32_e32 0x47800000, v3
	s_cbranch_execz .LBB23_2855
; %bb.2850:
	s_mov_b32 s6, 0
	s_mov_b32 s7, exec_lo
                                        ; implicit-def: $vgpr1
	v_cmpx_lt_u32_e32 0x37ffffff, v3
	s_xor_b32 s7, exec_lo, s7
	s_cbranch_execz .LBB23_3136
; %bb.2851:
	v_bfe_u32 v1, v3, 21, 1
	s_mov_b32 s6, exec_lo
	s_delay_alu instid0(VALU_DEP_1) | instskip(NEXT) | instid1(VALU_DEP_1)
	v_add3_u32 v1, v3, v1, 0x88fffff
                                        ; implicit-def: $vgpr3
	v_lshrrev_b32_e32 v1, 21, v1
	s_and_not1_saveexec_b32 s7, s7
	s_cbranch_execnz .LBB23_3137
.LBB23_2852:
	s_or_b32 exec_lo, exec_lo, s7
	v_mov_b32_e32 v6, 0
	s_and_saveexec_b32 s7, s6
.LBB23_2853:
	v_mov_b32_e32 v6, v1
.LBB23_2854:
	s_or_b32 exec_lo, exec_lo, s7
.LBB23_2855:
	s_delay_alu instid0(SALU_CYCLE_1)
	s_or_b32 exec_lo, exec_lo, s3
	s_mov_b32 s3, 0
	global_store_b8 v[4:5], v6, off
.LBB23_2856:
	s_and_b32 vcc_lo, exec_lo, s3
	s_cbranch_vccz .LBB23_2866
; %bb.2857:
	s_wait_xcnt 0x0
	v_cvt_f32_u32_e32 v3, v14
	s_mov_b32 s3, exec_lo
                                        ; implicit-def: $vgpr1
	s_delay_alu instid0(VALU_DEP_1)
	v_cmpx_gt_u32_e32 0x43f00000, v3
	s_xor_b32 s3, exec_lo, s3
	s_cbranch_execz .LBB23_2863
; %bb.2858:
	s_mov_b32 s6, exec_lo
                                        ; implicit-def: $vgpr1
	v_cmpx_lt_u32_e32 0x3c7fffff, v3
	s_xor_b32 s6, exec_lo, s6
; %bb.2859:
	v_bfe_u32 v1, v3, 20, 1
	s_delay_alu instid0(VALU_DEP_1) | instskip(NEXT) | instid1(VALU_DEP_1)
	v_add3_u32 v1, v3, v1, 0x407ffff
	v_and_b32_e32 v3, 0xff00000, v1
	v_lshrrev_b32_e32 v1, 20, v1
	s_delay_alu instid0(VALU_DEP_2) | instskip(NEXT) | instid1(VALU_DEP_2)
	v_cmp_ne_u32_e32 vcc_lo, 0x7f00000, v3
                                        ; implicit-def: $vgpr3
	v_cndmask_b32_e32 v1, 0x7e, v1, vcc_lo
; %bb.2860:
	s_and_not1_saveexec_b32 s6, s6
; %bb.2861:
	v_add_f32_e32 v1, 0x46800000, v3
; %bb.2862:
	s_or_b32 exec_lo, exec_lo, s6
                                        ; implicit-def: $vgpr3
.LBB23_2863:
	s_and_not1_saveexec_b32 s3, s3
; %bb.2864:
	v_mov_b32_e32 v1, 0x7f
	v_cmp_lt_u32_e32 vcc_lo, 0x7f800000, v3
	s_delay_alu instid0(VALU_DEP_2)
	v_cndmask_b32_e32 v1, 0x7e, v1, vcc_lo
; %bb.2865:
	s_or_b32 exec_lo, exec_lo, s3
	global_store_b8 v[4:5], v1, off
.LBB23_2866:
	s_mov_b32 s3, 0
.LBB23_2867:
	s_delay_alu instid0(SALU_CYCLE_1)
	s_and_not1_b32 vcc_lo, exec_lo, s3
	s_cbranch_vccnz .LBB23_2877
; %bb.2868:
	s_wait_xcnt 0x0
	v_cvt_f32_u32_e32 v3, v14
	s_mov_b32 s3, exec_lo
                                        ; implicit-def: $vgpr1
	s_delay_alu instid0(VALU_DEP_1)
	v_cmpx_gt_u32_e32 0x47800000, v3
	s_xor_b32 s3, exec_lo, s3
	s_cbranch_execz .LBB23_2874
; %bb.2869:
	s_mov_b32 s6, exec_lo
                                        ; implicit-def: $vgpr1
	v_cmpx_lt_u32_e32 0x387fffff, v3
	s_xor_b32 s6, exec_lo, s6
; %bb.2870:
	v_bfe_u32 v1, v3, 21, 1
	s_delay_alu instid0(VALU_DEP_1) | instskip(NEXT) | instid1(VALU_DEP_1)
	v_add3_u32 v1, v3, v1, 0x80fffff
                                        ; implicit-def: $vgpr3
	v_lshrrev_b32_e32 v1, 21, v1
; %bb.2871:
	s_and_not1_saveexec_b32 s6, s6
; %bb.2872:
	v_add_f32_e32 v1, 0x43000000, v3
; %bb.2873:
	s_or_b32 exec_lo, exec_lo, s6
                                        ; implicit-def: $vgpr3
.LBB23_2874:
	s_and_not1_saveexec_b32 s3, s3
; %bb.2875:
	v_mov_b32_e32 v1, 0x7f
	v_cmp_lt_u32_e32 vcc_lo, 0x7f800000, v3
	s_delay_alu instid0(VALU_DEP_2)
	v_cndmask_b32_e32 v1, 0x7c, v1, vcc_lo
; %bb.2876:
	s_or_b32 exec_lo, exec_lo, s3
	global_store_b8 v[4:5], v1, off
.LBB23_2877:
	s_mov_b32 s3, 0
	s_mov_b32 s6, -1
.LBB23_2878:
	s_and_not1_b32 vcc_lo, exec_lo, s3
	s_mov_b32 s3, 0
	s_cbranch_vccnz .LBB23_2885
; %bb.2879:
	s_cmp_gt_i32 s2, 14
	s_mov_b32 s3, -1
	s_cbranch_scc0 .LBB23_2883
; %bb.2880:
	s_cmp_eq_u32 s2, 15
	s_mov_b32 s0, -1
	s_cbranch_scc0 .LBB23_2882
; %bb.2881:
	s_wait_xcnt 0x0
	v_cvt_f32_u32_e32 v1, v14
	s_mov_b32 s0, 0
	s_mov_b32 s6, -1
	s_delay_alu instid0(VALU_DEP_1) | instskip(NEXT) | instid1(VALU_DEP_1)
	v_bfe_u32 v3, v1, 16, 1
	v_add3_u32 v1, v1, v3, 0x7fff
	global_store_d16_hi_b16 v[4:5], v1, off
.LBB23_2882:
	s_mov_b32 s3, 0
.LBB23_2883:
	s_delay_alu instid0(SALU_CYCLE_1)
	s_and_b32 vcc_lo, exec_lo, s3
	s_mov_b32 s3, 0
	s_cbranch_vccz .LBB23_2885
; %bb.2884:
	s_cmp_lg_u32 s2, 11
	s_mov_b32 s3, -1
	s_cselect_b32 s0, -1, 0
.LBB23_2885:
	s_delay_alu instid0(SALU_CYCLE_1)
	s_and_b32 vcc_lo, exec_lo, s0
	s_cbranch_vccnz .LBB23_3135
; %bb.2886:
	s_and_not1_b32 vcc_lo, exec_lo, s3
	s_cbranch_vccnz .LBB23_2888
.LBB23_2887:
	v_cmp_ne_u32_e32 vcc_lo, 0, v14
	s_mov_b32 s6, -1
	s_wait_xcnt 0x0
	v_cndmask_b32_e64 v1, 0, 1, vcc_lo
	global_store_b8 v[4:5], v1, off
.LBB23_2888:
	s_mov_b32 s0, 0
	s_branch .LBB23_2890
.LBB23_2889:
	s_mov_b32 s0, -1
	s_mov_b32 s6, 0
.LBB23_2890:
	s_and_b32 vcc_lo, exec_lo, s0
	s_cbranch_vccz .LBB23_2929
; %bb.2891:
	s_cmp_lt_i32 s2, 5
	s_mov_b32 s0, -1
	s_cbranch_scc1 .LBB23_2912
; %bb.2892:
	s_cmp_lt_i32 s2, 8
	s_cbranch_scc1 .LBB23_2902
; %bb.2893:
	s_cmp_lt_i32 s2, 9
	s_cbranch_scc1 .LBB23_2899
; %bb.2894:
	s_cmp_gt_i32 s2, 9
	s_cbranch_scc0 .LBB23_2896
; %bb.2895:
	v_cvt_f64_u32_e32 v[10:11], v14
	v_mov_b32_e32 v12, 0
	s_mov_b32 s0, 0
	s_delay_alu instid0(VALU_DEP_1)
	v_mov_b32_e32 v13, v12
	global_store_b128 v[4:5], v[10:13], off
.LBB23_2896:
	s_and_not1_b32 vcc_lo, exec_lo, s0
	s_cbranch_vccnz .LBB23_2898
; %bb.2897:
	s_wait_xcnt 0x0
	v_cvt_f32_u32_e32 v6, v14
	v_mov_b32_e32 v7, 0
	global_store_b64 v[4:5], v[6:7], off
.LBB23_2898:
	s_mov_b32 s0, 0
.LBB23_2899:
	s_delay_alu instid0(SALU_CYCLE_1)
	s_and_not1_b32 vcc_lo, exec_lo, s0
	s_cbranch_vccnz .LBB23_2901
; %bb.2900:
	s_wait_xcnt 0x0
	v_cvt_f32_u32_e32 v1, v14
	s_delay_alu instid0(VALU_DEP_1) | instskip(NEXT) | instid1(VALU_DEP_1)
	v_cvt_f16_f32_e32 v1, v1
	v_and_b32_e32 v1, 0xffff, v1
	global_store_b32 v[4:5], v1, off
.LBB23_2901:
	s_mov_b32 s0, 0
.LBB23_2902:
	s_delay_alu instid0(SALU_CYCLE_1)
	s_and_not1_b32 vcc_lo, exec_lo, s0
	s_cbranch_vccnz .LBB23_2911
; %bb.2903:
	s_cmp_lt_i32 s2, 6
	s_mov_b32 s0, -1
	s_cbranch_scc1 .LBB23_2909
; %bb.2904:
	s_cmp_gt_i32 s2, 6
	s_cbranch_scc0 .LBB23_2906
; %bb.2905:
	s_wait_xcnt 0x0
	v_cvt_f64_u32_e32 v[6:7], v14
	s_mov_b32 s0, 0
	global_store_b64 v[4:5], v[6:7], off
.LBB23_2906:
	s_and_not1_b32 vcc_lo, exec_lo, s0
	s_cbranch_vccnz .LBB23_2908
; %bb.2907:
	s_wait_xcnt 0x0
	v_cvt_f32_u32_e32 v1, v14
	global_store_b32 v[4:5], v1, off
.LBB23_2908:
	s_mov_b32 s0, 0
.LBB23_2909:
	s_delay_alu instid0(SALU_CYCLE_1)
	s_and_not1_b32 vcc_lo, exec_lo, s0
	s_cbranch_vccnz .LBB23_2911
; %bb.2910:
	s_wait_xcnt 0x0
	v_cvt_f32_u32_e32 v1, v14
	s_delay_alu instid0(VALU_DEP_1)
	v_cvt_f16_f32_e32 v1, v1
	global_store_b16 v[4:5], v1, off
.LBB23_2911:
	s_mov_b32 s0, 0
.LBB23_2912:
	s_delay_alu instid0(SALU_CYCLE_1)
	s_and_not1_b32 vcc_lo, exec_lo, s0
	s_cbranch_vccnz .LBB23_2928
; %bb.2913:
	s_cmp_lt_i32 s2, 2
	s_mov_b32 s0, -1
	s_cbranch_scc1 .LBB23_2923
; %bb.2914:
	s_cmp_lt_i32 s2, 3
	s_cbranch_scc1 .LBB23_2920
; %bb.2915:
	s_cmp_gt_i32 s2, 3
	s_cbranch_scc0 .LBB23_2917
; %bb.2916:
	s_wait_xcnt 0x0
	v_mov_b32_e32 v15, 0
	s_mov_b32 s0, 0
	global_store_b64 v[4:5], v[14:15], off
.LBB23_2917:
	s_and_not1_b32 vcc_lo, exec_lo, s0
	s_cbranch_vccnz .LBB23_2919
; %bb.2918:
	global_store_b32 v[4:5], v14, off
.LBB23_2919:
	s_mov_b32 s0, 0
.LBB23_2920:
	s_delay_alu instid0(SALU_CYCLE_1)
	s_and_not1_b32 vcc_lo, exec_lo, s0
	s_cbranch_vccnz .LBB23_2922
; %bb.2921:
	global_store_b16 v[4:5], v14, off
.LBB23_2922:
	s_mov_b32 s0, 0
.LBB23_2923:
	s_delay_alu instid0(SALU_CYCLE_1)
	s_and_not1_b32 vcc_lo, exec_lo, s0
	s_cbranch_vccnz .LBB23_2928
; %bb.2924:
	s_cmp_gt_i32 s2, 0
	s_mov_b32 s0, -1
	s_cbranch_scc0 .LBB23_2926
; %bb.2925:
	s_mov_b32 s0, 0
	global_store_b8 v[4:5], v14, off
.LBB23_2926:
	s_and_not1_b32 vcc_lo, exec_lo, s0
	s_cbranch_vccnz .LBB23_2928
; %bb.2927:
	global_store_b8 v[4:5], v14, off
.LBB23_2928:
	s_mov_b32 s6, -1
.LBB23_2929:
	s_delay_alu instid0(SALU_CYCLE_1)
	s_and_not1_b32 vcc_lo, exec_lo, s6
	s_cbranch_vccnz .LBB23_3125
; %bb.2930:
	s_wait_xcnt 0x0
	v_mov_b32_e32 v3, 0
	s_cmp_lt_i32 s2, 11
	s_delay_alu instid0(VALU_DEP_1)
	v_add_nc_u64_e32 v[2:3], s[4:5], v[2:3]
	s_cbranch_scc1 .LBB23_3008
; %bb.2931:
	s_mov_b32 s7, -1
	s_mov_b32 s3, 0
	s_cmp_gt_i32 s2, 25
	s_mov_b32 s6, 0
	s_mov_b32 s0, 0
	s_cbranch_scc0 .LBB23_2964
; %bb.2932:
	s_cmp_gt_i32 s2, 28
	s_cbranch_scc0 .LBB23_2947
; %bb.2933:
	s_cmp_gt_i32 s2, 43
	;; [unrolled: 3-line block ×3, first 2 shown]
	s_cbranch_scc0 .LBB23_2937
; %bb.2935:
	s_mov_b32 s0, -1
	s_mov_b32 s7, 0
	s_cmp_eq_u32 s2, 46
	s_cbranch_scc0 .LBB23_2937
; %bb.2936:
	v_cvt_f32_u32_e32 v1, v16
	s_mov_b32 s0, 0
	s_mov_b32 s6, -1
	s_delay_alu instid0(VALU_DEP_1) | instskip(NEXT) | instid1(VALU_DEP_1)
	v_bfe_u32 v4, v1, 16, 1
	v_add3_u32 v1, v1, v4, 0x7fff
	s_delay_alu instid0(VALU_DEP_1)
	v_lshrrev_b32_e32 v1, 16, v1
	global_store_b32 v[2:3], v1, off
.LBB23_2937:
	s_and_b32 vcc_lo, exec_lo, s7
	s_cbranch_vccz .LBB23_2942
; %bb.2938:
	s_cmp_eq_u32 s2, 44
	s_mov_b32 s0, -1
	s_cbranch_scc0 .LBB23_2942
; %bb.2939:
	v_cvt_f32_u32_e32 v5, v16
	s_mov_b32 s6, exec_lo
	s_wait_xcnt 0x0
	s_delay_alu instid0(VALU_DEP_1) | instskip(NEXT) | instid1(VALU_DEP_1)
	v_dual_mov_b32 v4, 0xff :: v_dual_lshrrev_b32 v1, 23, v5
	v_cmpx_ne_u32_e32 0xff, v1
; %bb.2940:
	v_and_b32_e32 v4, 0x400000, v5
	v_and_or_b32 v5, 0x3fffff, v5, v1
	s_delay_alu instid0(VALU_DEP_2) | instskip(NEXT) | instid1(VALU_DEP_2)
	v_cmp_ne_u32_e32 vcc_lo, 0, v4
	v_cmp_ne_u32_e64 s0, 0, v5
	s_and_b32 s0, vcc_lo, s0
	s_delay_alu instid0(SALU_CYCLE_1) | instskip(NEXT) | instid1(VALU_DEP_1)
	v_cndmask_b32_e64 v4, 0, 1, s0
	v_add_nc_u32_e32 v4, v1, v4
; %bb.2941:
	s_or_b32 exec_lo, exec_lo, s6
	s_mov_b32 s0, 0
	s_mov_b32 s6, -1
	global_store_b8 v[2:3], v4, off
.LBB23_2942:
	s_mov_b32 s7, 0
.LBB23_2943:
	s_delay_alu instid0(SALU_CYCLE_1)
	s_and_b32 vcc_lo, exec_lo, s7
	s_cbranch_vccz .LBB23_2946
; %bb.2944:
	s_cmp_eq_u32 s2, 29
	s_mov_b32 s0, -1
	s_cbranch_scc0 .LBB23_2946
; %bb.2945:
	v_mov_b32_e32 v17, 0
	s_mov_b32 s0, 0
	s_mov_b32 s6, -1
	global_store_b64 v[2:3], v[16:17], off
.LBB23_2946:
	s_mov_b32 s7, 0
.LBB23_2947:
	s_delay_alu instid0(SALU_CYCLE_1)
	s_and_b32 vcc_lo, exec_lo, s7
	s_cbranch_vccz .LBB23_2963
; %bb.2948:
	s_cmp_lt_i32 s2, 27
	s_mov_b32 s6, -1
	s_cbranch_scc1 .LBB23_2954
; %bb.2949:
	s_cmp_gt_i32 s2, 27
	s_cbranch_scc0 .LBB23_2951
; %bb.2950:
	s_mov_b32 s6, 0
	global_store_b32 v[2:3], v16, off
.LBB23_2951:
	s_and_not1_b32 vcc_lo, exec_lo, s6
	s_cbranch_vccnz .LBB23_2953
; %bb.2952:
	global_store_b16 v[2:3], v16, off
.LBB23_2953:
	s_mov_b32 s6, 0
.LBB23_2954:
	s_delay_alu instid0(SALU_CYCLE_1)
	s_and_not1_b32 vcc_lo, exec_lo, s6
	s_cbranch_vccnz .LBB23_2962
; %bb.2955:
	s_wait_xcnt 0x0
	v_cvt_f32_u32_e32 v4, v16
	v_mov_b32_e32 v5, 0x80
	s_mov_b32 s6, exec_lo
	s_delay_alu instid0(VALU_DEP_2)
	v_cmpx_gt_u32_e32 0x43800000, v4
	s_cbranch_execz .LBB23_2961
; %bb.2956:
	s_mov_b32 s7, 0
	s_mov_b32 s11, exec_lo
                                        ; implicit-def: $vgpr1
	v_cmpx_lt_u32_e32 0x3bffffff, v4
	s_xor_b32 s11, exec_lo, s11
	s_cbranch_execz .LBB23_3138
; %bb.2957:
	v_bfe_u32 v1, v4, 20, 1
	s_mov_b32 s7, exec_lo
	s_delay_alu instid0(VALU_DEP_1) | instskip(NEXT) | instid1(VALU_DEP_1)
	v_add3_u32 v1, v4, v1, 0x487ffff
                                        ; implicit-def: $vgpr4
	v_lshrrev_b32_e32 v1, 20, v1
	s_and_not1_saveexec_b32 s11, s11
	s_cbranch_execnz .LBB23_3139
.LBB23_2958:
	s_or_b32 exec_lo, exec_lo, s11
	v_mov_b32_e32 v5, 0
	s_and_saveexec_b32 s11, s7
.LBB23_2959:
	v_mov_b32_e32 v5, v1
.LBB23_2960:
	s_or_b32 exec_lo, exec_lo, s11
.LBB23_2961:
	s_delay_alu instid0(SALU_CYCLE_1)
	s_or_b32 exec_lo, exec_lo, s6
	global_store_b8 v[2:3], v5, off
.LBB23_2962:
	s_mov_b32 s6, -1
.LBB23_2963:
	s_mov_b32 s7, 0
.LBB23_2964:
	s_delay_alu instid0(SALU_CYCLE_1)
	s_and_b32 vcc_lo, exec_lo, s7
	s_cbranch_vccz .LBB23_3004
; %bb.2965:
	s_cmp_gt_i32 s2, 22
	s_mov_b32 s3, -1
	s_cbranch_scc0 .LBB23_2997
; %bb.2966:
	s_cmp_lt_i32 s2, 24
	s_cbranch_scc1 .LBB23_2986
; %bb.2967:
	s_cmp_gt_i32 s2, 24
	s_cbranch_scc0 .LBB23_2975
; %bb.2968:
	s_wait_xcnt 0x0
	v_cvt_f32_u32_e32 v4, v16
	v_mov_b32_e32 v5, 0x80
	s_mov_b32 s3, exec_lo
	s_delay_alu instid0(VALU_DEP_2)
	v_cmpx_gt_u32_e32 0x47800000, v4
	s_cbranch_execz .LBB23_2974
; %bb.2969:
	s_mov_b32 s6, 0
	s_mov_b32 s7, exec_lo
                                        ; implicit-def: $vgpr1
	v_cmpx_lt_u32_e32 0x37ffffff, v4
	s_xor_b32 s7, exec_lo, s7
	s_cbranch_execz .LBB23_3141
; %bb.2970:
	v_bfe_u32 v1, v4, 21, 1
	s_mov_b32 s6, exec_lo
	s_delay_alu instid0(VALU_DEP_1) | instskip(NEXT) | instid1(VALU_DEP_1)
	v_add3_u32 v1, v4, v1, 0x88fffff
                                        ; implicit-def: $vgpr4
	v_lshrrev_b32_e32 v1, 21, v1
	s_and_not1_saveexec_b32 s7, s7
	s_cbranch_execnz .LBB23_3142
.LBB23_2971:
	s_or_b32 exec_lo, exec_lo, s7
	v_mov_b32_e32 v5, 0
	s_and_saveexec_b32 s7, s6
.LBB23_2972:
	v_mov_b32_e32 v5, v1
.LBB23_2973:
	s_or_b32 exec_lo, exec_lo, s7
.LBB23_2974:
	s_delay_alu instid0(SALU_CYCLE_1)
	s_or_b32 exec_lo, exec_lo, s3
	s_mov_b32 s3, 0
	global_store_b8 v[2:3], v5, off
.LBB23_2975:
	s_and_b32 vcc_lo, exec_lo, s3
	s_cbranch_vccz .LBB23_2985
; %bb.2976:
	s_wait_xcnt 0x0
	v_cvt_f32_u32_e32 v4, v16
	s_mov_b32 s3, exec_lo
                                        ; implicit-def: $vgpr1
	s_delay_alu instid0(VALU_DEP_1)
	v_cmpx_gt_u32_e32 0x43f00000, v4
	s_xor_b32 s3, exec_lo, s3
	s_cbranch_execz .LBB23_2982
; %bb.2977:
	s_mov_b32 s6, exec_lo
                                        ; implicit-def: $vgpr1
	v_cmpx_lt_u32_e32 0x3c7fffff, v4
	s_xor_b32 s6, exec_lo, s6
; %bb.2978:
	v_bfe_u32 v1, v4, 20, 1
	s_delay_alu instid0(VALU_DEP_1) | instskip(NEXT) | instid1(VALU_DEP_1)
	v_add3_u32 v1, v4, v1, 0x407ffff
	v_and_b32_e32 v4, 0xff00000, v1
	v_lshrrev_b32_e32 v1, 20, v1
	s_delay_alu instid0(VALU_DEP_2) | instskip(NEXT) | instid1(VALU_DEP_2)
	v_cmp_ne_u32_e32 vcc_lo, 0x7f00000, v4
                                        ; implicit-def: $vgpr4
	v_cndmask_b32_e32 v1, 0x7e, v1, vcc_lo
; %bb.2979:
	s_and_not1_saveexec_b32 s6, s6
; %bb.2980:
	v_add_f32_e32 v1, 0x46800000, v4
; %bb.2981:
	s_or_b32 exec_lo, exec_lo, s6
                                        ; implicit-def: $vgpr4
.LBB23_2982:
	s_and_not1_saveexec_b32 s3, s3
; %bb.2983:
	v_mov_b32_e32 v1, 0x7f
	v_cmp_lt_u32_e32 vcc_lo, 0x7f800000, v4
	s_delay_alu instid0(VALU_DEP_2)
	v_cndmask_b32_e32 v1, 0x7e, v1, vcc_lo
; %bb.2984:
	s_or_b32 exec_lo, exec_lo, s3
	global_store_b8 v[2:3], v1, off
.LBB23_2985:
	s_mov_b32 s3, 0
.LBB23_2986:
	s_delay_alu instid0(SALU_CYCLE_1)
	s_and_not1_b32 vcc_lo, exec_lo, s3
	s_cbranch_vccnz .LBB23_2996
; %bb.2987:
	s_wait_xcnt 0x0
	v_cvt_f32_u32_e32 v4, v16
	s_mov_b32 s3, exec_lo
                                        ; implicit-def: $vgpr1
	s_delay_alu instid0(VALU_DEP_1)
	v_cmpx_gt_u32_e32 0x47800000, v4
	s_xor_b32 s3, exec_lo, s3
	s_cbranch_execz .LBB23_2993
; %bb.2988:
	s_mov_b32 s6, exec_lo
                                        ; implicit-def: $vgpr1
	v_cmpx_lt_u32_e32 0x387fffff, v4
	s_xor_b32 s6, exec_lo, s6
; %bb.2989:
	v_bfe_u32 v1, v4, 21, 1
	s_delay_alu instid0(VALU_DEP_1) | instskip(NEXT) | instid1(VALU_DEP_1)
	v_add3_u32 v1, v4, v1, 0x80fffff
                                        ; implicit-def: $vgpr4
	v_lshrrev_b32_e32 v1, 21, v1
; %bb.2990:
	s_and_not1_saveexec_b32 s6, s6
; %bb.2991:
	v_add_f32_e32 v1, 0x43000000, v4
; %bb.2992:
	s_or_b32 exec_lo, exec_lo, s6
                                        ; implicit-def: $vgpr4
.LBB23_2993:
	s_and_not1_saveexec_b32 s3, s3
; %bb.2994:
	v_mov_b32_e32 v1, 0x7f
	v_cmp_lt_u32_e32 vcc_lo, 0x7f800000, v4
	s_delay_alu instid0(VALU_DEP_2)
	v_cndmask_b32_e32 v1, 0x7c, v1, vcc_lo
; %bb.2995:
	s_or_b32 exec_lo, exec_lo, s3
	global_store_b8 v[2:3], v1, off
.LBB23_2996:
	s_mov_b32 s3, 0
	s_mov_b32 s6, -1
.LBB23_2997:
	s_and_not1_b32 vcc_lo, exec_lo, s3
	s_mov_b32 s3, 0
	s_cbranch_vccnz .LBB23_3004
; %bb.2998:
	s_cmp_gt_i32 s2, 14
	s_mov_b32 s3, -1
	s_cbranch_scc0 .LBB23_3002
; %bb.2999:
	s_cmp_eq_u32 s2, 15
	s_mov_b32 s0, -1
	s_cbranch_scc0 .LBB23_3001
; %bb.3000:
	s_wait_xcnt 0x0
	v_cvt_f32_u32_e32 v1, v16
	s_mov_b32 s0, 0
	s_mov_b32 s6, -1
	s_delay_alu instid0(VALU_DEP_1) | instskip(NEXT) | instid1(VALU_DEP_1)
	v_bfe_u32 v4, v1, 16, 1
	v_add3_u32 v1, v1, v4, 0x7fff
	global_store_d16_hi_b16 v[2:3], v1, off
.LBB23_3001:
	s_mov_b32 s3, 0
.LBB23_3002:
	s_delay_alu instid0(SALU_CYCLE_1)
	s_and_b32 vcc_lo, exec_lo, s3
	s_mov_b32 s3, 0
	s_cbranch_vccz .LBB23_3004
; %bb.3003:
	s_cmp_lg_u32 s2, 11
	s_mov_b32 s3, -1
	s_cselect_b32 s0, -1, 0
.LBB23_3004:
	s_delay_alu instid0(SALU_CYCLE_1)
	s_and_b32 vcc_lo, exec_lo, s0
	s_cbranch_vccnz .LBB23_3140
; %bb.3005:
	s_and_not1_b32 vcc_lo, exec_lo, s3
	s_cbranch_vccnz .LBB23_3007
.LBB23_3006:
	v_cmp_ne_u32_e32 vcc_lo, 0, v16
	s_mov_b32 s6, -1
	s_wait_xcnt 0x0
	v_cndmask_b32_e64 v1, 0, 1, vcc_lo
	global_store_b8 v[2:3], v1, off
.LBB23_3007:
	s_mov_b32 s0, 0
	s_branch .LBB23_3009
.LBB23_3008:
	s_mov_b32 s0, -1
	s_mov_b32 s6, 0
.LBB23_3009:
	s_and_b32 vcc_lo, exec_lo, s0
	s_cbranch_vccz .LBB23_3048
; %bb.3010:
	s_cmp_lt_i32 s2, 5
	s_mov_b32 s0, -1
	s_cbranch_scc1 .LBB23_3031
; %bb.3011:
	s_cmp_lt_i32 s2, 8
	s_cbranch_scc1 .LBB23_3021
; %bb.3012:
	s_cmp_lt_i32 s2, 9
	s_cbranch_scc1 .LBB23_3018
; %bb.3013:
	s_cmp_gt_i32 s2, 9
	s_cbranch_scc0 .LBB23_3015
; %bb.3014:
	s_wait_xcnt 0x0
	v_cvt_f64_u32_e32 v[4:5], v16
	v_mov_b32_e32 v6, 0
	s_mov_b32 s0, 0
	s_delay_alu instid0(VALU_DEP_1)
	v_mov_b32_e32 v7, v6
	global_store_b128 v[2:3], v[4:7], off
.LBB23_3015:
	s_and_not1_b32 vcc_lo, exec_lo, s0
	s_cbranch_vccnz .LBB23_3017
; %bb.3016:
	s_wait_xcnt 0x0
	v_cvt_f32_u32_e32 v4, v16
	v_mov_b32_e32 v5, 0
	global_store_b64 v[2:3], v[4:5], off
.LBB23_3017:
	s_mov_b32 s0, 0
.LBB23_3018:
	s_delay_alu instid0(SALU_CYCLE_1)
	s_and_not1_b32 vcc_lo, exec_lo, s0
	s_cbranch_vccnz .LBB23_3020
; %bb.3019:
	s_wait_xcnt 0x0
	v_cvt_f32_u32_e32 v1, v16
	s_delay_alu instid0(VALU_DEP_1) | instskip(NEXT) | instid1(VALU_DEP_1)
	v_cvt_f16_f32_e32 v1, v1
	v_and_b32_e32 v1, 0xffff, v1
	global_store_b32 v[2:3], v1, off
.LBB23_3020:
	s_mov_b32 s0, 0
.LBB23_3021:
	s_delay_alu instid0(SALU_CYCLE_1)
	s_and_not1_b32 vcc_lo, exec_lo, s0
	s_cbranch_vccnz .LBB23_3030
; %bb.3022:
	s_cmp_lt_i32 s2, 6
	s_mov_b32 s0, -1
	s_cbranch_scc1 .LBB23_3028
; %bb.3023:
	s_cmp_gt_i32 s2, 6
	s_cbranch_scc0 .LBB23_3025
; %bb.3024:
	s_wait_xcnt 0x0
	v_cvt_f64_u32_e32 v[4:5], v16
	s_mov_b32 s0, 0
	global_store_b64 v[2:3], v[4:5], off
.LBB23_3025:
	s_and_not1_b32 vcc_lo, exec_lo, s0
	s_cbranch_vccnz .LBB23_3027
; %bb.3026:
	s_wait_xcnt 0x0
	v_cvt_f32_u32_e32 v1, v16
	global_store_b32 v[2:3], v1, off
.LBB23_3027:
	s_mov_b32 s0, 0
.LBB23_3028:
	s_delay_alu instid0(SALU_CYCLE_1)
	s_and_not1_b32 vcc_lo, exec_lo, s0
	s_cbranch_vccnz .LBB23_3030
; %bb.3029:
	s_wait_xcnt 0x0
	v_cvt_f32_u32_e32 v1, v16
	s_delay_alu instid0(VALU_DEP_1)
	v_cvt_f16_f32_e32 v1, v1
	global_store_b16 v[2:3], v1, off
.LBB23_3030:
	s_mov_b32 s0, 0
.LBB23_3031:
	s_delay_alu instid0(SALU_CYCLE_1)
	s_and_not1_b32 vcc_lo, exec_lo, s0
	s_cbranch_vccnz .LBB23_3047
; %bb.3032:
	s_cmp_lt_i32 s2, 2
	s_mov_b32 s0, -1
	s_cbranch_scc1 .LBB23_3042
; %bb.3033:
	s_cmp_lt_i32 s2, 3
	s_cbranch_scc1 .LBB23_3039
; %bb.3034:
	s_cmp_gt_i32 s2, 3
	s_cbranch_scc0 .LBB23_3036
; %bb.3035:
	s_wait_xcnt 0x0
	v_mov_b32_e32 v17, 0
	s_mov_b32 s0, 0
	global_store_b64 v[2:3], v[16:17], off
.LBB23_3036:
	s_and_not1_b32 vcc_lo, exec_lo, s0
	s_cbranch_vccnz .LBB23_3038
; %bb.3037:
	global_store_b32 v[2:3], v16, off
.LBB23_3038:
	s_mov_b32 s0, 0
.LBB23_3039:
	s_delay_alu instid0(SALU_CYCLE_1)
	s_and_not1_b32 vcc_lo, exec_lo, s0
	s_cbranch_vccnz .LBB23_3041
; %bb.3040:
	global_store_b16 v[2:3], v16, off
.LBB23_3041:
	s_mov_b32 s0, 0
.LBB23_3042:
	s_delay_alu instid0(SALU_CYCLE_1)
	s_and_not1_b32 vcc_lo, exec_lo, s0
	s_cbranch_vccnz .LBB23_3047
; %bb.3043:
	s_cmp_gt_i32 s2, 0
	s_mov_b32 s0, -1
	s_cbranch_scc0 .LBB23_3045
; %bb.3044:
	s_mov_b32 s0, 0
	global_store_b8 v[2:3], v16, off
.LBB23_3045:
	s_and_not1_b32 vcc_lo, exec_lo, s0
	s_cbranch_vccnz .LBB23_3047
; %bb.3046:
	global_store_b8 v[2:3], v16, off
.LBB23_3047:
	s_mov_b32 s6, -1
.LBB23_3048:
	s_delay_alu instid0(SALU_CYCLE_1)
	s_and_not1_b32 vcc_lo, exec_lo, s6
	s_cbranch_vccnz .LBB23_3125
; %bb.3049:
	s_wait_xcnt 0x0
	v_mov_b32_e32 v1, 0
	s_cmp_lt_i32 s2, 11
	s_delay_alu instid0(VALU_DEP_1)
	v_add_nc_u64_e32 v[2:3], s[4:5], v[0:1]
	s_cbranch_scc1 .LBB23_3126
; %bb.3050:
	s_mov_b32 s4, -1
	s_mov_b32 s3, 0
	s_cmp_gt_i32 s2, 25
	s_mov_b32 s0, 0
	s_cbranch_scc0 .LBB23_3083
; %bb.3051:
	s_cmp_gt_i32 s2, 28
	s_cbranch_scc0 .LBB23_3067
; %bb.3052:
	s_cmp_gt_i32 s2, 43
	;; [unrolled: 3-line block ×3, first 2 shown]
	s_cbranch_scc0 .LBB23_3057
; %bb.3054:
	s_cmp_eq_u32 s2, 46
	s_mov_b32 s0, -1
	s_cbranch_scc0 .LBB23_3056
; %bb.3055:
	v_cvt_f32_u32_e32 v0, v8
	s_mov_b32 s0, 0
	s_delay_alu instid0(VALU_DEP_1) | instskip(NEXT) | instid1(VALU_DEP_1)
	v_bfe_u32 v1, v0, 16, 1
	v_add3_u32 v0, v0, v1, 0x7fff
	s_delay_alu instid0(VALU_DEP_1)
	v_lshrrev_b32_e32 v0, 16, v0
	global_store_b32 v[2:3], v0, off
.LBB23_3056:
	s_mov_b32 s4, 0
.LBB23_3057:
	s_delay_alu instid0(SALU_CYCLE_1)
	s_and_b32 vcc_lo, exec_lo, s4
	s_cbranch_vccz .LBB23_3062
; %bb.3058:
	s_cmp_eq_u32 s2, 44
	s_mov_b32 s0, -1
	s_cbranch_scc0 .LBB23_3062
; %bb.3059:
	v_cvt_f32_u32_e32 v4, v8
	s_mov_b32 s4, exec_lo
	s_wait_xcnt 0x0
	s_delay_alu instid0(VALU_DEP_1) | instskip(NEXT) | instid1(VALU_DEP_1)
	v_dual_mov_b32 v1, 0xff :: v_dual_lshrrev_b32 v0, 23, v4
	v_cmpx_ne_u32_e32 0xff, v0
; %bb.3060:
	v_and_b32_e32 v1, 0x400000, v4
	v_and_or_b32 v4, 0x3fffff, v4, v0
	s_delay_alu instid0(VALU_DEP_2) | instskip(NEXT) | instid1(VALU_DEP_2)
	v_cmp_ne_u32_e32 vcc_lo, 0, v1
	v_cmp_ne_u32_e64 s0, 0, v4
	s_and_b32 s0, vcc_lo, s0
	s_delay_alu instid0(SALU_CYCLE_1) | instskip(NEXT) | instid1(VALU_DEP_1)
	v_cndmask_b32_e64 v1, 0, 1, s0
	v_add_nc_u32_e32 v1, v0, v1
; %bb.3061:
	s_or_b32 exec_lo, exec_lo, s4
	s_mov_b32 s0, 0
	global_store_b8 v[2:3], v1, off
.LBB23_3062:
	s_mov_b32 s4, 0
.LBB23_3063:
	s_delay_alu instid0(SALU_CYCLE_1)
	s_and_b32 vcc_lo, exec_lo, s4
	s_cbranch_vccz .LBB23_3066
; %bb.3064:
	s_cmp_eq_u32 s2, 29
	s_mov_b32 s0, -1
	s_cbranch_scc0 .LBB23_3066
; %bb.3065:
	v_mov_b32_e32 v9, 0
	s_mov_b32 s0, 0
	global_store_b64 v[2:3], v[8:9], off
.LBB23_3066:
	s_mov_b32 s4, 0
.LBB23_3067:
	s_delay_alu instid0(SALU_CYCLE_1)
	s_and_b32 vcc_lo, exec_lo, s4
	s_cbranch_vccz .LBB23_3082
; %bb.3068:
	s_cmp_lt_i32 s2, 27
	s_mov_b32 s4, -1
	s_cbranch_scc1 .LBB23_3074
; %bb.3069:
	s_cmp_gt_i32 s2, 27
	s_cbranch_scc0 .LBB23_3071
; %bb.3070:
	s_mov_b32 s4, 0
	global_store_b32 v[2:3], v8, off
.LBB23_3071:
	s_and_not1_b32 vcc_lo, exec_lo, s4
	s_cbranch_vccnz .LBB23_3073
; %bb.3072:
	global_store_b16 v[2:3], v8, off
.LBB23_3073:
	s_mov_b32 s4, 0
.LBB23_3074:
	s_delay_alu instid0(SALU_CYCLE_1)
	s_and_not1_b32 vcc_lo, exec_lo, s4
	s_cbranch_vccnz .LBB23_3082
; %bb.3075:
	s_wait_xcnt 0x0
	v_cvt_f32_u32_e32 v1, v8
	v_mov_b32_e32 v4, 0x80
	s_mov_b32 s4, exec_lo
	s_delay_alu instid0(VALU_DEP_2)
	v_cmpx_gt_u32_e32 0x43800000, v1
	s_cbranch_execz .LBB23_3081
; %bb.3076:
	s_mov_b32 s5, 0
	s_mov_b32 s6, exec_lo
                                        ; implicit-def: $vgpr0
	v_cmpx_lt_u32_e32 0x3bffffff, v1
	s_xor_b32 s6, exec_lo, s6
	s_cbranch_execz .LBB23_3143
; %bb.3077:
	v_bfe_u32 v0, v1, 20, 1
	s_mov_b32 s5, exec_lo
	s_delay_alu instid0(VALU_DEP_1) | instskip(NEXT) | instid1(VALU_DEP_1)
	v_add3_u32 v0, v1, v0, 0x487ffff
                                        ; implicit-def: $vgpr1
	v_lshrrev_b32_e32 v0, 20, v0
	s_and_not1_saveexec_b32 s6, s6
	s_cbranch_execnz .LBB23_3144
.LBB23_3078:
	s_or_b32 exec_lo, exec_lo, s6
	v_mov_b32_e32 v4, 0
	s_and_saveexec_b32 s6, s5
.LBB23_3079:
	v_mov_b32_e32 v4, v0
.LBB23_3080:
	s_or_b32 exec_lo, exec_lo, s6
.LBB23_3081:
	s_delay_alu instid0(SALU_CYCLE_1)
	s_or_b32 exec_lo, exec_lo, s4
	global_store_b8 v[2:3], v4, off
.LBB23_3082:
	s_mov_b32 s4, 0
.LBB23_3083:
	s_delay_alu instid0(SALU_CYCLE_1)
	s_and_b32 vcc_lo, exec_lo, s4
	s_cbranch_vccz .LBB23_3123
; %bb.3084:
	s_cmp_gt_i32 s2, 22
	s_mov_b32 s3, -1
	s_cbranch_scc0 .LBB23_3116
; %bb.3085:
	s_cmp_lt_i32 s2, 24
	s_cbranch_scc1 .LBB23_3105
; %bb.3086:
	s_cmp_gt_i32 s2, 24
	s_cbranch_scc0 .LBB23_3094
; %bb.3087:
	s_wait_xcnt 0x0
	v_cvt_f32_u32_e32 v1, v8
	v_mov_b32_e32 v4, 0x80
	s_mov_b32 s3, exec_lo
	s_delay_alu instid0(VALU_DEP_2)
	v_cmpx_gt_u32_e32 0x47800000, v1
	s_cbranch_execz .LBB23_3093
; %bb.3088:
	s_mov_b32 s4, 0
	s_mov_b32 s5, exec_lo
                                        ; implicit-def: $vgpr0
	v_cmpx_lt_u32_e32 0x37ffffff, v1
	s_xor_b32 s5, exec_lo, s5
	s_cbranch_execz .LBB23_3146
; %bb.3089:
	v_bfe_u32 v0, v1, 21, 1
	s_mov_b32 s4, exec_lo
	s_delay_alu instid0(VALU_DEP_1) | instskip(NEXT) | instid1(VALU_DEP_1)
	v_add3_u32 v0, v1, v0, 0x88fffff
                                        ; implicit-def: $vgpr1
	v_lshrrev_b32_e32 v0, 21, v0
	s_and_not1_saveexec_b32 s5, s5
	s_cbranch_execnz .LBB23_3147
.LBB23_3090:
	s_or_b32 exec_lo, exec_lo, s5
	v_mov_b32_e32 v4, 0
	s_and_saveexec_b32 s5, s4
.LBB23_3091:
	v_mov_b32_e32 v4, v0
.LBB23_3092:
	s_or_b32 exec_lo, exec_lo, s5
.LBB23_3093:
	s_delay_alu instid0(SALU_CYCLE_1)
	s_or_b32 exec_lo, exec_lo, s3
	s_mov_b32 s3, 0
	global_store_b8 v[2:3], v4, off
.LBB23_3094:
	s_and_b32 vcc_lo, exec_lo, s3
	s_cbranch_vccz .LBB23_3104
; %bb.3095:
	s_wait_xcnt 0x0
	v_cvt_f32_u32_e32 v1, v8
	s_mov_b32 s3, exec_lo
                                        ; implicit-def: $vgpr0
	s_delay_alu instid0(VALU_DEP_1)
	v_cmpx_gt_u32_e32 0x43f00000, v1
	s_xor_b32 s3, exec_lo, s3
	s_cbranch_execz .LBB23_3101
; %bb.3096:
	s_mov_b32 s4, exec_lo
                                        ; implicit-def: $vgpr0
	v_cmpx_lt_u32_e32 0x3c7fffff, v1
	s_xor_b32 s4, exec_lo, s4
; %bb.3097:
	v_bfe_u32 v0, v1, 20, 1
	s_delay_alu instid0(VALU_DEP_1) | instskip(NEXT) | instid1(VALU_DEP_1)
	v_add3_u32 v0, v1, v0, 0x407ffff
	v_and_b32_e32 v1, 0xff00000, v0
	v_lshrrev_b32_e32 v0, 20, v0
	s_delay_alu instid0(VALU_DEP_2) | instskip(NEXT) | instid1(VALU_DEP_2)
	v_cmp_ne_u32_e32 vcc_lo, 0x7f00000, v1
                                        ; implicit-def: $vgpr1
	v_cndmask_b32_e32 v0, 0x7e, v0, vcc_lo
; %bb.3098:
	s_and_not1_saveexec_b32 s4, s4
; %bb.3099:
	v_add_f32_e32 v0, 0x46800000, v1
; %bb.3100:
	s_or_b32 exec_lo, exec_lo, s4
                                        ; implicit-def: $vgpr1
.LBB23_3101:
	s_and_not1_saveexec_b32 s3, s3
; %bb.3102:
	v_mov_b32_e32 v0, 0x7f
	v_cmp_lt_u32_e32 vcc_lo, 0x7f800000, v1
	s_delay_alu instid0(VALU_DEP_2)
	v_cndmask_b32_e32 v0, 0x7e, v0, vcc_lo
; %bb.3103:
	s_or_b32 exec_lo, exec_lo, s3
	global_store_b8 v[2:3], v0, off
.LBB23_3104:
	s_mov_b32 s3, 0
.LBB23_3105:
	s_delay_alu instid0(SALU_CYCLE_1)
	s_and_not1_b32 vcc_lo, exec_lo, s3
	s_cbranch_vccnz .LBB23_3115
; %bb.3106:
	s_wait_xcnt 0x0
	v_cvt_f32_u32_e32 v1, v8
	s_mov_b32 s3, exec_lo
                                        ; implicit-def: $vgpr0
	s_delay_alu instid0(VALU_DEP_1)
	v_cmpx_gt_u32_e32 0x47800000, v1
	s_xor_b32 s3, exec_lo, s3
	s_cbranch_execz .LBB23_3112
; %bb.3107:
	s_mov_b32 s4, exec_lo
                                        ; implicit-def: $vgpr0
	v_cmpx_lt_u32_e32 0x387fffff, v1
	s_xor_b32 s4, exec_lo, s4
; %bb.3108:
	v_bfe_u32 v0, v1, 21, 1
	s_delay_alu instid0(VALU_DEP_1) | instskip(NEXT) | instid1(VALU_DEP_1)
	v_add3_u32 v0, v1, v0, 0x80fffff
                                        ; implicit-def: $vgpr1
	v_lshrrev_b32_e32 v0, 21, v0
; %bb.3109:
	s_and_not1_saveexec_b32 s4, s4
; %bb.3110:
	v_add_f32_e32 v0, 0x43000000, v1
; %bb.3111:
	s_or_b32 exec_lo, exec_lo, s4
                                        ; implicit-def: $vgpr1
.LBB23_3112:
	s_and_not1_saveexec_b32 s3, s3
; %bb.3113:
	v_mov_b32_e32 v0, 0x7f
	v_cmp_lt_u32_e32 vcc_lo, 0x7f800000, v1
	s_delay_alu instid0(VALU_DEP_2)
	v_cndmask_b32_e32 v0, 0x7c, v0, vcc_lo
; %bb.3114:
	s_or_b32 exec_lo, exec_lo, s3
	global_store_b8 v[2:3], v0, off
.LBB23_3115:
	s_mov_b32 s3, 0
.LBB23_3116:
	s_delay_alu instid0(SALU_CYCLE_1)
	s_and_not1_b32 vcc_lo, exec_lo, s3
	s_mov_b32 s3, 0
	s_cbranch_vccnz .LBB23_3123
; %bb.3117:
	s_cmp_gt_i32 s2, 14
	s_mov_b32 s3, -1
	s_cbranch_scc0 .LBB23_3121
; %bb.3118:
	s_cmp_eq_u32 s2, 15
	s_mov_b32 s0, -1
	s_cbranch_scc0 .LBB23_3120
; %bb.3119:
	s_wait_xcnt 0x0
	v_cvt_f32_u32_e32 v0, v8
	s_mov_b32 s0, 0
	s_delay_alu instid0(VALU_DEP_1) | instskip(NEXT) | instid1(VALU_DEP_1)
	v_bfe_u32 v1, v0, 16, 1
	v_add3_u32 v0, v0, v1, 0x7fff
	global_store_d16_hi_b16 v[2:3], v0, off
.LBB23_3120:
	s_mov_b32 s3, 0
.LBB23_3121:
	s_delay_alu instid0(SALU_CYCLE_1)
	s_and_b32 vcc_lo, exec_lo, s3
	s_mov_b32 s3, 0
	s_cbranch_vccz .LBB23_3123
; %bb.3122:
	s_cmp_lg_u32 s2, 11
	s_mov_b32 s3, -1
	s_cselect_b32 s0, -1, 0
.LBB23_3123:
	s_delay_alu instid0(SALU_CYCLE_1)
	s_and_b32 vcc_lo, exec_lo, s0
	s_cbranch_vccnz .LBB23_3145
.LBB23_3124:
	s_mov_b32 s0, 0
	s_branch .LBB23_2726
.LBB23_3125:
	s_mov_b32 s0, 0
	s_mov_b32 s3, 0
                                        ; implicit-def: $vgpr2_vgpr3
                                        ; implicit-def: $sgpr1
	s_branch .LBB23_2726
.LBB23_3126:
	s_mov_b32 s3, 0
	s_mov_b32 s0, -1
	s_branch .LBB23_2726
.LBB23_3127:
	s_or_b32 s10, s10, exec_lo
	s_trap 2
	s_cbranch_execz .LBB23_2591
	s_branch .LBB23_2592
.LBB23_3128:
	s_and_not1_saveexec_b32 s11, s11
	s_cbranch_execz .LBB23_2675
.LBB23_3129:
	v_add_f32_e32 v1, 0x46000000, v3
	s_and_not1_b32 s7, s7, exec_lo
	s_delay_alu instid0(VALU_DEP_1) | instskip(NEXT) | instid1(VALU_DEP_1)
	v_and_b32_e32 v1, 0xff, v1
	v_cmp_ne_u32_e32 vcc_lo, 0, v1
	s_and_b32 s12, vcc_lo, exec_lo
	s_delay_alu instid0(SALU_CYCLE_1)
	s_or_b32 s7, s7, s12
	s_or_b32 exec_lo, exec_lo, s11
	v_mov_b32_e32 v5, 0
	s_and_saveexec_b32 s11, s7
	s_cbranch_execnz .LBB23_2676
	s_branch .LBB23_2677
.LBB23_3130:
	s_or_b32 s10, s10, exec_lo
	s_trap 2
	s_cbranch_execz .LBB23_2723
	s_branch .LBB23_2724
.LBB23_3131:
	s_and_not1_saveexec_b32 s7, s7
	s_cbranch_execz .LBB23_2688
.LBB23_3132:
	v_add_f32_e32 v1, 0x42800000, v3
	s_and_not1_b32 s6, s6, exec_lo
	s_delay_alu instid0(VALU_DEP_1) | instskip(NEXT) | instid1(VALU_DEP_1)
	v_and_b32_e32 v1, 0xff, v1
	v_cmp_ne_u32_e32 vcc_lo, 0, v1
	s_and_b32 s11, vcc_lo, exec_lo
	s_delay_alu instid0(SALU_CYCLE_1)
	s_or_b32 s6, s6, s11
	s_or_b32 exec_lo, exec_lo, s7
	v_mov_b32_e32 v5, 0
	s_and_saveexec_b32 s7, s6
	s_cbranch_execnz .LBB23_2689
	s_branch .LBB23_2690
.LBB23_3133:
	s_and_not1_saveexec_b32 s11, s11
	s_cbranch_execz .LBB23_2839
.LBB23_3134:
	v_add_f32_e32 v1, 0x46000000, v3
	s_and_not1_b32 s7, s7, exec_lo
	s_delay_alu instid0(VALU_DEP_1) | instskip(NEXT) | instid1(VALU_DEP_1)
	v_and_b32_e32 v1, 0xff, v1
	v_cmp_ne_u32_e32 vcc_lo, 0, v1
	s_and_b32 s12, vcc_lo, exec_lo
	s_delay_alu instid0(SALU_CYCLE_1)
	s_or_b32 s7, s7, s12
	s_or_b32 exec_lo, exec_lo, s11
	v_mov_b32_e32 v6, 0
	s_and_saveexec_b32 s11, s7
	s_cbranch_execnz .LBB23_2840
	s_branch .LBB23_2841
.LBB23_3135:
	s_or_b32 s10, s10, exec_lo
	s_trap 2
	s_cbranch_execz .LBB23_2887
	s_branch .LBB23_2888
.LBB23_3136:
	s_and_not1_saveexec_b32 s7, s7
	s_cbranch_execz .LBB23_2852
.LBB23_3137:
	v_add_f32_e32 v1, 0x42800000, v3
	s_and_not1_b32 s6, s6, exec_lo
	s_delay_alu instid0(VALU_DEP_1) | instskip(NEXT) | instid1(VALU_DEP_1)
	v_and_b32_e32 v1, 0xff, v1
	v_cmp_ne_u32_e32 vcc_lo, 0, v1
	s_and_b32 s11, vcc_lo, exec_lo
	s_delay_alu instid0(SALU_CYCLE_1)
	s_or_b32 s6, s6, s11
	s_or_b32 exec_lo, exec_lo, s7
	v_mov_b32_e32 v6, 0
	s_and_saveexec_b32 s7, s6
	s_cbranch_execnz .LBB23_2853
	s_branch .LBB23_2854
.LBB23_3138:
	s_and_not1_saveexec_b32 s11, s11
	s_cbranch_execz .LBB23_2958
.LBB23_3139:
	v_add_f32_e32 v1, 0x46000000, v4
	s_and_not1_b32 s7, s7, exec_lo
	s_delay_alu instid0(VALU_DEP_1) | instskip(NEXT) | instid1(VALU_DEP_1)
	v_and_b32_e32 v1, 0xff, v1
	v_cmp_ne_u32_e32 vcc_lo, 0, v1
	s_and_b32 s12, vcc_lo, exec_lo
	s_delay_alu instid0(SALU_CYCLE_1)
	s_or_b32 s7, s7, s12
	s_or_b32 exec_lo, exec_lo, s11
	v_mov_b32_e32 v5, 0
	s_and_saveexec_b32 s11, s7
	s_cbranch_execnz .LBB23_2959
	s_branch .LBB23_2960
.LBB23_3140:
	s_or_b32 s10, s10, exec_lo
	s_trap 2
	s_cbranch_execz .LBB23_3006
	s_branch .LBB23_3007
.LBB23_3141:
	s_and_not1_saveexec_b32 s7, s7
	s_cbranch_execz .LBB23_2971
.LBB23_3142:
	v_add_f32_e32 v1, 0x42800000, v4
	s_and_not1_b32 s6, s6, exec_lo
	s_delay_alu instid0(VALU_DEP_1) | instskip(NEXT) | instid1(VALU_DEP_1)
	v_and_b32_e32 v1, 0xff, v1
	v_cmp_ne_u32_e32 vcc_lo, 0, v1
	s_and_b32 s11, vcc_lo, exec_lo
	s_delay_alu instid0(SALU_CYCLE_1)
	s_or_b32 s6, s6, s11
	s_or_b32 exec_lo, exec_lo, s7
	v_mov_b32_e32 v5, 0
	s_and_saveexec_b32 s7, s6
	s_cbranch_execnz .LBB23_2972
	s_branch .LBB23_2973
.LBB23_3143:
	s_and_not1_saveexec_b32 s6, s6
	s_cbranch_execz .LBB23_3078
.LBB23_3144:
	v_add_f32_e32 v0, 0x46000000, v1
	s_and_not1_b32 s5, s5, exec_lo
	s_delay_alu instid0(VALU_DEP_1) | instskip(NEXT) | instid1(VALU_DEP_1)
	v_and_b32_e32 v0, 0xff, v0
	v_cmp_ne_u32_e32 vcc_lo, 0, v0
	s_and_b32 s7, vcc_lo, exec_lo
	s_delay_alu instid0(SALU_CYCLE_1)
	s_or_b32 s5, s5, s7
	s_or_b32 exec_lo, exec_lo, s6
	v_mov_b32_e32 v4, 0
	s_and_saveexec_b32 s6, s5
	s_cbranch_execnz .LBB23_3079
	s_branch .LBB23_3080
.LBB23_3145:
	s_mov_b32 s3, 0
	s_or_b32 s10, s10, exec_lo
	s_trap 2
	s_branch .LBB23_3124
.LBB23_3146:
	s_and_not1_saveexec_b32 s5, s5
	s_cbranch_execz .LBB23_3090
.LBB23_3147:
	v_add_f32_e32 v0, 0x42800000, v1
	s_and_not1_b32 s4, s4, exec_lo
	s_delay_alu instid0(VALU_DEP_1) | instskip(NEXT) | instid1(VALU_DEP_1)
	v_and_b32_e32 v0, 0xff, v0
	v_cmp_ne_u32_e32 vcc_lo, 0, v0
	s_and_b32 s6, vcc_lo, exec_lo
	s_delay_alu instid0(SALU_CYCLE_1)
	s_or_b32 s4, s4, s6
	s_or_b32 exec_lo, exec_lo, s5
	v_mov_b32_e32 v4, 0
	s_and_saveexec_b32 s5, s4
	s_cbranch_execnz .LBB23_3091
	s_branch .LBB23_3092
	.section	.rodata,"a",@progbits
	.p2align	6, 0x0
	.amdhsa_kernel _ZN2at6native32elementwise_kernel_manual_unrollILi128ELi4EZNS0_15gpu_kernel_implIZZZNS0_15gcd_kernel_cudaERNS_18TensorIteratorBaseEENKUlvE_clEvENKUlvE1_clEvEUliiE_EEvS4_RKT_EUlibE0_EEviT1_
		.amdhsa_group_segment_fixed_size 0
		.amdhsa_private_segment_fixed_size 0
		.amdhsa_kernarg_size 432
		.amdhsa_user_sgpr_count 2
		.amdhsa_user_sgpr_dispatch_ptr 0
		.amdhsa_user_sgpr_queue_ptr 0
		.amdhsa_user_sgpr_kernarg_segment_ptr 1
		.amdhsa_user_sgpr_dispatch_id 0
		.amdhsa_user_sgpr_kernarg_preload_length 0
		.amdhsa_user_sgpr_kernarg_preload_offset 0
		.amdhsa_user_sgpr_private_segment_size 0
		.amdhsa_wavefront_size32 1
		.amdhsa_uses_dynamic_stack 0
		.amdhsa_enable_private_segment 0
		.amdhsa_system_sgpr_workgroup_id_x 1
		.amdhsa_system_sgpr_workgroup_id_y 0
		.amdhsa_system_sgpr_workgroup_id_z 0
		.amdhsa_system_sgpr_workgroup_info 0
		.amdhsa_system_vgpr_workitem_id 0
		.amdhsa_next_free_vgpr 26
		.amdhsa_next_free_sgpr 60
		.amdhsa_named_barrier_count 0
		.amdhsa_reserve_vcc 1
		.amdhsa_float_round_mode_32 0
		.amdhsa_float_round_mode_16_64 0
		.amdhsa_float_denorm_mode_32 3
		.amdhsa_float_denorm_mode_16_64 3
		.amdhsa_fp16_overflow 0
		.amdhsa_memory_ordered 1
		.amdhsa_forward_progress 1
		.amdhsa_inst_pref_size 255
		.amdhsa_round_robin_scheduling 0
		.amdhsa_exception_fp_ieee_invalid_op 0
		.amdhsa_exception_fp_denorm_src 0
		.amdhsa_exception_fp_ieee_div_zero 0
		.amdhsa_exception_fp_ieee_overflow 0
		.amdhsa_exception_fp_ieee_underflow 0
		.amdhsa_exception_fp_ieee_inexact 0
		.amdhsa_exception_int_div_zero 0
	.end_amdhsa_kernel
	.section	.text._ZN2at6native32elementwise_kernel_manual_unrollILi128ELi4EZNS0_15gpu_kernel_implIZZZNS0_15gcd_kernel_cudaERNS_18TensorIteratorBaseEENKUlvE_clEvENKUlvE1_clEvEUliiE_EEvS4_RKT_EUlibE0_EEviT1_,"axG",@progbits,_ZN2at6native32elementwise_kernel_manual_unrollILi128ELi4EZNS0_15gpu_kernel_implIZZZNS0_15gcd_kernel_cudaERNS_18TensorIteratorBaseEENKUlvE_clEvENKUlvE1_clEvEUliiE_EEvS4_RKT_EUlibE0_EEviT1_,comdat
.Lfunc_end23:
	.size	_ZN2at6native32elementwise_kernel_manual_unrollILi128ELi4EZNS0_15gpu_kernel_implIZZZNS0_15gcd_kernel_cudaERNS_18TensorIteratorBaseEENKUlvE_clEvENKUlvE1_clEvEUliiE_EEvS4_RKT_EUlibE0_EEviT1_, .Lfunc_end23-_ZN2at6native32elementwise_kernel_manual_unrollILi128ELi4EZNS0_15gpu_kernel_implIZZZNS0_15gcd_kernel_cudaERNS_18TensorIteratorBaseEENKUlvE_clEvENKUlvE1_clEvEUliiE_EEvS4_RKT_EUlibE0_EEviT1_
                                        ; -- End function
	.set _ZN2at6native32elementwise_kernel_manual_unrollILi128ELi4EZNS0_15gpu_kernel_implIZZZNS0_15gcd_kernel_cudaERNS_18TensorIteratorBaseEENKUlvE_clEvENKUlvE1_clEvEUliiE_EEvS4_RKT_EUlibE0_EEviT1_.num_vgpr, 26
	.set _ZN2at6native32elementwise_kernel_manual_unrollILi128ELi4EZNS0_15gpu_kernel_implIZZZNS0_15gcd_kernel_cudaERNS_18TensorIteratorBaseEENKUlvE_clEvENKUlvE1_clEvEUliiE_EEvS4_RKT_EUlibE0_EEviT1_.num_agpr, 0
	.set _ZN2at6native32elementwise_kernel_manual_unrollILi128ELi4EZNS0_15gpu_kernel_implIZZZNS0_15gcd_kernel_cudaERNS_18TensorIteratorBaseEENKUlvE_clEvENKUlvE1_clEvEUliiE_EEvS4_RKT_EUlibE0_EEviT1_.numbered_sgpr, 60
	.set _ZN2at6native32elementwise_kernel_manual_unrollILi128ELi4EZNS0_15gpu_kernel_implIZZZNS0_15gcd_kernel_cudaERNS_18TensorIteratorBaseEENKUlvE_clEvENKUlvE1_clEvEUliiE_EEvS4_RKT_EUlibE0_EEviT1_.num_named_barrier, 0
	.set _ZN2at6native32elementwise_kernel_manual_unrollILi128ELi4EZNS0_15gpu_kernel_implIZZZNS0_15gcd_kernel_cudaERNS_18TensorIteratorBaseEENKUlvE_clEvENKUlvE1_clEvEUliiE_EEvS4_RKT_EUlibE0_EEviT1_.private_seg_size, 0
	.set _ZN2at6native32elementwise_kernel_manual_unrollILi128ELi4EZNS0_15gpu_kernel_implIZZZNS0_15gcd_kernel_cudaERNS_18TensorIteratorBaseEENKUlvE_clEvENKUlvE1_clEvEUliiE_EEvS4_RKT_EUlibE0_EEviT1_.uses_vcc, 1
	.set _ZN2at6native32elementwise_kernel_manual_unrollILi128ELi4EZNS0_15gpu_kernel_implIZZZNS0_15gcd_kernel_cudaERNS_18TensorIteratorBaseEENKUlvE_clEvENKUlvE1_clEvEUliiE_EEvS4_RKT_EUlibE0_EEviT1_.uses_flat_scratch, 0
	.set _ZN2at6native32elementwise_kernel_manual_unrollILi128ELi4EZNS0_15gpu_kernel_implIZZZNS0_15gcd_kernel_cudaERNS_18TensorIteratorBaseEENKUlvE_clEvENKUlvE1_clEvEUliiE_EEvS4_RKT_EUlibE0_EEviT1_.has_dyn_sized_stack, 0
	.set _ZN2at6native32elementwise_kernel_manual_unrollILi128ELi4EZNS0_15gpu_kernel_implIZZZNS0_15gcd_kernel_cudaERNS_18TensorIteratorBaseEENKUlvE_clEvENKUlvE1_clEvEUliiE_EEvS4_RKT_EUlibE0_EEviT1_.has_recursion, 0
	.set _ZN2at6native32elementwise_kernel_manual_unrollILi128ELi4EZNS0_15gpu_kernel_implIZZZNS0_15gcd_kernel_cudaERNS_18TensorIteratorBaseEENKUlvE_clEvENKUlvE1_clEvEUliiE_EEvS4_RKT_EUlibE0_EEviT1_.has_indirect_call, 0
	.section	.AMDGPU.csdata,"",@progbits
; Kernel info:
; codeLenInByte = 56672
; TotalNumSgprs: 62
; NumVgprs: 26
; ScratchSize: 0
; MemoryBound: 1
; FloatMode: 240
; IeeeMode: 1
; LDSByteSize: 0 bytes/workgroup (compile time only)
; SGPRBlocks: 0
; VGPRBlocks: 1
; NumSGPRsForWavesPerEU: 62
; NumVGPRsForWavesPerEU: 26
; NamedBarCnt: 0
; Occupancy: 16
; WaveLimiterHint : 1
; COMPUTE_PGM_RSRC2:SCRATCH_EN: 0
; COMPUTE_PGM_RSRC2:USER_SGPR: 2
; COMPUTE_PGM_RSRC2:TRAP_HANDLER: 0
; COMPUTE_PGM_RSRC2:TGID_X_EN: 1
; COMPUTE_PGM_RSRC2:TGID_Y_EN: 0
; COMPUTE_PGM_RSRC2:TGID_Z_EN: 0
; COMPUTE_PGM_RSRC2:TIDIG_COMP_CNT: 0
	.section	.text._ZN2at6native29vectorized_elementwise_kernelILi16EZZZNS0_15gcd_kernel_cudaERNS_18TensorIteratorBaseEENKUlvE_clEvENKUlvE2_clEvEUlllE_St5arrayIPcLm3EEEEviT0_T1_,"axG",@progbits,_ZN2at6native29vectorized_elementwise_kernelILi16EZZZNS0_15gcd_kernel_cudaERNS_18TensorIteratorBaseEENKUlvE_clEvENKUlvE2_clEvEUlllE_St5arrayIPcLm3EEEEviT0_T1_,comdat
	.globl	_ZN2at6native29vectorized_elementwise_kernelILi16EZZZNS0_15gcd_kernel_cudaERNS_18TensorIteratorBaseEENKUlvE_clEvENKUlvE2_clEvEUlllE_St5arrayIPcLm3EEEEviT0_T1_ ; -- Begin function _ZN2at6native29vectorized_elementwise_kernelILi16EZZZNS0_15gcd_kernel_cudaERNS_18TensorIteratorBaseEENKUlvE_clEvENKUlvE2_clEvEUlllE_St5arrayIPcLm3EEEEviT0_T1_
	.p2align	8
	.type	_ZN2at6native29vectorized_elementwise_kernelILi16EZZZNS0_15gcd_kernel_cudaERNS_18TensorIteratorBaseEENKUlvE_clEvENKUlvE2_clEvEUlllE_St5arrayIPcLm3EEEEviT0_T1_,@function
_ZN2at6native29vectorized_elementwise_kernelILi16EZZZNS0_15gcd_kernel_cudaERNS_18TensorIteratorBaseEENKUlvE_clEvENKUlvE2_clEvEUlllE_St5arrayIPcLm3EEEEviT0_T1_: ; @_ZN2at6native29vectorized_elementwise_kernelILi16EZZZNS0_15gcd_kernel_cudaERNS_18TensorIteratorBaseEENKUlvE_clEvENKUlvE2_clEvEUlllE_St5arrayIPcLm3EEEEviT0_T1_
; %bb.0:
	s_clause 0x2
	s_load_b32 s3, s[0:1], 0x0
	s_load_b128 s[4:7], s[0:1], 0x8
	s_load_b64 s[8:9], s[0:1], 0x18
	s_wait_xcnt 0x0
	s_bfe_u32 s0, ttmp6, 0x4000c
	s_and_b32 s1, ttmp6, 15
	s_add_co_i32 s0, s0, 1
	s_getreg_b32 s2, hwreg(HW_REG_IB_STS2, 6, 4)
	s_mul_i32 s0, ttmp9, s0
	s_delay_alu instid0(SALU_CYCLE_1) | instskip(SKIP_2) | instid1(SALU_CYCLE_1)
	s_add_co_i32 s1, s1, s0
	s_cmp_eq_u32 s2, 0
	s_cselect_b32 s0, ttmp9, s1
	s_lshl_b32 s2, s0, 10
	s_mov_b32 s0, -1
	s_wait_kmcnt 0x0
	s_sub_co_i32 s12, s3, s2
	s_delay_alu instid0(SALU_CYCLE_1)
	s_cmp_gt_i32 s12, 0x3ff
	s_cbranch_scc0 .LBB24_34
; %bb.1:
	s_ashr_i32 s3, s2, 31
	v_lshlrev_b32_e32 v1, 5, v0
	s_lshl_b64 s[10:11], s[2:3], 3
	s_delay_alu instid0(SALU_CYCLE_1) | instskip(SKIP_4) | instid1(VALU_DEP_1)
	s_add_nc_u64 s[0:1], s[8:9], s[10:11]
	s_add_nc_u64 s[14:15], s[6:7], s[10:11]
	global_load_b128 v[2:5], v1, s[0:1]
	s_wait_loadcnt 0x0
	v_sub_nc_u64_e32 v[18:19], 0, v[2:3]
	v_max_i64 v[2:3], v[2:3], v[18:19]
	v_mov_b32_e32 v18, 0
	s_clause 0x2
	global_load_b128 v[14:17], v1, s[14:15]
	global_load_b128 v[6:9], v1, s[14:15] offset:16
	global_load_b128 v[10:13], v1, s[0:1] offset:16
	s_wait_xcnt 0x0
	s_mov_b32 s1, exec_lo
	s_wait_loadcnt 0x2
	v_cmpx_ne_u64_e32 0, v[14:15]
	s_cbranch_execz .LBB24_9
; %bb.2:
	v_sub_nc_u64_e32 v[20:21], 0, v[14:15]
	s_mov_b32 s3, 0
	s_delay_alu instid0(VALU_DEP_1)
	v_max_i64 v[20:21], v[14:15], v[20:21]
	s_branch .LBB24_4
.LBB24_3:                               ;   in Loop: Header=BB24_4 Depth=1
	s_or_b32 exec_lo, exec_lo, s0
	s_delay_alu instid0(VALU_DEP_1) | instskip(SKIP_2) | instid1(SALU_CYCLE_1)
	v_cmp_eq_u64_e32 vcc_lo, 0, v[20:21]
	v_mov_b64_e32 v[2:3], v[14:15]
	s_or_b32 s3, vcc_lo, s3
	s_and_not1_b32 exec_lo, exec_lo, s3
	s_cbranch_execz .LBB24_8
.LBB24_4:                               ; =>This Inner Loop Header: Depth=1
	s_delay_alu instid0(VALU_DEP_1) | instskip(SKIP_1) | instid1(VALU_DEP_1)
	v_mov_b64_e32 v[14:15], v[20:21]
                                        ; implicit-def: $vgpr20_vgpr21
	s_mov_b32 s0, exec_lo
	v_or_b32_e32 v19, v3, v15
	s_delay_alu instid0(VALU_DEP_1)
	v_cmpx_ne_u64_e32 0, v[18:19]
	s_xor_b32 s13, exec_lo, s0
	s_cbranch_execz .LBB24_6
; %bb.5:                                ;   in Loop: Header=BB24_4 Depth=1
	s_delay_alu instid0(VALU_DEP_3) | instskip(SKIP_3) | instid1(VALU_DEP_3)
	v_cvt_f32_u32_e32 v19, v14
	v_cvt_f32_u32_e32 v20, v15
	v_sub_nc_u64_e32 v[22:23], 0, v[14:15]
	v_dual_mov_b32 v29, v18 :: v_dual_mov_b32 v31, v18
	v_fmac_f32_e32 v19, 0x4f800000, v20
	s_delay_alu instid0(VALU_DEP_1) | instskip(SKIP_1) | instid1(TRANS32_DEP_1)
	v_rcp_f32_e32 v19, v19
	v_nop
	v_mul_f32_e32 v19, 0x5f7ffffc, v19
	s_delay_alu instid0(VALU_DEP_1) | instskip(NEXT) | instid1(VALU_DEP_1)
	v_mul_f32_e32 v20, 0x2f800000, v19
	v_trunc_f32_e32 v21, v20
	s_delay_alu instid0(VALU_DEP_1) | instskip(SKIP_1) | instid1(VALU_DEP_2)
	v_cvt_u32_f32_e32 v25, v21
	v_fmac_f32_e32 v19, 0xcf800000, v21
	v_dual_mov_b32 v21, v18 :: v_dual_mov_b32 v30, v25
	s_delay_alu instid0(VALU_DEP_2) | instskip(NEXT) | instid1(VALU_DEP_1)
	v_cvt_u32_f32_e32 v20, v19
	v_mov_b32_e32 v24, v20
	s_delay_alu instid0(VALU_DEP_1) | instskip(NEXT) | instid1(VALU_DEP_1)
	v_mul_u64_e32 v[26:27], v[22:23], v[24:25]
	v_dual_mov_b32 v28, v27 :: v_dual_mov_b32 v27, v18
	s_delay_alu instid0(VALU_DEP_1) | instskip(NEXT) | instid1(VALU_DEP_2)
	v_mul_u64_e32 v[32:33], v[20:21], v[28:29]
	v_mul_u64_e32 v[34:35], v[30:31], v[26:27]
	;; [unrolled: 1-line block ×3, first 2 shown]
	v_mul_hi_u32 v26, v20, v26
	s_delay_alu instid0(VALU_DEP_1) | instskip(NEXT) | instid1(VALU_DEP_1)
	v_add_nc_u64_e32 v[26:27], v[26:27], v[32:33]
	v_add_co_u32 v19, vcc_lo, v26, v34
	s_delay_alu instid0(VALU_DEP_2) | instskip(SKIP_1) | instid1(VALU_DEP_1)
	v_add_co_ci_u32_e32 v30, vcc_lo, v27, v35, vcc_lo
	v_add_co_ci_u32_e32 v29, vcc_lo, 0, v29, vcc_lo
	v_add_nc_u64_e32 v[26:27], v[30:31], v[28:29]
	s_delay_alu instid0(VALU_DEP_1) | instskip(NEXT) | instid1(VALU_DEP_1)
	v_add_co_u32 v20, vcc_lo, v20, v26
	v_add_co_ci_u32_e64 v24, null, v25, v27, vcc_lo
	v_dual_mov_b32 v27, v18 :: v_dual_mov_b32 v25, v18
	s_delay_alu instid0(VALU_DEP_2) | instskip(NEXT) | instid1(VALU_DEP_1)
	v_mov_b32_e32 v21, v24
	v_mul_u64_e32 v[22:23], v[22:23], v[20:21]
	s_delay_alu instid0(VALU_DEP_1) | instskip(NEXT) | instid1(VALU_DEP_2)
	v_dual_mov_b32 v21, v18 :: v_dual_mov_b32 v26, v23
	v_dual_mov_b32 v30, v22 :: v_dual_mov_b32 v23, v18
	v_mul_hi_u32 v22, v20, v22
	s_delay_alu instid0(VALU_DEP_3) | instskip(NEXT) | instid1(VALU_DEP_3)
	v_mul_u64_e32 v[28:29], v[20:21], v[26:27]
	v_mul_u64_e32 v[30:31], v[24:25], v[30:31]
	;; [unrolled: 1-line block ×3, first 2 shown]
	s_delay_alu instid0(VALU_DEP_3) | instskip(SKIP_1) | instid1(VALU_DEP_2)
	v_add_nc_u64_e32 v[22:23], v[22:23], v[28:29]
	v_mov_b32_e32 v29, v18
	v_add_co_u32 v19, vcc_lo, v22, v30
	s_delay_alu instid0(VALU_DEP_3) | instskip(SKIP_1) | instid1(VALU_DEP_1)
	v_add_co_ci_u32_e32 v28, vcc_lo, v23, v31, vcc_lo
	v_add_co_ci_u32_e32 v27, vcc_lo, 0, v27, vcc_lo
	v_add_nc_u64_e32 v[22:23], v[28:29], v[26:27]
	v_dual_mov_b32 v26, v2 :: v_dual_mov_b32 v27, v18
	s_delay_alu instid0(VALU_DEP_2) | instskip(NEXT) | instid1(VALU_DEP_1)
	v_add_co_u32 v22, vcc_lo, v20, v22
	v_add_co_ci_u32_e64 v20, null, v24, v23, vcc_lo
	v_dual_mov_b32 v24, v3 :: v_dual_mov_b32 v23, v18
	s_delay_alu instid0(VALU_DEP_2) | instskip(NEXT) | instid1(VALU_DEP_2)
	v_mul_u64_e32 v[26:27], v[26:27], v[20:21]
	v_mul_u64_e32 v[20:21], v[24:25], v[20:21]
	s_delay_alu instid0(VALU_DEP_3) | instskip(SKIP_1) | instid1(VALU_DEP_1)
	v_mul_u64_e32 v[28:29], v[24:25], v[22:23]
	v_mul_hi_u32 v22, v2, v22
	v_add_nc_u64_e32 v[22:23], v[22:23], v[26:27]
	s_delay_alu instid0(VALU_DEP_1) | instskip(NEXT) | instid1(VALU_DEP_2)
	v_add_co_u32 v19, vcc_lo, v22, v28
	v_add_co_ci_u32_e32 v24, vcc_lo, v23, v29, vcc_lo
	v_add_co_ci_u32_e32 v21, vcc_lo, 0, v21, vcc_lo
	s_delay_alu instid0(VALU_DEP_1) | instskip(NEXT) | instid1(VALU_DEP_1)
	v_add_nc_u64_e32 v[20:21], v[24:25], v[20:21]
	v_mul_u64_e32 v[20:21], v[14:15], v[20:21]
	s_delay_alu instid0(VALU_DEP_1) | instskip(NEXT) | instid1(VALU_DEP_2)
	v_sub_nc_u32_e32 v19, v3, v21
	v_sub_co_u32 v2, vcc_lo, v2, v20
	s_delay_alu instid0(VALU_DEP_1) | instskip(NEXT) | instid1(VALU_DEP_3)
	v_sub_co_ci_u32_e64 v3, null, v3, v21, vcc_lo
	v_sub_co_ci_u32_e64 v19, null, v19, v15, vcc_lo
	s_delay_alu instid0(VALU_DEP_3) | instskip(SKIP_1) | instid1(VALU_DEP_3)
	v_sub_co_u32 v20, vcc_lo, v2, v14
	v_cmp_ge_u32_e64 s0, v2, v14
	v_subrev_co_ci_u32_e64 v21, null, 0, v19, vcc_lo
	v_sub_co_ci_u32_e64 v19, null, v19, v15, vcc_lo
	s_delay_alu instid0(VALU_DEP_3) | instskip(SKIP_2) | instid1(VALU_DEP_2)
	v_cndmask_b32_e64 v22, 0, -1, s0
	v_cmp_ge_u32_e64 s0, v20, v14
	v_cmp_ge_u32_e32 vcc_lo, v3, v15
	v_cndmask_b32_e64 v23, 0, -1, s0
	v_cmp_ge_u32_e64 s0, v21, v15
	v_cndmask_b32_e64 v25, 0, -1, vcc_lo
	v_cmp_eq_u32_e32 vcc_lo, v21, v15
	s_delay_alu instid0(VALU_DEP_3) | instskip(SKIP_1) | instid1(VALU_DEP_1)
	v_cndmask_b32_e64 v24, 0, -1, s0
	v_cmp_eq_u32_e64 s0, v3, v15
	v_dual_cndmask_b32 v23, v24, v23, vcc_lo :: v_dual_cndmask_b32 v22, v25, v22, s0
	v_sub_co_u32 v24, vcc_lo, v20, v14
	s_delay_alu instid0(VALU_DEP_1) | instskip(NEXT) | instid1(VALU_DEP_3)
	v_subrev_co_ci_u32_e64 v19, null, 0, v19, vcc_lo
	v_cmp_ne_u32_e32 vcc_lo, 0, v23
	s_delay_alu instid0(VALU_DEP_2) | instskip(SKIP_1) | instid1(VALU_DEP_2)
	v_dual_cndmask_b32 v19, v21, v19 :: v_dual_cndmask_b32 v20, v20, v24
	v_cmp_ne_u32_e32 vcc_lo, 0, v22
	v_dual_cndmask_b32 v21, v3, v19 :: v_dual_cndmask_b32 v20, v2, v20
                                        ; implicit-def: $vgpr2_vgpr3
.LBB24_6:                               ;   in Loop: Header=BB24_4 Depth=1
	s_and_not1_saveexec_b32 s0, s13
	s_cbranch_execz .LBB24_3
; %bb.7:                                ;   in Loop: Header=BB24_4 Depth=1
	v_cvt_f32_u32_e32 v3, v14
	v_dual_sub_nc_u32 v19, 0, v14 :: v_dual_mov_b32 v21, v18
	s_delay_alu instid0(VALU_DEP_2) | instskip(SKIP_1) | instid1(TRANS32_DEP_1)
	v_rcp_iflag_f32_e32 v3, v3
	v_nop
	v_mul_f32_e32 v3, 0x4f7ffffe, v3
	s_delay_alu instid0(VALU_DEP_1) | instskip(NEXT) | instid1(VALU_DEP_1)
	v_cvt_u32_f32_e32 v3, v3
	v_mul_lo_u32 v19, v19, v3
	s_delay_alu instid0(VALU_DEP_1) | instskip(NEXT) | instid1(VALU_DEP_1)
	v_mul_hi_u32 v19, v3, v19
	v_add_nc_u32_e32 v3, v3, v19
	s_delay_alu instid0(VALU_DEP_1) | instskip(NEXT) | instid1(VALU_DEP_1)
	v_mul_hi_u32 v3, v2, v3
	v_mul_lo_u32 v3, v3, v14
	s_delay_alu instid0(VALU_DEP_1) | instskip(NEXT) | instid1(VALU_DEP_1)
	v_sub_nc_u32_e32 v2, v2, v3
	v_sub_nc_u32_e32 v3, v2, v14
	v_cmp_ge_u32_e32 vcc_lo, v2, v14
	s_delay_alu instid0(VALU_DEP_2) | instskip(NEXT) | instid1(VALU_DEP_1)
	v_cndmask_b32_e32 v2, v2, v3, vcc_lo
	v_sub_nc_u32_e32 v3, v2, v14
	v_cmp_ge_u32_e32 vcc_lo, v2, v14
	s_delay_alu instid0(VALU_DEP_2)
	v_cndmask_b32_e32 v20, v2, v3, vcc_lo
	s_branch .LBB24_3
.LBB24_8:
	s_or_b32 exec_lo, exec_lo, s3
	v_mov_b64_e32 v[2:3], v[14:15]
.LBB24_9:
	s_or_b32 exec_lo, exec_lo, s1
	v_sub_nc_u64_e32 v[14:15], 0, v[4:5]
	s_mov_b32 s1, exec_lo
	s_delay_alu instid0(VALU_DEP_1)
	v_max_i64 v[4:5], v[4:5], v[14:15]
	v_cmpx_ne_u64_e32 0, v[16:17]
	s_cbranch_execz .LBB24_17
; %bb.10:
	v_sub_nc_u64_e32 v[14:15], 0, v[16:17]
	s_mov_b32 s3, 0
	s_delay_alu instid0(VALU_DEP_1)
	v_max_i64 v[18:19], v[16:17], v[14:15]
	v_mov_b32_e32 v14, 0
	s_branch .LBB24_12
.LBB24_11:                              ;   in Loop: Header=BB24_12 Depth=1
	s_or_b32 exec_lo, exec_lo, s0
	s_delay_alu instid0(VALU_DEP_1) | instskip(SKIP_2) | instid1(SALU_CYCLE_1)
	v_cmp_eq_u64_e32 vcc_lo, 0, v[18:19]
	v_mov_b64_e32 v[4:5], v[16:17]
	s_or_b32 s3, vcc_lo, s3
	s_and_not1_b32 exec_lo, exec_lo, s3
	s_cbranch_execz .LBB24_16
.LBB24_12:                              ; =>This Inner Loop Header: Depth=1
	s_delay_alu instid0(VALU_DEP_2) | instskip(SKIP_1) | instid1(VALU_DEP_1)
	v_mov_b64_e32 v[16:17], v[18:19]
                                        ; implicit-def: $vgpr18_vgpr19
	s_mov_b32 s0, exec_lo
	v_or_b32_e32 v15, v5, v17
	s_delay_alu instid0(VALU_DEP_1)
	v_cmpx_ne_u64_e32 0, v[14:15]
	s_xor_b32 s13, exec_lo, s0
	s_cbranch_execz .LBB24_14
; %bb.13:                               ;   in Loop: Header=BB24_12 Depth=1
	s_delay_alu instid0(VALU_DEP_3) | instskip(SKIP_3) | instid1(VALU_DEP_3)
	v_cvt_f32_u32_e32 v15, v16
	v_cvt_f32_u32_e32 v18, v17
	v_sub_nc_u64_e32 v[20:21], 0, v[16:17]
	v_dual_mov_b32 v27, v14 :: v_dual_mov_b32 v29, v14
	v_fmac_f32_e32 v15, 0x4f800000, v18
	s_delay_alu instid0(VALU_DEP_1) | instskip(SKIP_1) | instid1(TRANS32_DEP_1)
	v_rcp_f32_e32 v15, v15
	v_nop
	v_mul_f32_e32 v15, 0x5f7ffffc, v15
	s_delay_alu instid0(VALU_DEP_1) | instskip(NEXT) | instid1(VALU_DEP_1)
	v_mul_f32_e32 v18, 0x2f800000, v15
	v_trunc_f32_e32 v19, v18
	s_delay_alu instid0(VALU_DEP_1) | instskip(SKIP_1) | instid1(VALU_DEP_2)
	v_cvt_u32_f32_e32 v23, v19
	v_fmac_f32_e32 v15, 0xcf800000, v19
	v_dual_mov_b32 v19, v14 :: v_dual_mov_b32 v28, v23
	s_delay_alu instid0(VALU_DEP_2) | instskip(NEXT) | instid1(VALU_DEP_1)
	v_cvt_u32_f32_e32 v18, v15
	v_mov_b32_e32 v22, v18
	s_delay_alu instid0(VALU_DEP_1) | instskip(NEXT) | instid1(VALU_DEP_1)
	v_mul_u64_e32 v[24:25], v[20:21], v[22:23]
	v_dual_mov_b32 v26, v25 :: v_dual_mov_b32 v25, v14
	s_delay_alu instid0(VALU_DEP_1) | instskip(NEXT) | instid1(VALU_DEP_2)
	v_mul_u64_e32 v[30:31], v[18:19], v[26:27]
	v_mul_u64_e32 v[32:33], v[28:29], v[24:25]
	;; [unrolled: 1-line block ×3, first 2 shown]
	v_mul_hi_u32 v24, v18, v24
	s_delay_alu instid0(VALU_DEP_1) | instskip(NEXT) | instid1(VALU_DEP_1)
	v_add_nc_u64_e32 v[24:25], v[24:25], v[30:31]
	v_add_co_u32 v15, vcc_lo, v24, v32
	s_delay_alu instid0(VALU_DEP_2) | instskip(SKIP_1) | instid1(VALU_DEP_1)
	v_add_co_ci_u32_e32 v28, vcc_lo, v25, v33, vcc_lo
	v_add_co_ci_u32_e32 v27, vcc_lo, 0, v27, vcc_lo
	v_add_nc_u64_e32 v[24:25], v[28:29], v[26:27]
	s_delay_alu instid0(VALU_DEP_1) | instskip(NEXT) | instid1(VALU_DEP_1)
	v_add_co_u32 v18, vcc_lo, v18, v24
	v_add_co_ci_u32_e64 v22, null, v23, v25, vcc_lo
	v_dual_mov_b32 v25, v14 :: v_dual_mov_b32 v23, v14
	s_delay_alu instid0(VALU_DEP_2) | instskip(NEXT) | instid1(VALU_DEP_1)
	v_mov_b32_e32 v19, v22
	v_mul_u64_e32 v[20:21], v[20:21], v[18:19]
	s_delay_alu instid0(VALU_DEP_1) | instskip(NEXT) | instid1(VALU_DEP_2)
	v_dual_mov_b32 v19, v14 :: v_dual_mov_b32 v24, v21
	v_dual_mov_b32 v28, v20 :: v_dual_mov_b32 v21, v14
	v_mul_hi_u32 v20, v18, v20
	s_delay_alu instid0(VALU_DEP_3) | instskip(NEXT) | instid1(VALU_DEP_3)
	v_mul_u64_e32 v[26:27], v[18:19], v[24:25]
	v_mul_u64_e32 v[28:29], v[22:23], v[28:29]
	v_mul_u64_e32 v[24:25], v[22:23], v[24:25]
	s_delay_alu instid0(VALU_DEP_3) | instskip(SKIP_1) | instid1(VALU_DEP_2)
	v_add_nc_u64_e32 v[20:21], v[20:21], v[26:27]
	v_mov_b32_e32 v27, v14
	v_add_co_u32 v15, vcc_lo, v20, v28
	s_delay_alu instid0(VALU_DEP_3) | instskip(SKIP_1) | instid1(VALU_DEP_1)
	v_add_co_ci_u32_e32 v26, vcc_lo, v21, v29, vcc_lo
	v_add_co_ci_u32_e32 v25, vcc_lo, 0, v25, vcc_lo
	v_add_nc_u64_e32 v[20:21], v[26:27], v[24:25]
	v_dual_mov_b32 v24, v4 :: v_dual_mov_b32 v25, v14
	s_delay_alu instid0(VALU_DEP_2) | instskip(NEXT) | instid1(VALU_DEP_1)
	v_add_co_u32 v20, vcc_lo, v18, v20
	v_add_co_ci_u32_e64 v18, null, v22, v21, vcc_lo
	v_dual_mov_b32 v22, v5 :: v_dual_mov_b32 v21, v14
	s_delay_alu instid0(VALU_DEP_2) | instskip(NEXT) | instid1(VALU_DEP_2)
	v_mul_u64_e32 v[24:25], v[24:25], v[18:19]
	v_mul_u64_e32 v[18:19], v[22:23], v[18:19]
	s_delay_alu instid0(VALU_DEP_3) | instskip(SKIP_1) | instid1(VALU_DEP_1)
	v_mul_u64_e32 v[26:27], v[22:23], v[20:21]
	v_mul_hi_u32 v20, v4, v20
	v_add_nc_u64_e32 v[20:21], v[20:21], v[24:25]
	s_delay_alu instid0(VALU_DEP_1) | instskip(NEXT) | instid1(VALU_DEP_2)
	v_add_co_u32 v15, vcc_lo, v20, v26
	v_add_co_ci_u32_e32 v22, vcc_lo, v21, v27, vcc_lo
	v_add_co_ci_u32_e32 v19, vcc_lo, 0, v19, vcc_lo
	s_delay_alu instid0(VALU_DEP_1) | instskip(NEXT) | instid1(VALU_DEP_1)
	v_add_nc_u64_e32 v[18:19], v[22:23], v[18:19]
	v_mul_u64_e32 v[18:19], v[16:17], v[18:19]
	s_delay_alu instid0(VALU_DEP_1) | instskip(NEXT) | instid1(VALU_DEP_2)
	v_sub_nc_u32_e32 v15, v5, v19
	v_sub_co_u32 v4, vcc_lo, v4, v18
	s_delay_alu instid0(VALU_DEP_1) | instskip(NEXT) | instid1(VALU_DEP_3)
	v_sub_co_ci_u32_e64 v5, null, v5, v19, vcc_lo
	v_sub_co_ci_u32_e64 v15, null, v15, v17, vcc_lo
	s_delay_alu instid0(VALU_DEP_3) | instskip(SKIP_1) | instid1(VALU_DEP_3)
	v_sub_co_u32 v18, vcc_lo, v4, v16
	v_cmp_ge_u32_e64 s0, v4, v16
	v_subrev_co_ci_u32_e64 v19, null, 0, v15, vcc_lo
	v_sub_co_ci_u32_e64 v15, null, v15, v17, vcc_lo
	s_delay_alu instid0(VALU_DEP_3) | instskip(SKIP_2) | instid1(VALU_DEP_2)
	v_cndmask_b32_e64 v20, 0, -1, s0
	v_cmp_ge_u32_e64 s0, v18, v16
	v_cmp_ge_u32_e32 vcc_lo, v5, v17
	v_cndmask_b32_e64 v21, 0, -1, s0
	v_cmp_ge_u32_e64 s0, v19, v17
	v_cndmask_b32_e64 v23, 0, -1, vcc_lo
	v_cmp_eq_u32_e32 vcc_lo, v19, v17
	s_delay_alu instid0(VALU_DEP_3) | instskip(SKIP_1) | instid1(VALU_DEP_1)
	v_cndmask_b32_e64 v22, 0, -1, s0
	v_cmp_eq_u32_e64 s0, v5, v17
	v_dual_cndmask_b32 v21, v22, v21, vcc_lo :: v_dual_cndmask_b32 v20, v23, v20, s0
	v_sub_co_u32 v22, vcc_lo, v18, v16
	s_delay_alu instid0(VALU_DEP_1) | instskip(NEXT) | instid1(VALU_DEP_3)
	v_subrev_co_ci_u32_e64 v15, null, 0, v15, vcc_lo
	v_cmp_ne_u32_e32 vcc_lo, 0, v21
	s_delay_alu instid0(VALU_DEP_2) | instskip(SKIP_1) | instid1(VALU_DEP_2)
	v_dual_cndmask_b32 v15, v19, v15 :: v_dual_cndmask_b32 v18, v18, v22
	v_cmp_ne_u32_e32 vcc_lo, 0, v20
	v_dual_cndmask_b32 v19, v5, v15 :: v_dual_cndmask_b32 v18, v4, v18
.LBB24_14:                              ;   in Loop: Header=BB24_12 Depth=1
	s_and_not1_saveexec_b32 s0, s13
	s_cbranch_execz .LBB24_11
; %bb.15:                               ;   in Loop: Header=BB24_12 Depth=1
	v_cvt_f32_u32_e32 v5, v16
	v_dual_sub_nc_u32 v15, 0, v16 :: v_dual_mov_b32 v19, v14
	s_delay_alu instid0(VALU_DEP_2) | instskip(SKIP_1) | instid1(TRANS32_DEP_1)
	v_rcp_iflag_f32_e32 v5, v5
	v_nop
	v_mul_f32_e32 v5, 0x4f7ffffe, v5
	s_delay_alu instid0(VALU_DEP_1) | instskip(NEXT) | instid1(VALU_DEP_1)
	v_cvt_u32_f32_e32 v5, v5
	v_mul_lo_u32 v15, v15, v5
	s_delay_alu instid0(VALU_DEP_1) | instskip(NEXT) | instid1(VALU_DEP_1)
	v_mul_hi_u32 v15, v5, v15
	v_add_nc_u32_e32 v5, v5, v15
	s_delay_alu instid0(VALU_DEP_1) | instskip(NEXT) | instid1(VALU_DEP_1)
	v_mul_hi_u32 v5, v4, v5
	v_mul_lo_u32 v5, v5, v16
	s_delay_alu instid0(VALU_DEP_1) | instskip(NEXT) | instid1(VALU_DEP_1)
	v_sub_nc_u32_e32 v4, v4, v5
	v_sub_nc_u32_e32 v5, v4, v16
	v_cmp_ge_u32_e32 vcc_lo, v4, v16
	s_delay_alu instid0(VALU_DEP_2) | instskip(NEXT) | instid1(VALU_DEP_1)
	v_cndmask_b32_e32 v4, v4, v5, vcc_lo
	v_sub_nc_u32_e32 v5, v4, v16
	v_cmp_ge_u32_e32 vcc_lo, v4, v16
	s_delay_alu instid0(VALU_DEP_2)
	v_cndmask_b32_e32 v18, v4, v5, vcc_lo
	s_branch .LBB24_11
.LBB24_16:
	s_or_b32 exec_lo, exec_lo, s3
	v_mov_b64_e32 v[4:5], v[16:17]
.LBB24_17:
	s_or_b32 exec_lo, exec_lo, s1
	s_wait_loadcnt 0x0
	v_sub_nc_u64_e32 v[14:15], 0, v[10:11]
	s_mov_b32 s1, exec_lo
	s_delay_alu instid0(VALU_DEP_1)
	v_max_i64 v[10:11], v[10:11], v[14:15]
	v_cmpx_ne_u64_e32 0, v[6:7]
	s_cbranch_execz .LBB24_25
; %bb.18:
	v_sub_nc_u64_e32 v[14:15], 0, v[6:7]
	s_mov_b32 s3, 0
	s_delay_alu instid0(VALU_DEP_1)
	v_max_i64 v[16:17], v[6:7], v[14:15]
	v_mov_b32_e32 v6, 0
	s_branch .LBB24_20
.LBB24_19:                              ;   in Loop: Header=BB24_20 Depth=1
	s_or_b32 exec_lo, exec_lo, s0
	s_delay_alu instid0(VALU_DEP_1) | instskip(SKIP_2) | instid1(SALU_CYCLE_1)
	v_cmp_eq_u64_e32 vcc_lo, 0, v[16:17]
	v_mov_b64_e32 v[10:11], v[14:15]
	s_or_b32 s3, vcc_lo, s3
	s_and_not1_b32 exec_lo, exec_lo, s3
	s_cbranch_execz .LBB24_24
.LBB24_20:                              ; =>This Inner Loop Header: Depth=1
	s_delay_alu instid0(VALU_DEP_2) | instskip(SKIP_1) | instid1(VALU_DEP_1)
	v_mov_b64_e32 v[14:15], v[16:17]
                                        ; implicit-def: $vgpr16_vgpr17
	s_mov_b32 s0, exec_lo
	v_or_b32_e32 v7, v11, v15
	s_delay_alu instid0(VALU_DEP_1)
	v_cmpx_ne_u64_e32 0, v[6:7]
	s_xor_b32 s13, exec_lo, s0
	s_cbranch_execz .LBB24_22
; %bb.21:                               ;   in Loop: Header=BB24_20 Depth=1
	s_delay_alu instid0(VALU_DEP_3) | instskip(SKIP_3) | instid1(VALU_DEP_3)
	v_cvt_f32_u32_e32 v7, v14
	v_cvt_f32_u32_e32 v16, v15
	v_sub_nc_u64_e32 v[18:19], 0, v[14:15]
	v_dual_mov_b32 v25, v6 :: v_dual_mov_b32 v27, v6
	v_fmac_f32_e32 v7, 0x4f800000, v16
	s_delay_alu instid0(VALU_DEP_1) | instskip(SKIP_1) | instid1(TRANS32_DEP_1)
	v_rcp_f32_e32 v7, v7
	v_nop
	v_mul_f32_e32 v7, 0x5f7ffffc, v7
	s_delay_alu instid0(VALU_DEP_1) | instskip(NEXT) | instid1(VALU_DEP_1)
	v_mul_f32_e32 v16, 0x2f800000, v7
	v_trunc_f32_e32 v17, v16
	s_delay_alu instid0(VALU_DEP_1) | instskip(SKIP_1) | instid1(VALU_DEP_2)
	v_cvt_u32_f32_e32 v21, v17
	v_fmac_f32_e32 v7, 0xcf800000, v17
	v_dual_mov_b32 v17, v6 :: v_dual_mov_b32 v26, v21
	s_delay_alu instid0(VALU_DEP_2) | instskip(NEXT) | instid1(VALU_DEP_1)
	v_cvt_u32_f32_e32 v16, v7
	v_mov_b32_e32 v20, v16
	s_delay_alu instid0(VALU_DEP_1) | instskip(NEXT) | instid1(VALU_DEP_1)
	v_mul_u64_e32 v[22:23], v[18:19], v[20:21]
	v_dual_mov_b32 v24, v23 :: v_dual_mov_b32 v23, v6
	s_delay_alu instid0(VALU_DEP_1) | instskip(NEXT) | instid1(VALU_DEP_2)
	v_mul_u64_e32 v[28:29], v[16:17], v[24:25]
	v_mul_u64_e32 v[30:31], v[26:27], v[22:23]
	v_mul_u64_e32 v[24:25], v[26:27], v[24:25]
	v_mul_hi_u32 v22, v16, v22
	s_delay_alu instid0(VALU_DEP_1) | instskip(NEXT) | instid1(VALU_DEP_1)
	v_add_nc_u64_e32 v[22:23], v[22:23], v[28:29]
	v_add_co_u32 v7, vcc_lo, v22, v30
	s_delay_alu instid0(VALU_DEP_2) | instskip(SKIP_1) | instid1(VALU_DEP_1)
	v_add_co_ci_u32_e32 v26, vcc_lo, v23, v31, vcc_lo
	v_add_co_ci_u32_e32 v25, vcc_lo, 0, v25, vcc_lo
	v_add_nc_u64_e32 v[22:23], v[26:27], v[24:25]
	s_delay_alu instid0(VALU_DEP_1) | instskip(NEXT) | instid1(VALU_DEP_1)
	v_add_co_u32 v16, vcc_lo, v16, v22
	v_add_co_ci_u32_e64 v20, null, v21, v23, vcc_lo
	v_dual_mov_b32 v23, v6 :: v_dual_mov_b32 v21, v6
	s_delay_alu instid0(VALU_DEP_2) | instskip(NEXT) | instid1(VALU_DEP_1)
	v_mov_b32_e32 v17, v20
	v_mul_u64_e32 v[18:19], v[18:19], v[16:17]
	s_delay_alu instid0(VALU_DEP_1) | instskip(NEXT) | instid1(VALU_DEP_2)
	v_dual_mov_b32 v17, v6 :: v_dual_mov_b32 v22, v19
	v_dual_mov_b32 v26, v18 :: v_dual_mov_b32 v19, v6
	v_mul_hi_u32 v18, v16, v18
	s_delay_alu instid0(VALU_DEP_3) | instskip(NEXT) | instid1(VALU_DEP_3)
	v_mul_u64_e32 v[24:25], v[16:17], v[22:23]
	v_mul_u64_e32 v[26:27], v[20:21], v[26:27]
	;; [unrolled: 1-line block ×3, first 2 shown]
	s_delay_alu instid0(VALU_DEP_3) | instskip(SKIP_1) | instid1(VALU_DEP_2)
	v_add_nc_u64_e32 v[18:19], v[18:19], v[24:25]
	v_mov_b32_e32 v25, v6
	v_add_co_u32 v7, vcc_lo, v18, v26
	s_delay_alu instid0(VALU_DEP_3) | instskip(SKIP_1) | instid1(VALU_DEP_1)
	v_add_co_ci_u32_e32 v24, vcc_lo, v19, v27, vcc_lo
	v_add_co_ci_u32_e32 v23, vcc_lo, 0, v23, vcc_lo
	v_add_nc_u64_e32 v[18:19], v[24:25], v[22:23]
	v_dual_mov_b32 v22, v10 :: v_dual_mov_b32 v23, v6
	s_delay_alu instid0(VALU_DEP_2) | instskip(NEXT) | instid1(VALU_DEP_1)
	v_add_co_u32 v18, vcc_lo, v16, v18
	v_add_co_ci_u32_e64 v16, null, v20, v19, vcc_lo
	v_dual_mov_b32 v20, v11 :: v_dual_mov_b32 v19, v6
	s_delay_alu instid0(VALU_DEP_2) | instskip(NEXT) | instid1(VALU_DEP_2)
	v_mul_u64_e32 v[22:23], v[22:23], v[16:17]
	v_mul_u64_e32 v[16:17], v[20:21], v[16:17]
	s_delay_alu instid0(VALU_DEP_3) | instskip(SKIP_1) | instid1(VALU_DEP_1)
	v_mul_u64_e32 v[24:25], v[20:21], v[18:19]
	v_mul_hi_u32 v18, v10, v18
	v_add_nc_u64_e32 v[18:19], v[18:19], v[22:23]
	s_delay_alu instid0(VALU_DEP_1) | instskip(NEXT) | instid1(VALU_DEP_2)
	v_add_co_u32 v7, vcc_lo, v18, v24
	v_add_co_ci_u32_e32 v20, vcc_lo, v19, v25, vcc_lo
	v_add_co_ci_u32_e32 v17, vcc_lo, 0, v17, vcc_lo
	s_delay_alu instid0(VALU_DEP_1) | instskip(NEXT) | instid1(VALU_DEP_1)
	v_add_nc_u64_e32 v[16:17], v[20:21], v[16:17]
	v_mul_u64_e32 v[16:17], v[14:15], v[16:17]
	s_delay_alu instid0(VALU_DEP_1) | instskip(NEXT) | instid1(VALU_DEP_2)
	v_sub_nc_u32_e32 v7, v11, v17
	v_sub_co_u32 v10, vcc_lo, v10, v16
	s_delay_alu instid0(VALU_DEP_1) | instskip(NEXT) | instid1(VALU_DEP_3)
	v_sub_co_ci_u32_e64 v11, null, v11, v17, vcc_lo
	v_sub_co_ci_u32_e64 v7, null, v7, v15, vcc_lo
	s_delay_alu instid0(VALU_DEP_3) | instskip(SKIP_1) | instid1(VALU_DEP_3)
	v_sub_co_u32 v16, vcc_lo, v10, v14
	v_cmp_ge_u32_e64 s0, v10, v14
	v_subrev_co_ci_u32_e64 v17, null, 0, v7, vcc_lo
	v_sub_co_ci_u32_e64 v7, null, v7, v15, vcc_lo
	s_delay_alu instid0(VALU_DEP_3) | instskip(SKIP_2) | instid1(VALU_DEP_2)
	v_cndmask_b32_e64 v18, 0, -1, s0
	v_cmp_ge_u32_e64 s0, v16, v14
	v_cmp_ge_u32_e32 vcc_lo, v11, v15
	v_cndmask_b32_e64 v19, 0, -1, s0
	v_cmp_ge_u32_e64 s0, v17, v15
	v_cndmask_b32_e64 v21, 0, -1, vcc_lo
	v_cmp_eq_u32_e32 vcc_lo, v17, v15
	s_delay_alu instid0(VALU_DEP_3) | instskip(SKIP_1) | instid1(VALU_DEP_1)
	v_cndmask_b32_e64 v20, 0, -1, s0
	v_cmp_eq_u32_e64 s0, v11, v15
	v_dual_cndmask_b32 v19, v20, v19, vcc_lo :: v_dual_cndmask_b32 v18, v21, v18, s0
	v_sub_co_u32 v20, vcc_lo, v16, v14
	s_delay_alu instid0(VALU_DEP_1) | instskip(NEXT) | instid1(VALU_DEP_3)
	v_subrev_co_ci_u32_e64 v7, null, 0, v7, vcc_lo
	v_cmp_ne_u32_e32 vcc_lo, 0, v19
	s_delay_alu instid0(VALU_DEP_2) | instskip(SKIP_1) | instid1(VALU_DEP_2)
	v_dual_cndmask_b32 v7, v17, v7 :: v_dual_cndmask_b32 v16, v16, v20
	v_cmp_ne_u32_e32 vcc_lo, 0, v18
	v_dual_cndmask_b32 v17, v11, v7 :: v_dual_cndmask_b32 v16, v10, v16
                                        ; implicit-def: $vgpr10_vgpr11
.LBB24_22:                              ;   in Loop: Header=BB24_20 Depth=1
	s_and_not1_saveexec_b32 s0, s13
	s_cbranch_execz .LBB24_19
; %bb.23:                               ;   in Loop: Header=BB24_20 Depth=1
	v_cvt_f32_u32_e32 v7, v14
	v_dual_sub_nc_u32 v11, 0, v14 :: v_dual_mov_b32 v17, v6
	s_delay_alu instid0(VALU_DEP_2) | instskip(SKIP_1) | instid1(TRANS32_DEP_1)
	v_rcp_iflag_f32_e32 v7, v7
	v_nop
	v_mul_f32_e32 v7, 0x4f7ffffe, v7
	s_delay_alu instid0(VALU_DEP_1) | instskip(NEXT) | instid1(VALU_DEP_1)
	v_cvt_u32_f32_e32 v7, v7
	v_mul_lo_u32 v11, v11, v7
	s_delay_alu instid0(VALU_DEP_1) | instskip(NEXT) | instid1(VALU_DEP_1)
	v_mul_hi_u32 v11, v7, v11
	v_add_nc_u32_e32 v7, v7, v11
	s_delay_alu instid0(VALU_DEP_1) | instskip(NEXT) | instid1(VALU_DEP_1)
	v_mul_hi_u32 v7, v10, v7
	v_mul_lo_u32 v7, v7, v14
	s_delay_alu instid0(VALU_DEP_1) | instskip(NEXT) | instid1(VALU_DEP_1)
	v_sub_nc_u32_e32 v7, v10, v7
	v_sub_nc_u32_e32 v10, v7, v14
	v_cmp_ge_u32_e32 vcc_lo, v7, v14
	s_delay_alu instid0(VALU_DEP_2) | instskip(NEXT) | instid1(VALU_DEP_1)
	v_cndmask_b32_e32 v7, v7, v10, vcc_lo
	v_sub_nc_u32_e32 v10, v7, v14
	v_cmp_ge_u32_e32 vcc_lo, v7, v14
	s_delay_alu instid0(VALU_DEP_2)
	v_cndmask_b32_e32 v16, v7, v10, vcc_lo
	s_branch .LBB24_19
.LBB24_24:
	s_or_b32 exec_lo, exec_lo, s3
	v_mov_b64_e32 v[10:11], v[14:15]
.LBB24_25:
	s_or_b32 exec_lo, exec_lo, s1
	v_sub_nc_u64_e32 v[6:7], 0, v[12:13]
	s_mov_b32 s1, exec_lo
	s_delay_alu instid0(VALU_DEP_1)
	v_max_i64 v[12:13], v[12:13], v[6:7]
	v_cmpx_ne_u64_e32 0, v[8:9]
	s_cbranch_execz .LBB24_33
; %bb.26:
	v_sub_nc_u64_e32 v[6:7], 0, v[8:9]
	s_mov_b32 s3, 0
	s_delay_alu instid0(VALU_DEP_1)
	v_max_i64 v[14:15], v[8:9], v[6:7]
	v_mov_b32_e32 v6, 0
	s_branch .LBB24_28
.LBB24_27:                              ;   in Loop: Header=BB24_28 Depth=1
	s_or_b32 exec_lo, exec_lo, s0
	s_delay_alu instid0(VALU_DEP_1) | instskip(SKIP_2) | instid1(SALU_CYCLE_1)
	v_cmp_eq_u64_e32 vcc_lo, 0, v[14:15]
	v_mov_b64_e32 v[12:13], v[8:9]
	s_or_b32 s3, vcc_lo, s3
	s_and_not1_b32 exec_lo, exec_lo, s3
	s_cbranch_execz .LBB24_32
.LBB24_28:                              ; =>This Inner Loop Header: Depth=1
	s_delay_alu instid0(VALU_DEP_2) | instskip(SKIP_1) | instid1(VALU_DEP_1)
	v_mov_b64_e32 v[8:9], v[14:15]
                                        ; implicit-def: $vgpr14_vgpr15
	s_mov_b32 s0, exec_lo
	v_or_b32_e32 v7, v13, v9
	s_delay_alu instid0(VALU_DEP_1)
	v_cmpx_ne_u64_e32 0, v[6:7]
	s_xor_b32 s13, exec_lo, s0
	s_cbranch_execz .LBB24_30
; %bb.29:                               ;   in Loop: Header=BB24_28 Depth=1
	s_delay_alu instid0(VALU_DEP_3) | instskip(SKIP_3) | instid1(VALU_DEP_3)
	v_cvt_f32_u32_e32 v7, v8
	v_cvt_f32_u32_e32 v14, v9
	v_sub_nc_u64_e32 v[16:17], 0, v[8:9]
	v_dual_mov_b32 v23, v6 :: v_dual_mov_b32 v25, v6
	v_fmac_f32_e32 v7, 0x4f800000, v14
	s_delay_alu instid0(VALU_DEP_1) | instskip(SKIP_1) | instid1(TRANS32_DEP_1)
	v_rcp_f32_e32 v7, v7
	v_nop
	v_mul_f32_e32 v7, 0x5f7ffffc, v7
	s_delay_alu instid0(VALU_DEP_1) | instskip(NEXT) | instid1(VALU_DEP_1)
	v_mul_f32_e32 v14, 0x2f800000, v7
	v_trunc_f32_e32 v15, v14
	s_delay_alu instid0(VALU_DEP_1) | instskip(SKIP_1) | instid1(VALU_DEP_2)
	v_cvt_u32_f32_e32 v19, v15
	v_fmac_f32_e32 v7, 0xcf800000, v15
	v_dual_mov_b32 v15, v6 :: v_dual_mov_b32 v24, v19
	s_delay_alu instid0(VALU_DEP_2) | instskip(NEXT) | instid1(VALU_DEP_1)
	v_cvt_u32_f32_e32 v14, v7
	v_mov_b32_e32 v18, v14
	s_delay_alu instid0(VALU_DEP_1) | instskip(NEXT) | instid1(VALU_DEP_1)
	v_mul_u64_e32 v[20:21], v[16:17], v[18:19]
	v_dual_mov_b32 v22, v21 :: v_dual_mov_b32 v21, v6
	s_delay_alu instid0(VALU_DEP_1) | instskip(NEXT) | instid1(VALU_DEP_2)
	v_mul_u64_e32 v[26:27], v[14:15], v[22:23]
	v_mul_u64_e32 v[28:29], v[24:25], v[20:21]
	;; [unrolled: 1-line block ×3, first 2 shown]
	v_mul_hi_u32 v20, v14, v20
	s_delay_alu instid0(VALU_DEP_1) | instskip(NEXT) | instid1(VALU_DEP_1)
	v_add_nc_u64_e32 v[20:21], v[20:21], v[26:27]
	v_add_co_u32 v7, vcc_lo, v20, v28
	s_delay_alu instid0(VALU_DEP_2) | instskip(SKIP_1) | instid1(VALU_DEP_1)
	v_add_co_ci_u32_e32 v24, vcc_lo, v21, v29, vcc_lo
	v_add_co_ci_u32_e32 v23, vcc_lo, 0, v23, vcc_lo
	v_add_nc_u64_e32 v[20:21], v[24:25], v[22:23]
	s_delay_alu instid0(VALU_DEP_1) | instskip(NEXT) | instid1(VALU_DEP_1)
	v_add_co_u32 v14, vcc_lo, v14, v20
	v_add_co_ci_u32_e64 v18, null, v19, v21, vcc_lo
	v_dual_mov_b32 v21, v6 :: v_dual_mov_b32 v19, v6
	s_delay_alu instid0(VALU_DEP_2) | instskip(NEXT) | instid1(VALU_DEP_1)
	v_mov_b32_e32 v15, v18
	v_mul_u64_e32 v[16:17], v[16:17], v[14:15]
	s_delay_alu instid0(VALU_DEP_1) | instskip(NEXT) | instid1(VALU_DEP_2)
	v_dual_mov_b32 v15, v6 :: v_dual_mov_b32 v20, v17
	v_dual_mov_b32 v24, v16 :: v_dual_mov_b32 v17, v6
	v_mul_hi_u32 v16, v14, v16
	s_delay_alu instid0(VALU_DEP_3) | instskip(NEXT) | instid1(VALU_DEP_3)
	v_mul_u64_e32 v[22:23], v[14:15], v[20:21]
	v_mul_u64_e32 v[24:25], v[18:19], v[24:25]
	;; [unrolled: 1-line block ×3, first 2 shown]
	s_delay_alu instid0(VALU_DEP_3) | instskip(SKIP_1) | instid1(VALU_DEP_2)
	v_add_nc_u64_e32 v[16:17], v[16:17], v[22:23]
	v_mov_b32_e32 v23, v6
	v_add_co_u32 v7, vcc_lo, v16, v24
	s_delay_alu instid0(VALU_DEP_3) | instskip(SKIP_1) | instid1(VALU_DEP_1)
	v_add_co_ci_u32_e32 v22, vcc_lo, v17, v25, vcc_lo
	v_add_co_ci_u32_e32 v21, vcc_lo, 0, v21, vcc_lo
	v_add_nc_u64_e32 v[16:17], v[22:23], v[20:21]
	v_dual_mov_b32 v20, v12 :: v_dual_mov_b32 v21, v6
	s_delay_alu instid0(VALU_DEP_2) | instskip(NEXT) | instid1(VALU_DEP_1)
	v_add_co_u32 v16, vcc_lo, v14, v16
	v_add_co_ci_u32_e64 v14, null, v18, v17, vcc_lo
	v_dual_mov_b32 v18, v13 :: v_dual_mov_b32 v17, v6
	s_delay_alu instid0(VALU_DEP_2) | instskip(NEXT) | instid1(VALU_DEP_2)
	v_mul_u64_e32 v[20:21], v[20:21], v[14:15]
	v_mul_u64_e32 v[14:15], v[18:19], v[14:15]
	s_delay_alu instid0(VALU_DEP_3) | instskip(SKIP_1) | instid1(VALU_DEP_1)
	v_mul_u64_e32 v[22:23], v[18:19], v[16:17]
	v_mul_hi_u32 v16, v12, v16
	v_add_nc_u64_e32 v[16:17], v[16:17], v[20:21]
	s_delay_alu instid0(VALU_DEP_1) | instskip(NEXT) | instid1(VALU_DEP_2)
	v_add_co_u32 v7, vcc_lo, v16, v22
	v_add_co_ci_u32_e32 v18, vcc_lo, v17, v23, vcc_lo
	v_add_co_ci_u32_e32 v15, vcc_lo, 0, v15, vcc_lo
	s_delay_alu instid0(VALU_DEP_1) | instskip(NEXT) | instid1(VALU_DEP_1)
	v_add_nc_u64_e32 v[14:15], v[18:19], v[14:15]
	v_mul_u64_e32 v[14:15], v[8:9], v[14:15]
	s_delay_alu instid0(VALU_DEP_1) | instskip(NEXT) | instid1(VALU_DEP_2)
	v_sub_nc_u32_e32 v7, v13, v15
	v_sub_co_u32 v12, vcc_lo, v12, v14
	s_delay_alu instid0(VALU_DEP_1) | instskip(NEXT) | instid1(VALU_DEP_3)
	v_sub_co_ci_u32_e64 v13, null, v13, v15, vcc_lo
	v_sub_co_ci_u32_e64 v7, null, v7, v9, vcc_lo
	s_delay_alu instid0(VALU_DEP_3) | instskip(SKIP_1) | instid1(VALU_DEP_3)
	v_sub_co_u32 v14, vcc_lo, v12, v8
	v_cmp_ge_u32_e64 s0, v12, v8
	v_subrev_co_ci_u32_e64 v15, null, 0, v7, vcc_lo
	v_sub_co_ci_u32_e64 v7, null, v7, v9, vcc_lo
	s_delay_alu instid0(VALU_DEP_3) | instskip(SKIP_2) | instid1(VALU_DEP_2)
	v_cndmask_b32_e64 v16, 0, -1, s0
	v_cmp_ge_u32_e64 s0, v14, v8
	v_cmp_ge_u32_e32 vcc_lo, v13, v9
	v_cndmask_b32_e64 v17, 0, -1, s0
	v_cmp_ge_u32_e64 s0, v15, v9
	v_cndmask_b32_e64 v19, 0, -1, vcc_lo
	v_cmp_eq_u32_e32 vcc_lo, v15, v9
	s_delay_alu instid0(VALU_DEP_3) | instskip(SKIP_1) | instid1(VALU_DEP_1)
	v_cndmask_b32_e64 v18, 0, -1, s0
	v_cmp_eq_u32_e64 s0, v13, v9
	v_dual_cndmask_b32 v17, v18, v17, vcc_lo :: v_dual_cndmask_b32 v16, v19, v16, s0
	v_sub_co_u32 v18, vcc_lo, v14, v8
	s_delay_alu instid0(VALU_DEP_1) | instskip(NEXT) | instid1(VALU_DEP_3)
	v_subrev_co_ci_u32_e64 v7, null, 0, v7, vcc_lo
	v_cmp_ne_u32_e32 vcc_lo, 0, v17
	s_delay_alu instid0(VALU_DEP_2) | instskip(SKIP_1) | instid1(VALU_DEP_2)
	v_dual_cndmask_b32 v7, v15, v7 :: v_dual_cndmask_b32 v14, v14, v18
	v_cmp_ne_u32_e32 vcc_lo, 0, v16
	v_dual_cndmask_b32 v15, v13, v7 :: v_dual_cndmask_b32 v14, v12, v14
.LBB24_30:                              ;   in Loop: Header=BB24_28 Depth=1
	s_and_not1_saveexec_b32 s0, s13
	s_cbranch_execz .LBB24_27
; %bb.31:                               ;   in Loop: Header=BB24_28 Depth=1
	v_cvt_f32_u32_e32 v7, v8
	v_dual_sub_nc_u32 v13, 0, v8 :: v_dual_mov_b32 v15, v6
	s_delay_alu instid0(VALU_DEP_2) | instskip(SKIP_1) | instid1(TRANS32_DEP_1)
	v_rcp_iflag_f32_e32 v7, v7
	v_nop
	v_mul_f32_e32 v7, 0x4f7ffffe, v7
	s_delay_alu instid0(VALU_DEP_1) | instskip(NEXT) | instid1(VALU_DEP_1)
	v_cvt_u32_f32_e32 v7, v7
	v_mul_lo_u32 v13, v13, v7
	s_delay_alu instid0(VALU_DEP_1) | instskip(NEXT) | instid1(VALU_DEP_1)
	v_mul_hi_u32 v13, v7, v13
	v_add_nc_u32_e32 v7, v7, v13
	s_delay_alu instid0(VALU_DEP_1) | instskip(NEXT) | instid1(VALU_DEP_1)
	v_mul_hi_u32 v7, v12, v7
	v_mul_lo_u32 v7, v7, v8
	s_delay_alu instid0(VALU_DEP_1) | instskip(NEXT) | instid1(VALU_DEP_1)
	v_sub_nc_u32_e32 v7, v12, v7
	v_sub_nc_u32_e32 v12, v7, v8
	v_cmp_ge_u32_e32 vcc_lo, v7, v8
	s_delay_alu instid0(VALU_DEP_2) | instskip(NEXT) | instid1(VALU_DEP_1)
	v_cndmask_b32_e32 v7, v7, v12, vcc_lo
	v_sub_nc_u32_e32 v12, v7, v8
	v_cmp_ge_u32_e32 vcc_lo, v7, v8
	s_delay_alu instid0(VALU_DEP_2)
	v_cndmask_b32_e32 v14, v7, v12, vcc_lo
	s_branch .LBB24_27
.LBB24_32:
	s_or_b32 exec_lo, exec_lo, s3
	v_mov_b64_e32 v[12:13], v[8:9]
.LBB24_33:
	s_or_b32 exec_lo, exec_lo, s1
	s_add_nc_u64 s[10:11], s[4:5], s[10:11]
	s_mov_b32 s0, 0
	s_clause 0x1
	global_store_b128 v1, v[2:5], s[10:11]
	global_store_b128 v1, v[10:13], s[10:11] offset:16
.LBB24_34:
	s_and_b32 vcc_lo, exec_lo, s0
	s_cbranch_vccz .LBB24_79
; %bb.35:
	v_mov_b64_e32 v[14:15], 0
	v_mov_b64_e32 v[16:17], 0
	s_wait_xcnt 0x1
	v_mov_b64_e32 v[2:3], 0
	v_cmp_gt_i32_e64 s0, s12, v0
	s_wait_xcnt 0x0
	v_dual_mov_b32 v18, v0 :: v_dual_bitop2_b32 v1, s2, v0 bitop3:0x54
	v_or_b32_e32 v22, 0x100, v0
	s_and_saveexec_b32 s1, s0
	s_cbranch_execz .LBB24_37
; %bb.36:
	s_clause 0x1
	global_load_b64 v[2:3], v1, s[8:9] scale_offset
	global_load_b64 v[16:17], v1, s[6:7] scale_offset
	v_or_b32_e32 v18, 0x100, v0
	s_wait_loadcnt 0x1
	v_sub_nc_u64_e32 v[4:5], 0, v[2:3]
	s_delay_alu instid0(VALU_DEP_1)
	v_max_i64 v[2:3], v[2:3], v[4:5]
.LBB24_37:
	s_wait_xcnt 0x0
	s_or_b32 exec_lo, exec_lo, s1
	v_mov_b64_e32 v[4:5], 0
	s_mov_b32 s1, exec_lo
	v_cmpx_gt_i32_e64 s12, v18
	s_cbranch_execz .LBB24_39
; %bb.38:
	v_add_nc_u32_e32 v6, s2, v18
	v_add_nc_u32_e32 v18, 0x100, v18
	s_clause 0x1
	global_load_b64 v[4:5], v6, s[8:9] scale_offset
	global_load_b64 v[14:15], v6, s[6:7] scale_offset
	s_wait_loadcnt 0x1
	s_wait_xcnt 0x0
	v_sub_nc_u64_e32 v[6:7], 0, v[4:5]
	s_delay_alu instid0(VALU_DEP_1)
	v_max_i64 v[4:5], v[4:5], v[6:7]
.LBB24_39:
	s_or_b32 exec_lo, exec_lo, s1
	v_mov_b64_e32 v[10:11], 0
	v_mov_b64_e32 v[12:13], 0
	;; [unrolled: 1-line block ×3, first 2 shown]
	s_mov_b32 s1, exec_lo
	v_cmpx_gt_i32_e64 s12, v18
	s_cbranch_execz .LBB24_41
; %bb.40:
	v_add_nc_u32_e32 v8, s2, v18
	v_add_nc_u32_e32 v18, 0x100, v18
	s_clause 0x1
	global_load_b64 v[6:7], v8, s[8:9] scale_offset
	global_load_b64 v[12:13], v8, s[6:7] scale_offset
	s_wait_loadcnt 0x1
	s_wait_xcnt 0x0
	v_sub_nc_u64_e32 v[8:9], 0, v[6:7]
	s_delay_alu instid0(VALU_DEP_1)
	v_max_i64 v[6:7], v[6:7], v[8:9]
.LBB24_41:
	s_or_b32 exec_lo, exec_lo, s1
	v_mov_b64_e32 v[8:9], 0
	s_mov_b32 s1, exec_lo
	v_cmpx_gt_i32_e64 s12, v18
	s_cbranch_execnz .LBB24_44
; %bb.42:
	s_or_b32 exec_lo, exec_lo, s1
	s_and_saveexec_b32 s3, s0
	s_cbranch_execnz .LBB24_45
.LBB24_43:
	s_or_b32 exec_lo, exec_lo, s3
	s_delay_alu instid0(SALU_CYCLE_1)
	s_mov_b32 s3, exec_lo
	v_cmpx_gt_i32_e64 s12, v22
	s_cbranch_execnz .LBB24_54
	s_branch .LBB24_63
.LBB24_44:
	v_add_nc_u32_e32 v18, s2, v18
	s_clause 0x1
	global_load_b64 v[8:9], v18, s[8:9] scale_offset
	global_load_b64 v[10:11], v18, s[6:7] scale_offset
	s_wait_loadcnt 0x1
	s_wait_xcnt 0x0
	v_sub_nc_u64_e32 v[18:19], 0, v[8:9]
	s_delay_alu instid0(VALU_DEP_1)
	v_max_i64 v[8:9], v[8:9], v[18:19]
	s_or_b32 exec_lo, exec_lo, s1
	s_and_saveexec_b32 s3, s0
	s_cbranch_execz .LBB24_43
.LBB24_45:
	s_mov_b32 s6, exec_lo
	s_wait_loadcnt 0x0
	v_cmpx_ne_u64_e32 0, v[16:17]
	s_cbranch_execz .LBB24_53
; %bb.46:
	v_sub_nc_u64_e32 v[18:19], 0, v[16:17]
	s_mov_b32 s7, 0
	s_delay_alu instid0(VALU_DEP_1)
	v_max_i64 v[20:21], v[16:17], v[18:19]
	v_mov_b32_e32 v16, 0
	s_branch .LBB24_48
.LBB24_47:                              ;   in Loop: Header=BB24_48 Depth=1
	s_or_b32 exec_lo, exec_lo, s1
	s_delay_alu instid0(VALU_DEP_1) | instskip(SKIP_2) | instid1(SALU_CYCLE_1)
	v_cmp_eq_u64_e32 vcc_lo, 0, v[20:21]
	v_mov_b64_e32 v[2:3], v[18:19]
	s_or_b32 s7, vcc_lo, s7
	s_and_not1_b32 exec_lo, exec_lo, s7
	s_cbranch_execz .LBB24_52
.LBB24_48:                              ; =>This Inner Loop Header: Depth=1
	s_delay_alu instid0(VALU_DEP_2) | instskip(SKIP_1) | instid1(VALU_DEP_1)
	v_mov_b64_e32 v[18:19], v[20:21]
                                        ; implicit-def: $vgpr20_vgpr21
	s_mov_b32 s1, exec_lo
	v_or_b32_e32 v17, v3, v19
	s_delay_alu instid0(VALU_DEP_1)
	v_cmpx_ne_u64_e32 0, v[16:17]
	s_xor_b32 s8, exec_lo, s1
	s_cbranch_execz .LBB24_50
; %bb.49:                               ;   in Loop: Header=BB24_48 Depth=1
	s_delay_alu instid0(VALU_DEP_3) | instskip(SKIP_3) | instid1(VALU_DEP_3)
	v_cvt_f32_u32_e32 v17, v18
	v_cvt_f32_u32_e32 v20, v19
	v_sub_nc_u64_e32 v[24:25], 0, v[18:19]
	v_dual_mov_b32 v31, v16 :: v_dual_mov_b32 v33, v16
	v_fmac_f32_e32 v17, 0x4f800000, v20
	s_delay_alu instid0(VALU_DEP_1) | instskip(SKIP_1) | instid1(TRANS32_DEP_1)
	v_rcp_f32_e32 v17, v17
	v_nop
	v_mul_f32_e32 v17, 0x5f7ffffc, v17
	s_delay_alu instid0(VALU_DEP_1) | instskip(NEXT) | instid1(VALU_DEP_1)
	v_mul_f32_e32 v20, 0x2f800000, v17
	v_trunc_f32_e32 v21, v20
	s_delay_alu instid0(VALU_DEP_1) | instskip(SKIP_1) | instid1(VALU_DEP_2)
	v_cvt_u32_f32_e32 v27, v21
	v_fmac_f32_e32 v17, 0xcf800000, v21
	v_dual_mov_b32 v21, v16 :: v_dual_mov_b32 v32, v27
	s_delay_alu instid0(VALU_DEP_2) | instskip(NEXT) | instid1(VALU_DEP_1)
	v_cvt_u32_f32_e32 v20, v17
	v_mov_b32_e32 v26, v20
	s_delay_alu instid0(VALU_DEP_1) | instskip(NEXT) | instid1(VALU_DEP_1)
	v_mul_u64_e32 v[28:29], v[24:25], v[26:27]
	v_dual_mov_b32 v30, v29 :: v_dual_mov_b32 v29, v16
	s_delay_alu instid0(VALU_DEP_1) | instskip(NEXT) | instid1(VALU_DEP_2)
	v_mul_u64_e32 v[34:35], v[20:21], v[30:31]
	v_mul_u64_e32 v[36:37], v[32:33], v[28:29]
	;; [unrolled: 1-line block ×3, first 2 shown]
	v_mul_hi_u32 v28, v20, v28
	s_delay_alu instid0(VALU_DEP_1) | instskip(NEXT) | instid1(VALU_DEP_1)
	v_add_nc_u64_e32 v[28:29], v[28:29], v[34:35]
	v_add_co_u32 v17, vcc_lo, v28, v36
	s_delay_alu instid0(VALU_DEP_2) | instskip(SKIP_1) | instid1(VALU_DEP_1)
	v_add_co_ci_u32_e32 v32, vcc_lo, v29, v37, vcc_lo
	v_add_co_ci_u32_e32 v31, vcc_lo, 0, v31, vcc_lo
	v_add_nc_u64_e32 v[28:29], v[32:33], v[30:31]
	s_delay_alu instid0(VALU_DEP_1) | instskip(NEXT) | instid1(VALU_DEP_1)
	v_add_co_u32 v20, vcc_lo, v20, v28
	v_add_co_ci_u32_e64 v26, null, v27, v29, vcc_lo
	v_dual_mov_b32 v29, v16 :: v_dual_mov_b32 v27, v16
	s_delay_alu instid0(VALU_DEP_2) | instskip(NEXT) | instid1(VALU_DEP_1)
	v_mov_b32_e32 v21, v26
	v_mul_u64_e32 v[24:25], v[24:25], v[20:21]
	s_delay_alu instid0(VALU_DEP_1) | instskip(NEXT) | instid1(VALU_DEP_2)
	v_dual_mov_b32 v21, v16 :: v_dual_mov_b32 v28, v25
	v_dual_mov_b32 v32, v24 :: v_dual_mov_b32 v25, v16
	v_mul_hi_u32 v24, v20, v24
	s_delay_alu instid0(VALU_DEP_3) | instskip(NEXT) | instid1(VALU_DEP_3)
	v_mul_u64_e32 v[30:31], v[20:21], v[28:29]
	v_mul_u64_e32 v[32:33], v[26:27], v[32:33]
	;; [unrolled: 1-line block ×3, first 2 shown]
	s_delay_alu instid0(VALU_DEP_3) | instskip(SKIP_1) | instid1(VALU_DEP_2)
	v_add_nc_u64_e32 v[24:25], v[24:25], v[30:31]
	v_mov_b32_e32 v31, v16
	v_add_co_u32 v17, vcc_lo, v24, v32
	s_delay_alu instid0(VALU_DEP_3) | instskip(SKIP_1) | instid1(VALU_DEP_1)
	v_add_co_ci_u32_e32 v30, vcc_lo, v25, v33, vcc_lo
	v_add_co_ci_u32_e32 v29, vcc_lo, 0, v29, vcc_lo
	v_add_nc_u64_e32 v[24:25], v[30:31], v[28:29]
	v_dual_mov_b32 v28, v2 :: v_dual_mov_b32 v29, v16
	s_delay_alu instid0(VALU_DEP_2) | instskip(NEXT) | instid1(VALU_DEP_1)
	v_add_co_u32 v24, vcc_lo, v20, v24
	v_add_co_ci_u32_e64 v20, null, v26, v25, vcc_lo
	v_dual_mov_b32 v26, v3 :: v_dual_mov_b32 v25, v16
	s_delay_alu instid0(VALU_DEP_2) | instskip(NEXT) | instid1(VALU_DEP_2)
	v_mul_u64_e32 v[28:29], v[28:29], v[20:21]
	v_mul_u64_e32 v[20:21], v[26:27], v[20:21]
	s_delay_alu instid0(VALU_DEP_3) | instskip(SKIP_1) | instid1(VALU_DEP_1)
	v_mul_u64_e32 v[30:31], v[26:27], v[24:25]
	v_mul_hi_u32 v24, v2, v24
	v_add_nc_u64_e32 v[24:25], v[24:25], v[28:29]
	s_delay_alu instid0(VALU_DEP_1) | instskip(NEXT) | instid1(VALU_DEP_2)
	v_add_co_u32 v17, vcc_lo, v24, v30
	v_add_co_ci_u32_e32 v26, vcc_lo, v25, v31, vcc_lo
	v_add_co_ci_u32_e32 v21, vcc_lo, 0, v21, vcc_lo
	s_delay_alu instid0(VALU_DEP_1) | instskip(NEXT) | instid1(VALU_DEP_1)
	v_add_nc_u64_e32 v[20:21], v[26:27], v[20:21]
	v_mul_u64_e32 v[20:21], v[18:19], v[20:21]
	s_delay_alu instid0(VALU_DEP_1) | instskip(NEXT) | instid1(VALU_DEP_2)
	v_sub_nc_u32_e32 v17, v3, v21
	v_sub_co_u32 v2, vcc_lo, v2, v20
	s_delay_alu instid0(VALU_DEP_1) | instskip(NEXT) | instid1(VALU_DEP_3)
	v_sub_co_ci_u32_e64 v3, null, v3, v21, vcc_lo
	v_sub_co_ci_u32_e64 v17, null, v17, v19, vcc_lo
	s_delay_alu instid0(VALU_DEP_3) | instskip(SKIP_1) | instid1(VALU_DEP_3)
	v_sub_co_u32 v20, vcc_lo, v2, v18
	v_cmp_ge_u32_e64 s1, v2, v18
	v_subrev_co_ci_u32_e64 v21, null, 0, v17, vcc_lo
	v_sub_co_ci_u32_e64 v17, null, v17, v19, vcc_lo
	s_delay_alu instid0(VALU_DEP_3) | instskip(SKIP_2) | instid1(VALU_DEP_2)
	v_cndmask_b32_e64 v23, 0, -1, s1
	v_cmp_ge_u32_e64 s1, v20, v18
	v_cmp_ge_u32_e32 vcc_lo, v3, v19
	v_cndmask_b32_e64 v24, 0, -1, s1
	v_cmp_ge_u32_e64 s1, v21, v19
	v_cndmask_b32_e64 v26, 0, -1, vcc_lo
	v_cmp_eq_u32_e32 vcc_lo, v21, v19
	s_delay_alu instid0(VALU_DEP_3) | instskip(SKIP_1) | instid1(VALU_DEP_1)
	v_cndmask_b32_e64 v25, 0, -1, s1
	v_cmp_eq_u32_e64 s1, v3, v19
	v_dual_cndmask_b32 v24, v25, v24, vcc_lo :: v_dual_cndmask_b32 v23, v26, v23, s1
	v_sub_co_u32 v25, vcc_lo, v20, v18
	s_delay_alu instid0(VALU_DEP_1) | instskip(NEXT) | instid1(VALU_DEP_3)
	v_subrev_co_ci_u32_e64 v17, null, 0, v17, vcc_lo
	v_cmp_ne_u32_e32 vcc_lo, 0, v24
	s_delay_alu instid0(VALU_DEP_3) | instskip(NEXT) | instid1(VALU_DEP_3)
	v_cndmask_b32_e32 v20, v20, v25, vcc_lo
	v_cndmask_b32_e32 v17, v21, v17, vcc_lo
	v_cmp_ne_u32_e32 vcc_lo, 0, v23
	s_delay_alu instid0(VALU_DEP_2)
	v_dual_cndmask_b32 v20, v2, v20 :: v_dual_cndmask_b32 v21, v3, v17
                                        ; implicit-def: $vgpr2_vgpr3
.LBB24_50:                              ;   in Loop: Header=BB24_48 Depth=1
	s_and_not1_saveexec_b32 s1, s8
	s_cbranch_execz .LBB24_47
; %bb.51:                               ;   in Loop: Header=BB24_48 Depth=1
	v_cvt_f32_u32_e32 v3, v18
	v_dual_sub_nc_u32 v17, 0, v18 :: v_dual_mov_b32 v21, v16
	s_delay_alu instid0(VALU_DEP_2) | instskip(SKIP_1) | instid1(TRANS32_DEP_1)
	v_rcp_iflag_f32_e32 v3, v3
	v_nop
	v_mul_f32_e32 v3, 0x4f7ffffe, v3
	s_delay_alu instid0(VALU_DEP_1) | instskip(NEXT) | instid1(VALU_DEP_1)
	v_cvt_u32_f32_e32 v3, v3
	v_mul_lo_u32 v17, v17, v3
	s_delay_alu instid0(VALU_DEP_1) | instskip(NEXT) | instid1(VALU_DEP_1)
	v_mul_hi_u32 v17, v3, v17
	v_add_nc_u32_e32 v3, v3, v17
	s_delay_alu instid0(VALU_DEP_1) | instskip(NEXT) | instid1(VALU_DEP_1)
	v_mul_hi_u32 v3, v2, v3
	v_mul_lo_u32 v3, v3, v18
	s_delay_alu instid0(VALU_DEP_1) | instskip(NEXT) | instid1(VALU_DEP_1)
	v_sub_nc_u32_e32 v2, v2, v3
	v_sub_nc_u32_e32 v3, v2, v18
	v_cmp_ge_u32_e32 vcc_lo, v2, v18
	s_delay_alu instid0(VALU_DEP_2) | instskip(NEXT) | instid1(VALU_DEP_1)
	v_cndmask_b32_e32 v2, v2, v3, vcc_lo
	v_sub_nc_u32_e32 v3, v2, v18
	v_cmp_ge_u32_e32 vcc_lo, v2, v18
	s_delay_alu instid0(VALU_DEP_2)
	v_cndmask_b32_e32 v20, v2, v3, vcc_lo
	s_branch .LBB24_47
.LBB24_52:
	s_or_b32 exec_lo, exec_lo, s7
	v_mov_b64_e32 v[2:3], v[18:19]
.LBB24_53:
	s_or_b32 exec_lo, exec_lo, s6
	s_delay_alu instid0(SALU_CYCLE_1) | instskip(NEXT) | instid1(SALU_CYCLE_1)
	s_or_b32 exec_lo, exec_lo, s3
	s_mov_b32 s3, exec_lo
	v_cmpx_gt_i32_e64 s12, v22
	s_cbranch_execz .LBB24_63
.LBB24_54:
	s_mov_b32 s6, exec_lo
	s_wait_loadcnt 0x0
	v_cmpx_ne_u64_e32 0, v[14:15]
	s_cbranch_execz .LBB24_62
; %bb.55:
	v_sub_nc_u64_e32 v[16:17], 0, v[14:15]
	s_mov_b32 s7, 0
	s_delay_alu instid0(VALU_DEP_1)
	v_max_i64 v[18:19], v[14:15], v[16:17]
	v_mov_b32_e32 v14, 0
	s_branch .LBB24_57
.LBB24_56:                              ;   in Loop: Header=BB24_57 Depth=1
	s_or_b32 exec_lo, exec_lo, s1
	s_delay_alu instid0(VALU_DEP_1) | instskip(SKIP_2) | instid1(SALU_CYCLE_1)
	v_cmp_eq_u64_e32 vcc_lo, 0, v[18:19]
	v_mov_b64_e32 v[4:5], v[16:17]
	s_or_b32 s7, vcc_lo, s7
	s_and_not1_b32 exec_lo, exec_lo, s7
	s_cbranch_execz .LBB24_61
.LBB24_57:                              ; =>This Inner Loop Header: Depth=1
	s_delay_alu instid0(VALU_DEP_2) | instskip(SKIP_1) | instid1(VALU_DEP_1)
	v_mov_b64_e32 v[16:17], v[18:19]
                                        ; implicit-def: $vgpr18_vgpr19
	s_mov_b32 s1, exec_lo
	v_or_b32_e32 v15, v5, v17
	s_delay_alu instid0(VALU_DEP_1)
	v_cmpx_ne_u64_e32 0, v[14:15]
	s_xor_b32 s8, exec_lo, s1
	s_cbranch_execz .LBB24_59
; %bb.58:                               ;   in Loop: Header=BB24_57 Depth=1
	s_delay_alu instid0(VALU_DEP_3) | instskip(SKIP_3) | instid1(VALU_DEP_3)
	v_cvt_f32_u32_e32 v15, v16
	v_cvt_f32_u32_e32 v18, v17
	v_sub_nc_u64_e32 v[20:21], 0, v[16:17]
	v_dual_mov_b32 v29, v14 :: v_dual_mov_b32 v31, v14
	v_fmac_f32_e32 v15, 0x4f800000, v18
	s_delay_alu instid0(VALU_DEP_1) | instskip(SKIP_1) | instid1(TRANS32_DEP_1)
	v_rcp_f32_e32 v15, v15
	v_nop
	v_mul_f32_e32 v15, 0x5f7ffffc, v15
	s_delay_alu instid0(VALU_DEP_1) | instskip(NEXT) | instid1(VALU_DEP_1)
	v_mul_f32_e32 v18, 0x2f800000, v15
	v_trunc_f32_e32 v19, v18
	s_delay_alu instid0(VALU_DEP_1) | instskip(SKIP_1) | instid1(VALU_DEP_2)
	v_cvt_u32_f32_e32 v25, v19
	v_fmac_f32_e32 v15, 0xcf800000, v19
	v_dual_mov_b32 v19, v14 :: v_dual_mov_b32 v30, v25
	s_delay_alu instid0(VALU_DEP_2) | instskip(NEXT) | instid1(VALU_DEP_1)
	v_cvt_u32_f32_e32 v18, v15
	v_mov_b32_e32 v24, v18
	s_delay_alu instid0(VALU_DEP_1) | instskip(NEXT) | instid1(VALU_DEP_1)
	v_mul_u64_e32 v[26:27], v[20:21], v[24:25]
	v_dual_mov_b32 v28, v27 :: v_dual_mov_b32 v27, v14
	s_delay_alu instid0(VALU_DEP_1) | instskip(NEXT) | instid1(VALU_DEP_2)
	v_mul_u64_e32 v[32:33], v[18:19], v[28:29]
	v_mul_u64_e32 v[34:35], v[30:31], v[26:27]
	;; [unrolled: 1-line block ×3, first 2 shown]
	v_mul_hi_u32 v26, v18, v26
	s_delay_alu instid0(VALU_DEP_1) | instskip(NEXT) | instid1(VALU_DEP_1)
	v_add_nc_u64_e32 v[26:27], v[26:27], v[32:33]
	v_add_co_u32 v15, vcc_lo, v26, v34
	s_delay_alu instid0(VALU_DEP_2) | instskip(SKIP_1) | instid1(VALU_DEP_1)
	v_add_co_ci_u32_e32 v30, vcc_lo, v27, v35, vcc_lo
	v_add_co_ci_u32_e32 v29, vcc_lo, 0, v29, vcc_lo
	v_add_nc_u64_e32 v[26:27], v[30:31], v[28:29]
	s_delay_alu instid0(VALU_DEP_1) | instskip(NEXT) | instid1(VALU_DEP_1)
	v_add_co_u32 v18, vcc_lo, v18, v26
	v_add_co_ci_u32_e64 v24, null, v25, v27, vcc_lo
	v_dual_mov_b32 v27, v14 :: v_dual_mov_b32 v25, v14
	s_delay_alu instid0(VALU_DEP_2) | instskip(NEXT) | instid1(VALU_DEP_1)
	v_mov_b32_e32 v19, v24
	v_mul_u64_e32 v[20:21], v[20:21], v[18:19]
	s_delay_alu instid0(VALU_DEP_1) | instskip(NEXT) | instid1(VALU_DEP_2)
	v_dual_mov_b32 v19, v14 :: v_dual_mov_b32 v26, v21
	v_dual_mov_b32 v30, v20 :: v_dual_mov_b32 v21, v14
	v_mul_hi_u32 v20, v18, v20
	s_delay_alu instid0(VALU_DEP_3) | instskip(NEXT) | instid1(VALU_DEP_3)
	v_mul_u64_e32 v[28:29], v[18:19], v[26:27]
	v_mul_u64_e32 v[30:31], v[24:25], v[30:31]
	v_mul_u64_e32 v[26:27], v[24:25], v[26:27]
	s_delay_alu instid0(VALU_DEP_3) | instskip(SKIP_1) | instid1(VALU_DEP_2)
	v_add_nc_u64_e32 v[20:21], v[20:21], v[28:29]
	v_mov_b32_e32 v29, v14
	v_add_co_u32 v15, vcc_lo, v20, v30
	s_delay_alu instid0(VALU_DEP_3) | instskip(SKIP_1) | instid1(VALU_DEP_1)
	v_add_co_ci_u32_e32 v28, vcc_lo, v21, v31, vcc_lo
	v_add_co_ci_u32_e32 v27, vcc_lo, 0, v27, vcc_lo
	v_add_nc_u64_e32 v[20:21], v[28:29], v[26:27]
	v_dual_mov_b32 v26, v4 :: v_dual_mov_b32 v27, v14
	s_delay_alu instid0(VALU_DEP_2) | instskip(NEXT) | instid1(VALU_DEP_1)
	v_add_co_u32 v20, vcc_lo, v18, v20
	v_add_co_ci_u32_e64 v18, null, v24, v21, vcc_lo
	v_dual_mov_b32 v24, v5 :: v_dual_mov_b32 v21, v14
	s_delay_alu instid0(VALU_DEP_2) | instskip(NEXT) | instid1(VALU_DEP_2)
	v_mul_u64_e32 v[26:27], v[26:27], v[18:19]
	v_mul_u64_e32 v[18:19], v[24:25], v[18:19]
	s_delay_alu instid0(VALU_DEP_3) | instskip(SKIP_1) | instid1(VALU_DEP_1)
	v_mul_u64_e32 v[28:29], v[24:25], v[20:21]
	v_mul_hi_u32 v20, v4, v20
	v_add_nc_u64_e32 v[20:21], v[20:21], v[26:27]
	s_delay_alu instid0(VALU_DEP_1) | instskip(NEXT) | instid1(VALU_DEP_2)
	v_add_co_u32 v15, vcc_lo, v20, v28
	v_add_co_ci_u32_e32 v24, vcc_lo, v21, v29, vcc_lo
	v_add_co_ci_u32_e32 v19, vcc_lo, 0, v19, vcc_lo
	s_delay_alu instid0(VALU_DEP_1) | instskip(NEXT) | instid1(VALU_DEP_1)
	v_add_nc_u64_e32 v[18:19], v[24:25], v[18:19]
	v_mul_u64_e32 v[18:19], v[16:17], v[18:19]
	s_delay_alu instid0(VALU_DEP_1) | instskip(NEXT) | instid1(VALU_DEP_2)
	v_sub_nc_u32_e32 v15, v5, v19
	v_sub_co_u32 v4, vcc_lo, v4, v18
	s_delay_alu instid0(VALU_DEP_1) | instskip(NEXT) | instid1(VALU_DEP_3)
	v_sub_co_ci_u32_e64 v5, null, v5, v19, vcc_lo
	v_sub_co_ci_u32_e64 v15, null, v15, v17, vcc_lo
	s_delay_alu instid0(VALU_DEP_3) | instskip(SKIP_1) | instid1(VALU_DEP_3)
	v_sub_co_u32 v18, vcc_lo, v4, v16
	v_cmp_ge_u32_e64 s1, v4, v16
	v_subrev_co_ci_u32_e64 v19, null, 0, v15, vcc_lo
	v_sub_co_ci_u32_e64 v15, null, v15, v17, vcc_lo
	s_delay_alu instid0(VALU_DEP_3) | instskip(SKIP_2) | instid1(VALU_DEP_2)
	v_cndmask_b32_e64 v20, 0, -1, s1
	v_cmp_ge_u32_e64 s1, v18, v16
	v_cmp_ge_u32_e32 vcc_lo, v5, v17
	v_cndmask_b32_e64 v21, 0, -1, s1
	v_cmp_ge_u32_e64 s1, v19, v17
	v_cndmask_b32_e64 v24, 0, -1, vcc_lo
	v_cmp_eq_u32_e32 vcc_lo, v19, v17
	s_delay_alu instid0(VALU_DEP_3) | instskip(SKIP_1) | instid1(VALU_DEP_1)
	v_cndmask_b32_e64 v23, 0, -1, s1
	v_cmp_eq_u32_e64 s1, v5, v17
	v_dual_cndmask_b32 v21, v23, v21, vcc_lo :: v_dual_cndmask_b32 v20, v24, v20, s1
	v_sub_co_u32 v23, vcc_lo, v18, v16
	s_delay_alu instid0(VALU_DEP_1) | instskip(NEXT) | instid1(VALU_DEP_3)
	v_subrev_co_ci_u32_e64 v15, null, 0, v15, vcc_lo
	v_cmp_ne_u32_e32 vcc_lo, 0, v21
	s_delay_alu instid0(VALU_DEP_3) | instskip(NEXT) | instid1(VALU_DEP_3)
	v_cndmask_b32_e32 v18, v18, v23, vcc_lo
	v_cndmask_b32_e32 v15, v19, v15, vcc_lo
	v_cmp_ne_u32_e32 vcc_lo, 0, v20
	s_delay_alu instid0(VALU_DEP_2)
	v_dual_cndmask_b32 v18, v4, v18 :: v_dual_cndmask_b32 v19, v5, v15
                                        ; implicit-def: $vgpr4_vgpr5
.LBB24_59:                              ;   in Loop: Header=BB24_57 Depth=1
	s_and_not1_saveexec_b32 s1, s8
	s_cbranch_execz .LBB24_56
; %bb.60:                               ;   in Loop: Header=BB24_57 Depth=1
	v_cvt_f32_u32_e32 v5, v16
	v_dual_sub_nc_u32 v15, 0, v16 :: v_dual_mov_b32 v19, v14
	s_delay_alu instid0(VALU_DEP_2) | instskip(SKIP_1) | instid1(TRANS32_DEP_1)
	v_rcp_iflag_f32_e32 v5, v5
	v_nop
	v_mul_f32_e32 v5, 0x4f7ffffe, v5
	s_delay_alu instid0(VALU_DEP_1) | instskip(NEXT) | instid1(VALU_DEP_1)
	v_cvt_u32_f32_e32 v5, v5
	v_mul_lo_u32 v15, v15, v5
	s_delay_alu instid0(VALU_DEP_1) | instskip(NEXT) | instid1(VALU_DEP_1)
	v_mul_hi_u32 v15, v5, v15
	v_add_nc_u32_e32 v5, v5, v15
	s_delay_alu instid0(VALU_DEP_1) | instskip(NEXT) | instid1(VALU_DEP_1)
	v_mul_hi_u32 v5, v4, v5
	v_mul_lo_u32 v5, v5, v16
	s_delay_alu instid0(VALU_DEP_1) | instskip(NEXT) | instid1(VALU_DEP_1)
	v_sub_nc_u32_e32 v4, v4, v5
	v_sub_nc_u32_e32 v5, v4, v16
	v_cmp_ge_u32_e32 vcc_lo, v4, v16
	s_delay_alu instid0(VALU_DEP_2) | instskip(NEXT) | instid1(VALU_DEP_1)
	v_cndmask_b32_e32 v4, v4, v5, vcc_lo
	v_sub_nc_u32_e32 v5, v4, v16
	v_cmp_ge_u32_e32 vcc_lo, v4, v16
	s_delay_alu instid0(VALU_DEP_2)
	v_cndmask_b32_e32 v18, v4, v5, vcc_lo
	s_branch .LBB24_56
.LBB24_61:
	s_or_b32 exec_lo, exec_lo, s7
	v_mov_b64_e32 v[4:5], v[16:17]
.LBB24_62:
	s_or_b32 exec_lo, exec_lo, s6
.LBB24_63:
	s_delay_alu instid0(SALU_CYCLE_1) | instskip(SKIP_3) | instid1(VALU_DEP_1)
	s_or_b32 exec_lo, exec_lo, s3
	s_wait_loadcnt 0x0
	v_or_b32_e32 v14, 0x200, v0
	s_mov_b32 s3, exec_lo
	v_cmpx_gt_i32_e64 s12, v14
	s_cbranch_execz .LBB24_73
; %bb.64:
	s_mov_b32 s6, exec_lo
	v_cmpx_ne_u64_e32 0, v[12:13]
	s_cbranch_execz .LBB24_72
; %bb.65:
	v_sub_nc_u64_e32 v[14:15], 0, v[12:13]
	s_mov_b32 s7, 0
	s_delay_alu instid0(VALU_DEP_1)
	v_max_i64 v[16:17], v[12:13], v[14:15]
	v_mov_b32_e32 v12, 0
	s_branch .LBB24_67
.LBB24_66:                              ;   in Loop: Header=BB24_67 Depth=1
	s_or_b32 exec_lo, exec_lo, s1
	s_delay_alu instid0(VALU_DEP_1) | instskip(SKIP_2) | instid1(SALU_CYCLE_1)
	v_cmp_eq_u64_e32 vcc_lo, 0, v[16:17]
	v_mov_b64_e32 v[6:7], v[14:15]
	s_or_b32 s7, vcc_lo, s7
	s_and_not1_b32 exec_lo, exec_lo, s7
	s_cbranch_execz .LBB24_71
.LBB24_67:                              ; =>This Inner Loop Header: Depth=1
	s_delay_alu instid0(VALU_DEP_2) | instskip(SKIP_1) | instid1(VALU_DEP_1)
	v_mov_b64_e32 v[14:15], v[16:17]
                                        ; implicit-def: $vgpr16_vgpr17
	s_mov_b32 s1, exec_lo
	v_or_b32_e32 v13, v7, v15
	s_delay_alu instid0(VALU_DEP_1)
	v_cmpx_ne_u64_e32 0, v[12:13]
	s_xor_b32 s8, exec_lo, s1
	s_cbranch_execz .LBB24_69
; %bb.68:                               ;   in Loop: Header=BB24_67 Depth=1
	s_delay_alu instid0(VALU_DEP_3) | instskip(SKIP_3) | instid1(VALU_DEP_3)
	v_cvt_f32_u32_e32 v13, v14
	v_cvt_f32_u32_e32 v16, v15
	v_sub_nc_u64_e32 v[18:19], 0, v[14:15]
	v_dual_mov_b32 v27, v12 :: v_dual_mov_b32 v29, v12
	v_fmac_f32_e32 v13, 0x4f800000, v16
	s_delay_alu instid0(VALU_DEP_1) | instskip(SKIP_1) | instid1(TRANS32_DEP_1)
	v_rcp_f32_e32 v13, v13
	v_nop
	v_mul_f32_e32 v13, 0x5f7ffffc, v13
	s_delay_alu instid0(VALU_DEP_1) | instskip(NEXT) | instid1(VALU_DEP_1)
	v_mul_f32_e32 v16, 0x2f800000, v13
	v_trunc_f32_e32 v17, v16
	s_delay_alu instid0(VALU_DEP_1) | instskip(SKIP_1) | instid1(VALU_DEP_2)
	v_cvt_u32_f32_e32 v21, v17
	v_fmac_f32_e32 v13, 0xcf800000, v17
	v_dual_mov_b32 v17, v12 :: v_dual_mov_b32 v28, v21
	s_delay_alu instid0(VALU_DEP_2) | instskip(NEXT) | instid1(VALU_DEP_1)
	v_cvt_u32_f32_e32 v16, v13
	v_mov_b32_e32 v20, v16
	s_delay_alu instid0(VALU_DEP_1) | instskip(NEXT) | instid1(VALU_DEP_1)
	v_mul_u64_e32 v[24:25], v[18:19], v[20:21]
	v_dual_mov_b32 v26, v25 :: v_dual_mov_b32 v25, v12
	s_delay_alu instid0(VALU_DEP_1) | instskip(NEXT) | instid1(VALU_DEP_2)
	v_mul_u64_e32 v[30:31], v[16:17], v[26:27]
	v_mul_u64_e32 v[32:33], v[28:29], v[24:25]
	;; [unrolled: 1-line block ×3, first 2 shown]
	v_mul_hi_u32 v24, v16, v24
	s_delay_alu instid0(VALU_DEP_1) | instskip(NEXT) | instid1(VALU_DEP_1)
	v_add_nc_u64_e32 v[24:25], v[24:25], v[30:31]
	v_add_co_u32 v13, vcc_lo, v24, v32
	s_delay_alu instid0(VALU_DEP_2) | instskip(SKIP_1) | instid1(VALU_DEP_1)
	v_add_co_ci_u32_e32 v28, vcc_lo, v25, v33, vcc_lo
	v_add_co_ci_u32_e32 v27, vcc_lo, 0, v27, vcc_lo
	v_add_nc_u64_e32 v[24:25], v[28:29], v[26:27]
	s_delay_alu instid0(VALU_DEP_1) | instskip(NEXT) | instid1(VALU_DEP_1)
	v_add_co_u32 v16, vcc_lo, v16, v24
	v_add_co_ci_u32_e64 v20, null, v21, v25, vcc_lo
	v_dual_mov_b32 v25, v12 :: v_dual_mov_b32 v21, v12
	s_delay_alu instid0(VALU_DEP_2) | instskip(NEXT) | instid1(VALU_DEP_1)
	v_mov_b32_e32 v17, v20
	v_mul_u64_e32 v[18:19], v[18:19], v[16:17]
	s_delay_alu instid0(VALU_DEP_1) | instskip(NEXT) | instid1(VALU_DEP_2)
	v_dual_mov_b32 v17, v12 :: v_dual_mov_b32 v24, v19
	v_dual_mov_b32 v28, v18 :: v_dual_mov_b32 v19, v12
	v_mul_hi_u32 v18, v16, v18
	s_delay_alu instid0(VALU_DEP_3) | instskip(NEXT) | instid1(VALU_DEP_3)
	v_mul_u64_e32 v[26:27], v[16:17], v[24:25]
	v_mul_u64_e32 v[28:29], v[20:21], v[28:29]
	;; [unrolled: 1-line block ×3, first 2 shown]
	s_delay_alu instid0(VALU_DEP_3) | instskip(SKIP_1) | instid1(VALU_DEP_2)
	v_add_nc_u64_e32 v[18:19], v[18:19], v[26:27]
	v_mov_b32_e32 v27, v12
	v_add_co_u32 v13, vcc_lo, v18, v28
	s_delay_alu instid0(VALU_DEP_3) | instskip(SKIP_1) | instid1(VALU_DEP_1)
	v_add_co_ci_u32_e32 v26, vcc_lo, v19, v29, vcc_lo
	v_add_co_ci_u32_e32 v25, vcc_lo, 0, v25, vcc_lo
	v_add_nc_u64_e32 v[18:19], v[26:27], v[24:25]
	v_dual_mov_b32 v24, v6 :: v_dual_mov_b32 v25, v12
	s_delay_alu instid0(VALU_DEP_2) | instskip(NEXT) | instid1(VALU_DEP_1)
	v_add_co_u32 v18, vcc_lo, v16, v18
	v_add_co_ci_u32_e64 v16, null, v20, v19, vcc_lo
	v_dual_mov_b32 v20, v7 :: v_dual_mov_b32 v19, v12
	s_delay_alu instid0(VALU_DEP_2) | instskip(NEXT) | instid1(VALU_DEP_2)
	v_mul_u64_e32 v[24:25], v[24:25], v[16:17]
	v_mul_u64_e32 v[16:17], v[20:21], v[16:17]
	s_delay_alu instid0(VALU_DEP_3) | instskip(SKIP_1) | instid1(VALU_DEP_1)
	v_mul_u64_e32 v[26:27], v[20:21], v[18:19]
	v_mul_hi_u32 v18, v6, v18
	v_add_nc_u64_e32 v[18:19], v[18:19], v[24:25]
	s_delay_alu instid0(VALU_DEP_1) | instskip(NEXT) | instid1(VALU_DEP_2)
	v_add_co_u32 v13, vcc_lo, v18, v26
	v_add_co_ci_u32_e32 v20, vcc_lo, v19, v27, vcc_lo
	v_add_co_ci_u32_e32 v17, vcc_lo, 0, v17, vcc_lo
	s_delay_alu instid0(VALU_DEP_1) | instskip(NEXT) | instid1(VALU_DEP_1)
	v_add_nc_u64_e32 v[16:17], v[20:21], v[16:17]
	v_mul_u64_e32 v[16:17], v[14:15], v[16:17]
	s_delay_alu instid0(VALU_DEP_1) | instskip(NEXT) | instid1(VALU_DEP_2)
	v_sub_nc_u32_e32 v13, v7, v17
	v_sub_co_u32 v6, vcc_lo, v6, v16
	s_delay_alu instid0(VALU_DEP_1) | instskip(NEXT) | instid1(VALU_DEP_3)
	v_sub_co_ci_u32_e64 v7, null, v7, v17, vcc_lo
	v_sub_co_ci_u32_e64 v13, null, v13, v15, vcc_lo
	s_delay_alu instid0(VALU_DEP_3) | instskip(SKIP_1) | instid1(VALU_DEP_3)
	v_sub_co_u32 v16, vcc_lo, v6, v14
	v_cmp_ge_u32_e64 s1, v6, v14
	v_subrev_co_ci_u32_e64 v17, null, 0, v13, vcc_lo
	v_sub_co_ci_u32_e64 v13, null, v13, v15, vcc_lo
	s_delay_alu instid0(VALU_DEP_3) | instskip(SKIP_2) | instid1(VALU_DEP_2)
	v_cndmask_b32_e64 v18, 0, -1, s1
	v_cmp_ge_u32_e64 s1, v16, v14
	v_cmp_ge_u32_e32 vcc_lo, v7, v15
	v_cndmask_b32_e64 v19, 0, -1, s1
	v_cmp_ge_u32_e64 s1, v17, v15
	v_cndmask_b32_e64 v21, 0, -1, vcc_lo
	v_cmp_eq_u32_e32 vcc_lo, v17, v15
	s_delay_alu instid0(VALU_DEP_3) | instskip(SKIP_1) | instid1(VALU_DEP_1)
	v_cndmask_b32_e64 v20, 0, -1, s1
	v_cmp_eq_u32_e64 s1, v7, v15
	v_dual_cndmask_b32 v19, v20, v19, vcc_lo :: v_dual_cndmask_b32 v18, v21, v18, s1
	v_sub_co_u32 v20, vcc_lo, v16, v14
	s_delay_alu instid0(VALU_DEP_1) | instskip(NEXT) | instid1(VALU_DEP_3)
	v_subrev_co_ci_u32_e64 v13, null, 0, v13, vcc_lo
	v_cmp_ne_u32_e32 vcc_lo, 0, v19
	s_delay_alu instid0(VALU_DEP_2) | instskip(SKIP_1) | instid1(VALU_DEP_2)
	v_dual_cndmask_b32 v13, v17, v13 :: v_dual_cndmask_b32 v16, v16, v20
	v_cmp_ne_u32_e32 vcc_lo, 0, v18
	v_dual_cndmask_b32 v17, v7, v13 :: v_dual_cndmask_b32 v16, v6, v16
                                        ; implicit-def: $vgpr6_vgpr7
.LBB24_69:                              ;   in Loop: Header=BB24_67 Depth=1
	s_and_not1_saveexec_b32 s1, s8
	s_cbranch_execz .LBB24_66
; %bb.70:                               ;   in Loop: Header=BB24_67 Depth=1
	v_cvt_f32_u32_e32 v7, v14
	v_dual_sub_nc_u32 v13, 0, v14 :: v_dual_mov_b32 v17, v12
	s_delay_alu instid0(VALU_DEP_2) | instskip(SKIP_1) | instid1(TRANS32_DEP_1)
	v_rcp_iflag_f32_e32 v7, v7
	v_nop
	v_mul_f32_e32 v7, 0x4f7ffffe, v7
	s_delay_alu instid0(VALU_DEP_1) | instskip(NEXT) | instid1(VALU_DEP_1)
	v_cvt_u32_f32_e32 v7, v7
	v_mul_lo_u32 v13, v13, v7
	s_delay_alu instid0(VALU_DEP_1) | instskip(NEXT) | instid1(VALU_DEP_1)
	v_mul_hi_u32 v13, v7, v13
	v_add_nc_u32_e32 v7, v7, v13
	s_delay_alu instid0(VALU_DEP_1) | instskip(NEXT) | instid1(VALU_DEP_1)
	v_mul_hi_u32 v7, v6, v7
	v_mul_lo_u32 v7, v7, v14
	s_delay_alu instid0(VALU_DEP_1) | instskip(NEXT) | instid1(VALU_DEP_1)
	v_sub_nc_u32_e32 v6, v6, v7
	v_sub_nc_u32_e32 v7, v6, v14
	v_cmp_ge_u32_e32 vcc_lo, v6, v14
	s_delay_alu instid0(VALU_DEP_2) | instskip(NEXT) | instid1(VALU_DEP_1)
	v_cndmask_b32_e32 v6, v6, v7, vcc_lo
	v_sub_nc_u32_e32 v7, v6, v14
	v_cmp_ge_u32_e32 vcc_lo, v6, v14
	s_delay_alu instid0(VALU_DEP_2)
	v_cndmask_b32_e32 v16, v6, v7, vcc_lo
	s_branch .LBB24_66
.LBB24_71:
	s_or_b32 exec_lo, exec_lo, s7
	v_mov_b64_e32 v[6:7], v[14:15]
.LBB24_72:
	s_or_b32 exec_lo, exec_lo, s6
.LBB24_73:
	s_delay_alu instid0(SALU_CYCLE_1) | instskip(SKIP_2) | instid1(VALU_DEP_1)
	s_or_b32 exec_lo, exec_lo, s3
	v_or_b32_e32 v12, 0x300, v0
	s_mov_b32 s3, exec_lo
	v_cmpx_gt_i32_e64 s12, v12
	s_cbranch_execnz .LBB24_80
; %bb.74:
	s_or_b32 exec_lo, exec_lo, s3
	s_and_saveexec_b32 s1, s0
	s_delay_alu instid0(SALU_CYCLE_1)
	s_xor_b32 s0, exec_lo, s1
	s_cbranch_execnz .LBB24_89
.LBB24_75:
	s_or_b32 exec_lo, exec_lo, s0
	s_delay_alu instid0(SALU_CYCLE_1)
	s_mov_b32 s0, exec_lo
	v_cmpx_gt_i32_e64 s12, v0
	s_cbranch_execnz .LBB24_90
.LBB24_76:
	s_or_b32 exec_lo, exec_lo, s0
	s_delay_alu instid0(SALU_CYCLE_1)
	s_mov_b32 s0, exec_lo
	v_cmpx_gt_i32_e64 s12, v0
	s_cbranch_execnz .LBB24_91
.LBB24_77:
	s_or_b32 exec_lo, exec_lo, s0
	s_delay_alu instid0(SALU_CYCLE_1)
	s_mov_b32 s0, exec_lo
	v_cmpx_gt_i32_e64 s12, v0
	s_cbranch_execz .LBB24_79
.LBB24_78:
	v_add_nc_u32_e32 v0, s2, v0
	global_store_b64 v0, v[8:9], s[4:5] scale_offset
.LBB24_79:
	s_endpgm
.LBB24_80:
	s_mov_b32 s6, exec_lo
	v_cmpx_ne_u64_e32 0, v[10:11]
	s_cbranch_execz .LBB24_88
; %bb.81:
	v_sub_nc_u64_e32 v[12:13], 0, v[10:11]
	s_mov_b32 s7, 0
	s_delay_alu instid0(VALU_DEP_1)
	v_max_i64 v[14:15], v[10:11], v[12:13]
	v_mov_b32_e32 v10, 0
	s_branch .LBB24_83
.LBB24_82:                              ;   in Loop: Header=BB24_83 Depth=1
	s_or_b32 exec_lo, exec_lo, s1
	s_delay_alu instid0(VALU_DEP_1) | instskip(SKIP_2) | instid1(SALU_CYCLE_1)
	v_cmp_eq_u64_e32 vcc_lo, 0, v[14:15]
	v_mov_b64_e32 v[8:9], v[12:13]
	s_or_b32 s7, vcc_lo, s7
	s_and_not1_b32 exec_lo, exec_lo, s7
	s_cbranch_execz .LBB24_87
.LBB24_83:                              ; =>This Inner Loop Header: Depth=1
	s_delay_alu instid0(VALU_DEP_2) | instskip(SKIP_1) | instid1(VALU_DEP_1)
	v_mov_b64_e32 v[12:13], v[14:15]
                                        ; implicit-def: $vgpr14_vgpr15
	s_mov_b32 s1, exec_lo
	v_or_b32_e32 v11, v9, v13
	s_delay_alu instid0(VALU_DEP_1)
	v_cmpx_ne_u64_e32 0, v[10:11]
	s_xor_b32 s8, exec_lo, s1
	s_cbranch_execz .LBB24_85
; %bb.84:                               ;   in Loop: Header=BB24_83 Depth=1
	s_delay_alu instid0(VALU_DEP_3) | instskip(SKIP_3) | instid1(VALU_DEP_3)
	v_cvt_f32_u32_e32 v11, v12
	v_cvt_f32_u32_e32 v14, v13
	v_sub_nc_u64_e32 v[16:17], 0, v[12:13]
	v_dual_mov_b32 v25, v10 :: v_dual_mov_b32 v27, v10
	v_fmac_f32_e32 v11, 0x4f800000, v14
	s_delay_alu instid0(VALU_DEP_1) | instskip(SKIP_1) | instid1(TRANS32_DEP_1)
	v_rcp_f32_e32 v11, v11
	v_nop
	v_mul_f32_e32 v11, 0x5f7ffffc, v11
	s_delay_alu instid0(VALU_DEP_1) | instskip(NEXT) | instid1(VALU_DEP_1)
	v_mul_f32_e32 v14, 0x2f800000, v11
	v_trunc_f32_e32 v15, v14
	s_delay_alu instid0(VALU_DEP_1) | instskip(SKIP_1) | instid1(VALU_DEP_2)
	v_cvt_u32_f32_e32 v19, v15
	v_fmac_f32_e32 v11, 0xcf800000, v15
	v_dual_mov_b32 v15, v10 :: v_dual_mov_b32 v26, v19
	s_delay_alu instid0(VALU_DEP_2) | instskip(NEXT) | instid1(VALU_DEP_1)
	v_cvt_u32_f32_e32 v14, v11
	v_mov_b32_e32 v18, v14
	s_delay_alu instid0(VALU_DEP_1) | instskip(NEXT) | instid1(VALU_DEP_1)
	v_mul_u64_e32 v[20:21], v[16:17], v[18:19]
	v_dual_mov_b32 v24, v21 :: v_dual_mov_b32 v21, v10
	s_delay_alu instid0(VALU_DEP_1) | instskip(NEXT) | instid1(VALU_DEP_2)
	v_mul_u64_e32 v[28:29], v[14:15], v[24:25]
	v_mul_u64_e32 v[30:31], v[26:27], v[20:21]
	;; [unrolled: 1-line block ×3, first 2 shown]
	v_mul_hi_u32 v20, v14, v20
	s_delay_alu instid0(VALU_DEP_1) | instskip(NEXT) | instid1(VALU_DEP_1)
	v_add_nc_u64_e32 v[20:21], v[20:21], v[28:29]
	v_add_co_u32 v11, vcc_lo, v20, v30
	s_delay_alu instid0(VALU_DEP_2) | instskip(SKIP_1) | instid1(VALU_DEP_1)
	v_add_co_ci_u32_e32 v26, vcc_lo, v21, v31, vcc_lo
	v_add_co_ci_u32_e32 v25, vcc_lo, 0, v25, vcc_lo
	v_add_nc_u64_e32 v[20:21], v[26:27], v[24:25]
	s_delay_alu instid0(VALU_DEP_1) | instskip(NEXT) | instid1(VALU_DEP_1)
	v_add_co_u32 v14, vcc_lo, v14, v20
	v_add_co_ci_u32_e64 v18, null, v19, v21, vcc_lo
	v_dual_mov_b32 v21, v10 :: v_dual_mov_b32 v19, v10
	s_delay_alu instid0(VALU_DEP_2) | instskip(NEXT) | instid1(VALU_DEP_1)
	v_mov_b32_e32 v15, v18
	v_mul_u64_e32 v[16:17], v[16:17], v[14:15]
	s_delay_alu instid0(VALU_DEP_1) | instskip(NEXT) | instid1(VALU_DEP_2)
	v_dual_mov_b32 v15, v10 :: v_dual_mov_b32 v20, v17
	v_dual_mov_b32 v26, v16 :: v_dual_mov_b32 v17, v10
	v_mul_hi_u32 v16, v14, v16
	s_delay_alu instid0(VALU_DEP_3) | instskip(NEXT) | instid1(VALU_DEP_3)
	v_mul_u64_e32 v[24:25], v[14:15], v[20:21]
	v_mul_u64_e32 v[26:27], v[18:19], v[26:27]
	;; [unrolled: 1-line block ×3, first 2 shown]
	s_delay_alu instid0(VALU_DEP_3) | instskip(SKIP_1) | instid1(VALU_DEP_2)
	v_add_nc_u64_e32 v[16:17], v[16:17], v[24:25]
	v_mov_b32_e32 v25, v10
	v_add_co_u32 v11, vcc_lo, v16, v26
	s_delay_alu instid0(VALU_DEP_3) | instskip(SKIP_1) | instid1(VALU_DEP_1)
	v_add_co_ci_u32_e32 v24, vcc_lo, v17, v27, vcc_lo
	v_add_co_ci_u32_e32 v21, vcc_lo, 0, v21, vcc_lo
	v_add_nc_u64_e32 v[16:17], v[24:25], v[20:21]
	v_dual_mov_b32 v20, v8 :: v_dual_mov_b32 v21, v10
	s_delay_alu instid0(VALU_DEP_2) | instskip(NEXT) | instid1(VALU_DEP_1)
	v_add_co_u32 v16, vcc_lo, v14, v16
	v_add_co_ci_u32_e64 v14, null, v18, v17, vcc_lo
	v_dual_mov_b32 v18, v9 :: v_dual_mov_b32 v17, v10
	s_delay_alu instid0(VALU_DEP_2) | instskip(NEXT) | instid1(VALU_DEP_2)
	v_mul_u64_e32 v[20:21], v[20:21], v[14:15]
	v_mul_u64_e32 v[14:15], v[18:19], v[14:15]
	s_delay_alu instid0(VALU_DEP_3) | instskip(SKIP_1) | instid1(VALU_DEP_1)
	v_mul_u64_e32 v[24:25], v[18:19], v[16:17]
	v_mul_hi_u32 v16, v8, v16
	v_add_nc_u64_e32 v[16:17], v[16:17], v[20:21]
	s_delay_alu instid0(VALU_DEP_1) | instskip(NEXT) | instid1(VALU_DEP_2)
	v_add_co_u32 v11, vcc_lo, v16, v24
	v_add_co_ci_u32_e32 v18, vcc_lo, v17, v25, vcc_lo
	v_add_co_ci_u32_e32 v15, vcc_lo, 0, v15, vcc_lo
	s_delay_alu instid0(VALU_DEP_1) | instskip(NEXT) | instid1(VALU_DEP_1)
	v_add_nc_u64_e32 v[14:15], v[18:19], v[14:15]
	v_mul_u64_e32 v[14:15], v[12:13], v[14:15]
	s_delay_alu instid0(VALU_DEP_1) | instskip(NEXT) | instid1(VALU_DEP_2)
	v_sub_nc_u32_e32 v11, v9, v15
	v_sub_co_u32 v8, vcc_lo, v8, v14
	s_delay_alu instid0(VALU_DEP_1) | instskip(NEXT) | instid1(VALU_DEP_3)
	v_sub_co_ci_u32_e64 v9, null, v9, v15, vcc_lo
	v_sub_co_ci_u32_e64 v11, null, v11, v13, vcc_lo
	s_delay_alu instid0(VALU_DEP_3) | instskip(SKIP_1) | instid1(VALU_DEP_3)
	v_sub_co_u32 v14, vcc_lo, v8, v12
	v_cmp_ge_u32_e64 s1, v8, v12
	v_subrev_co_ci_u32_e64 v15, null, 0, v11, vcc_lo
	v_sub_co_ci_u32_e64 v11, null, v11, v13, vcc_lo
	s_delay_alu instid0(VALU_DEP_3) | instskip(SKIP_2) | instid1(VALU_DEP_2)
	v_cndmask_b32_e64 v16, 0, -1, s1
	v_cmp_ge_u32_e64 s1, v14, v12
	v_cmp_ge_u32_e32 vcc_lo, v9, v13
	v_cndmask_b32_e64 v17, 0, -1, s1
	v_cmp_ge_u32_e64 s1, v15, v13
	v_cndmask_b32_e64 v19, 0, -1, vcc_lo
	v_cmp_eq_u32_e32 vcc_lo, v15, v13
	s_delay_alu instid0(VALU_DEP_3) | instskip(SKIP_1) | instid1(VALU_DEP_1)
	v_cndmask_b32_e64 v18, 0, -1, s1
	v_cmp_eq_u32_e64 s1, v9, v13
	v_dual_cndmask_b32 v17, v18, v17, vcc_lo :: v_dual_cndmask_b32 v16, v19, v16, s1
	v_sub_co_u32 v18, vcc_lo, v14, v12
	s_delay_alu instid0(VALU_DEP_1) | instskip(NEXT) | instid1(VALU_DEP_3)
	v_subrev_co_ci_u32_e64 v11, null, 0, v11, vcc_lo
	v_cmp_ne_u32_e32 vcc_lo, 0, v17
	s_delay_alu instid0(VALU_DEP_2) | instskip(SKIP_1) | instid1(VALU_DEP_2)
	v_dual_cndmask_b32 v11, v15, v11 :: v_dual_cndmask_b32 v14, v14, v18
	v_cmp_ne_u32_e32 vcc_lo, 0, v16
	v_dual_cndmask_b32 v15, v9, v11 :: v_dual_cndmask_b32 v14, v8, v14
                                        ; implicit-def: $vgpr8_vgpr9
.LBB24_85:                              ;   in Loop: Header=BB24_83 Depth=1
	s_and_not1_saveexec_b32 s1, s8
	s_cbranch_execz .LBB24_82
; %bb.86:                               ;   in Loop: Header=BB24_83 Depth=1
	v_cvt_f32_u32_e32 v9, v12
	v_dual_sub_nc_u32 v11, 0, v12 :: v_dual_mov_b32 v15, v10
	s_delay_alu instid0(VALU_DEP_2) | instskip(SKIP_1) | instid1(TRANS32_DEP_1)
	v_rcp_iflag_f32_e32 v9, v9
	v_nop
	v_mul_f32_e32 v9, 0x4f7ffffe, v9
	s_delay_alu instid0(VALU_DEP_1) | instskip(NEXT) | instid1(VALU_DEP_1)
	v_cvt_u32_f32_e32 v9, v9
	v_mul_lo_u32 v11, v11, v9
	s_delay_alu instid0(VALU_DEP_1) | instskip(NEXT) | instid1(VALU_DEP_1)
	v_mul_hi_u32 v11, v9, v11
	v_add_nc_u32_e32 v9, v9, v11
	s_delay_alu instid0(VALU_DEP_1) | instskip(NEXT) | instid1(VALU_DEP_1)
	v_mul_hi_u32 v9, v8, v9
	v_mul_lo_u32 v9, v9, v12
	s_delay_alu instid0(VALU_DEP_1) | instskip(NEXT) | instid1(VALU_DEP_1)
	v_sub_nc_u32_e32 v8, v8, v9
	v_sub_nc_u32_e32 v9, v8, v12
	v_cmp_ge_u32_e32 vcc_lo, v8, v12
	s_delay_alu instid0(VALU_DEP_2) | instskip(NEXT) | instid1(VALU_DEP_1)
	v_cndmask_b32_e32 v8, v8, v9, vcc_lo
	v_sub_nc_u32_e32 v9, v8, v12
	v_cmp_ge_u32_e32 vcc_lo, v8, v12
	s_delay_alu instid0(VALU_DEP_2)
	v_cndmask_b32_e32 v14, v8, v9, vcc_lo
	s_branch .LBB24_82
.LBB24_87:
	s_or_b32 exec_lo, exec_lo, s7
	v_mov_b64_e32 v[8:9], v[12:13]
.LBB24_88:
	s_or_b32 exec_lo, exec_lo, s6
	s_delay_alu instid0(SALU_CYCLE_1) | instskip(SKIP_1) | instid1(SALU_CYCLE_1)
	s_or_b32 exec_lo, exec_lo, s3
	s_and_saveexec_b32 s1, s0
	s_xor_b32 s0, exec_lo, s1
	s_cbranch_execz .LBB24_75
.LBB24_89:
	v_mov_b32_e32 v0, v22
	global_store_b64 v1, v[2:3], s[4:5] scale_offset
	s_wait_xcnt 0x0
	s_or_b32 exec_lo, exec_lo, s0
	s_delay_alu instid0(SALU_CYCLE_1)
	s_mov_b32 s0, exec_lo
	v_cmpx_gt_i32_e64 s12, v0
	s_cbranch_execz .LBB24_76
.LBB24_90:
	v_add_nc_u32_e32 v1, s2, v0
	v_add_nc_u32_e32 v0, 0x100, v0
	global_store_b64 v1, v[4:5], s[4:5] scale_offset
	s_wait_xcnt 0x0
	s_or_b32 exec_lo, exec_lo, s0
	s_delay_alu instid0(SALU_CYCLE_1)
	s_mov_b32 s0, exec_lo
	v_cmpx_gt_i32_e64 s12, v0
	s_cbranch_execz .LBB24_77
.LBB24_91:
	v_add_nc_u32_e32 v1, s2, v0
	v_add_nc_u32_e32 v0, 0x100, v0
	global_store_b64 v1, v[6:7], s[4:5] scale_offset
	s_wait_xcnt 0x0
	s_or_b32 exec_lo, exec_lo, s0
	s_delay_alu instid0(SALU_CYCLE_1)
	s_mov_b32 s0, exec_lo
	v_cmpx_gt_i32_e64 s12, v0
	s_cbranch_execnz .LBB24_78
	s_branch .LBB24_79
	.section	.rodata,"a",@progbits
	.p2align	6, 0x0
	.amdhsa_kernel _ZN2at6native29vectorized_elementwise_kernelILi16EZZZNS0_15gcd_kernel_cudaERNS_18TensorIteratorBaseEENKUlvE_clEvENKUlvE2_clEvEUlllE_St5arrayIPcLm3EEEEviT0_T1_
		.amdhsa_group_segment_fixed_size 0
		.amdhsa_private_segment_fixed_size 0
		.amdhsa_kernarg_size 32
		.amdhsa_user_sgpr_count 2
		.amdhsa_user_sgpr_dispatch_ptr 0
		.amdhsa_user_sgpr_queue_ptr 0
		.amdhsa_user_sgpr_kernarg_segment_ptr 1
		.amdhsa_user_sgpr_dispatch_id 0
		.amdhsa_user_sgpr_kernarg_preload_length 0
		.amdhsa_user_sgpr_kernarg_preload_offset 0
		.amdhsa_user_sgpr_private_segment_size 0
		.amdhsa_wavefront_size32 1
		.amdhsa_uses_dynamic_stack 0
		.amdhsa_enable_private_segment 0
		.amdhsa_system_sgpr_workgroup_id_x 1
		.amdhsa_system_sgpr_workgroup_id_y 0
		.amdhsa_system_sgpr_workgroup_id_z 0
		.amdhsa_system_sgpr_workgroup_info 0
		.amdhsa_system_vgpr_workitem_id 0
		.amdhsa_next_free_vgpr 38
		.amdhsa_next_free_sgpr 16
		.amdhsa_named_barrier_count 0
		.amdhsa_reserve_vcc 1
		.amdhsa_float_round_mode_32 0
		.amdhsa_float_round_mode_16_64 0
		.amdhsa_float_denorm_mode_32 3
		.amdhsa_float_denorm_mode_16_64 3
		.amdhsa_fp16_overflow 0
		.amdhsa_memory_ordered 1
		.amdhsa_forward_progress 1
		.amdhsa_inst_pref_size 63
		.amdhsa_round_robin_scheduling 0
		.amdhsa_exception_fp_ieee_invalid_op 0
		.amdhsa_exception_fp_denorm_src 0
		.amdhsa_exception_fp_ieee_div_zero 0
		.amdhsa_exception_fp_ieee_overflow 0
		.amdhsa_exception_fp_ieee_underflow 0
		.amdhsa_exception_fp_ieee_inexact 0
		.amdhsa_exception_int_div_zero 0
	.end_amdhsa_kernel
	.section	.text._ZN2at6native29vectorized_elementwise_kernelILi16EZZZNS0_15gcd_kernel_cudaERNS_18TensorIteratorBaseEENKUlvE_clEvENKUlvE2_clEvEUlllE_St5arrayIPcLm3EEEEviT0_T1_,"axG",@progbits,_ZN2at6native29vectorized_elementwise_kernelILi16EZZZNS0_15gcd_kernel_cudaERNS_18TensorIteratorBaseEENKUlvE_clEvENKUlvE2_clEvEUlllE_St5arrayIPcLm3EEEEviT0_T1_,comdat
.Lfunc_end24:
	.size	_ZN2at6native29vectorized_elementwise_kernelILi16EZZZNS0_15gcd_kernel_cudaERNS_18TensorIteratorBaseEENKUlvE_clEvENKUlvE2_clEvEUlllE_St5arrayIPcLm3EEEEviT0_T1_, .Lfunc_end24-_ZN2at6native29vectorized_elementwise_kernelILi16EZZZNS0_15gcd_kernel_cudaERNS_18TensorIteratorBaseEENKUlvE_clEvENKUlvE2_clEvEUlllE_St5arrayIPcLm3EEEEviT0_T1_
                                        ; -- End function
	.set _ZN2at6native29vectorized_elementwise_kernelILi16EZZZNS0_15gcd_kernel_cudaERNS_18TensorIteratorBaseEENKUlvE_clEvENKUlvE2_clEvEUlllE_St5arrayIPcLm3EEEEviT0_T1_.num_vgpr, 38
	.set _ZN2at6native29vectorized_elementwise_kernelILi16EZZZNS0_15gcd_kernel_cudaERNS_18TensorIteratorBaseEENKUlvE_clEvENKUlvE2_clEvEUlllE_St5arrayIPcLm3EEEEviT0_T1_.num_agpr, 0
	.set _ZN2at6native29vectorized_elementwise_kernelILi16EZZZNS0_15gcd_kernel_cudaERNS_18TensorIteratorBaseEENKUlvE_clEvENKUlvE2_clEvEUlllE_St5arrayIPcLm3EEEEviT0_T1_.numbered_sgpr, 16
	.set _ZN2at6native29vectorized_elementwise_kernelILi16EZZZNS0_15gcd_kernel_cudaERNS_18TensorIteratorBaseEENKUlvE_clEvENKUlvE2_clEvEUlllE_St5arrayIPcLm3EEEEviT0_T1_.num_named_barrier, 0
	.set _ZN2at6native29vectorized_elementwise_kernelILi16EZZZNS0_15gcd_kernel_cudaERNS_18TensorIteratorBaseEENKUlvE_clEvENKUlvE2_clEvEUlllE_St5arrayIPcLm3EEEEviT0_T1_.private_seg_size, 0
	.set _ZN2at6native29vectorized_elementwise_kernelILi16EZZZNS0_15gcd_kernel_cudaERNS_18TensorIteratorBaseEENKUlvE_clEvENKUlvE2_clEvEUlllE_St5arrayIPcLm3EEEEviT0_T1_.uses_vcc, 1
	.set _ZN2at6native29vectorized_elementwise_kernelILi16EZZZNS0_15gcd_kernel_cudaERNS_18TensorIteratorBaseEENKUlvE_clEvENKUlvE2_clEvEUlllE_St5arrayIPcLm3EEEEviT0_T1_.uses_flat_scratch, 0
	.set _ZN2at6native29vectorized_elementwise_kernelILi16EZZZNS0_15gcd_kernel_cudaERNS_18TensorIteratorBaseEENKUlvE_clEvENKUlvE2_clEvEUlllE_St5arrayIPcLm3EEEEviT0_T1_.has_dyn_sized_stack, 0
	.set _ZN2at6native29vectorized_elementwise_kernelILi16EZZZNS0_15gcd_kernel_cudaERNS_18TensorIteratorBaseEENKUlvE_clEvENKUlvE2_clEvEUlllE_St5arrayIPcLm3EEEEviT0_T1_.has_recursion, 0
	.set _ZN2at6native29vectorized_elementwise_kernelILi16EZZZNS0_15gcd_kernel_cudaERNS_18TensorIteratorBaseEENKUlvE_clEvENKUlvE2_clEvEUlllE_St5arrayIPcLm3EEEEviT0_T1_.has_indirect_call, 0
	.section	.AMDGPU.csdata,"",@progbits
; Kernel info:
; codeLenInByte = 8004
; TotalNumSgprs: 18
; NumVgprs: 38
; ScratchSize: 0
; MemoryBound: 1
; FloatMode: 240
; IeeeMode: 1
; LDSByteSize: 0 bytes/workgroup (compile time only)
; SGPRBlocks: 0
; VGPRBlocks: 2
; NumSGPRsForWavesPerEU: 18
; NumVGPRsForWavesPerEU: 38
; NamedBarCnt: 0
; Occupancy: 16
; WaveLimiterHint : 0
; COMPUTE_PGM_RSRC2:SCRATCH_EN: 0
; COMPUTE_PGM_RSRC2:USER_SGPR: 2
; COMPUTE_PGM_RSRC2:TRAP_HANDLER: 0
; COMPUTE_PGM_RSRC2:TGID_X_EN: 1
; COMPUTE_PGM_RSRC2:TGID_Y_EN: 0
; COMPUTE_PGM_RSRC2:TGID_Z_EN: 0
; COMPUTE_PGM_RSRC2:TIDIG_COMP_CNT: 0
	.section	.text._ZN2at6native29vectorized_elementwise_kernelILi8EZZZNS0_15gcd_kernel_cudaERNS_18TensorIteratorBaseEENKUlvE_clEvENKUlvE2_clEvEUlllE_St5arrayIPcLm3EEEEviT0_T1_,"axG",@progbits,_ZN2at6native29vectorized_elementwise_kernelILi8EZZZNS0_15gcd_kernel_cudaERNS_18TensorIteratorBaseEENKUlvE_clEvENKUlvE2_clEvEUlllE_St5arrayIPcLm3EEEEviT0_T1_,comdat
	.globl	_ZN2at6native29vectorized_elementwise_kernelILi8EZZZNS0_15gcd_kernel_cudaERNS_18TensorIteratorBaseEENKUlvE_clEvENKUlvE2_clEvEUlllE_St5arrayIPcLm3EEEEviT0_T1_ ; -- Begin function _ZN2at6native29vectorized_elementwise_kernelILi8EZZZNS0_15gcd_kernel_cudaERNS_18TensorIteratorBaseEENKUlvE_clEvENKUlvE2_clEvEUlllE_St5arrayIPcLm3EEEEviT0_T1_
	.p2align	8
	.type	_ZN2at6native29vectorized_elementwise_kernelILi8EZZZNS0_15gcd_kernel_cudaERNS_18TensorIteratorBaseEENKUlvE_clEvENKUlvE2_clEvEUlllE_St5arrayIPcLm3EEEEviT0_T1_,@function
_ZN2at6native29vectorized_elementwise_kernelILi8EZZZNS0_15gcd_kernel_cudaERNS_18TensorIteratorBaseEENKUlvE_clEvENKUlvE2_clEvEUlllE_St5arrayIPcLm3EEEEviT0_T1_: ; @_ZN2at6native29vectorized_elementwise_kernelILi8EZZZNS0_15gcd_kernel_cudaERNS_18TensorIteratorBaseEENKUlvE_clEvENKUlvE2_clEvEUlllE_St5arrayIPcLm3EEEEviT0_T1_
; %bb.0:
	s_clause 0x2
	s_load_b32 s3, s[0:1], 0x0
	s_load_b128 s[4:7], s[0:1], 0x8
	s_load_b64 s[8:9], s[0:1], 0x18
	s_wait_xcnt 0x0
	s_bfe_u32 s0, ttmp6, 0x4000c
	s_and_b32 s1, ttmp6, 15
	s_add_co_i32 s0, s0, 1
	s_getreg_b32 s2, hwreg(HW_REG_IB_STS2, 6, 4)
	s_mul_i32 s0, ttmp9, s0
	s_delay_alu instid0(SALU_CYCLE_1) | instskip(SKIP_2) | instid1(SALU_CYCLE_1)
	s_add_co_i32 s1, s1, s0
	s_cmp_eq_u32 s2, 0
	s_cselect_b32 s0, ttmp9, s1
	s_lshl_b32 s2, s0, 10
	s_mov_b32 s0, -1
	s_wait_kmcnt 0x0
	s_sub_co_i32 s12, s3, s2
	s_delay_alu instid0(SALU_CYCLE_1)
	s_cmp_gt_i32 s12, 0x3ff
	s_cbranch_scc0 .LBB25_34
; %bb.1:
	s_ashr_i32 s3, s2, 31
	v_lshlrev_b32_e32 v1, 5, v0
	s_lshl_b64 s[10:11], s[2:3], 3
	s_delay_alu instid0(SALU_CYCLE_1) | instskip(SKIP_4) | instid1(VALU_DEP_1)
	s_add_nc_u64 s[0:1], s[8:9], s[10:11]
	s_add_nc_u64 s[14:15], s[6:7], s[10:11]
	global_load_b128 v[2:5], v1, s[0:1]
	s_wait_loadcnt 0x0
	v_sub_nc_u64_e32 v[18:19], 0, v[2:3]
	v_max_i64 v[2:3], v[2:3], v[18:19]
	v_mov_b32_e32 v18, 0
	s_clause 0x2
	global_load_b128 v[14:17], v1, s[14:15]
	global_load_b128 v[6:9], v1, s[14:15] offset:16
	global_load_b128 v[10:13], v1, s[0:1] offset:16
	s_wait_xcnt 0x0
	s_mov_b32 s1, exec_lo
	s_wait_loadcnt 0x2
	v_cmpx_ne_u64_e32 0, v[14:15]
	s_cbranch_execz .LBB25_9
; %bb.2:
	v_sub_nc_u64_e32 v[20:21], 0, v[14:15]
	s_mov_b32 s3, 0
	s_delay_alu instid0(VALU_DEP_1)
	v_max_i64 v[20:21], v[14:15], v[20:21]
	s_branch .LBB25_4
.LBB25_3:                               ;   in Loop: Header=BB25_4 Depth=1
	s_or_b32 exec_lo, exec_lo, s0
	s_delay_alu instid0(VALU_DEP_1) | instskip(SKIP_2) | instid1(SALU_CYCLE_1)
	v_cmp_eq_u64_e32 vcc_lo, 0, v[20:21]
	v_mov_b64_e32 v[2:3], v[14:15]
	s_or_b32 s3, vcc_lo, s3
	s_and_not1_b32 exec_lo, exec_lo, s3
	s_cbranch_execz .LBB25_8
.LBB25_4:                               ; =>This Inner Loop Header: Depth=1
	s_delay_alu instid0(VALU_DEP_1) | instskip(SKIP_1) | instid1(VALU_DEP_1)
	v_mov_b64_e32 v[14:15], v[20:21]
                                        ; implicit-def: $vgpr20_vgpr21
	s_mov_b32 s0, exec_lo
	v_or_b32_e32 v19, v3, v15
	s_delay_alu instid0(VALU_DEP_1)
	v_cmpx_ne_u64_e32 0, v[18:19]
	s_xor_b32 s13, exec_lo, s0
	s_cbranch_execz .LBB25_6
; %bb.5:                                ;   in Loop: Header=BB25_4 Depth=1
	s_delay_alu instid0(VALU_DEP_3) | instskip(SKIP_3) | instid1(VALU_DEP_3)
	v_cvt_f32_u32_e32 v19, v14
	v_cvt_f32_u32_e32 v20, v15
	v_sub_nc_u64_e32 v[22:23], 0, v[14:15]
	v_dual_mov_b32 v29, v18 :: v_dual_mov_b32 v31, v18
	v_fmac_f32_e32 v19, 0x4f800000, v20
	s_delay_alu instid0(VALU_DEP_1) | instskip(SKIP_1) | instid1(TRANS32_DEP_1)
	v_rcp_f32_e32 v19, v19
	v_nop
	v_mul_f32_e32 v19, 0x5f7ffffc, v19
	s_delay_alu instid0(VALU_DEP_1) | instskip(NEXT) | instid1(VALU_DEP_1)
	v_mul_f32_e32 v20, 0x2f800000, v19
	v_trunc_f32_e32 v21, v20
	s_delay_alu instid0(VALU_DEP_1) | instskip(SKIP_1) | instid1(VALU_DEP_2)
	v_cvt_u32_f32_e32 v25, v21
	v_fmac_f32_e32 v19, 0xcf800000, v21
	v_dual_mov_b32 v21, v18 :: v_dual_mov_b32 v30, v25
	s_delay_alu instid0(VALU_DEP_2) | instskip(NEXT) | instid1(VALU_DEP_1)
	v_cvt_u32_f32_e32 v20, v19
	v_mov_b32_e32 v24, v20
	s_delay_alu instid0(VALU_DEP_1) | instskip(NEXT) | instid1(VALU_DEP_1)
	v_mul_u64_e32 v[26:27], v[22:23], v[24:25]
	v_dual_mov_b32 v28, v27 :: v_dual_mov_b32 v27, v18
	s_delay_alu instid0(VALU_DEP_1) | instskip(NEXT) | instid1(VALU_DEP_2)
	v_mul_u64_e32 v[32:33], v[20:21], v[28:29]
	v_mul_u64_e32 v[34:35], v[30:31], v[26:27]
	;; [unrolled: 1-line block ×3, first 2 shown]
	v_mul_hi_u32 v26, v20, v26
	s_delay_alu instid0(VALU_DEP_1) | instskip(NEXT) | instid1(VALU_DEP_1)
	v_add_nc_u64_e32 v[26:27], v[26:27], v[32:33]
	v_add_co_u32 v19, vcc_lo, v26, v34
	s_delay_alu instid0(VALU_DEP_2) | instskip(SKIP_1) | instid1(VALU_DEP_1)
	v_add_co_ci_u32_e32 v30, vcc_lo, v27, v35, vcc_lo
	v_add_co_ci_u32_e32 v29, vcc_lo, 0, v29, vcc_lo
	v_add_nc_u64_e32 v[26:27], v[30:31], v[28:29]
	s_delay_alu instid0(VALU_DEP_1) | instskip(NEXT) | instid1(VALU_DEP_1)
	v_add_co_u32 v20, vcc_lo, v20, v26
	v_add_co_ci_u32_e64 v24, null, v25, v27, vcc_lo
	v_dual_mov_b32 v27, v18 :: v_dual_mov_b32 v25, v18
	s_delay_alu instid0(VALU_DEP_2) | instskip(NEXT) | instid1(VALU_DEP_1)
	v_mov_b32_e32 v21, v24
	v_mul_u64_e32 v[22:23], v[22:23], v[20:21]
	s_delay_alu instid0(VALU_DEP_1) | instskip(NEXT) | instid1(VALU_DEP_2)
	v_dual_mov_b32 v21, v18 :: v_dual_mov_b32 v26, v23
	v_dual_mov_b32 v30, v22 :: v_dual_mov_b32 v23, v18
	v_mul_hi_u32 v22, v20, v22
	s_delay_alu instid0(VALU_DEP_3) | instskip(NEXT) | instid1(VALU_DEP_3)
	v_mul_u64_e32 v[28:29], v[20:21], v[26:27]
	v_mul_u64_e32 v[30:31], v[24:25], v[30:31]
	v_mul_u64_e32 v[26:27], v[24:25], v[26:27]
	s_delay_alu instid0(VALU_DEP_3) | instskip(SKIP_1) | instid1(VALU_DEP_2)
	v_add_nc_u64_e32 v[22:23], v[22:23], v[28:29]
	v_mov_b32_e32 v29, v18
	v_add_co_u32 v19, vcc_lo, v22, v30
	s_delay_alu instid0(VALU_DEP_3) | instskip(SKIP_1) | instid1(VALU_DEP_1)
	v_add_co_ci_u32_e32 v28, vcc_lo, v23, v31, vcc_lo
	v_add_co_ci_u32_e32 v27, vcc_lo, 0, v27, vcc_lo
	v_add_nc_u64_e32 v[22:23], v[28:29], v[26:27]
	v_dual_mov_b32 v26, v2 :: v_dual_mov_b32 v27, v18
	s_delay_alu instid0(VALU_DEP_2) | instskip(NEXT) | instid1(VALU_DEP_1)
	v_add_co_u32 v22, vcc_lo, v20, v22
	v_add_co_ci_u32_e64 v20, null, v24, v23, vcc_lo
	v_dual_mov_b32 v24, v3 :: v_dual_mov_b32 v23, v18
	s_delay_alu instid0(VALU_DEP_2) | instskip(NEXT) | instid1(VALU_DEP_2)
	v_mul_u64_e32 v[26:27], v[26:27], v[20:21]
	v_mul_u64_e32 v[20:21], v[24:25], v[20:21]
	s_delay_alu instid0(VALU_DEP_3) | instskip(SKIP_1) | instid1(VALU_DEP_1)
	v_mul_u64_e32 v[28:29], v[24:25], v[22:23]
	v_mul_hi_u32 v22, v2, v22
	v_add_nc_u64_e32 v[22:23], v[22:23], v[26:27]
	s_delay_alu instid0(VALU_DEP_1) | instskip(NEXT) | instid1(VALU_DEP_2)
	v_add_co_u32 v19, vcc_lo, v22, v28
	v_add_co_ci_u32_e32 v24, vcc_lo, v23, v29, vcc_lo
	v_add_co_ci_u32_e32 v21, vcc_lo, 0, v21, vcc_lo
	s_delay_alu instid0(VALU_DEP_1) | instskip(NEXT) | instid1(VALU_DEP_1)
	v_add_nc_u64_e32 v[20:21], v[24:25], v[20:21]
	v_mul_u64_e32 v[20:21], v[14:15], v[20:21]
	s_delay_alu instid0(VALU_DEP_1) | instskip(NEXT) | instid1(VALU_DEP_2)
	v_sub_nc_u32_e32 v19, v3, v21
	v_sub_co_u32 v2, vcc_lo, v2, v20
	s_delay_alu instid0(VALU_DEP_1) | instskip(NEXT) | instid1(VALU_DEP_3)
	v_sub_co_ci_u32_e64 v3, null, v3, v21, vcc_lo
	v_sub_co_ci_u32_e64 v19, null, v19, v15, vcc_lo
	s_delay_alu instid0(VALU_DEP_3) | instskip(SKIP_1) | instid1(VALU_DEP_3)
	v_sub_co_u32 v20, vcc_lo, v2, v14
	v_cmp_ge_u32_e64 s0, v2, v14
	v_subrev_co_ci_u32_e64 v21, null, 0, v19, vcc_lo
	v_sub_co_ci_u32_e64 v19, null, v19, v15, vcc_lo
	s_delay_alu instid0(VALU_DEP_3) | instskip(SKIP_2) | instid1(VALU_DEP_2)
	v_cndmask_b32_e64 v22, 0, -1, s0
	v_cmp_ge_u32_e64 s0, v20, v14
	v_cmp_ge_u32_e32 vcc_lo, v3, v15
	v_cndmask_b32_e64 v23, 0, -1, s0
	v_cmp_ge_u32_e64 s0, v21, v15
	v_cndmask_b32_e64 v25, 0, -1, vcc_lo
	v_cmp_eq_u32_e32 vcc_lo, v21, v15
	s_delay_alu instid0(VALU_DEP_3) | instskip(SKIP_1) | instid1(VALU_DEP_1)
	v_cndmask_b32_e64 v24, 0, -1, s0
	v_cmp_eq_u32_e64 s0, v3, v15
	v_dual_cndmask_b32 v23, v24, v23, vcc_lo :: v_dual_cndmask_b32 v22, v25, v22, s0
	v_sub_co_u32 v24, vcc_lo, v20, v14
	s_delay_alu instid0(VALU_DEP_1) | instskip(NEXT) | instid1(VALU_DEP_3)
	v_subrev_co_ci_u32_e64 v19, null, 0, v19, vcc_lo
	v_cmp_ne_u32_e32 vcc_lo, 0, v23
	s_delay_alu instid0(VALU_DEP_2) | instskip(SKIP_1) | instid1(VALU_DEP_2)
	v_dual_cndmask_b32 v19, v21, v19 :: v_dual_cndmask_b32 v20, v20, v24
	v_cmp_ne_u32_e32 vcc_lo, 0, v22
	v_dual_cndmask_b32 v21, v3, v19 :: v_dual_cndmask_b32 v20, v2, v20
                                        ; implicit-def: $vgpr2_vgpr3
.LBB25_6:                               ;   in Loop: Header=BB25_4 Depth=1
	s_and_not1_saveexec_b32 s0, s13
	s_cbranch_execz .LBB25_3
; %bb.7:                                ;   in Loop: Header=BB25_4 Depth=1
	v_cvt_f32_u32_e32 v3, v14
	v_dual_sub_nc_u32 v19, 0, v14 :: v_dual_mov_b32 v21, v18
	s_delay_alu instid0(VALU_DEP_2) | instskip(SKIP_1) | instid1(TRANS32_DEP_1)
	v_rcp_iflag_f32_e32 v3, v3
	v_nop
	v_mul_f32_e32 v3, 0x4f7ffffe, v3
	s_delay_alu instid0(VALU_DEP_1) | instskip(NEXT) | instid1(VALU_DEP_1)
	v_cvt_u32_f32_e32 v3, v3
	v_mul_lo_u32 v19, v19, v3
	s_delay_alu instid0(VALU_DEP_1) | instskip(NEXT) | instid1(VALU_DEP_1)
	v_mul_hi_u32 v19, v3, v19
	v_add_nc_u32_e32 v3, v3, v19
	s_delay_alu instid0(VALU_DEP_1) | instskip(NEXT) | instid1(VALU_DEP_1)
	v_mul_hi_u32 v3, v2, v3
	v_mul_lo_u32 v3, v3, v14
	s_delay_alu instid0(VALU_DEP_1) | instskip(NEXT) | instid1(VALU_DEP_1)
	v_sub_nc_u32_e32 v2, v2, v3
	v_sub_nc_u32_e32 v3, v2, v14
	v_cmp_ge_u32_e32 vcc_lo, v2, v14
	s_delay_alu instid0(VALU_DEP_2) | instskip(NEXT) | instid1(VALU_DEP_1)
	v_cndmask_b32_e32 v2, v2, v3, vcc_lo
	v_sub_nc_u32_e32 v3, v2, v14
	v_cmp_ge_u32_e32 vcc_lo, v2, v14
	s_delay_alu instid0(VALU_DEP_2)
	v_cndmask_b32_e32 v20, v2, v3, vcc_lo
	s_branch .LBB25_3
.LBB25_8:
	s_or_b32 exec_lo, exec_lo, s3
	v_mov_b64_e32 v[2:3], v[14:15]
.LBB25_9:
	s_or_b32 exec_lo, exec_lo, s1
	v_sub_nc_u64_e32 v[14:15], 0, v[4:5]
	s_mov_b32 s1, exec_lo
	s_delay_alu instid0(VALU_DEP_1)
	v_max_i64 v[4:5], v[4:5], v[14:15]
	v_cmpx_ne_u64_e32 0, v[16:17]
	s_cbranch_execz .LBB25_17
; %bb.10:
	v_sub_nc_u64_e32 v[14:15], 0, v[16:17]
	s_mov_b32 s3, 0
	s_delay_alu instid0(VALU_DEP_1)
	v_max_i64 v[18:19], v[16:17], v[14:15]
	v_mov_b32_e32 v14, 0
	s_branch .LBB25_12
.LBB25_11:                              ;   in Loop: Header=BB25_12 Depth=1
	s_or_b32 exec_lo, exec_lo, s0
	s_delay_alu instid0(VALU_DEP_1) | instskip(SKIP_2) | instid1(SALU_CYCLE_1)
	v_cmp_eq_u64_e32 vcc_lo, 0, v[18:19]
	v_mov_b64_e32 v[4:5], v[16:17]
	s_or_b32 s3, vcc_lo, s3
	s_and_not1_b32 exec_lo, exec_lo, s3
	s_cbranch_execz .LBB25_16
.LBB25_12:                              ; =>This Inner Loop Header: Depth=1
	s_delay_alu instid0(VALU_DEP_2) | instskip(SKIP_1) | instid1(VALU_DEP_1)
	v_mov_b64_e32 v[16:17], v[18:19]
                                        ; implicit-def: $vgpr18_vgpr19
	s_mov_b32 s0, exec_lo
	v_or_b32_e32 v15, v5, v17
	s_delay_alu instid0(VALU_DEP_1)
	v_cmpx_ne_u64_e32 0, v[14:15]
	s_xor_b32 s13, exec_lo, s0
	s_cbranch_execz .LBB25_14
; %bb.13:                               ;   in Loop: Header=BB25_12 Depth=1
	s_delay_alu instid0(VALU_DEP_3) | instskip(SKIP_3) | instid1(VALU_DEP_3)
	v_cvt_f32_u32_e32 v15, v16
	v_cvt_f32_u32_e32 v18, v17
	v_sub_nc_u64_e32 v[20:21], 0, v[16:17]
	v_dual_mov_b32 v27, v14 :: v_dual_mov_b32 v29, v14
	v_fmac_f32_e32 v15, 0x4f800000, v18
	s_delay_alu instid0(VALU_DEP_1) | instskip(SKIP_1) | instid1(TRANS32_DEP_1)
	v_rcp_f32_e32 v15, v15
	v_nop
	v_mul_f32_e32 v15, 0x5f7ffffc, v15
	s_delay_alu instid0(VALU_DEP_1) | instskip(NEXT) | instid1(VALU_DEP_1)
	v_mul_f32_e32 v18, 0x2f800000, v15
	v_trunc_f32_e32 v19, v18
	s_delay_alu instid0(VALU_DEP_1) | instskip(SKIP_1) | instid1(VALU_DEP_2)
	v_cvt_u32_f32_e32 v23, v19
	v_fmac_f32_e32 v15, 0xcf800000, v19
	v_dual_mov_b32 v19, v14 :: v_dual_mov_b32 v28, v23
	s_delay_alu instid0(VALU_DEP_2) | instskip(NEXT) | instid1(VALU_DEP_1)
	v_cvt_u32_f32_e32 v18, v15
	v_mov_b32_e32 v22, v18
	s_delay_alu instid0(VALU_DEP_1) | instskip(NEXT) | instid1(VALU_DEP_1)
	v_mul_u64_e32 v[24:25], v[20:21], v[22:23]
	v_dual_mov_b32 v26, v25 :: v_dual_mov_b32 v25, v14
	s_delay_alu instid0(VALU_DEP_1) | instskip(NEXT) | instid1(VALU_DEP_2)
	v_mul_u64_e32 v[30:31], v[18:19], v[26:27]
	v_mul_u64_e32 v[32:33], v[28:29], v[24:25]
	;; [unrolled: 1-line block ×3, first 2 shown]
	v_mul_hi_u32 v24, v18, v24
	s_delay_alu instid0(VALU_DEP_1) | instskip(NEXT) | instid1(VALU_DEP_1)
	v_add_nc_u64_e32 v[24:25], v[24:25], v[30:31]
	v_add_co_u32 v15, vcc_lo, v24, v32
	s_delay_alu instid0(VALU_DEP_2) | instskip(SKIP_1) | instid1(VALU_DEP_1)
	v_add_co_ci_u32_e32 v28, vcc_lo, v25, v33, vcc_lo
	v_add_co_ci_u32_e32 v27, vcc_lo, 0, v27, vcc_lo
	v_add_nc_u64_e32 v[24:25], v[28:29], v[26:27]
	s_delay_alu instid0(VALU_DEP_1) | instskip(NEXT) | instid1(VALU_DEP_1)
	v_add_co_u32 v18, vcc_lo, v18, v24
	v_add_co_ci_u32_e64 v22, null, v23, v25, vcc_lo
	v_dual_mov_b32 v25, v14 :: v_dual_mov_b32 v23, v14
	s_delay_alu instid0(VALU_DEP_2) | instskip(NEXT) | instid1(VALU_DEP_1)
	v_mov_b32_e32 v19, v22
	v_mul_u64_e32 v[20:21], v[20:21], v[18:19]
	s_delay_alu instid0(VALU_DEP_1) | instskip(NEXT) | instid1(VALU_DEP_2)
	v_dual_mov_b32 v19, v14 :: v_dual_mov_b32 v24, v21
	v_dual_mov_b32 v28, v20 :: v_dual_mov_b32 v21, v14
	v_mul_hi_u32 v20, v18, v20
	s_delay_alu instid0(VALU_DEP_3) | instskip(NEXT) | instid1(VALU_DEP_3)
	v_mul_u64_e32 v[26:27], v[18:19], v[24:25]
	v_mul_u64_e32 v[28:29], v[22:23], v[28:29]
	;; [unrolled: 1-line block ×3, first 2 shown]
	s_delay_alu instid0(VALU_DEP_3) | instskip(SKIP_1) | instid1(VALU_DEP_2)
	v_add_nc_u64_e32 v[20:21], v[20:21], v[26:27]
	v_mov_b32_e32 v27, v14
	v_add_co_u32 v15, vcc_lo, v20, v28
	s_delay_alu instid0(VALU_DEP_3) | instskip(SKIP_1) | instid1(VALU_DEP_1)
	v_add_co_ci_u32_e32 v26, vcc_lo, v21, v29, vcc_lo
	v_add_co_ci_u32_e32 v25, vcc_lo, 0, v25, vcc_lo
	v_add_nc_u64_e32 v[20:21], v[26:27], v[24:25]
	v_dual_mov_b32 v24, v4 :: v_dual_mov_b32 v25, v14
	s_delay_alu instid0(VALU_DEP_2) | instskip(NEXT) | instid1(VALU_DEP_1)
	v_add_co_u32 v20, vcc_lo, v18, v20
	v_add_co_ci_u32_e64 v18, null, v22, v21, vcc_lo
	v_dual_mov_b32 v22, v5 :: v_dual_mov_b32 v21, v14
	s_delay_alu instid0(VALU_DEP_2) | instskip(NEXT) | instid1(VALU_DEP_2)
	v_mul_u64_e32 v[24:25], v[24:25], v[18:19]
	v_mul_u64_e32 v[18:19], v[22:23], v[18:19]
	s_delay_alu instid0(VALU_DEP_3) | instskip(SKIP_1) | instid1(VALU_DEP_1)
	v_mul_u64_e32 v[26:27], v[22:23], v[20:21]
	v_mul_hi_u32 v20, v4, v20
	v_add_nc_u64_e32 v[20:21], v[20:21], v[24:25]
	s_delay_alu instid0(VALU_DEP_1) | instskip(NEXT) | instid1(VALU_DEP_2)
	v_add_co_u32 v15, vcc_lo, v20, v26
	v_add_co_ci_u32_e32 v22, vcc_lo, v21, v27, vcc_lo
	v_add_co_ci_u32_e32 v19, vcc_lo, 0, v19, vcc_lo
	s_delay_alu instid0(VALU_DEP_1) | instskip(NEXT) | instid1(VALU_DEP_1)
	v_add_nc_u64_e32 v[18:19], v[22:23], v[18:19]
	v_mul_u64_e32 v[18:19], v[16:17], v[18:19]
	s_delay_alu instid0(VALU_DEP_1) | instskip(NEXT) | instid1(VALU_DEP_2)
	v_sub_nc_u32_e32 v15, v5, v19
	v_sub_co_u32 v4, vcc_lo, v4, v18
	s_delay_alu instid0(VALU_DEP_1) | instskip(NEXT) | instid1(VALU_DEP_3)
	v_sub_co_ci_u32_e64 v5, null, v5, v19, vcc_lo
	v_sub_co_ci_u32_e64 v15, null, v15, v17, vcc_lo
	s_delay_alu instid0(VALU_DEP_3) | instskip(SKIP_1) | instid1(VALU_DEP_3)
	v_sub_co_u32 v18, vcc_lo, v4, v16
	v_cmp_ge_u32_e64 s0, v4, v16
	v_subrev_co_ci_u32_e64 v19, null, 0, v15, vcc_lo
	v_sub_co_ci_u32_e64 v15, null, v15, v17, vcc_lo
	s_delay_alu instid0(VALU_DEP_3) | instskip(SKIP_2) | instid1(VALU_DEP_2)
	v_cndmask_b32_e64 v20, 0, -1, s0
	v_cmp_ge_u32_e64 s0, v18, v16
	v_cmp_ge_u32_e32 vcc_lo, v5, v17
	v_cndmask_b32_e64 v21, 0, -1, s0
	v_cmp_ge_u32_e64 s0, v19, v17
	v_cndmask_b32_e64 v23, 0, -1, vcc_lo
	v_cmp_eq_u32_e32 vcc_lo, v19, v17
	s_delay_alu instid0(VALU_DEP_3) | instskip(SKIP_1) | instid1(VALU_DEP_1)
	v_cndmask_b32_e64 v22, 0, -1, s0
	v_cmp_eq_u32_e64 s0, v5, v17
	v_dual_cndmask_b32 v21, v22, v21, vcc_lo :: v_dual_cndmask_b32 v20, v23, v20, s0
	v_sub_co_u32 v22, vcc_lo, v18, v16
	s_delay_alu instid0(VALU_DEP_1) | instskip(NEXT) | instid1(VALU_DEP_3)
	v_subrev_co_ci_u32_e64 v15, null, 0, v15, vcc_lo
	v_cmp_ne_u32_e32 vcc_lo, 0, v21
	s_delay_alu instid0(VALU_DEP_2) | instskip(SKIP_1) | instid1(VALU_DEP_2)
	v_dual_cndmask_b32 v15, v19, v15 :: v_dual_cndmask_b32 v18, v18, v22
	v_cmp_ne_u32_e32 vcc_lo, 0, v20
	v_dual_cndmask_b32 v19, v5, v15 :: v_dual_cndmask_b32 v18, v4, v18
.LBB25_14:                              ;   in Loop: Header=BB25_12 Depth=1
	s_and_not1_saveexec_b32 s0, s13
	s_cbranch_execz .LBB25_11
; %bb.15:                               ;   in Loop: Header=BB25_12 Depth=1
	v_cvt_f32_u32_e32 v5, v16
	v_dual_sub_nc_u32 v15, 0, v16 :: v_dual_mov_b32 v19, v14
	s_delay_alu instid0(VALU_DEP_2) | instskip(SKIP_1) | instid1(TRANS32_DEP_1)
	v_rcp_iflag_f32_e32 v5, v5
	v_nop
	v_mul_f32_e32 v5, 0x4f7ffffe, v5
	s_delay_alu instid0(VALU_DEP_1) | instskip(NEXT) | instid1(VALU_DEP_1)
	v_cvt_u32_f32_e32 v5, v5
	v_mul_lo_u32 v15, v15, v5
	s_delay_alu instid0(VALU_DEP_1) | instskip(NEXT) | instid1(VALU_DEP_1)
	v_mul_hi_u32 v15, v5, v15
	v_add_nc_u32_e32 v5, v5, v15
	s_delay_alu instid0(VALU_DEP_1) | instskip(NEXT) | instid1(VALU_DEP_1)
	v_mul_hi_u32 v5, v4, v5
	v_mul_lo_u32 v5, v5, v16
	s_delay_alu instid0(VALU_DEP_1) | instskip(NEXT) | instid1(VALU_DEP_1)
	v_sub_nc_u32_e32 v4, v4, v5
	v_sub_nc_u32_e32 v5, v4, v16
	v_cmp_ge_u32_e32 vcc_lo, v4, v16
	s_delay_alu instid0(VALU_DEP_2) | instskip(NEXT) | instid1(VALU_DEP_1)
	v_cndmask_b32_e32 v4, v4, v5, vcc_lo
	v_sub_nc_u32_e32 v5, v4, v16
	v_cmp_ge_u32_e32 vcc_lo, v4, v16
	s_delay_alu instid0(VALU_DEP_2)
	v_cndmask_b32_e32 v18, v4, v5, vcc_lo
	s_branch .LBB25_11
.LBB25_16:
	s_or_b32 exec_lo, exec_lo, s3
	v_mov_b64_e32 v[4:5], v[16:17]
.LBB25_17:
	s_or_b32 exec_lo, exec_lo, s1
	s_wait_loadcnt 0x0
	v_sub_nc_u64_e32 v[14:15], 0, v[10:11]
	s_mov_b32 s1, exec_lo
	s_delay_alu instid0(VALU_DEP_1)
	v_max_i64 v[10:11], v[10:11], v[14:15]
	v_cmpx_ne_u64_e32 0, v[6:7]
	s_cbranch_execz .LBB25_25
; %bb.18:
	v_sub_nc_u64_e32 v[14:15], 0, v[6:7]
	s_mov_b32 s3, 0
	s_delay_alu instid0(VALU_DEP_1)
	v_max_i64 v[16:17], v[6:7], v[14:15]
	v_mov_b32_e32 v6, 0
	s_branch .LBB25_20
.LBB25_19:                              ;   in Loop: Header=BB25_20 Depth=1
	s_or_b32 exec_lo, exec_lo, s0
	s_delay_alu instid0(VALU_DEP_1) | instskip(SKIP_2) | instid1(SALU_CYCLE_1)
	v_cmp_eq_u64_e32 vcc_lo, 0, v[16:17]
	v_mov_b64_e32 v[10:11], v[14:15]
	s_or_b32 s3, vcc_lo, s3
	s_and_not1_b32 exec_lo, exec_lo, s3
	s_cbranch_execz .LBB25_24
.LBB25_20:                              ; =>This Inner Loop Header: Depth=1
	s_delay_alu instid0(VALU_DEP_2) | instskip(SKIP_1) | instid1(VALU_DEP_1)
	v_mov_b64_e32 v[14:15], v[16:17]
                                        ; implicit-def: $vgpr16_vgpr17
	s_mov_b32 s0, exec_lo
	v_or_b32_e32 v7, v11, v15
	s_delay_alu instid0(VALU_DEP_1)
	v_cmpx_ne_u64_e32 0, v[6:7]
	s_xor_b32 s13, exec_lo, s0
	s_cbranch_execz .LBB25_22
; %bb.21:                               ;   in Loop: Header=BB25_20 Depth=1
	s_delay_alu instid0(VALU_DEP_3) | instskip(SKIP_3) | instid1(VALU_DEP_3)
	v_cvt_f32_u32_e32 v7, v14
	v_cvt_f32_u32_e32 v16, v15
	v_sub_nc_u64_e32 v[18:19], 0, v[14:15]
	v_dual_mov_b32 v25, v6 :: v_dual_mov_b32 v27, v6
	v_fmac_f32_e32 v7, 0x4f800000, v16
	s_delay_alu instid0(VALU_DEP_1) | instskip(SKIP_1) | instid1(TRANS32_DEP_1)
	v_rcp_f32_e32 v7, v7
	v_nop
	v_mul_f32_e32 v7, 0x5f7ffffc, v7
	s_delay_alu instid0(VALU_DEP_1) | instskip(NEXT) | instid1(VALU_DEP_1)
	v_mul_f32_e32 v16, 0x2f800000, v7
	v_trunc_f32_e32 v17, v16
	s_delay_alu instid0(VALU_DEP_1) | instskip(SKIP_1) | instid1(VALU_DEP_2)
	v_cvt_u32_f32_e32 v21, v17
	v_fmac_f32_e32 v7, 0xcf800000, v17
	v_dual_mov_b32 v17, v6 :: v_dual_mov_b32 v26, v21
	s_delay_alu instid0(VALU_DEP_2) | instskip(NEXT) | instid1(VALU_DEP_1)
	v_cvt_u32_f32_e32 v16, v7
	v_mov_b32_e32 v20, v16
	s_delay_alu instid0(VALU_DEP_1) | instskip(NEXT) | instid1(VALU_DEP_1)
	v_mul_u64_e32 v[22:23], v[18:19], v[20:21]
	v_dual_mov_b32 v24, v23 :: v_dual_mov_b32 v23, v6
	s_delay_alu instid0(VALU_DEP_1) | instskip(NEXT) | instid1(VALU_DEP_2)
	v_mul_u64_e32 v[28:29], v[16:17], v[24:25]
	v_mul_u64_e32 v[30:31], v[26:27], v[22:23]
	;; [unrolled: 1-line block ×3, first 2 shown]
	v_mul_hi_u32 v22, v16, v22
	s_delay_alu instid0(VALU_DEP_1) | instskip(NEXT) | instid1(VALU_DEP_1)
	v_add_nc_u64_e32 v[22:23], v[22:23], v[28:29]
	v_add_co_u32 v7, vcc_lo, v22, v30
	s_delay_alu instid0(VALU_DEP_2) | instskip(SKIP_1) | instid1(VALU_DEP_1)
	v_add_co_ci_u32_e32 v26, vcc_lo, v23, v31, vcc_lo
	v_add_co_ci_u32_e32 v25, vcc_lo, 0, v25, vcc_lo
	v_add_nc_u64_e32 v[22:23], v[26:27], v[24:25]
	s_delay_alu instid0(VALU_DEP_1) | instskip(NEXT) | instid1(VALU_DEP_1)
	v_add_co_u32 v16, vcc_lo, v16, v22
	v_add_co_ci_u32_e64 v20, null, v21, v23, vcc_lo
	v_dual_mov_b32 v23, v6 :: v_dual_mov_b32 v21, v6
	s_delay_alu instid0(VALU_DEP_2) | instskip(NEXT) | instid1(VALU_DEP_1)
	v_mov_b32_e32 v17, v20
	v_mul_u64_e32 v[18:19], v[18:19], v[16:17]
	s_delay_alu instid0(VALU_DEP_1) | instskip(NEXT) | instid1(VALU_DEP_2)
	v_dual_mov_b32 v17, v6 :: v_dual_mov_b32 v22, v19
	v_dual_mov_b32 v26, v18 :: v_dual_mov_b32 v19, v6
	v_mul_hi_u32 v18, v16, v18
	s_delay_alu instid0(VALU_DEP_3) | instskip(NEXT) | instid1(VALU_DEP_3)
	v_mul_u64_e32 v[24:25], v[16:17], v[22:23]
	v_mul_u64_e32 v[26:27], v[20:21], v[26:27]
	v_mul_u64_e32 v[22:23], v[20:21], v[22:23]
	s_delay_alu instid0(VALU_DEP_3) | instskip(SKIP_1) | instid1(VALU_DEP_2)
	v_add_nc_u64_e32 v[18:19], v[18:19], v[24:25]
	v_mov_b32_e32 v25, v6
	v_add_co_u32 v7, vcc_lo, v18, v26
	s_delay_alu instid0(VALU_DEP_3) | instskip(SKIP_1) | instid1(VALU_DEP_1)
	v_add_co_ci_u32_e32 v24, vcc_lo, v19, v27, vcc_lo
	v_add_co_ci_u32_e32 v23, vcc_lo, 0, v23, vcc_lo
	v_add_nc_u64_e32 v[18:19], v[24:25], v[22:23]
	v_dual_mov_b32 v22, v10 :: v_dual_mov_b32 v23, v6
	s_delay_alu instid0(VALU_DEP_2) | instskip(NEXT) | instid1(VALU_DEP_1)
	v_add_co_u32 v18, vcc_lo, v16, v18
	v_add_co_ci_u32_e64 v16, null, v20, v19, vcc_lo
	v_dual_mov_b32 v20, v11 :: v_dual_mov_b32 v19, v6
	s_delay_alu instid0(VALU_DEP_2) | instskip(NEXT) | instid1(VALU_DEP_2)
	v_mul_u64_e32 v[22:23], v[22:23], v[16:17]
	v_mul_u64_e32 v[16:17], v[20:21], v[16:17]
	s_delay_alu instid0(VALU_DEP_3) | instskip(SKIP_1) | instid1(VALU_DEP_1)
	v_mul_u64_e32 v[24:25], v[20:21], v[18:19]
	v_mul_hi_u32 v18, v10, v18
	v_add_nc_u64_e32 v[18:19], v[18:19], v[22:23]
	s_delay_alu instid0(VALU_DEP_1) | instskip(NEXT) | instid1(VALU_DEP_2)
	v_add_co_u32 v7, vcc_lo, v18, v24
	v_add_co_ci_u32_e32 v20, vcc_lo, v19, v25, vcc_lo
	v_add_co_ci_u32_e32 v17, vcc_lo, 0, v17, vcc_lo
	s_delay_alu instid0(VALU_DEP_1) | instskip(NEXT) | instid1(VALU_DEP_1)
	v_add_nc_u64_e32 v[16:17], v[20:21], v[16:17]
	v_mul_u64_e32 v[16:17], v[14:15], v[16:17]
	s_delay_alu instid0(VALU_DEP_1) | instskip(NEXT) | instid1(VALU_DEP_2)
	v_sub_nc_u32_e32 v7, v11, v17
	v_sub_co_u32 v10, vcc_lo, v10, v16
	s_delay_alu instid0(VALU_DEP_1) | instskip(NEXT) | instid1(VALU_DEP_3)
	v_sub_co_ci_u32_e64 v11, null, v11, v17, vcc_lo
	v_sub_co_ci_u32_e64 v7, null, v7, v15, vcc_lo
	s_delay_alu instid0(VALU_DEP_3) | instskip(SKIP_1) | instid1(VALU_DEP_3)
	v_sub_co_u32 v16, vcc_lo, v10, v14
	v_cmp_ge_u32_e64 s0, v10, v14
	v_subrev_co_ci_u32_e64 v17, null, 0, v7, vcc_lo
	v_sub_co_ci_u32_e64 v7, null, v7, v15, vcc_lo
	s_delay_alu instid0(VALU_DEP_3) | instskip(SKIP_2) | instid1(VALU_DEP_2)
	v_cndmask_b32_e64 v18, 0, -1, s0
	v_cmp_ge_u32_e64 s0, v16, v14
	v_cmp_ge_u32_e32 vcc_lo, v11, v15
	v_cndmask_b32_e64 v19, 0, -1, s0
	v_cmp_ge_u32_e64 s0, v17, v15
	v_cndmask_b32_e64 v21, 0, -1, vcc_lo
	v_cmp_eq_u32_e32 vcc_lo, v17, v15
	s_delay_alu instid0(VALU_DEP_3) | instskip(SKIP_1) | instid1(VALU_DEP_1)
	v_cndmask_b32_e64 v20, 0, -1, s0
	v_cmp_eq_u32_e64 s0, v11, v15
	v_dual_cndmask_b32 v19, v20, v19, vcc_lo :: v_dual_cndmask_b32 v18, v21, v18, s0
	v_sub_co_u32 v20, vcc_lo, v16, v14
	s_delay_alu instid0(VALU_DEP_1) | instskip(NEXT) | instid1(VALU_DEP_3)
	v_subrev_co_ci_u32_e64 v7, null, 0, v7, vcc_lo
	v_cmp_ne_u32_e32 vcc_lo, 0, v19
	s_delay_alu instid0(VALU_DEP_2) | instskip(SKIP_1) | instid1(VALU_DEP_2)
	v_dual_cndmask_b32 v7, v17, v7 :: v_dual_cndmask_b32 v16, v16, v20
	v_cmp_ne_u32_e32 vcc_lo, 0, v18
	v_dual_cndmask_b32 v17, v11, v7 :: v_dual_cndmask_b32 v16, v10, v16
                                        ; implicit-def: $vgpr10_vgpr11
.LBB25_22:                              ;   in Loop: Header=BB25_20 Depth=1
	s_and_not1_saveexec_b32 s0, s13
	s_cbranch_execz .LBB25_19
; %bb.23:                               ;   in Loop: Header=BB25_20 Depth=1
	v_cvt_f32_u32_e32 v7, v14
	v_dual_sub_nc_u32 v11, 0, v14 :: v_dual_mov_b32 v17, v6
	s_delay_alu instid0(VALU_DEP_2) | instskip(SKIP_1) | instid1(TRANS32_DEP_1)
	v_rcp_iflag_f32_e32 v7, v7
	v_nop
	v_mul_f32_e32 v7, 0x4f7ffffe, v7
	s_delay_alu instid0(VALU_DEP_1) | instskip(NEXT) | instid1(VALU_DEP_1)
	v_cvt_u32_f32_e32 v7, v7
	v_mul_lo_u32 v11, v11, v7
	s_delay_alu instid0(VALU_DEP_1) | instskip(NEXT) | instid1(VALU_DEP_1)
	v_mul_hi_u32 v11, v7, v11
	v_add_nc_u32_e32 v7, v7, v11
	s_delay_alu instid0(VALU_DEP_1) | instskip(NEXT) | instid1(VALU_DEP_1)
	v_mul_hi_u32 v7, v10, v7
	v_mul_lo_u32 v7, v7, v14
	s_delay_alu instid0(VALU_DEP_1) | instskip(NEXT) | instid1(VALU_DEP_1)
	v_sub_nc_u32_e32 v7, v10, v7
	v_sub_nc_u32_e32 v10, v7, v14
	v_cmp_ge_u32_e32 vcc_lo, v7, v14
	s_delay_alu instid0(VALU_DEP_2) | instskip(NEXT) | instid1(VALU_DEP_1)
	v_cndmask_b32_e32 v7, v7, v10, vcc_lo
	v_sub_nc_u32_e32 v10, v7, v14
	v_cmp_ge_u32_e32 vcc_lo, v7, v14
	s_delay_alu instid0(VALU_DEP_2)
	v_cndmask_b32_e32 v16, v7, v10, vcc_lo
	s_branch .LBB25_19
.LBB25_24:
	s_or_b32 exec_lo, exec_lo, s3
	v_mov_b64_e32 v[10:11], v[14:15]
.LBB25_25:
	s_or_b32 exec_lo, exec_lo, s1
	v_sub_nc_u64_e32 v[6:7], 0, v[12:13]
	s_mov_b32 s1, exec_lo
	s_delay_alu instid0(VALU_DEP_1)
	v_max_i64 v[12:13], v[12:13], v[6:7]
	v_cmpx_ne_u64_e32 0, v[8:9]
	s_cbranch_execz .LBB25_33
; %bb.26:
	v_sub_nc_u64_e32 v[6:7], 0, v[8:9]
	s_mov_b32 s3, 0
	s_delay_alu instid0(VALU_DEP_1)
	v_max_i64 v[14:15], v[8:9], v[6:7]
	v_mov_b32_e32 v6, 0
	s_branch .LBB25_28
.LBB25_27:                              ;   in Loop: Header=BB25_28 Depth=1
	s_or_b32 exec_lo, exec_lo, s0
	s_delay_alu instid0(VALU_DEP_1) | instskip(SKIP_2) | instid1(SALU_CYCLE_1)
	v_cmp_eq_u64_e32 vcc_lo, 0, v[14:15]
	v_mov_b64_e32 v[12:13], v[8:9]
	s_or_b32 s3, vcc_lo, s3
	s_and_not1_b32 exec_lo, exec_lo, s3
	s_cbranch_execz .LBB25_32
.LBB25_28:                              ; =>This Inner Loop Header: Depth=1
	s_delay_alu instid0(VALU_DEP_2) | instskip(SKIP_1) | instid1(VALU_DEP_1)
	v_mov_b64_e32 v[8:9], v[14:15]
                                        ; implicit-def: $vgpr14_vgpr15
	s_mov_b32 s0, exec_lo
	v_or_b32_e32 v7, v13, v9
	s_delay_alu instid0(VALU_DEP_1)
	v_cmpx_ne_u64_e32 0, v[6:7]
	s_xor_b32 s13, exec_lo, s0
	s_cbranch_execz .LBB25_30
; %bb.29:                               ;   in Loop: Header=BB25_28 Depth=1
	s_delay_alu instid0(VALU_DEP_3) | instskip(SKIP_3) | instid1(VALU_DEP_3)
	v_cvt_f32_u32_e32 v7, v8
	v_cvt_f32_u32_e32 v14, v9
	v_sub_nc_u64_e32 v[16:17], 0, v[8:9]
	v_dual_mov_b32 v23, v6 :: v_dual_mov_b32 v25, v6
	v_fmac_f32_e32 v7, 0x4f800000, v14
	s_delay_alu instid0(VALU_DEP_1) | instskip(SKIP_1) | instid1(TRANS32_DEP_1)
	v_rcp_f32_e32 v7, v7
	v_nop
	v_mul_f32_e32 v7, 0x5f7ffffc, v7
	s_delay_alu instid0(VALU_DEP_1) | instskip(NEXT) | instid1(VALU_DEP_1)
	v_mul_f32_e32 v14, 0x2f800000, v7
	v_trunc_f32_e32 v15, v14
	s_delay_alu instid0(VALU_DEP_1) | instskip(SKIP_1) | instid1(VALU_DEP_2)
	v_cvt_u32_f32_e32 v19, v15
	v_fmac_f32_e32 v7, 0xcf800000, v15
	v_dual_mov_b32 v15, v6 :: v_dual_mov_b32 v24, v19
	s_delay_alu instid0(VALU_DEP_2) | instskip(NEXT) | instid1(VALU_DEP_1)
	v_cvt_u32_f32_e32 v14, v7
	v_mov_b32_e32 v18, v14
	s_delay_alu instid0(VALU_DEP_1) | instskip(NEXT) | instid1(VALU_DEP_1)
	v_mul_u64_e32 v[20:21], v[16:17], v[18:19]
	v_dual_mov_b32 v22, v21 :: v_dual_mov_b32 v21, v6
	s_delay_alu instid0(VALU_DEP_1) | instskip(NEXT) | instid1(VALU_DEP_2)
	v_mul_u64_e32 v[26:27], v[14:15], v[22:23]
	v_mul_u64_e32 v[28:29], v[24:25], v[20:21]
	;; [unrolled: 1-line block ×3, first 2 shown]
	v_mul_hi_u32 v20, v14, v20
	s_delay_alu instid0(VALU_DEP_1) | instskip(NEXT) | instid1(VALU_DEP_1)
	v_add_nc_u64_e32 v[20:21], v[20:21], v[26:27]
	v_add_co_u32 v7, vcc_lo, v20, v28
	s_delay_alu instid0(VALU_DEP_2) | instskip(SKIP_1) | instid1(VALU_DEP_1)
	v_add_co_ci_u32_e32 v24, vcc_lo, v21, v29, vcc_lo
	v_add_co_ci_u32_e32 v23, vcc_lo, 0, v23, vcc_lo
	v_add_nc_u64_e32 v[20:21], v[24:25], v[22:23]
	s_delay_alu instid0(VALU_DEP_1) | instskip(NEXT) | instid1(VALU_DEP_1)
	v_add_co_u32 v14, vcc_lo, v14, v20
	v_add_co_ci_u32_e64 v18, null, v19, v21, vcc_lo
	v_dual_mov_b32 v21, v6 :: v_dual_mov_b32 v19, v6
	s_delay_alu instid0(VALU_DEP_2) | instskip(NEXT) | instid1(VALU_DEP_1)
	v_mov_b32_e32 v15, v18
	v_mul_u64_e32 v[16:17], v[16:17], v[14:15]
	s_delay_alu instid0(VALU_DEP_1) | instskip(NEXT) | instid1(VALU_DEP_2)
	v_dual_mov_b32 v15, v6 :: v_dual_mov_b32 v20, v17
	v_dual_mov_b32 v24, v16 :: v_dual_mov_b32 v17, v6
	v_mul_hi_u32 v16, v14, v16
	s_delay_alu instid0(VALU_DEP_3) | instskip(NEXT) | instid1(VALU_DEP_3)
	v_mul_u64_e32 v[22:23], v[14:15], v[20:21]
	v_mul_u64_e32 v[24:25], v[18:19], v[24:25]
	;; [unrolled: 1-line block ×3, first 2 shown]
	s_delay_alu instid0(VALU_DEP_3) | instskip(SKIP_1) | instid1(VALU_DEP_2)
	v_add_nc_u64_e32 v[16:17], v[16:17], v[22:23]
	v_mov_b32_e32 v23, v6
	v_add_co_u32 v7, vcc_lo, v16, v24
	s_delay_alu instid0(VALU_DEP_3) | instskip(SKIP_1) | instid1(VALU_DEP_1)
	v_add_co_ci_u32_e32 v22, vcc_lo, v17, v25, vcc_lo
	v_add_co_ci_u32_e32 v21, vcc_lo, 0, v21, vcc_lo
	v_add_nc_u64_e32 v[16:17], v[22:23], v[20:21]
	v_dual_mov_b32 v20, v12 :: v_dual_mov_b32 v21, v6
	s_delay_alu instid0(VALU_DEP_2) | instskip(NEXT) | instid1(VALU_DEP_1)
	v_add_co_u32 v16, vcc_lo, v14, v16
	v_add_co_ci_u32_e64 v14, null, v18, v17, vcc_lo
	v_dual_mov_b32 v18, v13 :: v_dual_mov_b32 v17, v6
	s_delay_alu instid0(VALU_DEP_2) | instskip(NEXT) | instid1(VALU_DEP_2)
	v_mul_u64_e32 v[20:21], v[20:21], v[14:15]
	v_mul_u64_e32 v[14:15], v[18:19], v[14:15]
	s_delay_alu instid0(VALU_DEP_3) | instskip(SKIP_1) | instid1(VALU_DEP_1)
	v_mul_u64_e32 v[22:23], v[18:19], v[16:17]
	v_mul_hi_u32 v16, v12, v16
	v_add_nc_u64_e32 v[16:17], v[16:17], v[20:21]
	s_delay_alu instid0(VALU_DEP_1) | instskip(NEXT) | instid1(VALU_DEP_2)
	v_add_co_u32 v7, vcc_lo, v16, v22
	v_add_co_ci_u32_e32 v18, vcc_lo, v17, v23, vcc_lo
	v_add_co_ci_u32_e32 v15, vcc_lo, 0, v15, vcc_lo
	s_delay_alu instid0(VALU_DEP_1) | instskip(NEXT) | instid1(VALU_DEP_1)
	v_add_nc_u64_e32 v[14:15], v[18:19], v[14:15]
	v_mul_u64_e32 v[14:15], v[8:9], v[14:15]
	s_delay_alu instid0(VALU_DEP_1) | instskip(NEXT) | instid1(VALU_DEP_2)
	v_sub_nc_u32_e32 v7, v13, v15
	v_sub_co_u32 v12, vcc_lo, v12, v14
	s_delay_alu instid0(VALU_DEP_1) | instskip(NEXT) | instid1(VALU_DEP_3)
	v_sub_co_ci_u32_e64 v13, null, v13, v15, vcc_lo
	v_sub_co_ci_u32_e64 v7, null, v7, v9, vcc_lo
	s_delay_alu instid0(VALU_DEP_3) | instskip(SKIP_1) | instid1(VALU_DEP_3)
	v_sub_co_u32 v14, vcc_lo, v12, v8
	v_cmp_ge_u32_e64 s0, v12, v8
	v_subrev_co_ci_u32_e64 v15, null, 0, v7, vcc_lo
	v_sub_co_ci_u32_e64 v7, null, v7, v9, vcc_lo
	s_delay_alu instid0(VALU_DEP_3) | instskip(SKIP_2) | instid1(VALU_DEP_2)
	v_cndmask_b32_e64 v16, 0, -1, s0
	v_cmp_ge_u32_e64 s0, v14, v8
	v_cmp_ge_u32_e32 vcc_lo, v13, v9
	v_cndmask_b32_e64 v17, 0, -1, s0
	v_cmp_ge_u32_e64 s0, v15, v9
	v_cndmask_b32_e64 v19, 0, -1, vcc_lo
	v_cmp_eq_u32_e32 vcc_lo, v15, v9
	s_delay_alu instid0(VALU_DEP_3) | instskip(SKIP_1) | instid1(VALU_DEP_1)
	v_cndmask_b32_e64 v18, 0, -1, s0
	v_cmp_eq_u32_e64 s0, v13, v9
	v_dual_cndmask_b32 v17, v18, v17, vcc_lo :: v_dual_cndmask_b32 v16, v19, v16, s0
	v_sub_co_u32 v18, vcc_lo, v14, v8
	s_delay_alu instid0(VALU_DEP_1) | instskip(NEXT) | instid1(VALU_DEP_3)
	v_subrev_co_ci_u32_e64 v7, null, 0, v7, vcc_lo
	v_cmp_ne_u32_e32 vcc_lo, 0, v17
	s_delay_alu instid0(VALU_DEP_2) | instskip(SKIP_1) | instid1(VALU_DEP_2)
	v_dual_cndmask_b32 v7, v15, v7 :: v_dual_cndmask_b32 v14, v14, v18
	v_cmp_ne_u32_e32 vcc_lo, 0, v16
	v_dual_cndmask_b32 v15, v13, v7 :: v_dual_cndmask_b32 v14, v12, v14
.LBB25_30:                              ;   in Loop: Header=BB25_28 Depth=1
	s_and_not1_saveexec_b32 s0, s13
	s_cbranch_execz .LBB25_27
; %bb.31:                               ;   in Loop: Header=BB25_28 Depth=1
	v_cvt_f32_u32_e32 v7, v8
	v_dual_sub_nc_u32 v13, 0, v8 :: v_dual_mov_b32 v15, v6
	s_delay_alu instid0(VALU_DEP_2) | instskip(SKIP_1) | instid1(TRANS32_DEP_1)
	v_rcp_iflag_f32_e32 v7, v7
	v_nop
	v_mul_f32_e32 v7, 0x4f7ffffe, v7
	s_delay_alu instid0(VALU_DEP_1) | instskip(NEXT) | instid1(VALU_DEP_1)
	v_cvt_u32_f32_e32 v7, v7
	v_mul_lo_u32 v13, v13, v7
	s_delay_alu instid0(VALU_DEP_1) | instskip(NEXT) | instid1(VALU_DEP_1)
	v_mul_hi_u32 v13, v7, v13
	v_add_nc_u32_e32 v7, v7, v13
	s_delay_alu instid0(VALU_DEP_1) | instskip(NEXT) | instid1(VALU_DEP_1)
	v_mul_hi_u32 v7, v12, v7
	v_mul_lo_u32 v7, v7, v8
	s_delay_alu instid0(VALU_DEP_1) | instskip(NEXT) | instid1(VALU_DEP_1)
	v_sub_nc_u32_e32 v7, v12, v7
	v_sub_nc_u32_e32 v12, v7, v8
	v_cmp_ge_u32_e32 vcc_lo, v7, v8
	s_delay_alu instid0(VALU_DEP_2) | instskip(NEXT) | instid1(VALU_DEP_1)
	v_cndmask_b32_e32 v7, v7, v12, vcc_lo
	v_sub_nc_u32_e32 v12, v7, v8
	v_cmp_ge_u32_e32 vcc_lo, v7, v8
	s_delay_alu instid0(VALU_DEP_2)
	v_cndmask_b32_e32 v14, v7, v12, vcc_lo
	s_branch .LBB25_27
.LBB25_32:
	s_or_b32 exec_lo, exec_lo, s3
	v_mov_b64_e32 v[12:13], v[8:9]
.LBB25_33:
	s_or_b32 exec_lo, exec_lo, s1
	s_add_nc_u64 s[10:11], s[4:5], s[10:11]
	s_mov_b32 s0, 0
	s_clause 0x1
	global_store_b128 v1, v[2:5], s[10:11]
	global_store_b128 v1, v[10:13], s[10:11] offset:16
.LBB25_34:
	s_and_b32 vcc_lo, exec_lo, s0
	s_cbranch_vccz .LBB25_79
; %bb.35:
	v_mov_b64_e32 v[14:15], 0
	v_mov_b64_e32 v[16:17], 0
	s_wait_xcnt 0x1
	v_mov_b64_e32 v[2:3], 0
	v_cmp_gt_i32_e64 s0, s12, v0
	s_wait_xcnt 0x0
	v_dual_mov_b32 v18, v0 :: v_dual_bitop2_b32 v1, s2, v0 bitop3:0x54
	v_or_b32_e32 v22, 0x100, v0
	s_and_saveexec_b32 s1, s0
	s_cbranch_execz .LBB25_37
; %bb.36:
	s_clause 0x1
	global_load_b64 v[2:3], v1, s[8:9] scale_offset
	global_load_b64 v[16:17], v1, s[6:7] scale_offset
	v_or_b32_e32 v18, 0x100, v0
	s_wait_loadcnt 0x1
	v_sub_nc_u64_e32 v[4:5], 0, v[2:3]
	s_delay_alu instid0(VALU_DEP_1)
	v_max_i64 v[2:3], v[2:3], v[4:5]
.LBB25_37:
	s_wait_xcnt 0x0
	s_or_b32 exec_lo, exec_lo, s1
	v_mov_b64_e32 v[4:5], 0
	s_mov_b32 s1, exec_lo
	v_cmpx_gt_i32_e64 s12, v18
	s_cbranch_execz .LBB25_39
; %bb.38:
	v_add_nc_u32_e32 v6, s2, v18
	v_add_nc_u32_e32 v18, 0x100, v18
	s_clause 0x1
	global_load_b64 v[4:5], v6, s[8:9] scale_offset
	global_load_b64 v[14:15], v6, s[6:7] scale_offset
	s_wait_loadcnt 0x1
	s_wait_xcnt 0x0
	v_sub_nc_u64_e32 v[6:7], 0, v[4:5]
	s_delay_alu instid0(VALU_DEP_1)
	v_max_i64 v[4:5], v[4:5], v[6:7]
.LBB25_39:
	s_or_b32 exec_lo, exec_lo, s1
	v_mov_b64_e32 v[10:11], 0
	v_mov_b64_e32 v[12:13], 0
	;; [unrolled: 1-line block ×3, first 2 shown]
	s_mov_b32 s1, exec_lo
	v_cmpx_gt_i32_e64 s12, v18
	s_cbranch_execz .LBB25_41
; %bb.40:
	v_add_nc_u32_e32 v8, s2, v18
	v_add_nc_u32_e32 v18, 0x100, v18
	s_clause 0x1
	global_load_b64 v[6:7], v8, s[8:9] scale_offset
	global_load_b64 v[12:13], v8, s[6:7] scale_offset
	s_wait_loadcnt 0x1
	s_wait_xcnt 0x0
	v_sub_nc_u64_e32 v[8:9], 0, v[6:7]
	s_delay_alu instid0(VALU_DEP_1)
	v_max_i64 v[6:7], v[6:7], v[8:9]
.LBB25_41:
	s_or_b32 exec_lo, exec_lo, s1
	v_mov_b64_e32 v[8:9], 0
	s_mov_b32 s1, exec_lo
	v_cmpx_gt_i32_e64 s12, v18
	s_cbranch_execnz .LBB25_44
; %bb.42:
	s_or_b32 exec_lo, exec_lo, s1
	s_and_saveexec_b32 s3, s0
	s_cbranch_execnz .LBB25_45
.LBB25_43:
	s_or_b32 exec_lo, exec_lo, s3
	s_delay_alu instid0(SALU_CYCLE_1)
	s_mov_b32 s3, exec_lo
	v_cmpx_gt_i32_e64 s12, v22
	s_cbranch_execnz .LBB25_54
	s_branch .LBB25_63
.LBB25_44:
	v_add_nc_u32_e32 v18, s2, v18
	s_clause 0x1
	global_load_b64 v[8:9], v18, s[8:9] scale_offset
	global_load_b64 v[10:11], v18, s[6:7] scale_offset
	s_wait_loadcnt 0x1
	s_wait_xcnt 0x0
	v_sub_nc_u64_e32 v[18:19], 0, v[8:9]
	s_delay_alu instid0(VALU_DEP_1)
	v_max_i64 v[8:9], v[8:9], v[18:19]
	s_or_b32 exec_lo, exec_lo, s1
	s_and_saveexec_b32 s3, s0
	s_cbranch_execz .LBB25_43
.LBB25_45:
	s_mov_b32 s6, exec_lo
	s_wait_loadcnt 0x0
	v_cmpx_ne_u64_e32 0, v[16:17]
	s_cbranch_execz .LBB25_53
; %bb.46:
	v_sub_nc_u64_e32 v[18:19], 0, v[16:17]
	s_mov_b32 s7, 0
	s_delay_alu instid0(VALU_DEP_1)
	v_max_i64 v[20:21], v[16:17], v[18:19]
	v_mov_b32_e32 v16, 0
	s_branch .LBB25_48
.LBB25_47:                              ;   in Loop: Header=BB25_48 Depth=1
	s_or_b32 exec_lo, exec_lo, s1
	s_delay_alu instid0(VALU_DEP_1) | instskip(SKIP_2) | instid1(SALU_CYCLE_1)
	v_cmp_eq_u64_e32 vcc_lo, 0, v[20:21]
	v_mov_b64_e32 v[2:3], v[18:19]
	s_or_b32 s7, vcc_lo, s7
	s_and_not1_b32 exec_lo, exec_lo, s7
	s_cbranch_execz .LBB25_52
.LBB25_48:                              ; =>This Inner Loop Header: Depth=1
	s_delay_alu instid0(VALU_DEP_2) | instskip(SKIP_1) | instid1(VALU_DEP_1)
	v_mov_b64_e32 v[18:19], v[20:21]
                                        ; implicit-def: $vgpr20_vgpr21
	s_mov_b32 s1, exec_lo
	v_or_b32_e32 v17, v3, v19
	s_delay_alu instid0(VALU_DEP_1)
	v_cmpx_ne_u64_e32 0, v[16:17]
	s_xor_b32 s8, exec_lo, s1
	s_cbranch_execz .LBB25_50
; %bb.49:                               ;   in Loop: Header=BB25_48 Depth=1
	s_delay_alu instid0(VALU_DEP_3) | instskip(SKIP_3) | instid1(VALU_DEP_3)
	v_cvt_f32_u32_e32 v17, v18
	v_cvt_f32_u32_e32 v20, v19
	v_sub_nc_u64_e32 v[24:25], 0, v[18:19]
	v_dual_mov_b32 v31, v16 :: v_dual_mov_b32 v33, v16
	v_fmac_f32_e32 v17, 0x4f800000, v20
	s_delay_alu instid0(VALU_DEP_1) | instskip(SKIP_1) | instid1(TRANS32_DEP_1)
	v_rcp_f32_e32 v17, v17
	v_nop
	v_mul_f32_e32 v17, 0x5f7ffffc, v17
	s_delay_alu instid0(VALU_DEP_1) | instskip(NEXT) | instid1(VALU_DEP_1)
	v_mul_f32_e32 v20, 0x2f800000, v17
	v_trunc_f32_e32 v21, v20
	s_delay_alu instid0(VALU_DEP_1) | instskip(SKIP_1) | instid1(VALU_DEP_2)
	v_cvt_u32_f32_e32 v27, v21
	v_fmac_f32_e32 v17, 0xcf800000, v21
	v_dual_mov_b32 v21, v16 :: v_dual_mov_b32 v32, v27
	s_delay_alu instid0(VALU_DEP_2) | instskip(NEXT) | instid1(VALU_DEP_1)
	v_cvt_u32_f32_e32 v20, v17
	v_mov_b32_e32 v26, v20
	s_delay_alu instid0(VALU_DEP_1) | instskip(NEXT) | instid1(VALU_DEP_1)
	v_mul_u64_e32 v[28:29], v[24:25], v[26:27]
	v_dual_mov_b32 v30, v29 :: v_dual_mov_b32 v29, v16
	s_delay_alu instid0(VALU_DEP_1) | instskip(NEXT) | instid1(VALU_DEP_2)
	v_mul_u64_e32 v[34:35], v[20:21], v[30:31]
	v_mul_u64_e32 v[36:37], v[32:33], v[28:29]
	;; [unrolled: 1-line block ×3, first 2 shown]
	v_mul_hi_u32 v28, v20, v28
	s_delay_alu instid0(VALU_DEP_1) | instskip(NEXT) | instid1(VALU_DEP_1)
	v_add_nc_u64_e32 v[28:29], v[28:29], v[34:35]
	v_add_co_u32 v17, vcc_lo, v28, v36
	s_delay_alu instid0(VALU_DEP_2) | instskip(SKIP_1) | instid1(VALU_DEP_1)
	v_add_co_ci_u32_e32 v32, vcc_lo, v29, v37, vcc_lo
	v_add_co_ci_u32_e32 v31, vcc_lo, 0, v31, vcc_lo
	v_add_nc_u64_e32 v[28:29], v[32:33], v[30:31]
	s_delay_alu instid0(VALU_DEP_1) | instskip(NEXT) | instid1(VALU_DEP_1)
	v_add_co_u32 v20, vcc_lo, v20, v28
	v_add_co_ci_u32_e64 v26, null, v27, v29, vcc_lo
	v_dual_mov_b32 v29, v16 :: v_dual_mov_b32 v27, v16
	s_delay_alu instid0(VALU_DEP_2) | instskip(NEXT) | instid1(VALU_DEP_1)
	v_mov_b32_e32 v21, v26
	v_mul_u64_e32 v[24:25], v[24:25], v[20:21]
	s_delay_alu instid0(VALU_DEP_1) | instskip(NEXT) | instid1(VALU_DEP_2)
	v_dual_mov_b32 v21, v16 :: v_dual_mov_b32 v28, v25
	v_dual_mov_b32 v32, v24 :: v_dual_mov_b32 v25, v16
	v_mul_hi_u32 v24, v20, v24
	s_delay_alu instid0(VALU_DEP_3) | instskip(NEXT) | instid1(VALU_DEP_3)
	v_mul_u64_e32 v[30:31], v[20:21], v[28:29]
	v_mul_u64_e32 v[32:33], v[26:27], v[32:33]
	v_mul_u64_e32 v[28:29], v[26:27], v[28:29]
	s_delay_alu instid0(VALU_DEP_3) | instskip(SKIP_1) | instid1(VALU_DEP_2)
	v_add_nc_u64_e32 v[24:25], v[24:25], v[30:31]
	v_mov_b32_e32 v31, v16
	v_add_co_u32 v17, vcc_lo, v24, v32
	s_delay_alu instid0(VALU_DEP_3) | instskip(SKIP_1) | instid1(VALU_DEP_1)
	v_add_co_ci_u32_e32 v30, vcc_lo, v25, v33, vcc_lo
	v_add_co_ci_u32_e32 v29, vcc_lo, 0, v29, vcc_lo
	v_add_nc_u64_e32 v[24:25], v[30:31], v[28:29]
	v_dual_mov_b32 v28, v2 :: v_dual_mov_b32 v29, v16
	s_delay_alu instid0(VALU_DEP_2) | instskip(NEXT) | instid1(VALU_DEP_1)
	v_add_co_u32 v24, vcc_lo, v20, v24
	v_add_co_ci_u32_e64 v20, null, v26, v25, vcc_lo
	v_dual_mov_b32 v26, v3 :: v_dual_mov_b32 v25, v16
	s_delay_alu instid0(VALU_DEP_2) | instskip(NEXT) | instid1(VALU_DEP_2)
	v_mul_u64_e32 v[28:29], v[28:29], v[20:21]
	v_mul_u64_e32 v[20:21], v[26:27], v[20:21]
	s_delay_alu instid0(VALU_DEP_3) | instskip(SKIP_1) | instid1(VALU_DEP_1)
	v_mul_u64_e32 v[30:31], v[26:27], v[24:25]
	v_mul_hi_u32 v24, v2, v24
	v_add_nc_u64_e32 v[24:25], v[24:25], v[28:29]
	s_delay_alu instid0(VALU_DEP_1) | instskip(NEXT) | instid1(VALU_DEP_2)
	v_add_co_u32 v17, vcc_lo, v24, v30
	v_add_co_ci_u32_e32 v26, vcc_lo, v25, v31, vcc_lo
	v_add_co_ci_u32_e32 v21, vcc_lo, 0, v21, vcc_lo
	s_delay_alu instid0(VALU_DEP_1) | instskip(NEXT) | instid1(VALU_DEP_1)
	v_add_nc_u64_e32 v[20:21], v[26:27], v[20:21]
	v_mul_u64_e32 v[20:21], v[18:19], v[20:21]
	s_delay_alu instid0(VALU_DEP_1) | instskip(NEXT) | instid1(VALU_DEP_2)
	v_sub_nc_u32_e32 v17, v3, v21
	v_sub_co_u32 v2, vcc_lo, v2, v20
	s_delay_alu instid0(VALU_DEP_1) | instskip(NEXT) | instid1(VALU_DEP_3)
	v_sub_co_ci_u32_e64 v3, null, v3, v21, vcc_lo
	v_sub_co_ci_u32_e64 v17, null, v17, v19, vcc_lo
	s_delay_alu instid0(VALU_DEP_3) | instskip(SKIP_1) | instid1(VALU_DEP_3)
	v_sub_co_u32 v20, vcc_lo, v2, v18
	v_cmp_ge_u32_e64 s1, v2, v18
	v_subrev_co_ci_u32_e64 v21, null, 0, v17, vcc_lo
	v_sub_co_ci_u32_e64 v17, null, v17, v19, vcc_lo
	s_delay_alu instid0(VALU_DEP_3) | instskip(SKIP_2) | instid1(VALU_DEP_2)
	v_cndmask_b32_e64 v23, 0, -1, s1
	v_cmp_ge_u32_e64 s1, v20, v18
	v_cmp_ge_u32_e32 vcc_lo, v3, v19
	v_cndmask_b32_e64 v24, 0, -1, s1
	v_cmp_ge_u32_e64 s1, v21, v19
	v_cndmask_b32_e64 v26, 0, -1, vcc_lo
	v_cmp_eq_u32_e32 vcc_lo, v21, v19
	s_delay_alu instid0(VALU_DEP_3) | instskip(SKIP_1) | instid1(VALU_DEP_1)
	v_cndmask_b32_e64 v25, 0, -1, s1
	v_cmp_eq_u32_e64 s1, v3, v19
	v_dual_cndmask_b32 v24, v25, v24, vcc_lo :: v_dual_cndmask_b32 v23, v26, v23, s1
	v_sub_co_u32 v25, vcc_lo, v20, v18
	s_delay_alu instid0(VALU_DEP_1) | instskip(NEXT) | instid1(VALU_DEP_3)
	v_subrev_co_ci_u32_e64 v17, null, 0, v17, vcc_lo
	v_cmp_ne_u32_e32 vcc_lo, 0, v24
	s_delay_alu instid0(VALU_DEP_3) | instskip(NEXT) | instid1(VALU_DEP_3)
	v_cndmask_b32_e32 v20, v20, v25, vcc_lo
	v_cndmask_b32_e32 v17, v21, v17, vcc_lo
	v_cmp_ne_u32_e32 vcc_lo, 0, v23
	s_delay_alu instid0(VALU_DEP_2)
	v_dual_cndmask_b32 v20, v2, v20 :: v_dual_cndmask_b32 v21, v3, v17
                                        ; implicit-def: $vgpr2_vgpr3
.LBB25_50:                              ;   in Loop: Header=BB25_48 Depth=1
	s_and_not1_saveexec_b32 s1, s8
	s_cbranch_execz .LBB25_47
; %bb.51:                               ;   in Loop: Header=BB25_48 Depth=1
	v_cvt_f32_u32_e32 v3, v18
	v_dual_sub_nc_u32 v17, 0, v18 :: v_dual_mov_b32 v21, v16
	s_delay_alu instid0(VALU_DEP_2) | instskip(SKIP_1) | instid1(TRANS32_DEP_1)
	v_rcp_iflag_f32_e32 v3, v3
	v_nop
	v_mul_f32_e32 v3, 0x4f7ffffe, v3
	s_delay_alu instid0(VALU_DEP_1) | instskip(NEXT) | instid1(VALU_DEP_1)
	v_cvt_u32_f32_e32 v3, v3
	v_mul_lo_u32 v17, v17, v3
	s_delay_alu instid0(VALU_DEP_1) | instskip(NEXT) | instid1(VALU_DEP_1)
	v_mul_hi_u32 v17, v3, v17
	v_add_nc_u32_e32 v3, v3, v17
	s_delay_alu instid0(VALU_DEP_1) | instskip(NEXT) | instid1(VALU_DEP_1)
	v_mul_hi_u32 v3, v2, v3
	v_mul_lo_u32 v3, v3, v18
	s_delay_alu instid0(VALU_DEP_1) | instskip(NEXT) | instid1(VALU_DEP_1)
	v_sub_nc_u32_e32 v2, v2, v3
	v_sub_nc_u32_e32 v3, v2, v18
	v_cmp_ge_u32_e32 vcc_lo, v2, v18
	s_delay_alu instid0(VALU_DEP_2) | instskip(NEXT) | instid1(VALU_DEP_1)
	v_cndmask_b32_e32 v2, v2, v3, vcc_lo
	v_sub_nc_u32_e32 v3, v2, v18
	v_cmp_ge_u32_e32 vcc_lo, v2, v18
	s_delay_alu instid0(VALU_DEP_2)
	v_cndmask_b32_e32 v20, v2, v3, vcc_lo
	s_branch .LBB25_47
.LBB25_52:
	s_or_b32 exec_lo, exec_lo, s7
	v_mov_b64_e32 v[2:3], v[18:19]
.LBB25_53:
	s_or_b32 exec_lo, exec_lo, s6
	s_delay_alu instid0(SALU_CYCLE_1) | instskip(NEXT) | instid1(SALU_CYCLE_1)
	s_or_b32 exec_lo, exec_lo, s3
	s_mov_b32 s3, exec_lo
	v_cmpx_gt_i32_e64 s12, v22
	s_cbranch_execz .LBB25_63
.LBB25_54:
	s_mov_b32 s6, exec_lo
	s_wait_loadcnt 0x0
	v_cmpx_ne_u64_e32 0, v[14:15]
	s_cbranch_execz .LBB25_62
; %bb.55:
	v_sub_nc_u64_e32 v[16:17], 0, v[14:15]
	s_mov_b32 s7, 0
	s_delay_alu instid0(VALU_DEP_1)
	v_max_i64 v[18:19], v[14:15], v[16:17]
	v_mov_b32_e32 v14, 0
	s_branch .LBB25_57
.LBB25_56:                              ;   in Loop: Header=BB25_57 Depth=1
	s_or_b32 exec_lo, exec_lo, s1
	s_delay_alu instid0(VALU_DEP_1) | instskip(SKIP_2) | instid1(SALU_CYCLE_1)
	v_cmp_eq_u64_e32 vcc_lo, 0, v[18:19]
	v_mov_b64_e32 v[4:5], v[16:17]
	s_or_b32 s7, vcc_lo, s7
	s_and_not1_b32 exec_lo, exec_lo, s7
	s_cbranch_execz .LBB25_61
.LBB25_57:                              ; =>This Inner Loop Header: Depth=1
	s_delay_alu instid0(VALU_DEP_2) | instskip(SKIP_1) | instid1(VALU_DEP_1)
	v_mov_b64_e32 v[16:17], v[18:19]
                                        ; implicit-def: $vgpr18_vgpr19
	s_mov_b32 s1, exec_lo
	v_or_b32_e32 v15, v5, v17
	s_delay_alu instid0(VALU_DEP_1)
	v_cmpx_ne_u64_e32 0, v[14:15]
	s_xor_b32 s8, exec_lo, s1
	s_cbranch_execz .LBB25_59
; %bb.58:                               ;   in Loop: Header=BB25_57 Depth=1
	s_delay_alu instid0(VALU_DEP_3) | instskip(SKIP_3) | instid1(VALU_DEP_3)
	v_cvt_f32_u32_e32 v15, v16
	v_cvt_f32_u32_e32 v18, v17
	v_sub_nc_u64_e32 v[20:21], 0, v[16:17]
	v_dual_mov_b32 v29, v14 :: v_dual_mov_b32 v31, v14
	v_fmac_f32_e32 v15, 0x4f800000, v18
	s_delay_alu instid0(VALU_DEP_1) | instskip(SKIP_1) | instid1(TRANS32_DEP_1)
	v_rcp_f32_e32 v15, v15
	v_nop
	v_mul_f32_e32 v15, 0x5f7ffffc, v15
	s_delay_alu instid0(VALU_DEP_1) | instskip(NEXT) | instid1(VALU_DEP_1)
	v_mul_f32_e32 v18, 0x2f800000, v15
	v_trunc_f32_e32 v19, v18
	s_delay_alu instid0(VALU_DEP_1) | instskip(SKIP_1) | instid1(VALU_DEP_2)
	v_cvt_u32_f32_e32 v25, v19
	v_fmac_f32_e32 v15, 0xcf800000, v19
	v_dual_mov_b32 v19, v14 :: v_dual_mov_b32 v30, v25
	s_delay_alu instid0(VALU_DEP_2) | instskip(NEXT) | instid1(VALU_DEP_1)
	v_cvt_u32_f32_e32 v18, v15
	v_mov_b32_e32 v24, v18
	s_delay_alu instid0(VALU_DEP_1) | instskip(NEXT) | instid1(VALU_DEP_1)
	v_mul_u64_e32 v[26:27], v[20:21], v[24:25]
	v_dual_mov_b32 v28, v27 :: v_dual_mov_b32 v27, v14
	s_delay_alu instid0(VALU_DEP_1) | instskip(NEXT) | instid1(VALU_DEP_2)
	v_mul_u64_e32 v[32:33], v[18:19], v[28:29]
	v_mul_u64_e32 v[34:35], v[30:31], v[26:27]
	;; [unrolled: 1-line block ×3, first 2 shown]
	v_mul_hi_u32 v26, v18, v26
	s_delay_alu instid0(VALU_DEP_1) | instskip(NEXT) | instid1(VALU_DEP_1)
	v_add_nc_u64_e32 v[26:27], v[26:27], v[32:33]
	v_add_co_u32 v15, vcc_lo, v26, v34
	s_delay_alu instid0(VALU_DEP_2) | instskip(SKIP_1) | instid1(VALU_DEP_1)
	v_add_co_ci_u32_e32 v30, vcc_lo, v27, v35, vcc_lo
	v_add_co_ci_u32_e32 v29, vcc_lo, 0, v29, vcc_lo
	v_add_nc_u64_e32 v[26:27], v[30:31], v[28:29]
	s_delay_alu instid0(VALU_DEP_1) | instskip(NEXT) | instid1(VALU_DEP_1)
	v_add_co_u32 v18, vcc_lo, v18, v26
	v_add_co_ci_u32_e64 v24, null, v25, v27, vcc_lo
	v_dual_mov_b32 v27, v14 :: v_dual_mov_b32 v25, v14
	s_delay_alu instid0(VALU_DEP_2) | instskip(NEXT) | instid1(VALU_DEP_1)
	v_mov_b32_e32 v19, v24
	v_mul_u64_e32 v[20:21], v[20:21], v[18:19]
	s_delay_alu instid0(VALU_DEP_1) | instskip(NEXT) | instid1(VALU_DEP_2)
	v_dual_mov_b32 v19, v14 :: v_dual_mov_b32 v26, v21
	v_dual_mov_b32 v30, v20 :: v_dual_mov_b32 v21, v14
	v_mul_hi_u32 v20, v18, v20
	s_delay_alu instid0(VALU_DEP_3) | instskip(NEXT) | instid1(VALU_DEP_3)
	v_mul_u64_e32 v[28:29], v[18:19], v[26:27]
	v_mul_u64_e32 v[30:31], v[24:25], v[30:31]
	;; [unrolled: 1-line block ×3, first 2 shown]
	s_delay_alu instid0(VALU_DEP_3) | instskip(SKIP_1) | instid1(VALU_DEP_2)
	v_add_nc_u64_e32 v[20:21], v[20:21], v[28:29]
	v_mov_b32_e32 v29, v14
	v_add_co_u32 v15, vcc_lo, v20, v30
	s_delay_alu instid0(VALU_DEP_3) | instskip(SKIP_1) | instid1(VALU_DEP_1)
	v_add_co_ci_u32_e32 v28, vcc_lo, v21, v31, vcc_lo
	v_add_co_ci_u32_e32 v27, vcc_lo, 0, v27, vcc_lo
	v_add_nc_u64_e32 v[20:21], v[28:29], v[26:27]
	v_dual_mov_b32 v26, v4 :: v_dual_mov_b32 v27, v14
	s_delay_alu instid0(VALU_DEP_2) | instskip(NEXT) | instid1(VALU_DEP_1)
	v_add_co_u32 v20, vcc_lo, v18, v20
	v_add_co_ci_u32_e64 v18, null, v24, v21, vcc_lo
	v_dual_mov_b32 v24, v5 :: v_dual_mov_b32 v21, v14
	s_delay_alu instid0(VALU_DEP_2) | instskip(NEXT) | instid1(VALU_DEP_2)
	v_mul_u64_e32 v[26:27], v[26:27], v[18:19]
	v_mul_u64_e32 v[18:19], v[24:25], v[18:19]
	s_delay_alu instid0(VALU_DEP_3) | instskip(SKIP_1) | instid1(VALU_DEP_1)
	v_mul_u64_e32 v[28:29], v[24:25], v[20:21]
	v_mul_hi_u32 v20, v4, v20
	v_add_nc_u64_e32 v[20:21], v[20:21], v[26:27]
	s_delay_alu instid0(VALU_DEP_1) | instskip(NEXT) | instid1(VALU_DEP_2)
	v_add_co_u32 v15, vcc_lo, v20, v28
	v_add_co_ci_u32_e32 v24, vcc_lo, v21, v29, vcc_lo
	v_add_co_ci_u32_e32 v19, vcc_lo, 0, v19, vcc_lo
	s_delay_alu instid0(VALU_DEP_1) | instskip(NEXT) | instid1(VALU_DEP_1)
	v_add_nc_u64_e32 v[18:19], v[24:25], v[18:19]
	v_mul_u64_e32 v[18:19], v[16:17], v[18:19]
	s_delay_alu instid0(VALU_DEP_1) | instskip(NEXT) | instid1(VALU_DEP_2)
	v_sub_nc_u32_e32 v15, v5, v19
	v_sub_co_u32 v4, vcc_lo, v4, v18
	s_delay_alu instid0(VALU_DEP_1) | instskip(NEXT) | instid1(VALU_DEP_3)
	v_sub_co_ci_u32_e64 v5, null, v5, v19, vcc_lo
	v_sub_co_ci_u32_e64 v15, null, v15, v17, vcc_lo
	s_delay_alu instid0(VALU_DEP_3) | instskip(SKIP_1) | instid1(VALU_DEP_3)
	v_sub_co_u32 v18, vcc_lo, v4, v16
	v_cmp_ge_u32_e64 s1, v4, v16
	v_subrev_co_ci_u32_e64 v19, null, 0, v15, vcc_lo
	v_sub_co_ci_u32_e64 v15, null, v15, v17, vcc_lo
	s_delay_alu instid0(VALU_DEP_3) | instskip(SKIP_2) | instid1(VALU_DEP_2)
	v_cndmask_b32_e64 v20, 0, -1, s1
	v_cmp_ge_u32_e64 s1, v18, v16
	v_cmp_ge_u32_e32 vcc_lo, v5, v17
	v_cndmask_b32_e64 v21, 0, -1, s1
	v_cmp_ge_u32_e64 s1, v19, v17
	v_cndmask_b32_e64 v24, 0, -1, vcc_lo
	v_cmp_eq_u32_e32 vcc_lo, v19, v17
	s_delay_alu instid0(VALU_DEP_3) | instskip(SKIP_1) | instid1(VALU_DEP_1)
	v_cndmask_b32_e64 v23, 0, -1, s1
	v_cmp_eq_u32_e64 s1, v5, v17
	v_dual_cndmask_b32 v21, v23, v21, vcc_lo :: v_dual_cndmask_b32 v20, v24, v20, s1
	v_sub_co_u32 v23, vcc_lo, v18, v16
	s_delay_alu instid0(VALU_DEP_1) | instskip(NEXT) | instid1(VALU_DEP_3)
	v_subrev_co_ci_u32_e64 v15, null, 0, v15, vcc_lo
	v_cmp_ne_u32_e32 vcc_lo, 0, v21
	s_delay_alu instid0(VALU_DEP_3) | instskip(NEXT) | instid1(VALU_DEP_3)
	v_cndmask_b32_e32 v18, v18, v23, vcc_lo
	v_cndmask_b32_e32 v15, v19, v15, vcc_lo
	v_cmp_ne_u32_e32 vcc_lo, 0, v20
	s_delay_alu instid0(VALU_DEP_2)
	v_dual_cndmask_b32 v18, v4, v18 :: v_dual_cndmask_b32 v19, v5, v15
                                        ; implicit-def: $vgpr4_vgpr5
.LBB25_59:                              ;   in Loop: Header=BB25_57 Depth=1
	s_and_not1_saveexec_b32 s1, s8
	s_cbranch_execz .LBB25_56
; %bb.60:                               ;   in Loop: Header=BB25_57 Depth=1
	v_cvt_f32_u32_e32 v5, v16
	v_dual_sub_nc_u32 v15, 0, v16 :: v_dual_mov_b32 v19, v14
	s_delay_alu instid0(VALU_DEP_2) | instskip(SKIP_1) | instid1(TRANS32_DEP_1)
	v_rcp_iflag_f32_e32 v5, v5
	v_nop
	v_mul_f32_e32 v5, 0x4f7ffffe, v5
	s_delay_alu instid0(VALU_DEP_1) | instskip(NEXT) | instid1(VALU_DEP_1)
	v_cvt_u32_f32_e32 v5, v5
	v_mul_lo_u32 v15, v15, v5
	s_delay_alu instid0(VALU_DEP_1) | instskip(NEXT) | instid1(VALU_DEP_1)
	v_mul_hi_u32 v15, v5, v15
	v_add_nc_u32_e32 v5, v5, v15
	s_delay_alu instid0(VALU_DEP_1) | instskip(NEXT) | instid1(VALU_DEP_1)
	v_mul_hi_u32 v5, v4, v5
	v_mul_lo_u32 v5, v5, v16
	s_delay_alu instid0(VALU_DEP_1) | instskip(NEXT) | instid1(VALU_DEP_1)
	v_sub_nc_u32_e32 v4, v4, v5
	v_sub_nc_u32_e32 v5, v4, v16
	v_cmp_ge_u32_e32 vcc_lo, v4, v16
	s_delay_alu instid0(VALU_DEP_2) | instskip(NEXT) | instid1(VALU_DEP_1)
	v_cndmask_b32_e32 v4, v4, v5, vcc_lo
	v_sub_nc_u32_e32 v5, v4, v16
	v_cmp_ge_u32_e32 vcc_lo, v4, v16
	s_delay_alu instid0(VALU_DEP_2)
	v_cndmask_b32_e32 v18, v4, v5, vcc_lo
	s_branch .LBB25_56
.LBB25_61:
	s_or_b32 exec_lo, exec_lo, s7
	v_mov_b64_e32 v[4:5], v[16:17]
.LBB25_62:
	s_or_b32 exec_lo, exec_lo, s6
.LBB25_63:
	s_delay_alu instid0(SALU_CYCLE_1) | instskip(SKIP_3) | instid1(VALU_DEP_1)
	s_or_b32 exec_lo, exec_lo, s3
	s_wait_loadcnt 0x0
	v_or_b32_e32 v14, 0x200, v0
	s_mov_b32 s3, exec_lo
	v_cmpx_gt_i32_e64 s12, v14
	s_cbranch_execz .LBB25_73
; %bb.64:
	s_mov_b32 s6, exec_lo
	v_cmpx_ne_u64_e32 0, v[12:13]
	s_cbranch_execz .LBB25_72
; %bb.65:
	v_sub_nc_u64_e32 v[14:15], 0, v[12:13]
	s_mov_b32 s7, 0
	s_delay_alu instid0(VALU_DEP_1)
	v_max_i64 v[16:17], v[12:13], v[14:15]
	v_mov_b32_e32 v12, 0
	s_branch .LBB25_67
.LBB25_66:                              ;   in Loop: Header=BB25_67 Depth=1
	s_or_b32 exec_lo, exec_lo, s1
	s_delay_alu instid0(VALU_DEP_1) | instskip(SKIP_2) | instid1(SALU_CYCLE_1)
	v_cmp_eq_u64_e32 vcc_lo, 0, v[16:17]
	v_mov_b64_e32 v[6:7], v[14:15]
	s_or_b32 s7, vcc_lo, s7
	s_and_not1_b32 exec_lo, exec_lo, s7
	s_cbranch_execz .LBB25_71
.LBB25_67:                              ; =>This Inner Loop Header: Depth=1
	s_delay_alu instid0(VALU_DEP_2) | instskip(SKIP_1) | instid1(VALU_DEP_1)
	v_mov_b64_e32 v[14:15], v[16:17]
                                        ; implicit-def: $vgpr16_vgpr17
	s_mov_b32 s1, exec_lo
	v_or_b32_e32 v13, v7, v15
	s_delay_alu instid0(VALU_DEP_1)
	v_cmpx_ne_u64_e32 0, v[12:13]
	s_xor_b32 s8, exec_lo, s1
	s_cbranch_execz .LBB25_69
; %bb.68:                               ;   in Loop: Header=BB25_67 Depth=1
	s_delay_alu instid0(VALU_DEP_3) | instskip(SKIP_3) | instid1(VALU_DEP_3)
	v_cvt_f32_u32_e32 v13, v14
	v_cvt_f32_u32_e32 v16, v15
	v_sub_nc_u64_e32 v[18:19], 0, v[14:15]
	v_dual_mov_b32 v27, v12 :: v_dual_mov_b32 v29, v12
	v_fmac_f32_e32 v13, 0x4f800000, v16
	s_delay_alu instid0(VALU_DEP_1) | instskip(SKIP_1) | instid1(TRANS32_DEP_1)
	v_rcp_f32_e32 v13, v13
	v_nop
	v_mul_f32_e32 v13, 0x5f7ffffc, v13
	s_delay_alu instid0(VALU_DEP_1) | instskip(NEXT) | instid1(VALU_DEP_1)
	v_mul_f32_e32 v16, 0x2f800000, v13
	v_trunc_f32_e32 v17, v16
	s_delay_alu instid0(VALU_DEP_1) | instskip(SKIP_1) | instid1(VALU_DEP_2)
	v_cvt_u32_f32_e32 v21, v17
	v_fmac_f32_e32 v13, 0xcf800000, v17
	v_dual_mov_b32 v17, v12 :: v_dual_mov_b32 v28, v21
	s_delay_alu instid0(VALU_DEP_2) | instskip(NEXT) | instid1(VALU_DEP_1)
	v_cvt_u32_f32_e32 v16, v13
	v_mov_b32_e32 v20, v16
	s_delay_alu instid0(VALU_DEP_1) | instskip(NEXT) | instid1(VALU_DEP_1)
	v_mul_u64_e32 v[24:25], v[18:19], v[20:21]
	v_dual_mov_b32 v26, v25 :: v_dual_mov_b32 v25, v12
	s_delay_alu instid0(VALU_DEP_1) | instskip(NEXT) | instid1(VALU_DEP_2)
	v_mul_u64_e32 v[30:31], v[16:17], v[26:27]
	v_mul_u64_e32 v[32:33], v[28:29], v[24:25]
	;; [unrolled: 1-line block ×3, first 2 shown]
	v_mul_hi_u32 v24, v16, v24
	s_delay_alu instid0(VALU_DEP_1) | instskip(NEXT) | instid1(VALU_DEP_1)
	v_add_nc_u64_e32 v[24:25], v[24:25], v[30:31]
	v_add_co_u32 v13, vcc_lo, v24, v32
	s_delay_alu instid0(VALU_DEP_2) | instskip(SKIP_1) | instid1(VALU_DEP_1)
	v_add_co_ci_u32_e32 v28, vcc_lo, v25, v33, vcc_lo
	v_add_co_ci_u32_e32 v27, vcc_lo, 0, v27, vcc_lo
	v_add_nc_u64_e32 v[24:25], v[28:29], v[26:27]
	s_delay_alu instid0(VALU_DEP_1) | instskip(NEXT) | instid1(VALU_DEP_1)
	v_add_co_u32 v16, vcc_lo, v16, v24
	v_add_co_ci_u32_e64 v20, null, v21, v25, vcc_lo
	v_dual_mov_b32 v25, v12 :: v_dual_mov_b32 v21, v12
	s_delay_alu instid0(VALU_DEP_2) | instskip(NEXT) | instid1(VALU_DEP_1)
	v_mov_b32_e32 v17, v20
	v_mul_u64_e32 v[18:19], v[18:19], v[16:17]
	s_delay_alu instid0(VALU_DEP_1) | instskip(NEXT) | instid1(VALU_DEP_2)
	v_dual_mov_b32 v17, v12 :: v_dual_mov_b32 v24, v19
	v_dual_mov_b32 v28, v18 :: v_dual_mov_b32 v19, v12
	v_mul_hi_u32 v18, v16, v18
	s_delay_alu instid0(VALU_DEP_3) | instskip(NEXT) | instid1(VALU_DEP_3)
	v_mul_u64_e32 v[26:27], v[16:17], v[24:25]
	v_mul_u64_e32 v[28:29], v[20:21], v[28:29]
	;; [unrolled: 1-line block ×3, first 2 shown]
	s_delay_alu instid0(VALU_DEP_3) | instskip(SKIP_1) | instid1(VALU_DEP_2)
	v_add_nc_u64_e32 v[18:19], v[18:19], v[26:27]
	v_mov_b32_e32 v27, v12
	v_add_co_u32 v13, vcc_lo, v18, v28
	s_delay_alu instid0(VALU_DEP_3) | instskip(SKIP_1) | instid1(VALU_DEP_1)
	v_add_co_ci_u32_e32 v26, vcc_lo, v19, v29, vcc_lo
	v_add_co_ci_u32_e32 v25, vcc_lo, 0, v25, vcc_lo
	v_add_nc_u64_e32 v[18:19], v[26:27], v[24:25]
	v_dual_mov_b32 v24, v6 :: v_dual_mov_b32 v25, v12
	s_delay_alu instid0(VALU_DEP_2) | instskip(NEXT) | instid1(VALU_DEP_1)
	v_add_co_u32 v18, vcc_lo, v16, v18
	v_add_co_ci_u32_e64 v16, null, v20, v19, vcc_lo
	v_dual_mov_b32 v20, v7 :: v_dual_mov_b32 v19, v12
	s_delay_alu instid0(VALU_DEP_2) | instskip(NEXT) | instid1(VALU_DEP_2)
	v_mul_u64_e32 v[24:25], v[24:25], v[16:17]
	v_mul_u64_e32 v[16:17], v[20:21], v[16:17]
	s_delay_alu instid0(VALU_DEP_3) | instskip(SKIP_1) | instid1(VALU_DEP_1)
	v_mul_u64_e32 v[26:27], v[20:21], v[18:19]
	v_mul_hi_u32 v18, v6, v18
	v_add_nc_u64_e32 v[18:19], v[18:19], v[24:25]
	s_delay_alu instid0(VALU_DEP_1) | instskip(NEXT) | instid1(VALU_DEP_2)
	v_add_co_u32 v13, vcc_lo, v18, v26
	v_add_co_ci_u32_e32 v20, vcc_lo, v19, v27, vcc_lo
	v_add_co_ci_u32_e32 v17, vcc_lo, 0, v17, vcc_lo
	s_delay_alu instid0(VALU_DEP_1) | instskip(NEXT) | instid1(VALU_DEP_1)
	v_add_nc_u64_e32 v[16:17], v[20:21], v[16:17]
	v_mul_u64_e32 v[16:17], v[14:15], v[16:17]
	s_delay_alu instid0(VALU_DEP_1) | instskip(NEXT) | instid1(VALU_DEP_2)
	v_sub_nc_u32_e32 v13, v7, v17
	v_sub_co_u32 v6, vcc_lo, v6, v16
	s_delay_alu instid0(VALU_DEP_1) | instskip(NEXT) | instid1(VALU_DEP_3)
	v_sub_co_ci_u32_e64 v7, null, v7, v17, vcc_lo
	v_sub_co_ci_u32_e64 v13, null, v13, v15, vcc_lo
	s_delay_alu instid0(VALU_DEP_3) | instskip(SKIP_1) | instid1(VALU_DEP_3)
	v_sub_co_u32 v16, vcc_lo, v6, v14
	v_cmp_ge_u32_e64 s1, v6, v14
	v_subrev_co_ci_u32_e64 v17, null, 0, v13, vcc_lo
	v_sub_co_ci_u32_e64 v13, null, v13, v15, vcc_lo
	s_delay_alu instid0(VALU_DEP_3) | instskip(SKIP_2) | instid1(VALU_DEP_2)
	v_cndmask_b32_e64 v18, 0, -1, s1
	v_cmp_ge_u32_e64 s1, v16, v14
	v_cmp_ge_u32_e32 vcc_lo, v7, v15
	v_cndmask_b32_e64 v19, 0, -1, s1
	v_cmp_ge_u32_e64 s1, v17, v15
	v_cndmask_b32_e64 v21, 0, -1, vcc_lo
	v_cmp_eq_u32_e32 vcc_lo, v17, v15
	s_delay_alu instid0(VALU_DEP_3) | instskip(SKIP_1) | instid1(VALU_DEP_1)
	v_cndmask_b32_e64 v20, 0, -1, s1
	v_cmp_eq_u32_e64 s1, v7, v15
	v_dual_cndmask_b32 v19, v20, v19, vcc_lo :: v_dual_cndmask_b32 v18, v21, v18, s1
	v_sub_co_u32 v20, vcc_lo, v16, v14
	s_delay_alu instid0(VALU_DEP_1) | instskip(NEXT) | instid1(VALU_DEP_3)
	v_subrev_co_ci_u32_e64 v13, null, 0, v13, vcc_lo
	v_cmp_ne_u32_e32 vcc_lo, 0, v19
	s_delay_alu instid0(VALU_DEP_2) | instskip(SKIP_1) | instid1(VALU_DEP_2)
	v_dual_cndmask_b32 v13, v17, v13 :: v_dual_cndmask_b32 v16, v16, v20
	v_cmp_ne_u32_e32 vcc_lo, 0, v18
	v_dual_cndmask_b32 v17, v7, v13 :: v_dual_cndmask_b32 v16, v6, v16
                                        ; implicit-def: $vgpr6_vgpr7
.LBB25_69:                              ;   in Loop: Header=BB25_67 Depth=1
	s_and_not1_saveexec_b32 s1, s8
	s_cbranch_execz .LBB25_66
; %bb.70:                               ;   in Loop: Header=BB25_67 Depth=1
	v_cvt_f32_u32_e32 v7, v14
	v_dual_sub_nc_u32 v13, 0, v14 :: v_dual_mov_b32 v17, v12
	s_delay_alu instid0(VALU_DEP_2) | instskip(SKIP_1) | instid1(TRANS32_DEP_1)
	v_rcp_iflag_f32_e32 v7, v7
	v_nop
	v_mul_f32_e32 v7, 0x4f7ffffe, v7
	s_delay_alu instid0(VALU_DEP_1) | instskip(NEXT) | instid1(VALU_DEP_1)
	v_cvt_u32_f32_e32 v7, v7
	v_mul_lo_u32 v13, v13, v7
	s_delay_alu instid0(VALU_DEP_1) | instskip(NEXT) | instid1(VALU_DEP_1)
	v_mul_hi_u32 v13, v7, v13
	v_add_nc_u32_e32 v7, v7, v13
	s_delay_alu instid0(VALU_DEP_1) | instskip(NEXT) | instid1(VALU_DEP_1)
	v_mul_hi_u32 v7, v6, v7
	v_mul_lo_u32 v7, v7, v14
	s_delay_alu instid0(VALU_DEP_1) | instskip(NEXT) | instid1(VALU_DEP_1)
	v_sub_nc_u32_e32 v6, v6, v7
	v_sub_nc_u32_e32 v7, v6, v14
	v_cmp_ge_u32_e32 vcc_lo, v6, v14
	s_delay_alu instid0(VALU_DEP_2) | instskip(NEXT) | instid1(VALU_DEP_1)
	v_cndmask_b32_e32 v6, v6, v7, vcc_lo
	v_sub_nc_u32_e32 v7, v6, v14
	v_cmp_ge_u32_e32 vcc_lo, v6, v14
	s_delay_alu instid0(VALU_DEP_2)
	v_cndmask_b32_e32 v16, v6, v7, vcc_lo
	s_branch .LBB25_66
.LBB25_71:
	s_or_b32 exec_lo, exec_lo, s7
	v_mov_b64_e32 v[6:7], v[14:15]
.LBB25_72:
	s_or_b32 exec_lo, exec_lo, s6
.LBB25_73:
	s_delay_alu instid0(SALU_CYCLE_1) | instskip(SKIP_2) | instid1(VALU_DEP_1)
	s_or_b32 exec_lo, exec_lo, s3
	v_or_b32_e32 v12, 0x300, v0
	s_mov_b32 s3, exec_lo
	v_cmpx_gt_i32_e64 s12, v12
	s_cbranch_execnz .LBB25_80
; %bb.74:
	s_or_b32 exec_lo, exec_lo, s3
	s_and_saveexec_b32 s1, s0
	s_delay_alu instid0(SALU_CYCLE_1)
	s_xor_b32 s0, exec_lo, s1
	s_cbranch_execnz .LBB25_89
.LBB25_75:
	s_or_b32 exec_lo, exec_lo, s0
	s_delay_alu instid0(SALU_CYCLE_1)
	s_mov_b32 s0, exec_lo
	v_cmpx_gt_i32_e64 s12, v0
	s_cbranch_execnz .LBB25_90
.LBB25_76:
	s_or_b32 exec_lo, exec_lo, s0
	s_delay_alu instid0(SALU_CYCLE_1)
	s_mov_b32 s0, exec_lo
	v_cmpx_gt_i32_e64 s12, v0
	s_cbranch_execnz .LBB25_91
.LBB25_77:
	s_or_b32 exec_lo, exec_lo, s0
	s_delay_alu instid0(SALU_CYCLE_1)
	s_mov_b32 s0, exec_lo
	v_cmpx_gt_i32_e64 s12, v0
	s_cbranch_execz .LBB25_79
.LBB25_78:
	v_add_nc_u32_e32 v0, s2, v0
	global_store_b64 v0, v[8:9], s[4:5] scale_offset
.LBB25_79:
	s_endpgm
.LBB25_80:
	s_mov_b32 s6, exec_lo
	v_cmpx_ne_u64_e32 0, v[10:11]
	s_cbranch_execz .LBB25_88
; %bb.81:
	v_sub_nc_u64_e32 v[12:13], 0, v[10:11]
	s_mov_b32 s7, 0
	s_delay_alu instid0(VALU_DEP_1)
	v_max_i64 v[14:15], v[10:11], v[12:13]
	v_mov_b32_e32 v10, 0
	s_branch .LBB25_83
.LBB25_82:                              ;   in Loop: Header=BB25_83 Depth=1
	s_or_b32 exec_lo, exec_lo, s1
	s_delay_alu instid0(VALU_DEP_1) | instskip(SKIP_2) | instid1(SALU_CYCLE_1)
	v_cmp_eq_u64_e32 vcc_lo, 0, v[14:15]
	v_mov_b64_e32 v[8:9], v[12:13]
	s_or_b32 s7, vcc_lo, s7
	s_and_not1_b32 exec_lo, exec_lo, s7
	s_cbranch_execz .LBB25_87
.LBB25_83:                              ; =>This Inner Loop Header: Depth=1
	s_delay_alu instid0(VALU_DEP_2) | instskip(SKIP_1) | instid1(VALU_DEP_1)
	v_mov_b64_e32 v[12:13], v[14:15]
                                        ; implicit-def: $vgpr14_vgpr15
	s_mov_b32 s1, exec_lo
	v_or_b32_e32 v11, v9, v13
	s_delay_alu instid0(VALU_DEP_1)
	v_cmpx_ne_u64_e32 0, v[10:11]
	s_xor_b32 s8, exec_lo, s1
	s_cbranch_execz .LBB25_85
; %bb.84:                               ;   in Loop: Header=BB25_83 Depth=1
	s_delay_alu instid0(VALU_DEP_3) | instskip(SKIP_3) | instid1(VALU_DEP_3)
	v_cvt_f32_u32_e32 v11, v12
	v_cvt_f32_u32_e32 v14, v13
	v_sub_nc_u64_e32 v[16:17], 0, v[12:13]
	v_dual_mov_b32 v25, v10 :: v_dual_mov_b32 v27, v10
	v_fmac_f32_e32 v11, 0x4f800000, v14
	s_delay_alu instid0(VALU_DEP_1) | instskip(SKIP_1) | instid1(TRANS32_DEP_1)
	v_rcp_f32_e32 v11, v11
	v_nop
	v_mul_f32_e32 v11, 0x5f7ffffc, v11
	s_delay_alu instid0(VALU_DEP_1) | instskip(NEXT) | instid1(VALU_DEP_1)
	v_mul_f32_e32 v14, 0x2f800000, v11
	v_trunc_f32_e32 v15, v14
	s_delay_alu instid0(VALU_DEP_1) | instskip(SKIP_1) | instid1(VALU_DEP_2)
	v_cvt_u32_f32_e32 v19, v15
	v_fmac_f32_e32 v11, 0xcf800000, v15
	v_dual_mov_b32 v15, v10 :: v_dual_mov_b32 v26, v19
	s_delay_alu instid0(VALU_DEP_2) | instskip(NEXT) | instid1(VALU_DEP_1)
	v_cvt_u32_f32_e32 v14, v11
	v_mov_b32_e32 v18, v14
	s_delay_alu instid0(VALU_DEP_1) | instskip(NEXT) | instid1(VALU_DEP_1)
	v_mul_u64_e32 v[20:21], v[16:17], v[18:19]
	v_dual_mov_b32 v24, v21 :: v_dual_mov_b32 v21, v10
	s_delay_alu instid0(VALU_DEP_1) | instskip(NEXT) | instid1(VALU_DEP_2)
	v_mul_u64_e32 v[28:29], v[14:15], v[24:25]
	v_mul_u64_e32 v[30:31], v[26:27], v[20:21]
	;; [unrolled: 1-line block ×3, first 2 shown]
	v_mul_hi_u32 v20, v14, v20
	s_delay_alu instid0(VALU_DEP_1) | instskip(NEXT) | instid1(VALU_DEP_1)
	v_add_nc_u64_e32 v[20:21], v[20:21], v[28:29]
	v_add_co_u32 v11, vcc_lo, v20, v30
	s_delay_alu instid0(VALU_DEP_2) | instskip(SKIP_1) | instid1(VALU_DEP_1)
	v_add_co_ci_u32_e32 v26, vcc_lo, v21, v31, vcc_lo
	v_add_co_ci_u32_e32 v25, vcc_lo, 0, v25, vcc_lo
	v_add_nc_u64_e32 v[20:21], v[26:27], v[24:25]
	s_delay_alu instid0(VALU_DEP_1) | instskip(NEXT) | instid1(VALU_DEP_1)
	v_add_co_u32 v14, vcc_lo, v14, v20
	v_add_co_ci_u32_e64 v18, null, v19, v21, vcc_lo
	v_dual_mov_b32 v21, v10 :: v_dual_mov_b32 v19, v10
	s_delay_alu instid0(VALU_DEP_2) | instskip(NEXT) | instid1(VALU_DEP_1)
	v_mov_b32_e32 v15, v18
	v_mul_u64_e32 v[16:17], v[16:17], v[14:15]
	s_delay_alu instid0(VALU_DEP_1) | instskip(NEXT) | instid1(VALU_DEP_2)
	v_dual_mov_b32 v15, v10 :: v_dual_mov_b32 v20, v17
	v_dual_mov_b32 v26, v16 :: v_dual_mov_b32 v17, v10
	v_mul_hi_u32 v16, v14, v16
	s_delay_alu instid0(VALU_DEP_3) | instskip(NEXT) | instid1(VALU_DEP_3)
	v_mul_u64_e32 v[24:25], v[14:15], v[20:21]
	v_mul_u64_e32 v[26:27], v[18:19], v[26:27]
	v_mul_u64_e32 v[20:21], v[18:19], v[20:21]
	s_delay_alu instid0(VALU_DEP_3) | instskip(SKIP_1) | instid1(VALU_DEP_2)
	v_add_nc_u64_e32 v[16:17], v[16:17], v[24:25]
	v_mov_b32_e32 v25, v10
	v_add_co_u32 v11, vcc_lo, v16, v26
	s_delay_alu instid0(VALU_DEP_3) | instskip(SKIP_1) | instid1(VALU_DEP_1)
	v_add_co_ci_u32_e32 v24, vcc_lo, v17, v27, vcc_lo
	v_add_co_ci_u32_e32 v21, vcc_lo, 0, v21, vcc_lo
	v_add_nc_u64_e32 v[16:17], v[24:25], v[20:21]
	v_dual_mov_b32 v20, v8 :: v_dual_mov_b32 v21, v10
	s_delay_alu instid0(VALU_DEP_2) | instskip(NEXT) | instid1(VALU_DEP_1)
	v_add_co_u32 v16, vcc_lo, v14, v16
	v_add_co_ci_u32_e64 v14, null, v18, v17, vcc_lo
	v_dual_mov_b32 v18, v9 :: v_dual_mov_b32 v17, v10
	s_delay_alu instid0(VALU_DEP_2) | instskip(NEXT) | instid1(VALU_DEP_2)
	v_mul_u64_e32 v[20:21], v[20:21], v[14:15]
	v_mul_u64_e32 v[14:15], v[18:19], v[14:15]
	s_delay_alu instid0(VALU_DEP_3) | instskip(SKIP_1) | instid1(VALU_DEP_1)
	v_mul_u64_e32 v[24:25], v[18:19], v[16:17]
	v_mul_hi_u32 v16, v8, v16
	v_add_nc_u64_e32 v[16:17], v[16:17], v[20:21]
	s_delay_alu instid0(VALU_DEP_1) | instskip(NEXT) | instid1(VALU_DEP_2)
	v_add_co_u32 v11, vcc_lo, v16, v24
	v_add_co_ci_u32_e32 v18, vcc_lo, v17, v25, vcc_lo
	v_add_co_ci_u32_e32 v15, vcc_lo, 0, v15, vcc_lo
	s_delay_alu instid0(VALU_DEP_1) | instskip(NEXT) | instid1(VALU_DEP_1)
	v_add_nc_u64_e32 v[14:15], v[18:19], v[14:15]
	v_mul_u64_e32 v[14:15], v[12:13], v[14:15]
	s_delay_alu instid0(VALU_DEP_1) | instskip(NEXT) | instid1(VALU_DEP_2)
	v_sub_nc_u32_e32 v11, v9, v15
	v_sub_co_u32 v8, vcc_lo, v8, v14
	s_delay_alu instid0(VALU_DEP_1) | instskip(NEXT) | instid1(VALU_DEP_3)
	v_sub_co_ci_u32_e64 v9, null, v9, v15, vcc_lo
	v_sub_co_ci_u32_e64 v11, null, v11, v13, vcc_lo
	s_delay_alu instid0(VALU_DEP_3) | instskip(SKIP_1) | instid1(VALU_DEP_3)
	v_sub_co_u32 v14, vcc_lo, v8, v12
	v_cmp_ge_u32_e64 s1, v8, v12
	v_subrev_co_ci_u32_e64 v15, null, 0, v11, vcc_lo
	v_sub_co_ci_u32_e64 v11, null, v11, v13, vcc_lo
	s_delay_alu instid0(VALU_DEP_3) | instskip(SKIP_2) | instid1(VALU_DEP_2)
	v_cndmask_b32_e64 v16, 0, -1, s1
	v_cmp_ge_u32_e64 s1, v14, v12
	v_cmp_ge_u32_e32 vcc_lo, v9, v13
	v_cndmask_b32_e64 v17, 0, -1, s1
	v_cmp_ge_u32_e64 s1, v15, v13
	v_cndmask_b32_e64 v19, 0, -1, vcc_lo
	v_cmp_eq_u32_e32 vcc_lo, v15, v13
	s_delay_alu instid0(VALU_DEP_3) | instskip(SKIP_1) | instid1(VALU_DEP_1)
	v_cndmask_b32_e64 v18, 0, -1, s1
	v_cmp_eq_u32_e64 s1, v9, v13
	v_dual_cndmask_b32 v17, v18, v17, vcc_lo :: v_dual_cndmask_b32 v16, v19, v16, s1
	v_sub_co_u32 v18, vcc_lo, v14, v12
	s_delay_alu instid0(VALU_DEP_1) | instskip(NEXT) | instid1(VALU_DEP_3)
	v_subrev_co_ci_u32_e64 v11, null, 0, v11, vcc_lo
	v_cmp_ne_u32_e32 vcc_lo, 0, v17
	s_delay_alu instid0(VALU_DEP_2) | instskip(SKIP_1) | instid1(VALU_DEP_2)
	v_dual_cndmask_b32 v11, v15, v11 :: v_dual_cndmask_b32 v14, v14, v18
	v_cmp_ne_u32_e32 vcc_lo, 0, v16
	v_dual_cndmask_b32 v15, v9, v11 :: v_dual_cndmask_b32 v14, v8, v14
                                        ; implicit-def: $vgpr8_vgpr9
.LBB25_85:                              ;   in Loop: Header=BB25_83 Depth=1
	s_and_not1_saveexec_b32 s1, s8
	s_cbranch_execz .LBB25_82
; %bb.86:                               ;   in Loop: Header=BB25_83 Depth=1
	v_cvt_f32_u32_e32 v9, v12
	v_dual_sub_nc_u32 v11, 0, v12 :: v_dual_mov_b32 v15, v10
	s_delay_alu instid0(VALU_DEP_2) | instskip(SKIP_1) | instid1(TRANS32_DEP_1)
	v_rcp_iflag_f32_e32 v9, v9
	v_nop
	v_mul_f32_e32 v9, 0x4f7ffffe, v9
	s_delay_alu instid0(VALU_DEP_1) | instskip(NEXT) | instid1(VALU_DEP_1)
	v_cvt_u32_f32_e32 v9, v9
	v_mul_lo_u32 v11, v11, v9
	s_delay_alu instid0(VALU_DEP_1) | instskip(NEXT) | instid1(VALU_DEP_1)
	v_mul_hi_u32 v11, v9, v11
	v_add_nc_u32_e32 v9, v9, v11
	s_delay_alu instid0(VALU_DEP_1) | instskip(NEXT) | instid1(VALU_DEP_1)
	v_mul_hi_u32 v9, v8, v9
	v_mul_lo_u32 v9, v9, v12
	s_delay_alu instid0(VALU_DEP_1) | instskip(NEXT) | instid1(VALU_DEP_1)
	v_sub_nc_u32_e32 v8, v8, v9
	v_sub_nc_u32_e32 v9, v8, v12
	v_cmp_ge_u32_e32 vcc_lo, v8, v12
	s_delay_alu instid0(VALU_DEP_2) | instskip(NEXT) | instid1(VALU_DEP_1)
	v_cndmask_b32_e32 v8, v8, v9, vcc_lo
	v_sub_nc_u32_e32 v9, v8, v12
	v_cmp_ge_u32_e32 vcc_lo, v8, v12
	s_delay_alu instid0(VALU_DEP_2)
	v_cndmask_b32_e32 v14, v8, v9, vcc_lo
	s_branch .LBB25_82
.LBB25_87:
	s_or_b32 exec_lo, exec_lo, s7
	v_mov_b64_e32 v[8:9], v[12:13]
.LBB25_88:
	s_or_b32 exec_lo, exec_lo, s6
	s_delay_alu instid0(SALU_CYCLE_1) | instskip(SKIP_1) | instid1(SALU_CYCLE_1)
	s_or_b32 exec_lo, exec_lo, s3
	s_and_saveexec_b32 s1, s0
	s_xor_b32 s0, exec_lo, s1
	s_cbranch_execz .LBB25_75
.LBB25_89:
	v_mov_b32_e32 v0, v22
	global_store_b64 v1, v[2:3], s[4:5] scale_offset
	s_wait_xcnt 0x0
	s_or_b32 exec_lo, exec_lo, s0
	s_delay_alu instid0(SALU_CYCLE_1)
	s_mov_b32 s0, exec_lo
	v_cmpx_gt_i32_e64 s12, v0
	s_cbranch_execz .LBB25_76
.LBB25_90:
	v_add_nc_u32_e32 v1, s2, v0
	v_add_nc_u32_e32 v0, 0x100, v0
	global_store_b64 v1, v[4:5], s[4:5] scale_offset
	s_wait_xcnt 0x0
	s_or_b32 exec_lo, exec_lo, s0
	s_delay_alu instid0(SALU_CYCLE_1)
	s_mov_b32 s0, exec_lo
	v_cmpx_gt_i32_e64 s12, v0
	s_cbranch_execz .LBB25_77
.LBB25_91:
	v_add_nc_u32_e32 v1, s2, v0
	v_add_nc_u32_e32 v0, 0x100, v0
	global_store_b64 v1, v[6:7], s[4:5] scale_offset
	s_wait_xcnt 0x0
	s_or_b32 exec_lo, exec_lo, s0
	s_delay_alu instid0(SALU_CYCLE_1)
	s_mov_b32 s0, exec_lo
	v_cmpx_gt_i32_e64 s12, v0
	s_cbranch_execnz .LBB25_78
	s_branch .LBB25_79
	.section	.rodata,"a",@progbits
	.p2align	6, 0x0
	.amdhsa_kernel _ZN2at6native29vectorized_elementwise_kernelILi8EZZZNS0_15gcd_kernel_cudaERNS_18TensorIteratorBaseEENKUlvE_clEvENKUlvE2_clEvEUlllE_St5arrayIPcLm3EEEEviT0_T1_
		.amdhsa_group_segment_fixed_size 0
		.amdhsa_private_segment_fixed_size 0
		.amdhsa_kernarg_size 32
		.amdhsa_user_sgpr_count 2
		.amdhsa_user_sgpr_dispatch_ptr 0
		.amdhsa_user_sgpr_queue_ptr 0
		.amdhsa_user_sgpr_kernarg_segment_ptr 1
		.amdhsa_user_sgpr_dispatch_id 0
		.amdhsa_user_sgpr_kernarg_preload_length 0
		.amdhsa_user_sgpr_kernarg_preload_offset 0
		.amdhsa_user_sgpr_private_segment_size 0
		.amdhsa_wavefront_size32 1
		.amdhsa_uses_dynamic_stack 0
		.amdhsa_enable_private_segment 0
		.amdhsa_system_sgpr_workgroup_id_x 1
		.amdhsa_system_sgpr_workgroup_id_y 0
		.amdhsa_system_sgpr_workgroup_id_z 0
		.amdhsa_system_sgpr_workgroup_info 0
		.amdhsa_system_vgpr_workitem_id 0
		.amdhsa_next_free_vgpr 38
		.amdhsa_next_free_sgpr 16
		.amdhsa_named_barrier_count 0
		.amdhsa_reserve_vcc 1
		.amdhsa_float_round_mode_32 0
		.amdhsa_float_round_mode_16_64 0
		.amdhsa_float_denorm_mode_32 3
		.amdhsa_float_denorm_mode_16_64 3
		.amdhsa_fp16_overflow 0
		.amdhsa_memory_ordered 1
		.amdhsa_forward_progress 1
		.amdhsa_inst_pref_size 63
		.amdhsa_round_robin_scheduling 0
		.amdhsa_exception_fp_ieee_invalid_op 0
		.amdhsa_exception_fp_denorm_src 0
		.amdhsa_exception_fp_ieee_div_zero 0
		.amdhsa_exception_fp_ieee_overflow 0
		.amdhsa_exception_fp_ieee_underflow 0
		.amdhsa_exception_fp_ieee_inexact 0
		.amdhsa_exception_int_div_zero 0
	.end_amdhsa_kernel
	.section	.text._ZN2at6native29vectorized_elementwise_kernelILi8EZZZNS0_15gcd_kernel_cudaERNS_18TensorIteratorBaseEENKUlvE_clEvENKUlvE2_clEvEUlllE_St5arrayIPcLm3EEEEviT0_T1_,"axG",@progbits,_ZN2at6native29vectorized_elementwise_kernelILi8EZZZNS0_15gcd_kernel_cudaERNS_18TensorIteratorBaseEENKUlvE_clEvENKUlvE2_clEvEUlllE_St5arrayIPcLm3EEEEviT0_T1_,comdat
.Lfunc_end25:
	.size	_ZN2at6native29vectorized_elementwise_kernelILi8EZZZNS0_15gcd_kernel_cudaERNS_18TensorIteratorBaseEENKUlvE_clEvENKUlvE2_clEvEUlllE_St5arrayIPcLm3EEEEviT0_T1_, .Lfunc_end25-_ZN2at6native29vectorized_elementwise_kernelILi8EZZZNS0_15gcd_kernel_cudaERNS_18TensorIteratorBaseEENKUlvE_clEvENKUlvE2_clEvEUlllE_St5arrayIPcLm3EEEEviT0_T1_
                                        ; -- End function
	.set _ZN2at6native29vectorized_elementwise_kernelILi8EZZZNS0_15gcd_kernel_cudaERNS_18TensorIteratorBaseEENKUlvE_clEvENKUlvE2_clEvEUlllE_St5arrayIPcLm3EEEEviT0_T1_.num_vgpr, 38
	.set _ZN2at6native29vectorized_elementwise_kernelILi8EZZZNS0_15gcd_kernel_cudaERNS_18TensorIteratorBaseEENKUlvE_clEvENKUlvE2_clEvEUlllE_St5arrayIPcLm3EEEEviT0_T1_.num_agpr, 0
	.set _ZN2at6native29vectorized_elementwise_kernelILi8EZZZNS0_15gcd_kernel_cudaERNS_18TensorIteratorBaseEENKUlvE_clEvENKUlvE2_clEvEUlllE_St5arrayIPcLm3EEEEviT0_T1_.numbered_sgpr, 16
	.set _ZN2at6native29vectorized_elementwise_kernelILi8EZZZNS0_15gcd_kernel_cudaERNS_18TensorIteratorBaseEENKUlvE_clEvENKUlvE2_clEvEUlllE_St5arrayIPcLm3EEEEviT0_T1_.num_named_barrier, 0
	.set _ZN2at6native29vectorized_elementwise_kernelILi8EZZZNS0_15gcd_kernel_cudaERNS_18TensorIteratorBaseEENKUlvE_clEvENKUlvE2_clEvEUlllE_St5arrayIPcLm3EEEEviT0_T1_.private_seg_size, 0
	.set _ZN2at6native29vectorized_elementwise_kernelILi8EZZZNS0_15gcd_kernel_cudaERNS_18TensorIteratorBaseEENKUlvE_clEvENKUlvE2_clEvEUlllE_St5arrayIPcLm3EEEEviT0_T1_.uses_vcc, 1
	.set _ZN2at6native29vectorized_elementwise_kernelILi8EZZZNS0_15gcd_kernel_cudaERNS_18TensorIteratorBaseEENKUlvE_clEvENKUlvE2_clEvEUlllE_St5arrayIPcLm3EEEEviT0_T1_.uses_flat_scratch, 0
	.set _ZN2at6native29vectorized_elementwise_kernelILi8EZZZNS0_15gcd_kernel_cudaERNS_18TensorIteratorBaseEENKUlvE_clEvENKUlvE2_clEvEUlllE_St5arrayIPcLm3EEEEviT0_T1_.has_dyn_sized_stack, 0
	.set _ZN2at6native29vectorized_elementwise_kernelILi8EZZZNS0_15gcd_kernel_cudaERNS_18TensorIteratorBaseEENKUlvE_clEvENKUlvE2_clEvEUlllE_St5arrayIPcLm3EEEEviT0_T1_.has_recursion, 0
	.set _ZN2at6native29vectorized_elementwise_kernelILi8EZZZNS0_15gcd_kernel_cudaERNS_18TensorIteratorBaseEENKUlvE_clEvENKUlvE2_clEvEUlllE_St5arrayIPcLm3EEEEviT0_T1_.has_indirect_call, 0
	.section	.AMDGPU.csdata,"",@progbits
; Kernel info:
; codeLenInByte = 8004
; TotalNumSgprs: 18
; NumVgprs: 38
; ScratchSize: 0
; MemoryBound: 1
; FloatMode: 240
; IeeeMode: 1
; LDSByteSize: 0 bytes/workgroup (compile time only)
; SGPRBlocks: 0
; VGPRBlocks: 2
; NumSGPRsForWavesPerEU: 18
; NumVGPRsForWavesPerEU: 38
; NamedBarCnt: 0
; Occupancy: 16
; WaveLimiterHint : 0
; COMPUTE_PGM_RSRC2:SCRATCH_EN: 0
; COMPUTE_PGM_RSRC2:USER_SGPR: 2
; COMPUTE_PGM_RSRC2:TRAP_HANDLER: 0
; COMPUTE_PGM_RSRC2:TGID_X_EN: 1
; COMPUTE_PGM_RSRC2:TGID_Y_EN: 0
; COMPUTE_PGM_RSRC2:TGID_Z_EN: 0
; COMPUTE_PGM_RSRC2:TIDIG_COMP_CNT: 0
	.section	.text._ZN2at6native29vectorized_elementwise_kernelILi4EZZZNS0_15gcd_kernel_cudaERNS_18TensorIteratorBaseEENKUlvE_clEvENKUlvE2_clEvEUlllE_St5arrayIPcLm3EEEEviT0_T1_,"axG",@progbits,_ZN2at6native29vectorized_elementwise_kernelILi4EZZZNS0_15gcd_kernel_cudaERNS_18TensorIteratorBaseEENKUlvE_clEvENKUlvE2_clEvEUlllE_St5arrayIPcLm3EEEEviT0_T1_,comdat
	.globl	_ZN2at6native29vectorized_elementwise_kernelILi4EZZZNS0_15gcd_kernel_cudaERNS_18TensorIteratorBaseEENKUlvE_clEvENKUlvE2_clEvEUlllE_St5arrayIPcLm3EEEEviT0_T1_ ; -- Begin function _ZN2at6native29vectorized_elementwise_kernelILi4EZZZNS0_15gcd_kernel_cudaERNS_18TensorIteratorBaseEENKUlvE_clEvENKUlvE2_clEvEUlllE_St5arrayIPcLm3EEEEviT0_T1_
	.p2align	8
	.type	_ZN2at6native29vectorized_elementwise_kernelILi4EZZZNS0_15gcd_kernel_cudaERNS_18TensorIteratorBaseEENKUlvE_clEvENKUlvE2_clEvEUlllE_St5arrayIPcLm3EEEEviT0_T1_,@function
_ZN2at6native29vectorized_elementwise_kernelILi4EZZZNS0_15gcd_kernel_cudaERNS_18TensorIteratorBaseEENKUlvE_clEvENKUlvE2_clEvEUlllE_St5arrayIPcLm3EEEEviT0_T1_: ; @_ZN2at6native29vectorized_elementwise_kernelILi4EZZZNS0_15gcd_kernel_cudaERNS_18TensorIteratorBaseEENKUlvE_clEvENKUlvE2_clEvEUlllE_St5arrayIPcLm3EEEEviT0_T1_
; %bb.0:
	s_clause 0x2
	s_load_b32 s3, s[0:1], 0x0
	s_load_b128 s[4:7], s[0:1], 0x8
	s_load_b64 s[8:9], s[0:1], 0x18
	s_wait_xcnt 0x0
	s_bfe_u32 s0, ttmp6, 0x4000c
	s_and_b32 s1, ttmp6, 15
	s_add_co_i32 s0, s0, 1
	s_getreg_b32 s2, hwreg(HW_REG_IB_STS2, 6, 4)
	s_mul_i32 s0, ttmp9, s0
	s_delay_alu instid0(SALU_CYCLE_1) | instskip(SKIP_2) | instid1(SALU_CYCLE_1)
	s_add_co_i32 s1, s1, s0
	s_cmp_eq_u32 s2, 0
	s_cselect_b32 s0, ttmp9, s1
	s_lshl_b32 s2, s0, 10
	s_mov_b32 s0, -1
	s_wait_kmcnt 0x0
	s_sub_co_i32 s12, s3, s2
	s_delay_alu instid0(SALU_CYCLE_1)
	s_cmp_gt_i32 s12, 0x3ff
	s_cbranch_scc0 .LBB26_34
; %bb.1:
	s_ashr_i32 s3, s2, 31
	v_lshlrev_b32_e32 v1, 5, v0
	s_lshl_b64 s[10:11], s[2:3], 3
	s_delay_alu instid0(SALU_CYCLE_1) | instskip(SKIP_4) | instid1(VALU_DEP_1)
	s_add_nc_u64 s[0:1], s[8:9], s[10:11]
	s_add_nc_u64 s[14:15], s[6:7], s[10:11]
	global_load_b128 v[2:5], v1, s[0:1]
	s_wait_loadcnt 0x0
	v_sub_nc_u64_e32 v[18:19], 0, v[2:3]
	v_max_i64 v[2:3], v[2:3], v[18:19]
	v_mov_b32_e32 v18, 0
	s_clause 0x2
	global_load_b128 v[14:17], v1, s[14:15]
	global_load_b128 v[6:9], v1, s[14:15] offset:16
	global_load_b128 v[10:13], v1, s[0:1] offset:16
	s_wait_xcnt 0x0
	s_mov_b32 s1, exec_lo
	s_wait_loadcnt 0x2
	v_cmpx_ne_u64_e32 0, v[14:15]
	s_cbranch_execz .LBB26_9
; %bb.2:
	v_sub_nc_u64_e32 v[20:21], 0, v[14:15]
	s_mov_b32 s3, 0
	s_delay_alu instid0(VALU_DEP_1)
	v_max_i64 v[20:21], v[14:15], v[20:21]
	s_branch .LBB26_4
.LBB26_3:                               ;   in Loop: Header=BB26_4 Depth=1
	s_or_b32 exec_lo, exec_lo, s0
	s_delay_alu instid0(VALU_DEP_1) | instskip(SKIP_2) | instid1(SALU_CYCLE_1)
	v_cmp_eq_u64_e32 vcc_lo, 0, v[20:21]
	v_mov_b64_e32 v[2:3], v[14:15]
	s_or_b32 s3, vcc_lo, s3
	s_and_not1_b32 exec_lo, exec_lo, s3
	s_cbranch_execz .LBB26_8
.LBB26_4:                               ; =>This Inner Loop Header: Depth=1
	s_delay_alu instid0(VALU_DEP_1) | instskip(SKIP_1) | instid1(VALU_DEP_1)
	v_mov_b64_e32 v[14:15], v[20:21]
                                        ; implicit-def: $vgpr20_vgpr21
	s_mov_b32 s0, exec_lo
	v_or_b32_e32 v19, v3, v15
	s_delay_alu instid0(VALU_DEP_1)
	v_cmpx_ne_u64_e32 0, v[18:19]
	s_xor_b32 s13, exec_lo, s0
	s_cbranch_execz .LBB26_6
; %bb.5:                                ;   in Loop: Header=BB26_4 Depth=1
	s_delay_alu instid0(VALU_DEP_3) | instskip(SKIP_3) | instid1(VALU_DEP_3)
	v_cvt_f32_u32_e32 v19, v14
	v_cvt_f32_u32_e32 v20, v15
	v_sub_nc_u64_e32 v[22:23], 0, v[14:15]
	v_dual_mov_b32 v29, v18 :: v_dual_mov_b32 v31, v18
	v_fmac_f32_e32 v19, 0x4f800000, v20
	s_delay_alu instid0(VALU_DEP_1) | instskip(SKIP_1) | instid1(TRANS32_DEP_1)
	v_rcp_f32_e32 v19, v19
	v_nop
	v_mul_f32_e32 v19, 0x5f7ffffc, v19
	s_delay_alu instid0(VALU_DEP_1) | instskip(NEXT) | instid1(VALU_DEP_1)
	v_mul_f32_e32 v20, 0x2f800000, v19
	v_trunc_f32_e32 v21, v20
	s_delay_alu instid0(VALU_DEP_1) | instskip(SKIP_1) | instid1(VALU_DEP_2)
	v_cvt_u32_f32_e32 v25, v21
	v_fmac_f32_e32 v19, 0xcf800000, v21
	v_dual_mov_b32 v21, v18 :: v_dual_mov_b32 v30, v25
	s_delay_alu instid0(VALU_DEP_2) | instskip(NEXT) | instid1(VALU_DEP_1)
	v_cvt_u32_f32_e32 v20, v19
	v_mov_b32_e32 v24, v20
	s_delay_alu instid0(VALU_DEP_1) | instskip(NEXT) | instid1(VALU_DEP_1)
	v_mul_u64_e32 v[26:27], v[22:23], v[24:25]
	v_dual_mov_b32 v28, v27 :: v_dual_mov_b32 v27, v18
	s_delay_alu instid0(VALU_DEP_1) | instskip(NEXT) | instid1(VALU_DEP_2)
	v_mul_u64_e32 v[32:33], v[20:21], v[28:29]
	v_mul_u64_e32 v[34:35], v[30:31], v[26:27]
	;; [unrolled: 1-line block ×3, first 2 shown]
	v_mul_hi_u32 v26, v20, v26
	s_delay_alu instid0(VALU_DEP_1) | instskip(NEXT) | instid1(VALU_DEP_1)
	v_add_nc_u64_e32 v[26:27], v[26:27], v[32:33]
	v_add_co_u32 v19, vcc_lo, v26, v34
	s_delay_alu instid0(VALU_DEP_2) | instskip(SKIP_1) | instid1(VALU_DEP_1)
	v_add_co_ci_u32_e32 v30, vcc_lo, v27, v35, vcc_lo
	v_add_co_ci_u32_e32 v29, vcc_lo, 0, v29, vcc_lo
	v_add_nc_u64_e32 v[26:27], v[30:31], v[28:29]
	s_delay_alu instid0(VALU_DEP_1) | instskip(NEXT) | instid1(VALU_DEP_1)
	v_add_co_u32 v20, vcc_lo, v20, v26
	v_add_co_ci_u32_e64 v24, null, v25, v27, vcc_lo
	v_dual_mov_b32 v27, v18 :: v_dual_mov_b32 v25, v18
	s_delay_alu instid0(VALU_DEP_2) | instskip(NEXT) | instid1(VALU_DEP_1)
	v_mov_b32_e32 v21, v24
	v_mul_u64_e32 v[22:23], v[22:23], v[20:21]
	s_delay_alu instid0(VALU_DEP_1) | instskip(NEXT) | instid1(VALU_DEP_2)
	v_dual_mov_b32 v21, v18 :: v_dual_mov_b32 v26, v23
	v_dual_mov_b32 v30, v22 :: v_dual_mov_b32 v23, v18
	v_mul_hi_u32 v22, v20, v22
	s_delay_alu instid0(VALU_DEP_3) | instskip(NEXT) | instid1(VALU_DEP_3)
	v_mul_u64_e32 v[28:29], v[20:21], v[26:27]
	v_mul_u64_e32 v[30:31], v[24:25], v[30:31]
	;; [unrolled: 1-line block ×3, first 2 shown]
	s_delay_alu instid0(VALU_DEP_3) | instskip(SKIP_1) | instid1(VALU_DEP_2)
	v_add_nc_u64_e32 v[22:23], v[22:23], v[28:29]
	v_mov_b32_e32 v29, v18
	v_add_co_u32 v19, vcc_lo, v22, v30
	s_delay_alu instid0(VALU_DEP_3) | instskip(SKIP_1) | instid1(VALU_DEP_1)
	v_add_co_ci_u32_e32 v28, vcc_lo, v23, v31, vcc_lo
	v_add_co_ci_u32_e32 v27, vcc_lo, 0, v27, vcc_lo
	v_add_nc_u64_e32 v[22:23], v[28:29], v[26:27]
	v_dual_mov_b32 v26, v2 :: v_dual_mov_b32 v27, v18
	s_delay_alu instid0(VALU_DEP_2) | instskip(NEXT) | instid1(VALU_DEP_1)
	v_add_co_u32 v22, vcc_lo, v20, v22
	v_add_co_ci_u32_e64 v20, null, v24, v23, vcc_lo
	v_dual_mov_b32 v24, v3 :: v_dual_mov_b32 v23, v18
	s_delay_alu instid0(VALU_DEP_2) | instskip(NEXT) | instid1(VALU_DEP_2)
	v_mul_u64_e32 v[26:27], v[26:27], v[20:21]
	v_mul_u64_e32 v[20:21], v[24:25], v[20:21]
	s_delay_alu instid0(VALU_DEP_3) | instskip(SKIP_1) | instid1(VALU_DEP_1)
	v_mul_u64_e32 v[28:29], v[24:25], v[22:23]
	v_mul_hi_u32 v22, v2, v22
	v_add_nc_u64_e32 v[22:23], v[22:23], v[26:27]
	s_delay_alu instid0(VALU_DEP_1) | instskip(NEXT) | instid1(VALU_DEP_2)
	v_add_co_u32 v19, vcc_lo, v22, v28
	v_add_co_ci_u32_e32 v24, vcc_lo, v23, v29, vcc_lo
	v_add_co_ci_u32_e32 v21, vcc_lo, 0, v21, vcc_lo
	s_delay_alu instid0(VALU_DEP_1) | instskip(NEXT) | instid1(VALU_DEP_1)
	v_add_nc_u64_e32 v[20:21], v[24:25], v[20:21]
	v_mul_u64_e32 v[20:21], v[14:15], v[20:21]
	s_delay_alu instid0(VALU_DEP_1) | instskip(NEXT) | instid1(VALU_DEP_2)
	v_sub_nc_u32_e32 v19, v3, v21
	v_sub_co_u32 v2, vcc_lo, v2, v20
	s_delay_alu instid0(VALU_DEP_1) | instskip(NEXT) | instid1(VALU_DEP_3)
	v_sub_co_ci_u32_e64 v3, null, v3, v21, vcc_lo
	v_sub_co_ci_u32_e64 v19, null, v19, v15, vcc_lo
	s_delay_alu instid0(VALU_DEP_3) | instskip(SKIP_1) | instid1(VALU_DEP_3)
	v_sub_co_u32 v20, vcc_lo, v2, v14
	v_cmp_ge_u32_e64 s0, v2, v14
	v_subrev_co_ci_u32_e64 v21, null, 0, v19, vcc_lo
	v_sub_co_ci_u32_e64 v19, null, v19, v15, vcc_lo
	s_delay_alu instid0(VALU_DEP_3) | instskip(SKIP_2) | instid1(VALU_DEP_2)
	v_cndmask_b32_e64 v22, 0, -1, s0
	v_cmp_ge_u32_e64 s0, v20, v14
	v_cmp_ge_u32_e32 vcc_lo, v3, v15
	v_cndmask_b32_e64 v23, 0, -1, s0
	v_cmp_ge_u32_e64 s0, v21, v15
	v_cndmask_b32_e64 v25, 0, -1, vcc_lo
	v_cmp_eq_u32_e32 vcc_lo, v21, v15
	s_delay_alu instid0(VALU_DEP_3) | instskip(SKIP_1) | instid1(VALU_DEP_1)
	v_cndmask_b32_e64 v24, 0, -1, s0
	v_cmp_eq_u32_e64 s0, v3, v15
	v_dual_cndmask_b32 v23, v24, v23, vcc_lo :: v_dual_cndmask_b32 v22, v25, v22, s0
	v_sub_co_u32 v24, vcc_lo, v20, v14
	s_delay_alu instid0(VALU_DEP_1) | instskip(NEXT) | instid1(VALU_DEP_3)
	v_subrev_co_ci_u32_e64 v19, null, 0, v19, vcc_lo
	v_cmp_ne_u32_e32 vcc_lo, 0, v23
	s_delay_alu instid0(VALU_DEP_2) | instskip(SKIP_1) | instid1(VALU_DEP_2)
	v_dual_cndmask_b32 v19, v21, v19 :: v_dual_cndmask_b32 v20, v20, v24
	v_cmp_ne_u32_e32 vcc_lo, 0, v22
	v_dual_cndmask_b32 v21, v3, v19 :: v_dual_cndmask_b32 v20, v2, v20
                                        ; implicit-def: $vgpr2_vgpr3
.LBB26_6:                               ;   in Loop: Header=BB26_4 Depth=1
	s_and_not1_saveexec_b32 s0, s13
	s_cbranch_execz .LBB26_3
; %bb.7:                                ;   in Loop: Header=BB26_4 Depth=1
	v_cvt_f32_u32_e32 v3, v14
	v_dual_sub_nc_u32 v19, 0, v14 :: v_dual_mov_b32 v21, v18
	s_delay_alu instid0(VALU_DEP_2) | instskip(SKIP_1) | instid1(TRANS32_DEP_1)
	v_rcp_iflag_f32_e32 v3, v3
	v_nop
	v_mul_f32_e32 v3, 0x4f7ffffe, v3
	s_delay_alu instid0(VALU_DEP_1) | instskip(NEXT) | instid1(VALU_DEP_1)
	v_cvt_u32_f32_e32 v3, v3
	v_mul_lo_u32 v19, v19, v3
	s_delay_alu instid0(VALU_DEP_1) | instskip(NEXT) | instid1(VALU_DEP_1)
	v_mul_hi_u32 v19, v3, v19
	v_add_nc_u32_e32 v3, v3, v19
	s_delay_alu instid0(VALU_DEP_1) | instskip(NEXT) | instid1(VALU_DEP_1)
	v_mul_hi_u32 v3, v2, v3
	v_mul_lo_u32 v3, v3, v14
	s_delay_alu instid0(VALU_DEP_1) | instskip(NEXT) | instid1(VALU_DEP_1)
	v_sub_nc_u32_e32 v2, v2, v3
	v_sub_nc_u32_e32 v3, v2, v14
	v_cmp_ge_u32_e32 vcc_lo, v2, v14
	s_delay_alu instid0(VALU_DEP_2) | instskip(NEXT) | instid1(VALU_DEP_1)
	v_cndmask_b32_e32 v2, v2, v3, vcc_lo
	v_sub_nc_u32_e32 v3, v2, v14
	v_cmp_ge_u32_e32 vcc_lo, v2, v14
	s_delay_alu instid0(VALU_DEP_2)
	v_cndmask_b32_e32 v20, v2, v3, vcc_lo
	s_branch .LBB26_3
.LBB26_8:
	s_or_b32 exec_lo, exec_lo, s3
	v_mov_b64_e32 v[2:3], v[14:15]
.LBB26_9:
	s_or_b32 exec_lo, exec_lo, s1
	v_sub_nc_u64_e32 v[14:15], 0, v[4:5]
	s_mov_b32 s1, exec_lo
	s_delay_alu instid0(VALU_DEP_1)
	v_max_i64 v[4:5], v[4:5], v[14:15]
	v_cmpx_ne_u64_e32 0, v[16:17]
	s_cbranch_execz .LBB26_17
; %bb.10:
	v_sub_nc_u64_e32 v[14:15], 0, v[16:17]
	s_mov_b32 s3, 0
	s_delay_alu instid0(VALU_DEP_1)
	v_max_i64 v[18:19], v[16:17], v[14:15]
	v_mov_b32_e32 v14, 0
	s_branch .LBB26_12
.LBB26_11:                              ;   in Loop: Header=BB26_12 Depth=1
	s_or_b32 exec_lo, exec_lo, s0
	s_delay_alu instid0(VALU_DEP_1) | instskip(SKIP_2) | instid1(SALU_CYCLE_1)
	v_cmp_eq_u64_e32 vcc_lo, 0, v[18:19]
	v_mov_b64_e32 v[4:5], v[16:17]
	s_or_b32 s3, vcc_lo, s3
	s_and_not1_b32 exec_lo, exec_lo, s3
	s_cbranch_execz .LBB26_16
.LBB26_12:                              ; =>This Inner Loop Header: Depth=1
	s_delay_alu instid0(VALU_DEP_2) | instskip(SKIP_1) | instid1(VALU_DEP_1)
	v_mov_b64_e32 v[16:17], v[18:19]
                                        ; implicit-def: $vgpr18_vgpr19
	s_mov_b32 s0, exec_lo
	v_or_b32_e32 v15, v5, v17
	s_delay_alu instid0(VALU_DEP_1)
	v_cmpx_ne_u64_e32 0, v[14:15]
	s_xor_b32 s13, exec_lo, s0
	s_cbranch_execz .LBB26_14
; %bb.13:                               ;   in Loop: Header=BB26_12 Depth=1
	s_delay_alu instid0(VALU_DEP_3) | instskip(SKIP_3) | instid1(VALU_DEP_3)
	v_cvt_f32_u32_e32 v15, v16
	v_cvt_f32_u32_e32 v18, v17
	v_sub_nc_u64_e32 v[20:21], 0, v[16:17]
	v_dual_mov_b32 v27, v14 :: v_dual_mov_b32 v29, v14
	v_fmac_f32_e32 v15, 0x4f800000, v18
	s_delay_alu instid0(VALU_DEP_1) | instskip(SKIP_1) | instid1(TRANS32_DEP_1)
	v_rcp_f32_e32 v15, v15
	v_nop
	v_mul_f32_e32 v15, 0x5f7ffffc, v15
	s_delay_alu instid0(VALU_DEP_1) | instskip(NEXT) | instid1(VALU_DEP_1)
	v_mul_f32_e32 v18, 0x2f800000, v15
	v_trunc_f32_e32 v19, v18
	s_delay_alu instid0(VALU_DEP_1) | instskip(SKIP_1) | instid1(VALU_DEP_2)
	v_cvt_u32_f32_e32 v23, v19
	v_fmac_f32_e32 v15, 0xcf800000, v19
	v_dual_mov_b32 v19, v14 :: v_dual_mov_b32 v28, v23
	s_delay_alu instid0(VALU_DEP_2) | instskip(NEXT) | instid1(VALU_DEP_1)
	v_cvt_u32_f32_e32 v18, v15
	v_mov_b32_e32 v22, v18
	s_delay_alu instid0(VALU_DEP_1) | instskip(NEXT) | instid1(VALU_DEP_1)
	v_mul_u64_e32 v[24:25], v[20:21], v[22:23]
	v_dual_mov_b32 v26, v25 :: v_dual_mov_b32 v25, v14
	s_delay_alu instid0(VALU_DEP_1) | instskip(NEXT) | instid1(VALU_DEP_2)
	v_mul_u64_e32 v[30:31], v[18:19], v[26:27]
	v_mul_u64_e32 v[32:33], v[28:29], v[24:25]
	;; [unrolled: 1-line block ×3, first 2 shown]
	v_mul_hi_u32 v24, v18, v24
	s_delay_alu instid0(VALU_DEP_1) | instskip(NEXT) | instid1(VALU_DEP_1)
	v_add_nc_u64_e32 v[24:25], v[24:25], v[30:31]
	v_add_co_u32 v15, vcc_lo, v24, v32
	s_delay_alu instid0(VALU_DEP_2) | instskip(SKIP_1) | instid1(VALU_DEP_1)
	v_add_co_ci_u32_e32 v28, vcc_lo, v25, v33, vcc_lo
	v_add_co_ci_u32_e32 v27, vcc_lo, 0, v27, vcc_lo
	v_add_nc_u64_e32 v[24:25], v[28:29], v[26:27]
	s_delay_alu instid0(VALU_DEP_1) | instskip(NEXT) | instid1(VALU_DEP_1)
	v_add_co_u32 v18, vcc_lo, v18, v24
	v_add_co_ci_u32_e64 v22, null, v23, v25, vcc_lo
	v_dual_mov_b32 v25, v14 :: v_dual_mov_b32 v23, v14
	s_delay_alu instid0(VALU_DEP_2) | instskip(NEXT) | instid1(VALU_DEP_1)
	v_mov_b32_e32 v19, v22
	v_mul_u64_e32 v[20:21], v[20:21], v[18:19]
	s_delay_alu instid0(VALU_DEP_1) | instskip(NEXT) | instid1(VALU_DEP_2)
	v_dual_mov_b32 v19, v14 :: v_dual_mov_b32 v24, v21
	v_dual_mov_b32 v28, v20 :: v_dual_mov_b32 v21, v14
	v_mul_hi_u32 v20, v18, v20
	s_delay_alu instid0(VALU_DEP_3) | instskip(NEXT) | instid1(VALU_DEP_3)
	v_mul_u64_e32 v[26:27], v[18:19], v[24:25]
	v_mul_u64_e32 v[28:29], v[22:23], v[28:29]
	;; [unrolled: 1-line block ×3, first 2 shown]
	s_delay_alu instid0(VALU_DEP_3) | instskip(SKIP_1) | instid1(VALU_DEP_2)
	v_add_nc_u64_e32 v[20:21], v[20:21], v[26:27]
	v_mov_b32_e32 v27, v14
	v_add_co_u32 v15, vcc_lo, v20, v28
	s_delay_alu instid0(VALU_DEP_3) | instskip(SKIP_1) | instid1(VALU_DEP_1)
	v_add_co_ci_u32_e32 v26, vcc_lo, v21, v29, vcc_lo
	v_add_co_ci_u32_e32 v25, vcc_lo, 0, v25, vcc_lo
	v_add_nc_u64_e32 v[20:21], v[26:27], v[24:25]
	v_dual_mov_b32 v24, v4 :: v_dual_mov_b32 v25, v14
	s_delay_alu instid0(VALU_DEP_2) | instskip(NEXT) | instid1(VALU_DEP_1)
	v_add_co_u32 v20, vcc_lo, v18, v20
	v_add_co_ci_u32_e64 v18, null, v22, v21, vcc_lo
	v_dual_mov_b32 v22, v5 :: v_dual_mov_b32 v21, v14
	s_delay_alu instid0(VALU_DEP_2) | instskip(NEXT) | instid1(VALU_DEP_2)
	v_mul_u64_e32 v[24:25], v[24:25], v[18:19]
	v_mul_u64_e32 v[18:19], v[22:23], v[18:19]
	s_delay_alu instid0(VALU_DEP_3) | instskip(SKIP_1) | instid1(VALU_DEP_1)
	v_mul_u64_e32 v[26:27], v[22:23], v[20:21]
	v_mul_hi_u32 v20, v4, v20
	v_add_nc_u64_e32 v[20:21], v[20:21], v[24:25]
	s_delay_alu instid0(VALU_DEP_1) | instskip(NEXT) | instid1(VALU_DEP_2)
	v_add_co_u32 v15, vcc_lo, v20, v26
	v_add_co_ci_u32_e32 v22, vcc_lo, v21, v27, vcc_lo
	v_add_co_ci_u32_e32 v19, vcc_lo, 0, v19, vcc_lo
	s_delay_alu instid0(VALU_DEP_1) | instskip(NEXT) | instid1(VALU_DEP_1)
	v_add_nc_u64_e32 v[18:19], v[22:23], v[18:19]
	v_mul_u64_e32 v[18:19], v[16:17], v[18:19]
	s_delay_alu instid0(VALU_DEP_1) | instskip(NEXT) | instid1(VALU_DEP_2)
	v_sub_nc_u32_e32 v15, v5, v19
	v_sub_co_u32 v4, vcc_lo, v4, v18
	s_delay_alu instid0(VALU_DEP_1) | instskip(NEXT) | instid1(VALU_DEP_3)
	v_sub_co_ci_u32_e64 v5, null, v5, v19, vcc_lo
	v_sub_co_ci_u32_e64 v15, null, v15, v17, vcc_lo
	s_delay_alu instid0(VALU_DEP_3) | instskip(SKIP_1) | instid1(VALU_DEP_3)
	v_sub_co_u32 v18, vcc_lo, v4, v16
	v_cmp_ge_u32_e64 s0, v4, v16
	v_subrev_co_ci_u32_e64 v19, null, 0, v15, vcc_lo
	v_sub_co_ci_u32_e64 v15, null, v15, v17, vcc_lo
	s_delay_alu instid0(VALU_DEP_3) | instskip(SKIP_2) | instid1(VALU_DEP_2)
	v_cndmask_b32_e64 v20, 0, -1, s0
	v_cmp_ge_u32_e64 s0, v18, v16
	v_cmp_ge_u32_e32 vcc_lo, v5, v17
	v_cndmask_b32_e64 v21, 0, -1, s0
	v_cmp_ge_u32_e64 s0, v19, v17
	v_cndmask_b32_e64 v23, 0, -1, vcc_lo
	v_cmp_eq_u32_e32 vcc_lo, v19, v17
	s_delay_alu instid0(VALU_DEP_3) | instskip(SKIP_1) | instid1(VALU_DEP_1)
	v_cndmask_b32_e64 v22, 0, -1, s0
	v_cmp_eq_u32_e64 s0, v5, v17
	v_dual_cndmask_b32 v21, v22, v21, vcc_lo :: v_dual_cndmask_b32 v20, v23, v20, s0
	v_sub_co_u32 v22, vcc_lo, v18, v16
	s_delay_alu instid0(VALU_DEP_1) | instskip(NEXT) | instid1(VALU_DEP_3)
	v_subrev_co_ci_u32_e64 v15, null, 0, v15, vcc_lo
	v_cmp_ne_u32_e32 vcc_lo, 0, v21
	s_delay_alu instid0(VALU_DEP_2) | instskip(SKIP_1) | instid1(VALU_DEP_2)
	v_dual_cndmask_b32 v15, v19, v15 :: v_dual_cndmask_b32 v18, v18, v22
	v_cmp_ne_u32_e32 vcc_lo, 0, v20
	v_dual_cndmask_b32 v19, v5, v15 :: v_dual_cndmask_b32 v18, v4, v18
.LBB26_14:                              ;   in Loop: Header=BB26_12 Depth=1
	s_and_not1_saveexec_b32 s0, s13
	s_cbranch_execz .LBB26_11
; %bb.15:                               ;   in Loop: Header=BB26_12 Depth=1
	v_cvt_f32_u32_e32 v5, v16
	v_dual_sub_nc_u32 v15, 0, v16 :: v_dual_mov_b32 v19, v14
	s_delay_alu instid0(VALU_DEP_2) | instskip(SKIP_1) | instid1(TRANS32_DEP_1)
	v_rcp_iflag_f32_e32 v5, v5
	v_nop
	v_mul_f32_e32 v5, 0x4f7ffffe, v5
	s_delay_alu instid0(VALU_DEP_1) | instskip(NEXT) | instid1(VALU_DEP_1)
	v_cvt_u32_f32_e32 v5, v5
	v_mul_lo_u32 v15, v15, v5
	s_delay_alu instid0(VALU_DEP_1) | instskip(NEXT) | instid1(VALU_DEP_1)
	v_mul_hi_u32 v15, v5, v15
	v_add_nc_u32_e32 v5, v5, v15
	s_delay_alu instid0(VALU_DEP_1) | instskip(NEXT) | instid1(VALU_DEP_1)
	v_mul_hi_u32 v5, v4, v5
	v_mul_lo_u32 v5, v5, v16
	s_delay_alu instid0(VALU_DEP_1) | instskip(NEXT) | instid1(VALU_DEP_1)
	v_sub_nc_u32_e32 v4, v4, v5
	v_sub_nc_u32_e32 v5, v4, v16
	v_cmp_ge_u32_e32 vcc_lo, v4, v16
	s_delay_alu instid0(VALU_DEP_2) | instskip(NEXT) | instid1(VALU_DEP_1)
	v_cndmask_b32_e32 v4, v4, v5, vcc_lo
	v_sub_nc_u32_e32 v5, v4, v16
	v_cmp_ge_u32_e32 vcc_lo, v4, v16
	s_delay_alu instid0(VALU_DEP_2)
	v_cndmask_b32_e32 v18, v4, v5, vcc_lo
	s_branch .LBB26_11
.LBB26_16:
	s_or_b32 exec_lo, exec_lo, s3
	v_mov_b64_e32 v[4:5], v[16:17]
.LBB26_17:
	s_or_b32 exec_lo, exec_lo, s1
	s_wait_loadcnt 0x0
	v_sub_nc_u64_e32 v[14:15], 0, v[10:11]
	s_mov_b32 s1, exec_lo
	s_delay_alu instid0(VALU_DEP_1)
	v_max_i64 v[10:11], v[10:11], v[14:15]
	v_cmpx_ne_u64_e32 0, v[6:7]
	s_cbranch_execz .LBB26_25
; %bb.18:
	v_sub_nc_u64_e32 v[14:15], 0, v[6:7]
	s_mov_b32 s3, 0
	s_delay_alu instid0(VALU_DEP_1)
	v_max_i64 v[16:17], v[6:7], v[14:15]
	v_mov_b32_e32 v6, 0
	s_branch .LBB26_20
.LBB26_19:                              ;   in Loop: Header=BB26_20 Depth=1
	s_or_b32 exec_lo, exec_lo, s0
	s_delay_alu instid0(VALU_DEP_1) | instskip(SKIP_2) | instid1(SALU_CYCLE_1)
	v_cmp_eq_u64_e32 vcc_lo, 0, v[16:17]
	v_mov_b64_e32 v[10:11], v[14:15]
	s_or_b32 s3, vcc_lo, s3
	s_and_not1_b32 exec_lo, exec_lo, s3
	s_cbranch_execz .LBB26_24
.LBB26_20:                              ; =>This Inner Loop Header: Depth=1
	s_delay_alu instid0(VALU_DEP_2) | instskip(SKIP_1) | instid1(VALU_DEP_1)
	v_mov_b64_e32 v[14:15], v[16:17]
                                        ; implicit-def: $vgpr16_vgpr17
	s_mov_b32 s0, exec_lo
	v_or_b32_e32 v7, v11, v15
	s_delay_alu instid0(VALU_DEP_1)
	v_cmpx_ne_u64_e32 0, v[6:7]
	s_xor_b32 s13, exec_lo, s0
	s_cbranch_execz .LBB26_22
; %bb.21:                               ;   in Loop: Header=BB26_20 Depth=1
	s_delay_alu instid0(VALU_DEP_3) | instskip(SKIP_3) | instid1(VALU_DEP_3)
	v_cvt_f32_u32_e32 v7, v14
	v_cvt_f32_u32_e32 v16, v15
	v_sub_nc_u64_e32 v[18:19], 0, v[14:15]
	v_dual_mov_b32 v25, v6 :: v_dual_mov_b32 v27, v6
	v_fmac_f32_e32 v7, 0x4f800000, v16
	s_delay_alu instid0(VALU_DEP_1) | instskip(SKIP_1) | instid1(TRANS32_DEP_1)
	v_rcp_f32_e32 v7, v7
	v_nop
	v_mul_f32_e32 v7, 0x5f7ffffc, v7
	s_delay_alu instid0(VALU_DEP_1) | instskip(NEXT) | instid1(VALU_DEP_1)
	v_mul_f32_e32 v16, 0x2f800000, v7
	v_trunc_f32_e32 v17, v16
	s_delay_alu instid0(VALU_DEP_1) | instskip(SKIP_1) | instid1(VALU_DEP_2)
	v_cvt_u32_f32_e32 v21, v17
	v_fmac_f32_e32 v7, 0xcf800000, v17
	v_dual_mov_b32 v17, v6 :: v_dual_mov_b32 v26, v21
	s_delay_alu instid0(VALU_DEP_2) | instskip(NEXT) | instid1(VALU_DEP_1)
	v_cvt_u32_f32_e32 v16, v7
	v_mov_b32_e32 v20, v16
	s_delay_alu instid0(VALU_DEP_1) | instskip(NEXT) | instid1(VALU_DEP_1)
	v_mul_u64_e32 v[22:23], v[18:19], v[20:21]
	v_dual_mov_b32 v24, v23 :: v_dual_mov_b32 v23, v6
	s_delay_alu instid0(VALU_DEP_1) | instskip(NEXT) | instid1(VALU_DEP_2)
	v_mul_u64_e32 v[28:29], v[16:17], v[24:25]
	v_mul_u64_e32 v[30:31], v[26:27], v[22:23]
	;; [unrolled: 1-line block ×3, first 2 shown]
	v_mul_hi_u32 v22, v16, v22
	s_delay_alu instid0(VALU_DEP_1) | instskip(NEXT) | instid1(VALU_DEP_1)
	v_add_nc_u64_e32 v[22:23], v[22:23], v[28:29]
	v_add_co_u32 v7, vcc_lo, v22, v30
	s_delay_alu instid0(VALU_DEP_2) | instskip(SKIP_1) | instid1(VALU_DEP_1)
	v_add_co_ci_u32_e32 v26, vcc_lo, v23, v31, vcc_lo
	v_add_co_ci_u32_e32 v25, vcc_lo, 0, v25, vcc_lo
	v_add_nc_u64_e32 v[22:23], v[26:27], v[24:25]
	s_delay_alu instid0(VALU_DEP_1) | instskip(NEXT) | instid1(VALU_DEP_1)
	v_add_co_u32 v16, vcc_lo, v16, v22
	v_add_co_ci_u32_e64 v20, null, v21, v23, vcc_lo
	v_dual_mov_b32 v23, v6 :: v_dual_mov_b32 v21, v6
	s_delay_alu instid0(VALU_DEP_2) | instskip(NEXT) | instid1(VALU_DEP_1)
	v_mov_b32_e32 v17, v20
	v_mul_u64_e32 v[18:19], v[18:19], v[16:17]
	s_delay_alu instid0(VALU_DEP_1) | instskip(NEXT) | instid1(VALU_DEP_2)
	v_dual_mov_b32 v17, v6 :: v_dual_mov_b32 v22, v19
	v_dual_mov_b32 v26, v18 :: v_dual_mov_b32 v19, v6
	v_mul_hi_u32 v18, v16, v18
	s_delay_alu instid0(VALU_DEP_3) | instskip(NEXT) | instid1(VALU_DEP_3)
	v_mul_u64_e32 v[24:25], v[16:17], v[22:23]
	v_mul_u64_e32 v[26:27], v[20:21], v[26:27]
	v_mul_u64_e32 v[22:23], v[20:21], v[22:23]
	s_delay_alu instid0(VALU_DEP_3) | instskip(SKIP_1) | instid1(VALU_DEP_2)
	v_add_nc_u64_e32 v[18:19], v[18:19], v[24:25]
	v_mov_b32_e32 v25, v6
	v_add_co_u32 v7, vcc_lo, v18, v26
	s_delay_alu instid0(VALU_DEP_3) | instskip(SKIP_1) | instid1(VALU_DEP_1)
	v_add_co_ci_u32_e32 v24, vcc_lo, v19, v27, vcc_lo
	v_add_co_ci_u32_e32 v23, vcc_lo, 0, v23, vcc_lo
	v_add_nc_u64_e32 v[18:19], v[24:25], v[22:23]
	v_dual_mov_b32 v22, v10 :: v_dual_mov_b32 v23, v6
	s_delay_alu instid0(VALU_DEP_2) | instskip(NEXT) | instid1(VALU_DEP_1)
	v_add_co_u32 v18, vcc_lo, v16, v18
	v_add_co_ci_u32_e64 v16, null, v20, v19, vcc_lo
	v_dual_mov_b32 v20, v11 :: v_dual_mov_b32 v19, v6
	s_delay_alu instid0(VALU_DEP_2) | instskip(NEXT) | instid1(VALU_DEP_2)
	v_mul_u64_e32 v[22:23], v[22:23], v[16:17]
	v_mul_u64_e32 v[16:17], v[20:21], v[16:17]
	s_delay_alu instid0(VALU_DEP_3) | instskip(SKIP_1) | instid1(VALU_DEP_1)
	v_mul_u64_e32 v[24:25], v[20:21], v[18:19]
	v_mul_hi_u32 v18, v10, v18
	v_add_nc_u64_e32 v[18:19], v[18:19], v[22:23]
	s_delay_alu instid0(VALU_DEP_1) | instskip(NEXT) | instid1(VALU_DEP_2)
	v_add_co_u32 v7, vcc_lo, v18, v24
	v_add_co_ci_u32_e32 v20, vcc_lo, v19, v25, vcc_lo
	v_add_co_ci_u32_e32 v17, vcc_lo, 0, v17, vcc_lo
	s_delay_alu instid0(VALU_DEP_1) | instskip(NEXT) | instid1(VALU_DEP_1)
	v_add_nc_u64_e32 v[16:17], v[20:21], v[16:17]
	v_mul_u64_e32 v[16:17], v[14:15], v[16:17]
	s_delay_alu instid0(VALU_DEP_1) | instskip(NEXT) | instid1(VALU_DEP_2)
	v_sub_nc_u32_e32 v7, v11, v17
	v_sub_co_u32 v10, vcc_lo, v10, v16
	s_delay_alu instid0(VALU_DEP_1) | instskip(NEXT) | instid1(VALU_DEP_3)
	v_sub_co_ci_u32_e64 v11, null, v11, v17, vcc_lo
	v_sub_co_ci_u32_e64 v7, null, v7, v15, vcc_lo
	s_delay_alu instid0(VALU_DEP_3) | instskip(SKIP_1) | instid1(VALU_DEP_3)
	v_sub_co_u32 v16, vcc_lo, v10, v14
	v_cmp_ge_u32_e64 s0, v10, v14
	v_subrev_co_ci_u32_e64 v17, null, 0, v7, vcc_lo
	v_sub_co_ci_u32_e64 v7, null, v7, v15, vcc_lo
	s_delay_alu instid0(VALU_DEP_3) | instskip(SKIP_2) | instid1(VALU_DEP_2)
	v_cndmask_b32_e64 v18, 0, -1, s0
	v_cmp_ge_u32_e64 s0, v16, v14
	v_cmp_ge_u32_e32 vcc_lo, v11, v15
	v_cndmask_b32_e64 v19, 0, -1, s0
	v_cmp_ge_u32_e64 s0, v17, v15
	v_cndmask_b32_e64 v21, 0, -1, vcc_lo
	v_cmp_eq_u32_e32 vcc_lo, v17, v15
	s_delay_alu instid0(VALU_DEP_3) | instskip(SKIP_1) | instid1(VALU_DEP_1)
	v_cndmask_b32_e64 v20, 0, -1, s0
	v_cmp_eq_u32_e64 s0, v11, v15
	v_dual_cndmask_b32 v19, v20, v19, vcc_lo :: v_dual_cndmask_b32 v18, v21, v18, s0
	v_sub_co_u32 v20, vcc_lo, v16, v14
	s_delay_alu instid0(VALU_DEP_1) | instskip(NEXT) | instid1(VALU_DEP_3)
	v_subrev_co_ci_u32_e64 v7, null, 0, v7, vcc_lo
	v_cmp_ne_u32_e32 vcc_lo, 0, v19
	s_delay_alu instid0(VALU_DEP_2) | instskip(SKIP_1) | instid1(VALU_DEP_2)
	v_dual_cndmask_b32 v7, v17, v7 :: v_dual_cndmask_b32 v16, v16, v20
	v_cmp_ne_u32_e32 vcc_lo, 0, v18
	v_dual_cndmask_b32 v17, v11, v7 :: v_dual_cndmask_b32 v16, v10, v16
                                        ; implicit-def: $vgpr10_vgpr11
.LBB26_22:                              ;   in Loop: Header=BB26_20 Depth=1
	s_and_not1_saveexec_b32 s0, s13
	s_cbranch_execz .LBB26_19
; %bb.23:                               ;   in Loop: Header=BB26_20 Depth=1
	v_cvt_f32_u32_e32 v7, v14
	v_dual_sub_nc_u32 v11, 0, v14 :: v_dual_mov_b32 v17, v6
	s_delay_alu instid0(VALU_DEP_2) | instskip(SKIP_1) | instid1(TRANS32_DEP_1)
	v_rcp_iflag_f32_e32 v7, v7
	v_nop
	v_mul_f32_e32 v7, 0x4f7ffffe, v7
	s_delay_alu instid0(VALU_DEP_1) | instskip(NEXT) | instid1(VALU_DEP_1)
	v_cvt_u32_f32_e32 v7, v7
	v_mul_lo_u32 v11, v11, v7
	s_delay_alu instid0(VALU_DEP_1) | instskip(NEXT) | instid1(VALU_DEP_1)
	v_mul_hi_u32 v11, v7, v11
	v_add_nc_u32_e32 v7, v7, v11
	s_delay_alu instid0(VALU_DEP_1) | instskip(NEXT) | instid1(VALU_DEP_1)
	v_mul_hi_u32 v7, v10, v7
	v_mul_lo_u32 v7, v7, v14
	s_delay_alu instid0(VALU_DEP_1) | instskip(NEXT) | instid1(VALU_DEP_1)
	v_sub_nc_u32_e32 v7, v10, v7
	v_sub_nc_u32_e32 v10, v7, v14
	v_cmp_ge_u32_e32 vcc_lo, v7, v14
	s_delay_alu instid0(VALU_DEP_2) | instskip(NEXT) | instid1(VALU_DEP_1)
	v_cndmask_b32_e32 v7, v7, v10, vcc_lo
	v_sub_nc_u32_e32 v10, v7, v14
	v_cmp_ge_u32_e32 vcc_lo, v7, v14
	s_delay_alu instid0(VALU_DEP_2)
	v_cndmask_b32_e32 v16, v7, v10, vcc_lo
	s_branch .LBB26_19
.LBB26_24:
	s_or_b32 exec_lo, exec_lo, s3
	v_mov_b64_e32 v[10:11], v[14:15]
.LBB26_25:
	s_or_b32 exec_lo, exec_lo, s1
	v_sub_nc_u64_e32 v[6:7], 0, v[12:13]
	s_mov_b32 s1, exec_lo
	s_delay_alu instid0(VALU_DEP_1)
	v_max_i64 v[12:13], v[12:13], v[6:7]
	v_cmpx_ne_u64_e32 0, v[8:9]
	s_cbranch_execz .LBB26_33
; %bb.26:
	v_sub_nc_u64_e32 v[6:7], 0, v[8:9]
	s_mov_b32 s3, 0
	s_delay_alu instid0(VALU_DEP_1)
	v_max_i64 v[14:15], v[8:9], v[6:7]
	v_mov_b32_e32 v6, 0
	s_branch .LBB26_28
.LBB26_27:                              ;   in Loop: Header=BB26_28 Depth=1
	s_or_b32 exec_lo, exec_lo, s0
	s_delay_alu instid0(VALU_DEP_1) | instskip(SKIP_2) | instid1(SALU_CYCLE_1)
	v_cmp_eq_u64_e32 vcc_lo, 0, v[14:15]
	v_mov_b64_e32 v[12:13], v[8:9]
	s_or_b32 s3, vcc_lo, s3
	s_and_not1_b32 exec_lo, exec_lo, s3
	s_cbranch_execz .LBB26_32
.LBB26_28:                              ; =>This Inner Loop Header: Depth=1
	s_delay_alu instid0(VALU_DEP_2) | instskip(SKIP_1) | instid1(VALU_DEP_1)
	v_mov_b64_e32 v[8:9], v[14:15]
                                        ; implicit-def: $vgpr14_vgpr15
	s_mov_b32 s0, exec_lo
	v_or_b32_e32 v7, v13, v9
	s_delay_alu instid0(VALU_DEP_1)
	v_cmpx_ne_u64_e32 0, v[6:7]
	s_xor_b32 s13, exec_lo, s0
	s_cbranch_execz .LBB26_30
; %bb.29:                               ;   in Loop: Header=BB26_28 Depth=1
	s_delay_alu instid0(VALU_DEP_3) | instskip(SKIP_3) | instid1(VALU_DEP_3)
	v_cvt_f32_u32_e32 v7, v8
	v_cvt_f32_u32_e32 v14, v9
	v_sub_nc_u64_e32 v[16:17], 0, v[8:9]
	v_dual_mov_b32 v23, v6 :: v_dual_mov_b32 v25, v6
	v_fmac_f32_e32 v7, 0x4f800000, v14
	s_delay_alu instid0(VALU_DEP_1) | instskip(SKIP_1) | instid1(TRANS32_DEP_1)
	v_rcp_f32_e32 v7, v7
	v_nop
	v_mul_f32_e32 v7, 0x5f7ffffc, v7
	s_delay_alu instid0(VALU_DEP_1) | instskip(NEXT) | instid1(VALU_DEP_1)
	v_mul_f32_e32 v14, 0x2f800000, v7
	v_trunc_f32_e32 v15, v14
	s_delay_alu instid0(VALU_DEP_1) | instskip(SKIP_1) | instid1(VALU_DEP_2)
	v_cvt_u32_f32_e32 v19, v15
	v_fmac_f32_e32 v7, 0xcf800000, v15
	v_dual_mov_b32 v15, v6 :: v_dual_mov_b32 v24, v19
	s_delay_alu instid0(VALU_DEP_2) | instskip(NEXT) | instid1(VALU_DEP_1)
	v_cvt_u32_f32_e32 v14, v7
	v_mov_b32_e32 v18, v14
	s_delay_alu instid0(VALU_DEP_1) | instskip(NEXT) | instid1(VALU_DEP_1)
	v_mul_u64_e32 v[20:21], v[16:17], v[18:19]
	v_dual_mov_b32 v22, v21 :: v_dual_mov_b32 v21, v6
	s_delay_alu instid0(VALU_DEP_1) | instskip(NEXT) | instid1(VALU_DEP_2)
	v_mul_u64_e32 v[26:27], v[14:15], v[22:23]
	v_mul_u64_e32 v[28:29], v[24:25], v[20:21]
	;; [unrolled: 1-line block ×3, first 2 shown]
	v_mul_hi_u32 v20, v14, v20
	s_delay_alu instid0(VALU_DEP_1) | instskip(NEXT) | instid1(VALU_DEP_1)
	v_add_nc_u64_e32 v[20:21], v[20:21], v[26:27]
	v_add_co_u32 v7, vcc_lo, v20, v28
	s_delay_alu instid0(VALU_DEP_2) | instskip(SKIP_1) | instid1(VALU_DEP_1)
	v_add_co_ci_u32_e32 v24, vcc_lo, v21, v29, vcc_lo
	v_add_co_ci_u32_e32 v23, vcc_lo, 0, v23, vcc_lo
	v_add_nc_u64_e32 v[20:21], v[24:25], v[22:23]
	s_delay_alu instid0(VALU_DEP_1) | instskip(NEXT) | instid1(VALU_DEP_1)
	v_add_co_u32 v14, vcc_lo, v14, v20
	v_add_co_ci_u32_e64 v18, null, v19, v21, vcc_lo
	v_dual_mov_b32 v21, v6 :: v_dual_mov_b32 v19, v6
	s_delay_alu instid0(VALU_DEP_2) | instskip(NEXT) | instid1(VALU_DEP_1)
	v_mov_b32_e32 v15, v18
	v_mul_u64_e32 v[16:17], v[16:17], v[14:15]
	s_delay_alu instid0(VALU_DEP_1) | instskip(NEXT) | instid1(VALU_DEP_2)
	v_dual_mov_b32 v15, v6 :: v_dual_mov_b32 v20, v17
	v_dual_mov_b32 v24, v16 :: v_dual_mov_b32 v17, v6
	v_mul_hi_u32 v16, v14, v16
	s_delay_alu instid0(VALU_DEP_3) | instskip(NEXT) | instid1(VALU_DEP_3)
	v_mul_u64_e32 v[22:23], v[14:15], v[20:21]
	v_mul_u64_e32 v[24:25], v[18:19], v[24:25]
	;; [unrolled: 1-line block ×3, first 2 shown]
	s_delay_alu instid0(VALU_DEP_3) | instskip(SKIP_1) | instid1(VALU_DEP_2)
	v_add_nc_u64_e32 v[16:17], v[16:17], v[22:23]
	v_mov_b32_e32 v23, v6
	v_add_co_u32 v7, vcc_lo, v16, v24
	s_delay_alu instid0(VALU_DEP_3) | instskip(SKIP_1) | instid1(VALU_DEP_1)
	v_add_co_ci_u32_e32 v22, vcc_lo, v17, v25, vcc_lo
	v_add_co_ci_u32_e32 v21, vcc_lo, 0, v21, vcc_lo
	v_add_nc_u64_e32 v[16:17], v[22:23], v[20:21]
	v_dual_mov_b32 v20, v12 :: v_dual_mov_b32 v21, v6
	s_delay_alu instid0(VALU_DEP_2) | instskip(NEXT) | instid1(VALU_DEP_1)
	v_add_co_u32 v16, vcc_lo, v14, v16
	v_add_co_ci_u32_e64 v14, null, v18, v17, vcc_lo
	v_dual_mov_b32 v18, v13 :: v_dual_mov_b32 v17, v6
	s_delay_alu instid0(VALU_DEP_2) | instskip(NEXT) | instid1(VALU_DEP_2)
	v_mul_u64_e32 v[20:21], v[20:21], v[14:15]
	v_mul_u64_e32 v[14:15], v[18:19], v[14:15]
	s_delay_alu instid0(VALU_DEP_3) | instskip(SKIP_1) | instid1(VALU_DEP_1)
	v_mul_u64_e32 v[22:23], v[18:19], v[16:17]
	v_mul_hi_u32 v16, v12, v16
	v_add_nc_u64_e32 v[16:17], v[16:17], v[20:21]
	s_delay_alu instid0(VALU_DEP_1) | instskip(NEXT) | instid1(VALU_DEP_2)
	v_add_co_u32 v7, vcc_lo, v16, v22
	v_add_co_ci_u32_e32 v18, vcc_lo, v17, v23, vcc_lo
	v_add_co_ci_u32_e32 v15, vcc_lo, 0, v15, vcc_lo
	s_delay_alu instid0(VALU_DEP_1) | instskip(NEXT) | instid1(VALU_DEP_1)
	v_add_nc_u64_e32 v[14:15], v[18:19], v[14:15]
	v_mul_u64_e32 v[14:15], v[8:9], v[14:15]
	s_delay_alu instid0(VALU_DEP_1) | instskip(NEXT) | instid1(VALU_DEP_2)
	v_sub_nc_u32_e32 v7, v13, v15
	v_sub_co_u32 v12, vcc_lo, v12, v14
	s_delay_alu instid0(VALU_DEP_1) | instskip(NEXT) | instid1(VALU_DEP_3)
	v_sub_co_ci_u32_e64 v13, null, v13, v15, vcc_lo
	v_sub_co_ci_u32_e64 v7, null, v7, v9, vcc_lo
	s_delay_alu instid0(VALU_DEP_3) | instskip(SKIP_1) | instid1(VALU_DEP_3)
	v_sub_co_u32 v14, vcc_lo, v12, v8
	v_cmp_ge_u32_e64 s0, v12, v8
	v_subrev_co_ci_u32_e64 v15, null, 0, v7, vcc_lo
	v_sub_co_ci_u32_e64 v7, null, v7, v9, vcc_lo
	s_delay_alu instid0(VALU_DEP_3) | instskip(SKIP_2) | instid1(VALU_DEP_2)
	v_cndmask_b32_e64 v16, 0, -1, s0
	v_cmp_ge_u32_e64 s0, v14, v8
	v_cmp_ge_u32_e32 vcc_lo, v13, v9
	v_cndmask_b32_e64 v17, 0, -1, s0
	v_cmp_ge_u32_e64 s0, v15, v9
	v_cndmask_b32_e64 v19, 0, -1, vcc_lo
	v_cmp_eq_u32_e32 vcc_lo, v15, v9
	s_delay_alu instid0(VALU_DEP_3) | instskip(SKIP_1) | instid1(VALU_DEP_1)
	v_cndmask_b32_e64 v18, 0, -1, s0
	v_cmp_eq_u32_e64 s0, v13, v9
	v_dual_cndmask_b32 v17, v18, v17, vcc_lo :: v_dual_cndmask_b32 v16, v19, v16, s0
	v_sub_co_u32 v18, vcc_lo, v14, v8
	s_delay_alu instid0(VALU_DEP_1) | instskip(NEXT) | instid1(VALU_DEP_3)
	v_subrev_co_ci_u32_e64 v7, null, 0, v7, vcc_lo
	v_cmp_ne_u32_e32 vcc_lo, 0, v17
	s_delay_alu instid0(VALU_DEP_2) | instskip(SKIP_1) | instid1(VALU_DEP_2)
	v_dual_cndmask_b32 v7, v15, v7 :: v_dual_cndmask_b32 v14, v14, v18
	v_cmp_ne_u32_e32 vcc_lo, 0, v16
	v_dual_cndmask_b32 v15, v13, v7 :: v_dual_cndmask_b32 v14, v12, v14
.LBB26_30:                              ;   in Loop: Header=BB26_28 Depth=1
	s_and_not1_saveexec_b32 s0, s13
	s_cbranch_execz .LBB26_27
; %bb.31:                               ;   in Loop: Header=BB26_28 Depth=1
	v_cvt_f32_u32_e32 v7, v8
	v_dual_sub_nc_u32 v13, 0, v8 :: v_dual_mov_b32 v15, v6
	s_delay_alu instid0(VALU_DEP_2) | instskip(SKIP_1) | instid1(TRANS32_DEP_1)
	v_rcp_iflag_f32_e32 v7, v7
	v_nop
	v_mul_f32_e32 v7, 0x4f7ffffe, v7
	s_delay_alu instid0(VALU_DEP_1) | instskip(NEXT) | instid1(VALU_DEP_1)
	v_cvt_u32_f32_e32 v7, v7
	v_mul_lo_u32 v13, v13, v7
	s_delay_alu instid0(VALU_DEP_1) | instskip(NEXT) | instid1(VALU_DEP_1)
	v_mul_hi_u32 v13, v7, v13
	v_add_nc_u32_e32 v7, v7, v13
	s_delay_alu instid0(VALU_DEP_1) | instskip(NEXT) | instid1(VALU_DEP_1)
	v_mul_hi_u32 v7, v12, v7
	v_mul_lo_u32 v7, v7, v8
	s_delay_alu instid0(VALU_DEP_1) | instskip(NEXT) | instid1(VALU_DEP_1)
	v_sub_nc_u32_e32 v7, v12, v7
	v_sub_nc_u32_e32 v12, v7, v8
	v_cmp_ge_u32_e32 vcc_lo, v7, v8
	s_delay_alu instid0(VALU_DEP_2) | instskip(NEXT) | instid1(VALU_DEP_1)
	v_cndmask_b32_e32 v7, v7, v12, vcc_lo
	v_sub_nc_u32_e32 v12, v7, v8
	v_cmp_ge_u32_e32 vcc_lo, v7, v8
	s_delay_alu instid0(VALU_DEP_2)
	v_cndmask_b32_e32 v14, v7, v12, vcc_lo
	s_branch .LBB26_27
.LBB26_32:
	s_or_b32 exec_lo, exec_lo, s3
	v_mov_b64_e32 v[12:13], v[8:9]
.LBB26_33:
	s_or_b32 exec_lo, exec_lo, s1
	s_add_nc_u64 s[10:11], s[4:5], s[10:11]
	s_mov_b32 s0, 0
	s_clause 0x1
	global_store_b128 v1, v[2:5], s[10:11]
	global_store_b128 v1, v[10:13], s[10:11] offset:16
.LBB26_34:
	s_and_b32 vcc_lo, exec_lo, s0
	s_cbranch_vccz .LBB26_79
; %bb.35:
	v_mov_b64_e32 v[14:15], 0
	v_mov_b64_e32 v[16:17], 0
	s_wait_xcnt 0x1
	v_mov_b64_e32 v[2:3], 0
	v_cmp_gt_i32_e64 s0, s12, v0
	s_wait_xcnt 0x0
	v_dual_mov_b32 v18, v0 :: v_dual_bitop2_b32 v1, s2, v0 bitop3:0x54
	v_or_b32_e32 v22, 0x100, v0
	s_and_saveexec_b32 s1, s0
	s_cbranch_execz .LBB26_37
; %bb.36:
	s_clause 0x1
	global_load_b64 v[2:3], v1, s[8:9] scale_offset
	global_load_b64 v[16:17], v1, s[6:7] scale_offset
	v_or_b32_e32 v18, 0x100, v0
	s_wait_loadcnt 0x1
	v_sub_nc_u64_e32 v[4:5], 0, v[2:3]
	s_delay_alu instid0(VALU_DEP_1)
	v_max_i64 v[2:3], v[2:3], v[4:5]
.LBB26_37:
	s_wait_xcnt 0x0
	s_or_b32 exec_lo, exec_lo, s1
	v_mov_b64_e32 v[4:5], 0
	s_mov_b32 s1, exec_lo
	v_cmpx_gt_i32_e64 s12, v18
	s_cbranch_execz .LBB26_39
; %bb.38:
	v_add_nc_u32_e32 v6, s2, v18
	v_add_nc_u32_e32 v18, 0x100, v18
	s_clause 0x1
	global_load_b64 v[4:5], v6, s[8:9] scale_offset
	global_load_b64 v[14:15], v6, s[6:7] scale_offset
	s_wait_loadcnt 0x1
	s_wait_xcnt 0x0
	v_sub_nc_u64_e32 v[6:7], 0, v[4:5]
	s_delay_alu instid0(VALU_DEP_1)
	v_max_i64 v[4:5], v[4:5], v[6:7]
.LBB26_39:
	s_or_b32 exec_lo, exec_lo, s1
	v_mov_b64_e32 v[10:11], 0
	v_mov_b64_e32 v[12:13], 0
	;; [unrolled: 1-line block ×3, first 2 shown]
	s_mov_b32 s1, exec_lo
	v_cmpx_gt_i32_e64 s12, v18
	s_cbranch_execz .LBB26_41
; %bb.40:
	v_add_nc_u32_e32 v8, s2, v18
	v_add_nc_u32_e32 v18, 0x100, v18
	s_clause 0x1
	global_load_b64 v[6:7], v8, s[8:9] scale_offset
	global_load_b64 v[12:13], v8, s[6:7] scale_offset
	s_wait_loadcnt 0x1
	s_wait_xcnt 0x0
	v_sub_nc_u64_e32 v[8:9], 0, v[6:7]
	s_delay_alu instid0(VALU_DEP_1)
	v_max_i64 v[6:7], v[6:7], v[8:9]
.LBB26_41:
	s_or_b32 exec_lo, exec_lo, s1
	v_mov_b64_e32 v[8:9], 0
	s_mov_b32 s1, exec_lo
	v_cmpx_gt_i32_e64 s12, v18
	s_cbranch_execnz .LBB26_44
; %bb.42:
	s_or_b32 exec_lo, exec_lo, s1
	s_and_saveexec_b32 s3, s0
	s_cbranch_execnz .LBB26_45
.LBB26_43:
	s_or_b32 exec_lo, exec_lo, s3
	s_delay_alu instid0(SALU_CYCLE_1)
	s_mov_b32 s3, exec_lo
	v_cmpx_gt_i32_e64 s12, v22
	s_cbranch_execnz .LBB26_54
	s_branch .LBB26_63
.LBB26_44:
	v_add_nc_u32_e32 v18, s2, v18
	s_clause 0x1
	global_load_b64 v[8:9], v18, s[8:9] scale_offset
	global_load_b64 v[10:11], v18, s[6:7] scale_offset
	s_wait_loadcnt 0x1
	s_wait_xcnt 0x0
	v_sub_nc_u64_e32 v[18:19], 0, v[8:9]
	s_delay_alu instid0(VALU_DEP_1)
	v_max_i64 v[8:9], v[8:9], v[18:19]
	s_or_b32 exec_lo, exec_lo, s1
	s_and_saveexec_b32 s3, s0
	s_cbranch_execz .LBB26_43
.LBB26_45:
	s_mov_b32 s6, exec_lo
	s_wait_loadcnt 0x0
	v_cmpx_ne_u64_e32 0, v[16:17]
	s_cbranch_execz .LBB26_53
; %bb.46:
	v_sub_nc_u64_e32 v[18:19], 0, v[16:17]
	s_mov_b32 s7, 0
	s_delay_alu instid0(VALU_DEP_1)
	v_max_i64 v[20:21], v[16:17], v[18:19]
	v_mov_b32_e32 v16, 0
	s_branch .LBB26_48
.LBB26_47:                              ;   in Loop: Header=BB26_48 Depth=1
	s_or_b32 exec_lo, exec_lo, s1
	s_delay_alu instid0(VALU_DEP_1) | instskip(SKIP_2) | instid1(SALU_CYCLE_1)
	v_cmp_eq_u64_e32 vcc_lo, 0, v[20:21]
	v_mov_b64_e32 v[2:3], v[18:19]
	s_or_b32 s7, vcc_lo, s7
	s_and_not1_b32 exec_lo, exec_lo, s7
	s_cbranch_execz .LBB26_52
.LBB26_48:                              ; =>This Inner Loop Header: Depth=1
	s_delay_alu instid0(VALU_DEP_2) | instskip(SKIP_1) | instid1(VALU_DEP_1)
	v_mov_b64_e32 v[18:19], v[20:21]
                                        ; implicit-def: $vgpr20_vgpr21
	s_mov_b32 s1, exec_lo
	v_or_b32_e32 v17, v3, v19
	s_delay_alu instid0(VALU_DEP_1)
	v_cmpx_ne_u64_e32 0, v[16:17]
	s_xor_b32 s8, exec_lo, s1
	s_cbranch_execz .LBB26_50
; %bb.49:                               ;   in Loop: Header=BB26_48 Depth=1
	s_delay_alu instid0(VALU_DEP_3) | instskip(SKIP_3) | instid1(VALU_DEP_3)
	v_cvt_f32_u32_e32 v17, v18
	v_cvt_f32_u32_e32 v20, v19
	v_sub_nc_u64_e32 v[24:25], 0, v[18:19]
	v_dual_mov_b32 v31, v16 :: v_dual_mov_b32 v33, v16
	v_fmac_f32_e32 v17, 0x4f800000, v20
	s_delay_alu instid0(VALU_DEP_1) | instskip(SKIP_1) | instid1(TRANS32_DEP_1)
	v_rcp_f32_e32 v17, v17
	v_nop
	v_mul_f32_e32 v17, 0x5f7ffffc, v17
	s_delay_alu instid0(VALU_DEP_1) | instskip(NEXT) | instid1(VALU_DEP_1)
	v_mul_f32_e32 v20, 0x2f800000, v17
	v_trunc_f32_e32 v21, v20
	s_delay_alu instid0(VALU_DEP_1) | instskip(SKIP_1) | instid1(VALU_DEP_2)
	v_cvt_u32_f32_e32 v27, v21
	v_fmac_f32_e32 v17, 0xcf800000, v21
	v_dual_mov_b32 v21, v16 :: v_dual_mov_b32 v32, v27
	s_delay_alu instid0(VALU_DEP_2) | instskip(NEXT) | instid1(VALU_DEP_1)
	v_cvt_u32_f32_e32 v20, v17
	v_mov_b32_e32 v26, v20
	s_delay_alu instid0(VALU_DEP_1) | instskip(NEXT) | instid1(VALU_DEP_1)
	v_mul_u64_e32 v[28:29], v[24:25], v[26:27]
	v_dual_mov_b32 v30, v29 :: v_dual_mov_b32 v29, v16
	s_delay_alu instid0(VALU_DEP_1) | instskip(NEXT) | instid1(VALU_DEP_2)
	v_mul_u64_e32 v[34:35], v[20:21], v[30:31]
	v_mul_u64_e32 v[36:37], v[32:33], v[28:29]
	;; [unrolled: 1-line block ×3, first 2 shown]
	v_mul_hi_u32 v28, v20, v28
	s_delay_alu instid0(VALU_DEP_1) | instskip(NEXT) | instid1(VALU_DEP_1)
	v_add_nc_u64_e32 v[28:29], v[28:29], v[34:35]
	v_add_co_u32 v17, vcc_lo, v28, v36
	s_delay_alu instid0(VALU_DEP_2) | instskip(SKIP_1) | instid1(VALU_DEP_1)
	v_add_co_ci_u32_e32 v32, vcc_lo, v29, v37, vcc_lo
	v_add_co_ci_u32_e32 v31, vcc_lo, 0, v31, vcc_lo
	v_add_nc_u64_e32 v[28:29], v[32:33], v[30:31]
	s_delay_alu instid0(VALU_DEP_1) | instskip(NEXT) | instid1(VALU_DEP_1)
	v_add_co_u32 v20, vcc_lo, v20, v28
	v_add_co_ci_u32_e64 v26, null, v27, v29, vcc_lo
	v_dual_mov_b32 v29, v16 :: v_dual_mov_b32 v27, v16
	s_delay_alu instid0(VALU_DEP_2) | instskip(NEXT) | instid1(VALU_DEP_1)
	v_mov_b32_e32 v21, v26
	v_mul_u64_e32 v[24:25], v[24:25], v[20:21]
	s_delay_alu instid0(VALU_DEP_1) | instskip(NEXT) | instid1(VALU_DEP_2)
	v_dual_mov_b32 v21, v16 :: v_dual_mov_b32 v28, v25
	v_dual_mov_b32 v32, v24 :: v_dual_mov_b32 v25, v16
	v_mul_hi_u32 v24, v20, v24
	s_delay_alu instid0(VALU_DEP_3) | instskip(NEXT) | instid1(VALU_DEP_3)
	v_mul_u64_e32 v[30:31], v[20:21], v[28:29]
	v_mul_u64_e32 v[32:33], v[26:27], v[32:33]
	;; [unrolled: 1-line block ×3, first 2 shown]
	s_delay_alu instid0(VALU_DEP_3) | instskip(SKIP_1) | instid1(VALU_DEP_2)
	v_add_nc_u64_e32 v[24:25], v[24:25], v[30:31]
	v_mov_b32_e32 v31, v16
	v_add_co_u32 v17, vcc_lo, v24, v32
	s_delay_alu instid0(VALU_DEP_3) | instskip(SKIP_1) | instid1(VALU_DEP_1)
	v_add_co_ci_u32_e32 v30, vcc_lo, v25, v33, vcc_lo
	v_add_co_ci_u32_e32 v29, vcc_lo, 0, v29, vcc_lo
	v_add_nc_u64_e32 v[24:25], v[30:31], v[28:29]
	v_dual_mov_b32 v28, v2 :: v_dual_mov_b32 v29, v16
	s_delay_alu instid0(VALU_DEP_2) | instskip(NEXT) | instid1(VALU_DEP_1)
	v_add_co_u32 v24, vcc_lo, v20, v24
	v_add_co_ci_u32_e64 v20, null, v26, v25, vcc_lo
	v_dual_mov_b32 v26, v3 :: v_dual_mov_b32 v25, v16
	s_delay_alu instid0(VALU_DEP_2) | instskip(NEXT) | instid1(VALU_DEP_2)
	v_mul_u64_e32 v[28:29], v[28:29], v[20:21]
	v_mul_u64_e32 v[20:21], v[26:27], v[20:21]
	s_delay_alu instid0(VALU_DEP_3) | instskip(SKIP_1) | instid1(VALU_DEP_1)
	v_mul_u64_e32 v[30:31], v[26:27], v[24:25]
	v_mul_hi_u32 v24, v2, v24
	v_add_nc_u64_e32 v[24:25], v[24:25], v[28:29]
	s_delay_alu instid0(VALU_DEP_1) | instskip(NEXT) | instid1(VALU_DEP_2)
	v_add_co_u32 v17, vcc_lo, v24, v30
	v_add_co_ci_u32_e32 v26, vcc_lo, v25, v31, vcc_lo
	v_add_co_ci_u32_e32 v21, vcc_lo, 0, v21, vcc_lo
	s_delay_alu instid0(VALU_DEP_1) | instskip(NEXT) | instid1(VALU_DEP_1)
	v_add_nc_u64_e32 v[20:21], v[26:27], v[20:21]
	v_mul_u64_e32 v[20:21], v[18:19], v[20:21]
	s_delay_alu instid0(VALU_DEP_1) | instskip(NEXT) | instid1(VALU_DEP_2)
	v_sub_nc_u32_e32 v17, v3, v21
	v_sub_co_u32 v2, vcc_lo, v2, v20
	s_delay_alu instid0(VALU_DEP_1) | instskip(NEXT) | instid1(VALU_DEP_3)
	v_sub_co_ci_u32_e64 v3, null, v3, v21, vcc_lo
	v_sub_co_ci_u32_e64 v17, null, v17, v19, vcc_lo
	s_delay_alu instid0(VALU_DEP_3) | instskip(SKIP_1) | instid1(VALU_DEP_3)
	v_sub_co_u32 v20, vcc_lo, v2, v18
	v_cmp_ge_u32_e64 s1, v2, v18
	v_subrev_co_ci_u32_e64 v21, null, 0, v17, vcc_lo
	v_sub_co_ci_u32_e64 v17, null, v17, v19, vcc_lo
	s_delay_alu instid0(VALU_DEP_3) | instskip(SKIP_2) | instid1(VALU_DEP_2)
	v_cndmask_b32_e64 v23, 0, -1, s1
	v_cmp_ge_u32_e64 s1, v20, v18
	v_cmp_ge_u32_e32 vcc_lo, v3, v19
	v_cndmask_b32_e64 v24, 0, -1, s1
	v_cmp_ge_u32_e64 s1, v21, v19
	v_cndmask_b32_e64 v26, 0, -1, vcc_lo
	v_cmp_eq_u32_e32 vcc_lo, v21, v19
	s_delay_alu instid0(VALU_DEP_3) | instskip(SKIP_1) | instid1(VALU_DEP_1)
	v_cndmask_b32_e64 v25, 0, -1, s1
	v_cmp_eq_u32_e64 s1, v3, v19
	v_dual_cndmask_b32 v24, v25, v24, vcc_lo :: v_dual_cndmask_b32 v23, v26, v23, s1
	v_sub_co_u32 v25, vcc_lo, v20, v18
	s_delay_alu instid0(VALU_DEP_1) | instskip(NEXT) | instid1(VALU_DEP_3)
	v_subrev_co_ci_u32_e64 v17, null, 0, v17, vcc_lo
	v_cmp_ne_u32_e32 vcc_lo, 0, v24
	s_delay_alu instid0(VALU_DEP_3) | instskip(NEXT) | instid1(VALU_DEP_3)
	v_cndmask_b32_e32 v20, v20, v25, vcc_lo
	v_cndmask_b32_e32 v17, v21, v17, vcc_lo
	v_cmp_ne_u32_e32 vcc_lo, 0, v23
	s_delay_alu instid0(VALU_DEP_2)
	v_dual_cndmask_b32 v20, v2, v20 :: v_dual_cndmask_b32 v21, v3, v17
                                        ; implicit-def: $vgpr2_vgpr3
.LBB26_50:                              ;   in Loop: Header=BB26_48 Depth=1
	s_and_not1_saveexec_b32 s1, s8
	s_cbranch_execz .LBB26_47
; %bb.51:                               ;   in Loop: Header=BB26_48 Depth=1
	v_cvt_f32_u32_e32 v3, v18
	v_dual_sub_nc_u32 v17, 0, v18 :: v_dual_mov_b32 v21, v16
	s_delay_alu instid0(VALU_DEP_2) | instskip(SKIP_1) | instid1(TRANS32_DEP_1)
	v_rcp_iflag_f32_e32 v3, v3
	v_nop
	v_mul_f32_e32 v3, 0x4f7ffffe, v3
	s_delay_alu instid0(VALU_DEP_1) | instskip(NEXT) | instid1(VALU_DEP_1)
	v_cvt_u32_f32_e32 v3, v3
	v_mul_lo_u32 v17, v17, v3
	s_delay_alu instid0(VALU_DEP_1) | instskip(NEXT) | instid1(VALU_DEP_1)
	v_mul_hi_u32 v17, v3, v17
	v_add_nc_u32_e32 v3, v3, v17
	s_delay_alu instid0(VALU_DEP_1) | instskip(NEXT) | instid1(VALU_DEP_1)
	v_mul_hi_u32 v3, v2, v3
	v_mul_lo_u32 v3, v3, v18
	s_delay_alu instid0(VALU_DEP_1) | instskip(NEXT) | instid1(VALU_DEP_1)
	v_sub_nc_u32_e32 v2, v2, v3
	v_sub_nc_u32_e32 v3, v2, v18
	v_cmp_ge_u32_e32 vcc_lo, v2, v18
	s_delay_alu instid0(VALU_DEP_2) | instskip(NEXT) | instid1(VALU_DEP_1)
	v_cndmask_b32_e32 v2, v2, v3, vcc_lo
	v_sub_nc_u32_e32 v3, v2, v18
	v_cmp_ge_u32_e32 vcc_lo, v2, v18
	s_delay_alu instid0(VALU_DEP_2)
	v_cndmask_b32_e32 v20, v2, v3, vcc_lo
	s_branch .LBB26_47
.LBB26_52:
	s_or_b32 exec_lo, exec_lo, s7
	v_mov_b64_e32 v[2:3], v[18:19]
.LBB26_53:
	s_or_b32 exec_lo, exec_lo, s6
	s_delay_alu instid0(SALU_CYCLE_1) | instskip(NEXT) | instid1(SALU_CYCLE_1)
	s_or_b32 exec_lo, exec_lo, s3
	s_mov_b32 s3, exec_lo
	v_cmpx_gt_i32_e64 s12, v22
	s_cbranch_execz .LBB26_63
.LBB26_54:
	s_mov_b32 s6, exec_lo
	s_wait_loadcnt 0x0
	v_cmpx_ne_u64_e32 0, v[14:15]
	s_cbranch_execz .LBB26_62
; %bb.55:
	v_sub_nc_u64_e32 v[16:17], 0, v[14:15]
	s_mov_b32 s7, 0
	s_delay_alu instid0(VALU_DEP_1)
	v_max_i64 v[18:19], v[14:15], v[16:17]
	v_mov_b32_e32 v14, 0
	s_branch .LBB26_57
.LBB26_56:                              ;   in Loop: Header=BB26_57 Depth=1
	s_or_b32 exec_lo, exec_lo, s1
	s_delay_alu instid0(VALU_DEP_1) | instskip(SKIP_2) | instid1(SALU_CYCLE_1)
	v_cmp_eq_u64_e32 vcc_lo, 0, v[18:19]
	v_mov_b64_e32 v[4:5], v[16:17]
	s_or_b32 s7, vcc_lo, s7
	s_and_not1_b32 exec_lo, exec_lo, s7
	s_cbranch_execz .LBB26_61
.LBB26_57:                              ; =>This Inner Loop Header: Depth=1
	s_delay_alu instid0(VALU_DEP_2) | instskip(SKIP_1) | instid1(VALU_DEP_1)
	v_mov_b64_e32 v[16:17], v[18:19]
                                        ; implicit-def: $vgpr18_vgpr19
	s_mov_b32 s1, exec_lo
	v_or_b32_e32 v15, v5, v17
	s_delay_alu instid0(VALU_DEP_1)
	v_cmpx_ne_u64_e32 0, v[14:15]
	s_xor_b32 s8, exec_lo, s1
	s_cbranch_execz .LBB26_59
; %bb.58:                               ;   in Loop: Header=BB26_57 Depth=1
	s_delay_alu instid0(VALU_DEP_3) | instskip(SKIP_3) | instid1(VALU_DEP_3)
	v_cvt_f32_u32_e32 v15, v16
	v_cvt_f32_u32_e32 v18, v17
	v_sub_nc_u64_e32 v[20:21], 0, v[16:17]
	v_dual_mov_b32 v29, v14 :: v_dual_mov_b32 v31, v14
	v_fmac_f32_e32 v15, 0x4f800000, v18
	s_delay_alu instid0(VALU_DEP_1) | instskip(SKIP_1) | instid1(TRANS32_DEP_1)
	v_rcp_f32_e32 v15, v15
	v_nop
	v_mul_f32_e32 v15, 0x5f7ffffc, v15
	s_delay_alu instid0(VALU_DEP_1) | instskip(NEXT) | instid1(VALU_DEP_1)
	v_mul_f32_e32 v18, 0x2f800000, v15
	v_trunc_f32_e32 v19, v18
	s_delay_alu instid0(VALU_DEP_1) | instskip(SKIP_1) | instid1(VALU_DEP_2)
	v_cvt_u32_f32_e32 v25, v19
	v_fmac_f32_e32 v15, 0xcf800000, v19
	v_dual_mov_b32 v19, v14 :: v_dual_mov_b32 v30, v25
	s_delay_alu instid0(VALU_DEP_2) | instskip(NEXT) | instid1(VALU_DEP_1)
	v_cvt_u32_f32_e32 v18, v15
	v_mov_b32_e32 v24, v18
	s_delay_alu instid0(VALU_DEP_1) | instskip(NEXT) | instid1(VALU_DEP_1)
	v_mul_u64_e32 v[26:27], v[20:21], v[24:25]
	v_dual_mov_b32 v28, v27 :: v_dual_mov_b32 v27, v14
	s_delay_alu instid0(VALU_DEP_1) | instskip(NEXT) | instid1(VALU_DEP_2)
	v_mul_u64_e32 v[32:33], v[18:19], v[28:29]
	v_mul_u64_e32 v[34:35], v[30:31], v[26:27]
	v_mul_u64_e32 v[28:29], v[30:31], v[28:29]
	v_mul_hi_u32 v26, v18, v26
	s_delay_alu instid0(VALU_DEP_1) | instskip(NEXT) | instid1(VALU_DEP_1)
	v_add_nc_u64_e32 v[26:27], v[26:27], v[32:33]
	v_add_co_u32 v15, vcc_lo, v26, v34
	s_delay_alu instid0(VALU_DEP_2) | instskip(SKIP_1) | instid1(VALU_DEP_1)
	v_add_co_ci_u32_e32 v30, vcc_lo, v27, v35, vcc_lo
	v_add_co_ci_u32_e32 v29, vcc_lo, 0, v29, vcc_lo
	v_add_nc_u64_e32 v[26:27], v[30:31], v[28:29]
	s_delay_alu instid0(VALU_DEP_1) | instskip(NEXT) | instid1(VALU_DEP_1)
	v_add_co_u32 v18, vcc_lo, v18, v26
	v_add_co_ci_u32_e64 v24, null, v25, v27, vcc_lo
	v_dual_mov_b32 v27, v14 :: v_dual_mov_b32 v25, v14
	s_delay_alu instid0(VALU_DEP_2) | instskip(NEXT) | instid1(VALU_DEP_1)
	v_mov_b32_e32 v19, v24
	v_mul_u64_e32 v[20:21], v[20:21], v[18:19]
	s_delay_alu instid0(VALU_DEP_1) | instskip(NEXT) | instid1(VALU_DEP_2)
	v_dual_mov_b32 v19, v14 :: v_dual_mov_b32 v26, v21
	v_dual_mov_b32 v30, v20 :: v_dual_mov_b32 v21, v14
	v_mul_hi_u32 v20, v18, v20
	s_delay_alu instid0(VALU_DEP_3) | instskip(NEXT) | instid1(VALU_DEP_3)
	v_mul_u64_e32 v[28:29], v[18:19], v[26:27]
	v_mul_u64_e32 v[30:31], v[24:25], v[30:31]
	;; [unrolled: 1-line block ×3, first 2 shown]
	s_delay_alu instid0(VALU_DEP_3) | instskip(SKIP_1) | instid1(VALU_DEP_2)
	v_add_nc_u64_e32 v[20:21], v[20:21], v[28:29]
	v_mov_b32_e32 v29, v14
	v_add_co_u32 v15, vcc_lo, v20, v30
	s_delay_alu instid0(VALU_DEP_3) | instskip(SKIP_1) | instid1(VALU_DEP_1)
	v_add_co_ci_u32_e32 v28, vcc_lo, v21, v31, vcc_lo
	v_add_co_ci_u32_e32 v27, vcc_lo, 0, v27, vcc_lo
	v_add_nc_u64_e32 v[20:21], v[28:29], v[26:27]
	v_dual_mov_b32 v26, v4 :: v_dual_mov_b32 v27, v14
	s_delay_alu instid0(VALU_DEP_2) | instskip(NEXT) | instid1(VALU_DEP_1)
	v_add_co_u32 v20, vcc_lo, v18, v20
	v_add_co_ci_u32_e64 v18, null, v24, v21, vcc_lo
	v_dual_mov_b32 v24, v5 :: v_dual_mov_b32 v21, v14
	s_delay_alu instid0(VALU_DEP_2) | instskip(NEXT) | instid1(VALU_DEP_2)
	v_mul_u64_e32 v[26:27], v[26:27], v[18:19]
	v_mul_u64_e32 v[18:19], v[24:25], v[18:19]
	s_delay_alu instid0(VALU_DEP_3) | instskip(SKIP_1) | instid1(VALU_DEP_1)
	v_mul_u64_e32 v[28:29], v[24:25], v[20:21]
	v_mul_hi_u32 v20, v4, v20
	v_add_nc_u64_e32 v[20:21], v[20:21], v[26:27]
	s_delay_alu instid0(VALU_DEP_1) | instskip(NEXT) | instid1(VALU_DEP_2)
	v_add_co_u32 v15, vcc_lo, v20, v28
	v_add_co_ci_u32_e32 v24, vcc_lo, v21, v29, vcc_lo
	v_add_co_ci_u32_e32 v19, vcc_lo, 0, v19, vcc_lo
	s_delay_alu instid0(VALU_DEP_1) | instskip(NEXT) | instid1(VALU_DEP_1)
	v_add_nc_u64_e32 v[18:19], v[24:25], v[18:19]
	v_mul_u64_e32 v[18:19], v[16:17], v[18:19]
	s_delay_alu instid0(VALU_DEP_1) | instskip(NEXT) | instid1(VALU_DEP_2)
	v_sub_nc_u32_e32 v15, v5, v19
	v_sub_co_u32 v4, vcc_lo, v4, v18
	s_delay_alu instid0(VALU_DEP_1) | instskip(NEXT) | instid1(VALU_DEP_3)
	v_sub_co_ci_u32_e64 v5, null, v5, v19, vcc_lo
	v_sub_co_ci_u32_e64 v15, null, v15, v17, vcc_lo
	s_delay_alu instid0(VALU_DEP_3) | instskip(SKIP_1) | instid1(VALU_DEP_3)
	v_sub_co_u32 v18, vcc_lo, v4, v16
	v_cmp_ge_u32_e64 s1, v4, v16
	v_subrev_co_ci_u32_e64 v19, null, 0, v15, vcc_lo
	v_sub_co_ci_u32_e64 v15, null, v15, v17, vcc_lo
	s_delay_alu instid0(VALU_DEP_3) | instskip(SKIP_2) | instid1(VALU_DEP_2)
	v_cndmask_b32_e64 v20, 0, -1, s1
	v_cmp_ge_u32_e64 s1, v18, v16
	v_cmp_ge_u32_e32 vcc_lo, v5, v17
	v_cndmask_b32_e64 v21, 0, -1, s1
	v_cmp_ge_u32_e64 s1, v19, v17
	v_cndmask_b32_e64 v24, 0, -1, vcc_lo
	v_cmp_eq_u32_e32 vcc_lo, v19, v17
	s_delay_alu instid0(VALU_DEP_3) | instskip(SKIP_1) | instid1(VALU_DEP_1)
	v_cndmask_b32_e64 v23, 0, -1, s1
	v_cmp_eq_u32_e64 s1, v5, v17
	v_dual_cndmask_b32 v21, v23, v21, vcc_lo :: v_dual_cndmask_b32 v20, v24, v20, s1
	v_sub_co_u32 v23, vcc_lo, v18, v16
	s_delay_alu instid0(VALU_DEP_1) | instskip(NEXT) | instid1(VALU_DEP_3)
	v_subrev_co_ci_u32_e64 v15, null, 0, v15, vcc_lo
	v_cmp_ne_u32_e32 vcc_lo, 0, v21
	s_delay_alu instid0(VALU_DEP_3) | instskip(NEXT) | instid1(VALU_DEP_3)
	v_cndmask_b32_e32 v18, v18, v23, vcc_lo
	v_cndmask_b32_e32 v15, v19, v15, vcc_lo
	v_cmp_ne_u32_e32 vcc_lo, 0, v20
	s_delay_alu instid0(VALU_DEP_2)
	v_dual_cndmask_b32 v18, v4, v18 :: v_dual_cndmask_b32 v19, v5, v15
                                        ; implicit-def: $vgpr4_vgpr5
.LBB26_59:                              ;   in Loop: Header=BB26_57 Depth=1
	s_and_not1_saveexec_b32 s1, s8
	s_cbranch_execz .LBB26_56
; %bb.60:                               ;   in Loop: Header=BB26_57 Depth=1
	v_cvt_f32_u32_e32 v5, v16
	v_dual_sub_nc_u32 v15, 0, v16 :: v_dual_mov_b32 v19, v14
	s_delay_alu instid0(VALU_DEP_2) | instskip(SKIP_1) | instid1(TRANS32_DEP_1)
	v_rcp_iflag_f32_e32 v5, v5
	v_nop
	v_mul_f32_e32 v5, 0x4f7ffffe, v5
	s_delay_alu instid0(VALU_DEP_1) | instskip(NEXT) | instid1(VALU_DEP_1)
	v_cvt_u32_f32_e32 v5, v5
	v_mul_lo_u32 v15, v15, v5
	s_delay_alu instid0(VALU_DEP_1) | instskip(NEXT) | instid1(VALU_DEP_1)
	v_mul_hi_u32 v15, v5, v15
	v_add_nc_u32_e32 v5, v5, v15
	s_delay_alu instid0(VALU_DEP_1) | instskip(NEXT) | instid1(VALU_DEP_1)
	v_mul_hi_u32 v5, v4, v5
	v_mul_lo_u32 v5, v5, v16
	s_delay_alu instid0(VALU_DEP_1) | instskip(NEXT) | instid1(VALU_DEP_1)
	v_sub_nc_u32_e32 v4, v4, v5
	v_sub_nc_u32_e32 v5, v4, v16
	v_cmp_ge_u32_e32 vcc_lo, v4, v16
	s_delay_alu instid0(VALU_DEP_2) | instskip(NEXT) | instid1(VALU_DEP_1)
	v_cndmask_b32_e32 v4, v4, v5, vcc_lo
	v_sub_nc_u32_e32 v5, v4, v16
	v_cmp_ge_u32_e32 vcc_lo, v4, v16
	s_delay_alu instid0(VALU_DEP_2)
	v_cndmask_b32_e32 v18, v4, v5, vcc_lo
	s_branch .LBB26_56
.LBB26_61:
	s_or_b32 exec_lo, exec_lo, s7
	v_mov_b64_e32 v[4:5], v[16:17]
.LBB26_62:
	s_or_b32 exec_lo, exec_lo, s6
.LBB26_63:
	s_delay_alu instid0(SALU_CYCLE_1) | instskip(SKIP_3) | instid1(VALU_DEP_1)
	s_or_b32 exec_lo, exec_lo, s3
	s_wait_loadcnt 0x0
	v_or_b32_e32 v14, 0x200, v0
	s_mov_b32 s3, exec_lo
	v_cmpx_gt_i32_e64 s12, v14
	s_cbranch_execz .LBB26_73
; %bb.64:
	s_mov_b32 s6, exec_lo
	v_cmpx_ne_u64_e32 0, v[12:13]
	s_cbranch_execz .LBB26_72
; %bb.65:
	v_sub_nc_u64_e32 v[14:15], 0, v[12:13]
	s_mov_b32 s7, 0
	s_delay_alu instid0(VALU_DEP_1)
	v_max_i64 v[16:17], v[12:13], v[14:15]
	v_mov_b32_e32 v12, 0
	s_branch .LBB26_67
.LBB26_66:                              ;   in Loop: Header=BB26_67 Depth=1
	s_or_b32 exec_lo, exec_lo, s1
	s_delay_alu instid0(VALU_DEP_1) | instskip(SKIP_2) | instid1(SALU_CYCLE_1)
	v_cmp_eq_u64_e32 vcc_lo, 0, v[16:17]
	v_mov_b64_e32 v[6:7], v[14:15]
	s_or_b32 s7, vcc_lo, s7
	s_and_not1_b32 exec_lo, exec_lo, s7
	s_cbranch_execz .LBB26_71
.LBB26_67:                              ; =>This Inner Loop Header: Depth=1
	s_delay_alu instid0(VALU_DEP_2) | instskip(SKIP_1) | instid1(VALU_DEP_1)
	v_mov_b64_e32 v[14:15], v[16:17]
                                        ; implicit-def: $vgpr16_vgpr17
	s_mov_b32 s1, exec_lo
	v_or_b32_e32 v13, v7, v15
	s_delay_alu instid0(VALU_DEP_1)
	v_cmpx_ne_u64_e32 0, v[12:13]
	s_xor_b32 s8, exec_lo, s1
	s_cbranch_execz .LBB26_69
; %bb.68:                               ;   in Loop: Header=BB26_67 Depth=1
	s_delay_alu instid0(VALU_DEP_3) | instskip(SKIP_3) | instid1(VALU_DEP_3)
	v_cvt_f32_u32_e32 v13, v14
	v_cvt_f32_u32_e32 v16, v15
	v_sub_nc_u64_e32 v[18:19], 0, v[14:15]
	v_dual_mov_b32 v27, v12 :: v_dual_mov_b32 v29, v12
	v_fmac_f32_e32 v13, 0x4f800000, v16
	s_delay_alu instid0(VALU_DEP_1) | instskip(SKIP_1) | instid1(TRANS32_DEP_1)
	v_rcp_f32_e32 v13, v13
	v_nop
	v_mul_f32_e32 v13, 0x5f7ffffc, v13
	s_delay_alu instid0(VALU_DEP_1) | instskip(NEXT) | instid1(VALU_DEP_1)
	v_mul_f32_e32 v16, 0x2f800000, v13
	v_trunc_f32_e32 v17, v16
	s_delay_alu instid0(VALU_DEP_1) | instskip(SKIP_1) | instid1(VALU_DEP_2)
	v_cvt_u32_f32_e32 v21, v17
	v_fmac_f32_e32 v13, 0xcf800000, v17
	v_dual_mov_b32 v17, v12 :: v_dual_mov_b32 v28, v21
	s_delay_alu instid0(VALU_DEP_2) | instskip(NEXT) | instid1(VALU_DEP_1)
	v_cvt_u32_f32_e32 v16, v13
	v_mov_b32_e32 v20, v16
	s_delay_alu instid0(VALU_DEP_1) | instskip(NEXT) | instid1(VALU_DEP_1)
	v_mul_u64_e32 v[24:25], v[18:19], v[20:21]
	v_dual_mov_b32 v26, v25 :: v_dual_mov_b32 v25, v12
	s_delay_alu instid0(VALU_DEP_1) | instskip(NEXT) | instid1(VALU_DEP_2)
	v_mul_u64_e32 v[30:31], v[16:17], v[26:27]
	v_mul_u64_e32 v[32:33], v[28:29], v[24:25]
	;; [unrolled: 1-line block ×3, first 2 shown]
	v_mul_hi_u32 v24, v16, v24
	s_delay_alu instid0(VALU_DEP_1) | instskip(NEXT) | instid1(VALU_DEP_1)
	v_add_nc_u64_e32 v[24:25], v[24:25], v[30:31]
	v_add_co_u32 v13, vcc_lo, v24, v32
	s_delay_alu instid0(VALU_DEP_2) | instskip(SKIP_1) | instid1(VALU_DEP_1)
	v_add_co_ci_u32_e32 v28, vcc_lo, v25, v33, vcc_lo
	v_add_co_ci_u32_e32 v27, vcc_lo, 0, v27, vcc_lo
	v_add_nc_u64_e32 v[24:25], v[28:29], v[26:27]
	s_delay_alu instid0(VALU_DEP_1) | instskip(NEXT) | instid1(VALU_DEP_1)
	v_add_co_u32 v16, vcc_lo, v16, v24
	v_add_co_ci_u32_e64 v20, null, v21, v25, vcc_lo
	v_dual_mov_b32 v25, v12 :: v_dual_mov_b32 v21, v12
	s_delay_alu instid0(VALU_DEP_2) | instskip(NEXT) | instid1(VALU_DEP_1)
	v_mov_b32_e32 v17, v20
	v_mul_u64_e32 v[18:19], v[18:19], v[16:17]
	s_delay_alu instid0(VALU_DEP_1) | instskip(NEXT) | instid1(VALU_DEP_2)
	v_dual_mov_b32 v17, v12 :: v_dual_mov_b32 v24, v19
	v_dual_mov_b32 v28, v18 :: v_dual_mov_b32 v19, v12
	v_mul_hi_u32 v18, v16, v18
	s_delay_alu instid0(VALU_DEP_3) | instskip(NEXT) | instid1(VALU_DEP_3)
	v_mul_u64_e32 v[26:27], v[16:17], v[24:25]
	v_mul_u64_e32 v[28:29], v[20:21], v[28:29]
	;; [unrolled: 1-line block ×3, first 2 shown]
	s_delay_alu instid0(VALU_DEP_3) | instskip(SKIP_1) | instid1(VALU_DEP_2)
	v_add_nc_u64_e32 v[18:19], v[18:19], v[26:27]
	v_mov_b32_e32 v27, v12
	v_add_co_u32 v13, vcc_lo, v18, v28
	s_delay_alu instid0(VALU_DEP_3) | instskip(SKIP_1) | instid1(VALU_DEP_1)
	v_add_co_ci_u32_e32 v26, vcc_lo, v19, v29, vcc_lo
	v_add_co_ci_u32_e32 v25, vcc_lo, 0, v25, vcc_lo
	v_add_nc_u64_e32 v[18:19], v[26:27], v[24:25]
	v_dual_mov_b32 v24, v6 :: v_dual_mov_b32 v25, v12
	s_delay_alu instid0(VALU_DEP_2) | instskip(NEXT) | instid1(VALU_DEP_1)
	v_add_co_u32 v18, vcc_lo, v16, v18
	v_add_co_ci_u32_e64 v16, null, v20, v19, vcc_lo
	v_dual_mov_b32 v20, v7 :: v_dual_mov_b32 v19, v12
	s_delay_alu instid0(VALU_DEP_2) | instskip(NEXT) | instid1(VALU_DEP_2)
	v_mul_u64_e32 v[24:25], v[24:25], v[16:17]
	v_mul_u64_e32 v[16:17], v[20:21], v[16:17]
	s_delay_alu instid0(VALU_DEP_3) | instskip(SKIP_1) | instid1(VALU_DEP_1)
	v_mul_u64_e32 v[26:27], v[20:21], v[18:19]
	v_mul_hi_u32 v18, v6, v18
	v_add_nc_u64_e32 v[18:19], v[18:19], v[24:25]
	s_delay_alu instid0(VALU_DEP_1) | instskip(NEXT) | instid1(VALU_DEP_2)
	v_add_co_u32 v13, vcc_lo, v18, v26
	v_add_co_ci_u32_e32 v20, vcc_lo, v19, v27, vcc_lo
	v_add_co_ci_u32_e32 v17, vcc_lo, 0, v17, vcc_lo
	s_delay_alu instid0(VALU_DEP_1) | instskip(NEXT) | instid1(VALU_DEP_1)
	v_add_nc_u64_e32 v[16:17], v[20:21], v[16:17]
	v_mul_u64_e32 v[16:17], v[14:15], v[16:17]
	s_delay_alu instid0(VALU_DEP_1) | instskip(NEXT) | instid1(VALU_DEP_2)
	v_sub_nc_u32_e32 v13, v7, v17
	v_sub_co_u32 v6, vcc_lo, v6, v16
	s_delay_alu instid0(VALU_DEP_1) | instskip(NEXT) | instid1(VALU_DEP_3)
	v_sub_co_ci_u32_e64 v7, null, v7, v17, vcc_lo
	v_sub_co_ci_u32_e64 v13, null, v13, v15, vcc_lo
	s_delay_alu instid0(VALU_DEP_3) | instskip(SKIP_1) | instid1(VALU_DEP_3)
	v_sub_co_u32 v16, vcc_lo, v6, v14
	v_cmp_ge_u32_e64 s1, v6, v14
	v_subrev_co_ci_u32_e64 v17, null, 0, v13, vcc_lo
	v_sub_co_ci_u32_e64 v13, null, v13, v15, vcc_lo
	s_delay_alu instid0(VALU_DEP_3) | instskip(SKIP_2) | instid1(VALU_DEP_2)
	v_cndmask_b32_e64 v18, 0, -1, s1
	v_cmp_ge_u32_e64 s1, v16, v14
	v_cmp_ge_u32_e32 vcc_lo, v7, v15
	v_cndmask_b32_e64 v19, 0, -1, s1
	v_cmp_ge_u32_e64 s1, v17, v15
	v_cndmask_b32_e64 v21, 0, -1, vcc_lo
	v_cmp_eq_u32_e32 vcc_lo, v17, v15
	s_delay_alu instid0(VALU_DEP_3) | instskip(SKIP_1) | instid1(VALU_DEP_1)
	v_cndmask_b32_e64 v20, 0, -1, s1
	v_cmp_eq_u32_e64 s1, v7, v15
	v_dual_cndmask_b32 v19, v20, v19, vcc_lo :: v_dual_cndmask_b32 v18, v21, v18, s1
	v_sub_co_u32 v20, vcc_lo, v16, v14
	s_delay_alu instid0(VALU_DEP_1) | instskip(NEXT) | instid1(VALU_DEP_3)
	v_subrev_co_ci_u32_e64 v13, null, 0, v13, vcc_lo
	v_cmp_ne_u32_e32 vcc_lo, 0, v19
	s_delay_alu instid0(VALU_DEP_2) | instskip(SKIP_1) | instid1(VALU_DEP_2)
	v_dual_cndmask_b32 v13, v17, v13 :: v_dual_cndmask_b32 v16, v16, v20
	v_cmp_ne_u32_e32 vcc_lo, 0, v18
	v_dual_cndmask_b32 v17, v7, v13 :: v_dual_cndmask_b32 v16, v6, v16
                                        ; implicit-def: $vgpr6_vgpr7
.LBB26_69:                              ;   in Loop: Header=BB26_67 Depth=1
	s_and_not1_saveexec_b32 s1, s8
	s_cbranch_execz .LBB26_66
; %bb.70:                               ;   in Loop: Header=BB26_67 Depth=1
	v_cvt_f32_u32_e32 v7, v14
	v_dual_sub_nc_u32 v13, 0, v14 :: v_dual_mov_b32 v17, v12
	s_delay_alu instid0(VALU_DEP_2) | instskip(SKIP_1) | instid1(TRANS32_DEP_1)
	v_rcp_iflag_f32_e32 v7, v7
	v_nop
	v_mul_f32_e32 v7, 0x4f7ffffe, v7
	s_delay_alu instid0(VALU_DEP_1) | instskip(NEXT) | instid1(VALU_DEP_1)
	v_cvt_u32_f32_e32 v7, v7
	v_mul_lo_u32 v13, v13, v7
	s_delay_alu instid0(VALU_DEP_1) | instskip(NEXT) | instid1(VALU_DEP_1)
	v_mul_hi_u32 v13, v7, v13
	v_add_nc_u32_e32 v7, v7, v13
	s_delay_alu instid0(VALU_DEP_1) | instskip(NEXT) | instid1(VALU_DEP_1)
	v_mul_hi_u32 v7, v6, v7
	v_mul_lo_u32 v7, v7, v14
	s_delay_alu instid0(VALU_DEP_1) | instskip(NEXT) | instid1(VALU_DEP_1)
	v_sub_nc_u32_e32 v6, v6, v7
	v_sub_nc_u32_e32 v7, v6, v14
	v_cmp_ge_u32_e32 vcc_lo, v6, v14
	s_delay_alu instid0(VALU_DEP_2) | instskip(NEXT) | instid1(VALU_DEP_1)
	v_cndmask_b32_e32 v6, v6, v7, vcc_lo
	v_sub_nc_u32_e32 v7, v6, v14
	v_cmp_ge_u32_e32 vcc_lo, v6, v14
	s_delay_alu instid0(VALU_DEP_2)
	v_cndmask_b32_e32 v16, v6, v7, vcc_lo
	s_branch .LBB26_66
.LBB26_71:
	s_or_b32 exec_lo, exec_lo, s7
	v_mov_b64_e32 v[6:7], v[14:15]
.LBB26_72:
	s_or_b32 exec_lo, exec_lo, s6
.LBB26_73:
	s_delay_alu instid0(SALU_CYCLE_1) | instskip(SKIP_2) | instid1(VALU_DEP_1)
	s_or_b32 exec_lo, exec_lo, s3
	v_or_b32_e32 v12, 0x300, v0
	s_mov_b32 s3, exec_lo
	v_cmpx_gt_i32_e64 s12, v12
	s_cbranch_execnz .LBB26_80
; %bb.74:
	s_or_b32 exec_lo, exec_lo, s3
	s_and_saveexec_b32 s1, s0
	s_delay_alu instid0(SALU_CYCLE_1)
	s_xor_b32 s0, exec_lo, s1
	s_cbranch_execnz .LBB26_89
.LBB26_75:
	s_or_b32 exec_lo, exec_lo, s0
	s_delay_alu instid0(SALU_CYCLE_1)
	s_mov_b32 s0, exec_lo
	v_cmpx_gt_i32_e64 s12, v0
	s_cbranch_execnz .LBB26_90
.LBB26_76:
	s_or_b32 exec_lo, exec_lo, s0
	s_delay_alu instid0(SALU_CYCLE_1)
	s_mov_b32 s0, exec_lo
	v_cmpx_gt_i32_e64 s12, v0
	s_cbranch_execnz .LBB26_91
.LBB26_77:
	s_or_b32 exec_lo, exec_lo, s0
	s_delay_alu instid0(SALU_CYCLE_1)
	s_mov_b32 s0, exec_lo
	v_cmpx_gt_i32_e64 s12, v0
	s_cbranch_execz .LBB26_79
.LBB26_78:
	v_add_nc_u32_e32 v0, s2, v0
	global_store_b64 v0, v[8:9], s[4:5] scale_offset
.LBB26_79:
	s_endpgm
.LBB26_80:
	s_mov_b32 s6, exec_lo
	v_cmpx_ne_u64_e32 0, v[10:11]
	s_cbranch_execz .LBB26_88
; %bb.81:
	v_sub_nc_u64_e32 v[12:13], 0, v[10:11]
	s_mov_b32 s7, 0
	s_delay_alu instid0(VALU_DEP_1)
	v_max_i64 v[14:15], v[10:11], v[12:13]
	v_mov_b32_e32 v10, 0
	s_branch .LBB26_83
.LBB26_82:                              ;   in Loop: Header=BB26_83 Depth=1
	s_or_b32 exec_lo, exec_lo, s1
	s_delay_alu instid0(VALU_DEP_1) | instskip(SKIP_2) | instid1(SALU_CYCLE_1)
	v_cmp_eq_u64_e32 vcc_lo, 0, v[14:15]
	v_mov_b64_e32 v[8:9], v[12:13]
	s_or_b32 s7, vcc_lo, s7
	s_and_not1_b32 exec_lo, exec_lo, s7
	s_cbranch_execz .LBB26_87
.LBB26_83:                              ; =>This Inner Loop Header: Depth=1
	s_delay_alu instid0(VALU_DEP_2) | instskip(SKIP_1) | instid1(VALU_DEP_1)
	v_mov_b64_e32 v[12:13], v[14:15]
                                        ; implicit-def: $vgpr14_vgpr15
	s_mov_b32 s1, exec_lo
	v_or_b32_e32 v11, v9, v13
	s_delay_alu instid0(VALU_DEP_1)
	v_cmpx_ne_u64_e32 0, v[10:11]
	s_xor_b32 s8, exec_lo, s1
	s_cbranch_execz .LBB26_85
; %bb.84:                               ;   in Loop: Header=BB26_83 Depth=1
	s_delay_alu instid0(VALU_DEP_3) | instskip(SKIP_3) | instid1(VALU_DEP_3)
	v_cvt_f32_u32_e32 v11, v12
	v_cvt_f32_u32_e32 v14, v13
	v_sub_nc_u64_e32 v[16:17], 0, v[12:13]
	v_dual_mov_b32 v25, v10 :: v_dual_mov_b32 v27, v10
	v_fmac_f32_e32 v11, 0x4f800000, v14
	s_delay_alu instid0(VALU_DEP_1) | instskip(SKIP_1) | instid1(TRANS32_DEP_1)
	v_rcp_f32_e32 v11, v11
	v_nop
	v_mul_f32_e32 v11, 0x5f7ffffc, v11
	s_delay_alu instid0(VALU_DEP_1) | instskip(NEXT) | instid1(VALU_DEP_1)
	v_mul_f32_e32 v14, 0x2f800000, v11
	v_trunc_f32_e32 v15, v14
	s_delay_alu instid0(VALU_DEP_1) | instskip(SKIP_1) | instid1(VALU_DEP_2)
	v_cvt_u32_f32_e32 v19, v15
	v_fmac_f32_e32 v11, 0xcf800000, v15
	v_dual_mov_b32 v15, v10 :: v_dual_mov_b32 v26, v19
	s_delay_alu instid0(VALU_DEP_2) | instskip(NEXT) | instid1(VALU_DEP_1)
	v_cvt_u32_f32_e32 v14, v11
	v_mov_b32_e32 v18, v14
	s_delay_alu instid0(VALU_DEP_1) | instskip(NEXT) | instid1(VALU_DEP_1)
	v_mul_u64_e32 v[20:21], v[16:17], v[18:19]
	v_dual_mov_b32 v24, v21 :: v_dual_mov_b32 v21, v10
	s_delay_alu instid0(VALU_DEP_1) | instskip(NEXT) | instid1(VALU_DEP_2)
	v_mul_u64_e32 v[28:29], v[14:15], v[24:25]
	v_mul_u64_e32 v[30:31], v[26:27], v[20:21]
	;; [unrolled: 1-line block ×3, first 2 shown]
	v_mul_hi_u32 v20, v14, v20
	s_delay_alu instid0(VALU_DEP_1) | instskip(NEXT) | instid1(VALU_DEP_1)
	v_add_nc_u64_e32 v[20:21], v[20:21], v[28:29]
	v_add_co_u32 v11, vcc_lo, v20, v30
	s_delay_alu instid0(VALU_DEP_2) | instskip(SKIP_1) | instid1(VALU_DEP_1)
	v_add_co_ci_u32_e32 v26, vcc_lo, v21, v31, vcc_lo
	v_add_co_ci_u32_e32 v25, vcc_lo, 0, v25, vcc_lo
	v_add_nc_u64_e32 v[20:21], v[26:27], v[24:25]
	s_delay_alu instid0(VALU_DEP_1) | instskip(NEXT) | instid1(VALU_DEP_1)
	v_add_co_u32 v14, vcc_lo, v14, v20
	v_add_co_ci_u32_e64 v18, null, v19, v21, vcc_lo
	v_dual_mov_b32 v21, v10 :: v_dual_mov_b32 v19, v10
	s_delay_alu instid0(VALU_DEP_2) | instskip(NEXT) | instid1(VALU_DEP_1)
	v_mov_b32_e32 v15, v18
	v_mul_u64_e32 v[16:17], v[16:17], v[14:15]
	s_delay_alu instid0(VALU_DEP_1) | instskip(NEXT) | instid1(VALU_DEP_2)
	v_dual_mov_b32 v15, v10 :: v_dual_mov_b32 v20, v17
	v_dual_mov_b32 v26, v16 :: v_dual_mov_b32 v17, v10
	v_mul_hi_u32 v16, v14, v16
	s_delay_alu instid0(VALU_DEP_3) | instskip(NEXT) | instid1(VALU_DEP_3)
	v_mul_u64_e32 v[24:25], v[14:15], v[20:21]
	v_mul_u64_e32 v[26:27], v[18:19], v[26:27]
	;; [unrolled: 1-line block ×3, first 2 shown]
	s_delay_alu instid0(VALU_DEP_3) | instskip(SKIP_1) | instid1(VALU_DEP_2)
	v_add_nc_u64_e32 v[16:17], v[16:17], v[24:25]
	v_mov_b32_e32 v25, v10
	v_add_co_u32 v11, vcc_lo, v16, v26
	s_delay_alu instid0(VALU_DEP_3) | instskip(SKIP_1) | instid1(VALU_DEP_1)
	v_add_co_ci_u32_e32 v24, vcc_lo, v17, v27, vcc_lo
	v_add_co_ci_u32_e32 v21, vcc_lo, 0, v21, vcc_lo
	v_add_nc_u64_e32 v[16:17], v[24:25], v[20:21]
	v_dual_mov_b32 v20, v8 :: v_dual_mov_b32 v21, v10
	s_delay_alu instid0(VALU_DEP_2) | instskip(NEXT) | instid1(VALU_DEP_1)
	v_add_co_u32 v16, vcc_lo, v14, v16
	v_add_co_ci_u32_e64 v14, null, v18, v17, vcc_lo
	v_dual_mov_b32 v18, v9 :: v_dual_mov_b32 v17, v10
	s_delay_alu instid0(VALU_DEP_2) | instskip(NEXT) | instid1(VALU_DEP_2)
	v_mul_u64_e32 v[20:21], v[20:21], v[14:15]
	v_mul_u64_e32 v[14:15], v[18:19], v[14:15]
	s_delay_alu instid0(VALU_DEP_3) | instskip(SKIP_1) | instid1(VALU_DEP_1)
	v_mul_u64_e32 v[24:25], v[18:19], v[16:17]
	v_mul_hi_u32 v16, v8, v16
	v_add_nc_u64_e32 v[16:17], v[16:17], v[20:21]
	s_delay_alu instid0(VALU_DEP_1) | instskip(NEXT) | instid1(VALU_DEP_2)
	v_add_co_u32 v11, vcc_lo, v16, v24
	v_add_co_ci_u32_e32 v18, vcc_lo, v17, v25, vcc_lo
	v_add_co_ci_u32_e32 v15, vcc_lo, 0, v15, vcc_lo
	s_delay_alu instid0(VALU_DEP_1) | instskip(NEXT) | instid1(VALU_DEP_1)
	v_add_nc_u64_e32 v[14:15], v[18:19], v[14:15]
	v_mul_u64_e32 v[14:15], v[12:13], v[14:15]
	s_delay_alu instid0(VALU_DEP_1) | instskip(NEXT) | instid1(VALU_DEP_2)
	v_sub_nc_u32_e32 v11, v9, v15
	v_sub_co_u32 v8, vcc_lo, v8, v14
	s_delay_alu instid0(VALU_DEP_1) | instskip(NEXT) | instid1(VALU_DEP_3)
	v_sub_co_ci_u32_e64 v9, null, v9, v15, vcc_lo
	v_sub_co_ci_u32_e64 v11, null, v11, v13, vcc_lo
	s_delay_alu instid0(VALU_DEP_3) | instskip(SKIP_1) | instid1(VALU_DEP_3)
	v_sub_co_u32 v14, vcc_lo, v8, v12
	v_cmp_ge_u32_e64 s1, v8, v12
	v_subrev_co_ci_u32_e64 v15, null, 0, v11, vcc_lo
	v_sub_co_ci_u32_e64 v11, null, v11, v13, vcc_lo
	s_delay_alu instid0(VALU_DEP_3) | instskip(SKIP_2) | instid1(VALU_DEP_2)
	v_cndmask_b32_e64 v16, 0, -1, s1
	v_cmp_ge_u32_e64 s1, v14, v12
	v_cmp_ge_u32_e32 vcc_lo, v9, v13
	v_cndmask_b32_e64 v17, 0, -1, s1
	v_cmp_ge_u32_e64 s1, v15, v13
	v_cndmask_b32_e64 v19, 0, -1, vcc_lo
	v_cmp_eq_u32_e32 vcc_lo, v15, v13
	s_delay_alu instid0(VALU_DEP_3) | instskip(SKIP_1) | instid1(VALU_DEP_1)
	v_cndmask_b32_e64 v18, 0, -1, s1
	v_cmp_eq_u32_e64 s1, v9, v13
	v_dual_cndmask_b32 v17, v18, v17, vcc_lo :: v_dual_cndmask_b32 v16, v19, v16, s1
	v_sub_co_u32 v18, vcc_lo, v14, v12
	s_delay_alu instid0(VALU_DEP_1) | instskip(NEXT) | instid1(VALU_DEP_3)
	v_subrev_co_ci_u32_e64 v11, null, 0, v11, vcc_lo
	v_cmp_ne_u32_e32 vcc_lo, 0, v17
	s_delay_alu instid0(VALU_DEP_2) | instskip(SKIP_1) | instid1(VALU_DEP_2)
	v_dual_cndmask_b32 v11, v15, v11 :: v_dual_cndmask_b32 v14, v14, v18
	v_cmp_ne_u32_e32 vcc_lo, 0, v16
	v_dual_cndmask_b32 v15, v9, v11 :: v_dual_cndmask_b32 v14, v8, v14
                                        ; implicit-def: $vgpr8_vgpr9
.LBB26_85:                              ;   in Loop: Header=BB26_83 Depth=1
	s_and_not1_saveexec_b32 s1, s8
	s_cbranch_execz .LBB26_82
; %bb.86:                               ;   in Loop: Header=BB26_83 Depth=1
	v_cvt_f32_u32_e32 v9, v12
	v_dual_sub_nc_u32 v11, 0, v12 :: v_dual_mov_b32 v15, v10
	s_delay_alu instid0(VALU_DEP_2) | instskip(SKIP_1) | instid1(TRANS32_DEP_1)
	v_rcp_iflag_f32_e32 v9, v9
	v_nop
	v_mul_f32_e32 v9, 0x4f7ffffe, v9
	s_delay_alu instid0(VALU_DEP_1) | instskip(NEXT) | instid1(VALU_DEP_1)
	v_cvt_u32_f32_e32 v9, v9
	v_mul_lo_u32 v11, v11, v9
	s_delay_alu instid0(VALU_DEP_1) | instskip(NEXT) | instid1(VALU_DEP_1)
	v_mul_hi_u32 v11, v9, v11
	v_add_nc_u32_e32 v9, v9, v11
	s_delay_alu instid0(VALU_DEP_1) | instskip(NEXT) | instid1(VALU_DEP_1)
	v_mul_hi_u32 v9, v8, v9
	v_mul_lo_u32 v9, v9, v12
	s_delay_alu instid0(VALU_DEP_1) | instskip(NEXT) | instid1(VALU_DEP_1)
	v_sub_nc_u32_e32 v8, v8, v9
	v_sub_nc_u32_e32 v9, v8, v12
	v_cmp_ge_u32_e32 vcc_lo, v8, v12
	s_delay_alu instid0(VALU_DEP_2) | instskip(NEXT) | instid1(VALU_DEP_1)
	v_cndmask_b32_e32 v8, v8, v9, vcc_lo
	v_sub_nc_u32_e32 v9, v8, v12
	v_cmp_ge_u32_e32 vcc_lo, v8, v12
	s_delay_alu instid0(VALU_DEP_2)
	v_cndmask_b32_e32 v14, v8, v9, vcc_lo
	s_branch .LBB26_82
.LBB26_87:
	s_or_b32 exec_lo, exec_lo, s7
	v_mov_b64_e32 v[8:9], v[12:13]
.LBB26_88:
	s_or_b32 exec_lo, exec_lo, s6
	s_delay_alu instid0(SALU_CYCLE_1) | instskip(SKIP_1) | instid1(SALU_CYCLE_1)
	s_or_b32 exec_lo, exec_lo, s3
	s_and_saveexec_b32 s1, s0
	s_xor_b32 s0, exec_lo, s1
	s_cbranch_execz .LBB26_75
.LBB26_89:
	v_mov_b32_e32 v0, v22
	global_store_b64 v1, v[2:3], s[4:5] scale_offset
	s_wait_xcnt 0x0
	s_or_b32 exec_lo, exec_lo, s0
	s_delay_alu instid0(SALU_CYCLE_1)
	s_mov_b32 s0, exec_lo
	v_cmpx_gt_i32_e64 s12, v0
	s_cbranch_execz .LBB26_76
.LBB26_90:
	v_add_nc_u32_e32 v1, s2, v0
	v_add_nc_u32_e32 v0, 0x100, v0
	global_store_b64 v1, v[4:5], s[4:5] scale_offset
	s_wait_xcnt 0x0
	s_or_b32 exec_lo, exec_lo, s0
	s_delay_alu instid0(SALU_CYCLE_1)
	s_mov_b32 s0, exec_lo
	v_cmpx_gt_i32_e64 s12, v0
	s_cbranch_execz .LBB26_77
.LBB26_91:
	v_add_nc_u32_e32 v1, s2, v0
	v_add_nc_u32_e32 v0, 0x100, v0
	global_store_b64 v1, v[6:7], s[4:5] scale_offset
	s_wait_xcnt 0x0
	s_or_b32 exec_lo, exec_lo, s0
	s_delay_alu instid0(SALU_CYCLE_1)
	s_mov_b32 s0, exec_lo
	v_cmpx_gt_i32_e64 s12, v0
	s_cbranch_execnz .LBB26_78
	s_branch .LBB26_79
	.section	.rodata,"a",@progbits
	.p2align	6, 0x0
	.amdhsa_kernel _ZN2at6native29vectorized_elementwise_kernelILi4EZZZNS0_15gcd_kernel_cudaERNS_18TensorIteratorBaseEENKUlvE_clEvENKUlvE2_clEvEUlllE_St5arrayIPcLm3EEEEviT0_T1_
		.amdhsa_group_segment_fixed_size 0
		.amdhsa_private_segment_fixed_size 0
		.amdhsa_kernarg_size 32
		.amdhsa_user_sgpr_count 2
		.amdhsa_user_sgpr_dispatch_ptr 0
		.amdhsa_user_sgpr_queue_ptr 0
		.amdhsa_user_sgpr_kernarg_segment_ptr 1
		.amdhsa_user_sgpr_dispatch_id 0
		.amdhsa_user_sgpr_kernarg_preload_length 0
		.amdhsa_user_sgpr_kernarg_preload_offset 0
		.amdhsa_user_sgpr_private_segment_size 0
		.amdhsa_wavefront_size32 1
		.amdhsa_uses_dynamic_stack 0
		.amdhsa_enable_private_segment 0
		.amdhsa_system_sgpr_workgroup_id_x 1
		.amdhsa_system_sgpr_workgroup_id_y 0
		.amdhsa_system_sgpr_workgroup_id_z 0
		.amdhsa_system_sgpr_workgroup_info 0
		.amdhsa_system_vgpr_workitem_id 0
		.amdhsa_next_free_vgpr 38
		.amdhsa_next_free_sgpr 16
		.amdhsa_named_barrier_count 0
		.amdhsa_reserve_vcc 1
		.amdhsa_float_round_mode_32 0
		.amdhsa_float_round_mode_16_64 0
		.amdhsa_float_denorm_mode_32 3
		.amdhsa_float_denorm_mode_16_64 3
		.amdhsa_fp16_overflow 0
		.amdhsa_memory_ordered 1
		.amdhsa_forward_progress 1
		.amdhsa_inst_pref_size 63
		.amdhsa_round_robin_scheduling 0
		.amdhsa_exception_fp_ieee_invalid_op 0
		.amdhsa_exception_fp_denorm_src 0
		.amdhsa_exception_fp_ieee_div_zero 0
		.amdhsa_exception_fp_ieee_overflow 0
		.amdhsa_exception_fp_ieee_underflow 0
		.amdhsa_exception_fp_ieee_inexact 0
		.amdhsa_exception_int_div_zero 0
	.end_amdhsa_kernel
	.section	.text._ZN2at6native29vectorized_elementwise_kernelILi4EZZZNS0_15gcd_kernel_cudaERNS_18TensorIteratorBaseEENKUlvE_clEvENKUlvE2_clEvEUlllE_St5arrayIPcLm3EEEEviT0_T1_,"axG",@progbits,_ZN2at6native29vectorized_elementwise_kernelILi4EZZZNS0_15gcd_kernel_cudaERNS_18TensorIteratorBaseEENKUlvE_clEvENKUlvE2_clEvEUlllE_St5arrayIPcLm3EEEEviT0_T1_,comdat
.Lfunc_end26:
	.size	_ZN2at6native29vectorized_elementwise_kernelILi4EZZZNS0_15gcd_kernel_cudaERNS_18TensorIteratorBaseEENKUlvE_clEvENKUlvE2_clEvEUlllE_St5arrayIPcLm3EEEEviT0_T1_, .Lfunc_end26-_ZN2at6native29vectorized_elementwise_kernelILi4EZZZNS0_15gcd_kernel_cudaERNS_18TensorIteratorBaseEENKUlvE_clEvENKUlvE2_clEvEUlllE_St5arrayIPcLm3EEEEviT0_T1_
                                        ; -- End function
	.set _ZN2at6native29vectorized_elementwise_kernelILi4EZZZNS0_15gcd_kernel_cudaERNS_18TensorIteratorBaseEENKUlvE_clEvENKUlvE2_clEvEUlllE_St5arrayIPcLm3EEEEviT0_T1_.num_vgpr, 38
	.set _ZN2at6native29vectorized_elementwise_kernelILi4EZZZNS0_15gcd_kernel_cudaERNS_18TensorIteratorBaseEENKUlvE_clEvENKUlvE2_clEvEUlllE_St5arrayIPcLm3EEEEviT0_T1_.num_agpr, 0
	.set _ZN2at6native29vectorized_elementwise_kernelILi4EZZZNS0_15gcd_kernel_cudaERNS_18TensorIteratorBaseEENKUlvE_clEvENKUlvE2_clEvEUlllE_St5arrayIPcLm3EEEEviT0_T1_.numbered_sgpr, 16
	.set _ZN2at6native29vectorized_elementwise_kernelILi4EZZZNS0_15gcd_kernel_cudaERNS_18TensorIteratorBaseEENKUlvE_clEvENKUlvE2_clEvEUlllE_St5arrayIPcLm3EEEEviT0_T1_.num_named_barrier, 0
	.set _ZN2at6native29vectorized_elementwise_kernelILi4EZZZNS0_15gcd_kernel_cudaERNS_18TensorIteratorBaseEENKUlvE_clEvENKUlvE2_clEvEUlllE_St5arrayIPcLm3EEEEviT0_T1_.private_seg_size, 0
	.set _ZN2at6native29vectorized_elementwise_kernelILi4EZZZNS0_15gcd_kernel_cudaERNS_18TensorIteratorBaseEENKUlvE_clEvENKUlvE2_clEvEUlllE_St5arrayIPcLm3EEEEviT0_T1_.uses_vcc, 1
	.set _ZN2at6native29vectorized_elementwise_kernelILi4EZZZNS0_15gcd_kernel_cudaERNS_18TensorIteratorBaseEENKUlvE_clEvENKUlvE2_clEvEUlllE_St5arrayIPcLm3EEEEviT0_T1_.uses_flat_scratch, 0
	.set _ZN2at6native29vectorized_elementwise_kernelILi4EZZZNS0_15gcd_kernel_cudaERNS_18TensorIteratorBaseEENKUlvE_clEvENKUlvE2_clEvEUlllE_St5arrayIPcLm3EEEEviT0_T1_.has_dyn_sized_stack, 0
	.set _ZN2at6native29vectorized_elementwise_kernelILi4EZZZNS0_15gcd_kernel_cudaERNS_18TensorIteratorBaseEENKUlvE_clEvENKUlvE2_clEvEUlllE_St5arrayIPcLm3EEEEviT0_T1_.has_recursion, 0
	.set _ZN2at6native29vectorized_elementwise_kernelILi4EZZZNS0_15gcd_kernel_cudaERNS_18TensorIteratorBaseEENKUlvE_clEvENKUlvE2_clEvEUlllE_St5arrayIPcLm3EEEEviT0_T1_.has_indirect_call, 0
	.section	.AMDGPU.csdata,"",@progbits
; Kernel info:
; codeLenInByte = 8004
; TotalNumSgprs: 18
; NumVgprs: 38
; ScratchSize: 0
; MemoryBound: 1
; FloatMode: 240
; IeeeMode: 1
; LDSByteSize: 0 bytes/workgroup (compile time only)
; SGPRBlocks: 0
; VGPRBlocks: 2
; NumSGPRsForWavesPerEU: 18
; NumVGPRsForWavesPerEU: 38
; NamedBarCnt: 0
; Occupancy: 16
; WaveLimiterHint : 0
; COMPUTE_PGM_RSRC2:SCRATCH_EN: 0
; COMPUTE_PGM_RSRC2:USER_SGPR: 2
; COMPUTE_PGM_RSRC2:TRAP_HANDLER: 0
; COMPUTE_PGM_RSRC2:TGID_X_EN: 1
; COMPUTE_PGM_RSRC2:TGID_Y_EN: 0
; COMPUTE_PGM_RSRC2:TGID_Z_EN: 0
; COMPUTE_PGM_RSRC2:TIDIG_COMP_CNT: 0
	.section	.text._ZN2at6native29vectorized_elementwise_kernelILi2EZZZNS0_15gcd_kernel_cudaERNS_18TensorIteratorBaseEENKUlvE_clEvENKUlvE2_clEvEUlllE_St5arrayIPcLm3EEEEviT0_T1_,"axG",@progbits,_ZN2at6native29vectorized_elementwise_kernelILi2EZZZNS0_15gcd_kernel_cudaERNS_18TensorIteratorBaseEENKUlvE_clEvENKUlvE2_clEvEUlllE_St5arrayIPcLm3EEEEviT0_T1_,comdat
	.globl	_ZN2at6native29vectorized_elementwise_kernelILi2EZZZNS0_15gcd_kernel_cudaERNS_18TensorIteratorBaseEENKUlvE_clEvENKUlvE2_clEvEUlllE_St5arrayIPcLm3EEEEviT0_T1_ ; -- Begin function _ZN2at6native29vectorized_elementwise_kernelILi2EZZZNS0_15gcd_kernel_cudaERNS_18TensorIteratorBaseEENKUlvE_clEvENKUlvE2_clEvEUlllE_St5arrayIPcLm3EEEEviT0_T1_
	.p2align	8
	.type	_ZN2at6native29vectorized_elementwise_kernelILi2EZZZNS0_15gcd_kernel_cudaERNS_18TensorIteratorBaseEENKUlvE_clEvENKUlvE2_clEvEUlllE_St5arrayIPcLm3EEEEviT0_T1_,@function
_ZN2at6native29vectorized_elementwise_kernelILi2EZZZNS0_15gcd_kernel_cudaERNS_18TensorIteratorBaseEENKUlvE_clEvENKUlvE2_clEvEUlllE_St5arrayIPcLm3EEEEviT0_T1_: ; @_ZN2at6native29vectorized_elementwise_kernelILi2EZZZNS0_15gcd_kernel_cudaERNS_18TensorIteratorBaseEENKUlvE_clEvENKUlvE2_clEvEUlllE_St5arrayIPcLm3EEEEviT0_T1_
; %bb.0:
	s_clause 0x2
	s_load_b32 s3, s[0:1], 0x0
	s_load_b128 s[4:7], s[0:1], 0x8
	s_load_b64 s[8:9], s[0:1], 0x18
	s_wait_xcnt 0x0
	s_bfe_u32 s0, ttmp6, 0x4000c
	s_and_b32 s1, ttmp6, 15
	s_add_co_i32 s0, s0, 1
	s_getreg_b32 s2, hwreg(HW_REG_IB_STS2, 6, 4)
	s_mul_i32 s0, ttmp9, s0
	s_delay_alu instid0(SALU_CYCLE_1) | instskip(SKIP_2) | instid1(SALU_CYCLE_1)
	s_add_co_i32 s1, s1, s0
	s_cmp_eq_u32 s2, 0
	s_cselect_b32 s0, ttmp9, s1
	s_lshl_b32 s2, s0, 10
	s_mov_b32 s0, -1
	s_wait_kmcnt 0x0
	s_sub_co_i32 s12, s3, s2
	s_delay_alu instid0(SALU_CYCLE_1)
	s_cmp_gt_i32 s12, 0x3ff
	s_cbranch_scc0 .LBB27_34
; %bb.1:
	s_ashr_i32 s3, s2, 31
	s_delay_alu instid0(SALU_CYCLE_1) | instskip(NEXT) | instid1(SALU_CYCLE_1)
	s_lshl_b64 s[10:11], s[2:3], 3
	s_add_nc_u64 s[0:1], s[8:9], s[10:11]
	s_add_nc_u64 s[14:15], s[6:7], s[10:11]
	s_clause 0x3
	global_load_b128 v[2:5], v0, s[0:1] scale_offset
	global_load_b128 v[14:17], v0, s[14:15] scale_offset
	global_load_b128 v[6:9], v0, s[14:15] offset:4096 scale_offset
	global_load_b128 v[10:13], v0, s[0:1] offset:4096 scale_offset
	s_wait_xcnt 0x0
	s_mov_b32 s1, exec_lo
	s_wait_loadcnt 0x3
	v_sub_nc_u64_e32 v[18:19], 0, v[2:3]
	s_delay_alu instid0(VALU_DEP_1)
	v_max_i64 v[2:3], v[2:3], v[18:19]
	v_mov_b32_e32 v18, 0
	s_wait_loadcnt 0x2
	v_cmpx_ne_u64_e32 0, v[14:15]
	s_cbranch_execz .LBB27_9
; %bb.2:
	v_sub_nc_u64_e32 v[20:21], 0, v[14:15]
	s_mov_b32 s3, 0
	s_delay_alu instid0(VALU_DEP_1)
	v_max_i64 v[20:21], v[14:15], v[20:21]
	s_branch .LBB27_4
.LBB27_3:                               ;   in Loop: Header=BB27_4 Depth=1
	s_or_b32 exec_lo, exec_lo, s0
	s_delay_alu instid0(VALU_DEP_1) | instskip(SKIP_2) | instid1(SALU_CYCLE_1)
	v_cmp_eq_u64_e32 vcc_lo, 0, v[20:21]
	v_mov_b64_e32 v[2:3], v[14:15]
	s_or_b32 s3, vcc_lo, s3
	s_and_not1_b32 exec_lo, exec_lo, s3
	s_cbranch_execz .LBB27_8
.LBB27_4:                               ; =>This Inner Loop Header: Depth=1
	s_delay_alu instid0(VALU_DEP_1) | instskip(SKIP_1) | instid1(VALU_DEP_1)
	v_mov_b64_e32 v[14:15], v[20:21]
                                        ; implicit-def: $vgpr20_vgpr21
	s_mov_b32 s0, exec_lo
	v_or_b32_e32 v19, v3, v15
	s_delay_alu instid0(VALU_DEP_1)
	v_cmpx_ne_u64_e32 0, v[18:19]
	s_xor_b32 s13, exec_lo, s0
	s_cbranch_execz .LBB27_6
; %bb.5:                                ;   in Loop: Header=BB27_4 Depth=1
	s_delay_alu instid0(VALU_DEP_3) | instskip(SKIP_4) | instid1(VALU_DEP_4)
	v_cvt_f32_u32_e32 v1, v14
	v_cvt_f32_u32_e32 v19, v15
	v_sub_nc_u64_e32 v[22:23], 0, v[14:15]
	v_dual_mov_b32 v21, v18 :: v_dual_mov_b32 v29, v18
	v_mov_b32_e32 v31, v18
	v_fmac_f32_e32 v1, 0x4f800000, v19
	s_delay_alu instid0(VALU_DEP_1) | instskip(SKIP_1) | instid1(TRANS32_DEP_1)
	v_rcp_f32_e32 v1, v1
	v_nop
	v_mul_f32_e32 v1, 0x5f7ffffc, v1
	s_delay_alu instid0(VALU_DEP_1) | instskip(NEXT) | instid1(VALU_DEP_1)
	v_mul_f32_e32 v19, 0x2f800000, v1
	v_trunc_f32_e32 v19, v19
	s_delay_alu instid0(VALU_DEP_1) | instskip(SKIP_1) | instid1(VALU_DEP_2)
	v_fmac_f32_e32 v1, 0xcf800000, v19
	v_cvt_u32_f32_e32 v25, v19
	v_cvt_u32_f32_e32 v20, v1
	s_delay_alu instid0(VALU_DEP_1) | instskip(NEXT) | instid1(VALU_DEP_1)
	v_dual_mov_b32 v30, v25 :: v_dual_mov_b32 v24, v20
	v_mul_u64_e32 v[26:27], v[22:23], v[24:25]
	s_delay_alu instid0(VALU_DEP_1) | instskip(NEXT) | instid1(VALU_DEP_1)
	v_dual_mov_b32 v28, v27 :: v_dual_mov_b32 v27, v18
	v_mul_u64_e32 v[32:33], v[20:21], v[28:29]
	s_delay_alu instid0(VALU_DEP_2) | instskip(SKIP_2) | instid1(VALU_DEP_1)
	v_mul_u64_e32 v[34:35], v[30:31], v[26:27]
	v_mul_u64_e32 v[28:29], v[30:31], v[28:29]
	v_mul_hi_u32 v26, v20, v26
	v_add_nc_u64_e32 v[26:27], v[26:27], v[32:33]
	s_delay_alu instid0(VALU_DEP_1) | instskip(NEXT) | instid1(VALU_DEP_2)
	v_add_co_u32 v1, vcc_lo, v26, v34
	v_add_co_ci_u32_e32 v30, vcc_lo, v27, v35, vcc_lo
	v_add_co_ci_u32_e32 v29, vcc_lo, 0, v29, vcc_lo
	s_delay_alu instid0(VALU_DEP_1) | instskip(NEXT) | instid1(VALU_DEP_1)
	v_add_nc_u64_e32 v[26:27], v[30:31], v[28:29]
	v_add_co_u32 v20, vcc_lo, v20, v26
	s_delay_alu instid0(VALU_DEP_1) | instskip(SKIP_1) | instid1(VALU_DEP_2)
	v_add_co_ci_u32_e64 v24, null, v25, v27, vcc_lo
	v_dual_mov_b32 v27, v18 :: v_dual_mov_b32 v25, v18
	v_mov_b32_e32 v21, v24
	s_delay_alu instid0(VALU_DEP_1) | instskip(NEXT) | instid1(VALU_DEP_1)
	v_mul_u64_e32 v[22:23], v[22:23], v[20:21]
	v_dual_mov_b32 v21, v18 :: v_dual_mov_b32 v26, v23
	s_delay_alu instid0(VALU_DEP_2) | instskip(SKIP_1) | instid1(VALU_DEP_3)
	v_dual_mov_b32 v30, v22 :: v_dual_mov_b32 v23, v18
	v_mul_hi_u32 v22, v20, v22
	v_mul_u64_e32 v[28:29], v[20:21], v[26:27]
	s_delay_alu instid0(VALU_DEP_3) | instskip(SKIP_1) | instid1(VALU_DEP_3)
	v_mul_u64_e32 v[30:31], v[24:25], v[30:31]
	v_mul_u64_e32 v[26:27], v[24:25], v[26:27]
	v_add_nc_u64_e32 v[22:23], v[22:23], v[28:29]
	v_mov_b32_e32 v29, v18
	s_delay_alu instid0(VALU_DEP_2) | instskip(NEXT) | instid1(VALU_DEP_3)
	v_add_co_u32 v1, vcc_lo, v22, v30
	v_add_co_ci_u32_e32 v28, vcc_lo, v23, v31, vcc_lo
	v_add_co_ci_u32_e32 v27, vcc_lo, 0, v27, vcc_lo
	s_delay_alu instid0(VALU_DEP_1) | instskip(SKIP_1) | instid1(VALU_DEP_2)
	v_add_nc_u64_e32 v[22:23], v[28:29], v[26:27]
	v_dual_mov_b32 v26, v2 :: v_dual_mov_b32 v27, v18
	v_add_co_u32 v22, vcc_lo, v20, v22
	s_delay_alu instid0(VALU_DEP_1) | instskip(SKIP_1) | instid1(VALU_DEP_2)
	v_add_co_ci_u32_e64 v20, null, v24, v23, vcc_lo
	v_dual_mov_b32 v24, v3 :: v_dual_mov_b32 v23, v18
	v_mul_u64_e32 v[26:27], v[26:27], v[20:21]
	s_delay_alu instid0(VALU_DEP_2) | instskip(NEXT) | instid1(VALU_DEP_3)
	v_mul_u64_e32 v[20:21], v[24:25], v[20:21]
	v_mul_u64_e32 v[28:29], v[24:25], v[22:23]
	v_mul_hi_u32 v22, v2, v22
	s_delay_alu instid0(VALU_DEP_1) | instskip(NEXT) | instid1(VALU_DEP_1)
	v_add_nc_u64_e32 v[22:23], v[22:23], v[26:27]
	v_add_co_u32 v1, vcc_lo, v22, v28
	s_delay_alu instid0(VALU_DEP_2) | instskip(SKIP_1) | instid1(VALU_DEP_1)
	v_add_co_ci_u32_e32 v24, vcc_lo, v23, v29, vcc_lo
	v_add_co_ci_u32_e32 v21, vcc_lo, 0, v21, vcc_lo
	v_add_nc_u64_e32 v[20:21], v[24:25], v[20:21]
	s_delay_alu instid0(VALU_DEP_1) | instskip(NEXT) | instid1(VALU_DEP_1)
	v_mul_u64_e32 v[20:21], v[14:15], v[20:21]
	v_sub_nc_u32_e32 v1, v3, v21
	s_delay_alu instid0(VALU_DEP_2) | instskip(NEXT) | instid1(VALU_DEP_1)
	v_sub_co_u32 v2, vcc_lo, v2, v20
	v_sub_co_ci_u32_e64 v3, null, v3, v21, vcc_lo
	s_delay_alu instid0(VALU_DEP_3) | instskip(NEXT) | instid1(VALU_DEP_3)
	v_sub_co_ci_u32_e64 v1, null, v1, v15, vcc_lo
	v_sub_co_u32 v19, vcc_lo, v2, v14
	v_cmp_ge_u32_e64 s0, v2, v14
	s_delay_alu instid0(VALU_DEP_3) | instskip(SKIP_1) | instid1(VALU_DEP_3)
	v_subrev_co_ci_u32_e64 v20, null, 0, v1, vcc_lo
	v_sub_co_ci_u32_e64 v1, null, v1, v15, vcc_lo
	v_cndmask_b32_e64 v21, 0, -1, s0
	v_cmp_ge_u32_e64 s0, v19, v14
	v_cmp_ge_u32_e32 vcc_lo, v3, v15
	s_delay_alu instid0(VALU_DEP_2) | instskip(SKIP_3) | instid1(VALU_DEP_3)
	v_cndmask_b32_e64 v22, 0, -1, s0
	v_cmp_ge_u32_e64 s0, v20, v15
	v_cndmask_b32_e64 v24, 0, -1, vcc_lo
	v_cmp_eq_u32_e32 vcc_lo, v20, v15
	v_cndmask_b32_e64 v23, 0, -1, s0
	v_cmp_eq_u32_e64 s0, v3, v15
	s_delay_alu instid0(VALU_DEP_1) | instskip(SKIP_1) | instid1(VALU_DEP_1)
	v_dual_cndmask_b32 v22, v23, v22, vcc_lo :: v_dual_cndmask_b32 v21, v24, v21, s0
	v_sub_co_u32 v23, vcc_lo, v19, v14
	v_subrev_co_ci_u32_e64 v1, null, 0, v1, vcc_lo
	s_delay_alu instid0(VALU_DEP_3) | instskip(NEXT) | instid1(VALU_DEP_2)
	v_cmp_ne_u32_e32 vcc_lo, 0, v22
	v_dual_cndmask_b32 v1, v20, v1, vcc_lo :: v_dual_cndmask_b32 v19, v19, v23, vcc_lo
	v_cmp_ne_u32_e32 vcc_lo, 0, v21
	s_delay_alu instid0(VALU_DEP_2)
	v_dual_cndmask_b32 v21, v3, v1 :: v_dual_cndmask_b32 v20, v2, v19
                                        ; implicit-def: $vgpr2_vgpr3
.LBB27_6:                               ;   in Loop: Header=BB27_4 Depth=1
	s_and_not1_saveexec_b32 s0, s13
	s_cbranch_execz .LBB27_3
; %bb.7:                                ;   in Loop: Header=BB27_4 Depth=1
	v_cvt_f32_u32_e32 v1, v14
	v_dual_sub_nc_u32 v3, 0, v14 :: v_dual_mov_b32 v21, v18
	s_delay_alu instid0(VALU_DEP_2) | instskip(SKIP_1) | instid1(TRANS32_DEP_1)
	v_rcp_iflag_f32_e32 v1, v1
	v_nop
	v_mul_f32_e32 v1, 0x4f7ffffe, v1
	s_delay_alu instid0(VALU_DEP_1) | instskip(NEXT) | instid1(VALU_DEP_1)
	v_cvt_u32_f32_e32 v1, v1
	v_mul_lo_u32 v3, v3, v1
	s_delay_alu instid0(VALU_DEP_1) | instskip(NEXT) | instid1(VALU_DEP_1)
	v_mul_hi_u32 v3, v1, v3
	v_add_nc_u32_e32 v1, v1, v3
	s_delay_alu instid0(VALU_DEP_1) | instskip(NEXT) | instid1(VALU_DEP_1)
	v_mul_hi_u32 v1, v2, v1
	v_mul_lo_u32 v1, v1, v14
	s_delay_alu instid0(VALU_DEP_1) | instskip(NEXT) | instid1(VALU_DEP_1)
	v_sub_nc_u32_e32 v1, v2, v1
	v_sub_nc_u32_e32 v2, v1, v14
	v_cmp_ge_u32_e32 vcc_lo, v1, v14
	s_delay_alu instid0(VALU_DEP_2) | instskip(NEXT) | instid1(VALU_DEP_1)
	v_cndmask_b32_e32 v1, v1, v2, vcc_lo
	v_sub_nc_u32_e32 v2, v1, v14
	v_cmp_ge_u32_e32 vcc_lo, v1, v14
	s_delay_alu instid0(VALU_DEP_2)
	v_cndmask_b32_e32 v20, v1, v2, vcc_lo
	s_branch .LBB27_3
.LBB27_8:
	s_or_b32 exec_lo, exec_lo, s3
	v_mov_b64_e32 v[2:3], v[14:15]
.LBB27_9:
	s_or_b32 exec_lo, exec_lo, s1
	v_sub_nc_u64_e32 v[14:15], 0, v[4:5]
	s_mov_b32 s1, exec_lo
	s_delay_alu instid0(VALU_DEP_1)
	v_max_i64 v[4:5], v[4:5], v[14:15]
	v_cmpx_ne_u64_e32 0, v[16:17]
	s_cbranch_execz .LBB27_17
; %bb.10:
	v_sub_nc_u64_e32 v[14:15], 0, v[16:17]
	s_mov_b32 s3, 0
	s_delay_alu instid0(VALU_DEP_1)
	v_max_i64 v[18:19], v[16:17], v[14:15]
	v_mov_b32_e32 v14, 0
	s_branch .LBB27_12
.LBB27_11:                              ;   in Loop: Header=BB27_12 Depth=1
	s_or_b32 exec_lo, exec_lo, s0
	s_delay_alu instid0(VALU_DEP_1) | instskip(SKIP_2) | instid1(SALU_CYCLE_1)
	v_cmp_eq_u64_e32 vcc_lo, 0, v[18:19]
	v_mov_b64_e32 v[4:5], v[16:17]
	s_or_b32 s3, vcc_lo, s3
	s_and_not1_b32 exec_lo, exec_lo, s3
	s_cbranch_execz .LBB27_16
.LBB27_12:                              ; =>This Inner Loop Header: Depth=1
	s_delay_alu instid0(VALU_DEP_2) | instskip(SKIP_1) | instid1(VALU_DEP_1)
	v_mov_b64_e32 v[16:17], v[18:19]
                                        ; implicit-def: $vgpr18_vgpr19
	s_mov_b32 s0, exec_lo
	v_or_b32_e32 v15, v5, v17
	s_delay_alu instid0(VALU_DEP_1)
	v_cmpx_ne_u64_e32 0, v[14:15]
	s_xor_b32 s13, exec_lo, s0
	s_cbranch_execz .LBB27_14
; %bb.13:                               ;   in Loop: Header=BB27_12 Depth=1
	s_delay_alu instid0(VALU_DEP_3) | instskip(SKIP_4) | instid1(VALU_DEP_4)
	v_cvt_f32_u32_e32 v1, v16
	v_cvt_f32_u32_e32 v15, v17
	v_sub_nc_u64_e32 v[20:21], 0, v[16:17]
	v_dual_mov_b32 v19, v14 :: v_dual_mov_b32 v27, v14
	v_mov_b32_e32 v29, v14
	v_fmac_f32_e32 v1, 0x4f800000, v15
	s_delay_alu instid0(VALU_DEP_1) | instskip(SKIP_1) | instid1(TRANS32_DEP_1)
	v_rcp_f32_e32 v1, v1
	v_nop
	v_mul_f32_e32 v1, 0x5f7ffffc, v1
	s_delay_alu instid0(VALU_DEP_1) | instskip(NEXT) | instid1(VALU_DEP_1)
	v_mul_f32_e32 v15, 0x2f800000, v1
	v_trunc_f32_e32 v15, v15
	s_delay_alu instid0(VALU_DEP_1) | instskip(SKIP_1) | instid1(VALU_DEP_2)
	v_fmac_f32_e32 v1, 0xcf800000, v15
	v_cvt_u32_f32_e32 v23, v15
	v_cvt_u32_f32_e32 v18, v1
	s_delay_alu instid0(VALU_DEP_1) | instskip(NEXT) | instid1(VALU_DEP_1)
	v_dual_mov_b32 v28, v23 :: v_dual_mov_b32 v22, v18
	v_mul_u64_e32 v[24:25], v[20:21], v[22:23]
	s_delay_alu instid0(VALU_DEP_1) | instskip(NEXT) | instid1(VALU_DEP_1)
	v_dual_mov_b32 v26, v25 :: v_dual_mov_b32 v25, v14
	v_mul_u64_e32 v[30:31], v[18:19], v[26:27]
	s_delay_alu instid0(VALU_DEP_2) | instskip(SKIP_2) | instid1(VALU_DEP_1)
	v_mul_u64_e32 v[32:33], v[28:29], v[24:25]
	v_mul_u64_e32 v[26:27], v[28:29], v[26:27]
	v_mul_hi_u32 v24, v18, v24
	v_add_nc_u64_e32 v[24:25], v[24:25], v[30:31]
	s_delay_alu instid0(VALU_DEP_1) | instskip(NEXT) | instid1(VALU_DEP_2)
	v_add_co_u32 v1, vcc_lo, v24, v32
	v_add_co_ci_u32_e32 v28, vcc_lo, v25, v33, vcc_lo
	v_add_co_ci_u32_e32 v27, vcc_lo, 0, v27, vcc_lo
	s_delay_alu instid0(VALU_DEP_1) | instskip(NEXT) | instid1(VALU_DEP_1)
	v_add_nc_u64_e32 v[24:25], v[28:29], v[26:27]
	v_add_co_u32 v18, vcc_lo, v18, v24
	s_delay_alu instid0(VALU_DEP_1) | instskip(SKIP_1) | instid1(VALU_DEP_2)
	v_add_co_ci_u32_e64 v22, null, v23, v25, vcc_lo
	v_dual_mov_b32 v25, v14 :: v_dual_mov_b32 v23, v14
	v_mov_b32_e32 v19, v22
	s_delay_alu instid0(VALU_DEP_1) | instskip(NEXT) | instid1(VALU_DEP_1)
	v_mul_u64_e32 v[20:21], v[20:21], v[18:19]
	v_dual_mov_b32 v19, v14 :: v_dual_mov_b32 v24, v21
	s_delay_alu instid0(VALU_DEP_2) | instskip(SKIP_1) | instid1(VALU_DEP_3)
	v_dual_mov_b32 v28, v20 :: v_dual_mov_b32 v21, v14
	v_mul_hi_u32 v20, v18, v20
	v_mul_u64_e32 v[26:27], v[18:19], v[24:25]
	s_delay_alu instid0(VALU_DEP_3) | instskip(SKIP_1) | instid1(VALU_DEP_3)
	v_mul_u64_e32 v[28:29], v[22:23], v[28:29]
	v_mul_u64_e32 v[24:25], v[22:23], v[24:25]
	v_add_nc_u64_e32 v[20:21], v[20:21], v[26:27]
	v_mov_b32_e32 v27, v14
	s_delay_alu instid0(VALU_DEP_2) | instskip(NEXT) | instid1(VALU_DEP_3)
	v_add_co_u32 v1, vcc_lo, v20, v28
	v_add_co_ci_u32_e32 v26, vcc_lo, v21, v29, vcc_lo
	v_add_co_ci_u32_e32 v25, vcc_lo, 0, v25, vcc_lo
	s_delay_alu instid0(VALU_DEP_1) | instskip(SKIP_1) | instid1(VALU_DEP_2)
	v_add_nc_u64_e32 v[20:21], v[26:27], v[24:25]
	v_dual_mov_b32 v24, v4 :: v_dual_mov_b32 v25, v14
	v_add_co_u32 v20, vcc_lo, v18, v20
	s_delay_alu instid0(VALU_DEP_1) | instskip(SKIP_1) | instid1(VALU_DEP_2)
	v_add_co_ci_u32_e64 v18, null, v22, v21, vcc_lo
	v_dual_mov_b32 v22, v5 :: v_dual_mov_b32 v21, v14
	v_mul_u64_e32 v[24:25], v[24:25], v[18:19]
	s_delay_alu instid0(VALU_DEP_2) | instskip(NEXT) | instid1(VALU_DEP_3)
	v_mul_u64_e32 v[18:19], v[22:23], v[18:19]
	v_mul_u64_e32 v[26:27], v[22:23], v[20:21]
	v_mul_hi_u32 v20, v4, v20
	s_delay_alu instid0(VALU_DEP_1) | instskip(NEXT) | instid1(VALU_DEP_1)
	v_add_nc_u64_e32 v[20:21], v[20:21], v[24:25]
	v_add_co_u32 v1, vcc_lo, v20, v26
	s_delay_alu instid0(VALU_DEP_2) | instskip(SKIP_1) | instid1(VALU_DEP_1)
	v_add_co_ci_u32_e32 v22, vcc_lo, v21, v27, vcc_lo
	v_add_co_ci_u32_e32 v19, vcc_lo, 0, v19, vcc_lo
	v_add_nc_u64_e32 v[18:19], v[22:23], v[18:19]
	s_delay_alu instid0(VALU_DEP_1) | instskip(NEXT) | instid1(VALU_DEP_1)
	v_mul_u64_e32 v[18:19], v[16:17], v[18:19]
	v_sub_nc_u32_e32 v1, v5, v19
	s_delay_alu instid0(VALU_DEP_2) | instskip(NEXT) | instid1(VALU_DEP_1)
	v_sub_co_u32 v4, vcc_lo, v4, v18
	v_sub_co_ci_u32_e64 v5, null, v5, v19, vcc_lo
	s_delay_alu instid0(VALU_DEP_3) | instskip(NEXT) | instid1(VALU_DEP_3)
	v_sub_co_ci_u32_e64 v1, null, v1, v17, vcc_lo
	v_sub_co_u32 v15, vcc_lo, v4, v16
	v_cmp_ge_u32_e64 s0, v4, v16
	s_delay_alu instid0(VALU_DEP_3) | instskip(SKIP_1) | instid1(VALU_DEP_3)
	v_subrev_co_ci_u32_e64 v18, null, 0, v1, vcc_lo
	v_sub_co_ci_u32_e64 v1, null, v1, v17, vcc_lo
	v_cndmask_b32_e64 v19, 0, -1, s0
	v_cmp_ge_u32_e64 s0, v15, v16
	v_cmp_ge_u32_e32 vcc_lo, v5, v17
	s_delay_alu instid0(VALU_DEP_2) | instskip(SKIP_3) | instid1(VALU_DEP_3)
	v_cndmask_b32_e64 v20, 0, -1, s0
	v_cmp_ge_u32_e64 s0, v18, v17
	v_cndmask_b32_e64 v22, 0, -1, vcc_lo
	v_cmp_eq_u32_e32 vcc_lo, v18, v17
	v_cndmask_b32_e64 v21, 0, -1, s0
	v_cmp_eq_u32_e64 s0, v5, v17
	s_delay_alu instid0(VALU_DEP_1) | instskip(SKIP_1) | instid1(VALU_DEP_1)
	v_dual_cndmask_b32 v20, v21, v20, vcc_lo :: v_dual_cndmask_b32 v19, v22, v19, s0
	v_sub_co_u32 v21, vcc_lo, v15, v16
	v_subrev_co_ci_u32_e64 v1, null, 0, v1, vcc_lo
	s_delay_alu instid0(VALU_DEP_3) | instskip(NEXT) | instid1(VALU_DEP_3)
	v_cmp_ne_u32_e32 vcc_lo, 0, v20
	v_cndmask_b32_e32 v15, v15, v21, vcc_lo
	s_delay_alu instid0(VALU_DEP_3) | instskip(SKIP_1) | instid1(VALU_DEP_2)
	v_cndmask_b32_e32 v1, v18, v1, vcc_lo
	v_cmp_ne_u32_e32 vcc_lo, 0, v19
	v_dual_cndmask_b32 v18, v4, v15 :: v_dual_cndmask_b32 v19, v5, v1
.LBB27_14:                              ;   in Loop: Header=BB27_12 Depth=1
	s_and_not1_saveexec_b32 s0, s13
	s_cbranch_execz .LBB27_11
; %bb.15:                               ;   in Loop: Header=BB27_12 Depth=1
	v_cvt_f32_u32_e32 v1, v16
	v_dual_sub_nc_u32 v5, 0, v16 :: v_dual_mov_b32 v19, v14
	s_delay_alu instid0(VALU_DEP_2) | instskip(SKIP_1) | instid1(TRANS32_DEP_1)
	v_rcp_iflag_f32_e32 v1, v1
	v_nop
	v_mul_f32_e32 v1, 0x4f7ffffe, v1
	s_delay_alu instid0(VALU_DEP_1) | instskip(NEXT) | instid1(VALU_DEP_1)
	v_cvt_u32_f32_e32 v1, v1
	v_mul_lo_u32 v5, v5, v1
	s_delay_alu instid0(VALU_DEP_1) | instskip(NEXT) | instid1(VALU_DEP_1)
	v_mul_hi_u32 v5, v1, v5
	v_add_nc_u32_e32 v1, v1, v5
	s_delay_alu instid0(VALU_DEP_1) | instskip(NEXT) | instid1(VALU_DEP_1)
	v_mul_hi_u32 v1, v4, v1
	v_mul_lo_u32 v1, v1, v16
	s_delay_alu instid0(VALU_DEP_1) | instskip(NEXT) | instid1(VALU_DEP_1)
	v_sub_nc_u32_e32 v1, v4, v1
	v_sub_nc_u32_e32 v4, v1, v16
	v_cmp_ge_u32_e32 vcc_lo, v1, v16
	s_delay_alu instid0(VALU_DEP_2) | instskip(NEXT) | instid1(VALU_DEP_1)
	v_cndmask_b32_e32 v1, v1, v4, vcc_lo
	v_sub_nc_u32_e32 v4, v1, v16
	v_cmp_ge_u32_e32 vcc_lo, v1, v16
	s_delay_alu instid0(VALU_DEP_2)
	v_cndmask_b32_e32 v18, v1, v4, vcc_lo
	s_branch .LBB27_11
.LBB27_16:
	s_or_b32 exec_lo, exec_lo, s3
	v_mov_b64_e32 v[4:5], v[16:17]
.LBB27_17:
	s_or_b32 exec_lo, exec_lo, s1
	s_wait_loadcnt 0x0
	v_sub_nc_u64_e32 v[14:15], 0, v[10:11]
	s_mov_b32 s1, exec_lo
	s_delay_alu instid0(VALU_DEP_1)
	v_max_i64 v[10:11], v[10:11], v[14:15]
	v_cmpx_ne_u64_e32 0, v[6:7]
	s_cbranch_execz .LBB27_25
; %bb.18:
	v_sub_nc_u64_e32 v[14:15], 0, v[6:7]
	s_mov_b32 s3, 0
	s_delay_alu instid0(VALU_DEP_1)
	v_max_i64 v[16:17], v[6:7], v[14:15]
	v_mov_b32_e32 v6, 0
	s_branch .LBB27_20
.LBB27_19:                              ;   in Loop: Header=BB27_20 Depth=1
	s_or_b32 exec_lo, exec_lo, s0
	s_delay_alu instid0(VALU_DEP_1) | instskip(SKIP_2) | instid1(SALU_CYCLE_1)
	v_cmp_eq_u64_e32 vcc_lo, 0, v[16:17]
	v_mov_b64_e32 v[10:11], v[14:15]
	s_or_b32 s3, vcc_lo, s3
	s_and_not1_b32 exec_lo, exec_lo, s3
	s_cbranch_execz .LBB27_24
.LBB27_20:                              ; =>This Inner Loop Header: Depth=1
	s_delay_alu instid0(VALU_DEP_2) | instskip(SKIP_1) | instid1(VALU_DEP_1)
	v_mov_b64_e32 v[14:15], v[16:17]
                                        ; implicit-def: $vgpr16_vgpr17
	s_mov_b32 s0, exec_lo
	v_or_b32_e32 v7, v11, v15
	s_delay_alu instid0(VALU_DEP_1)
	v_cmpx_ne_u64_e32 0, v[6:7]
	s_xor_b32 s13, exec_lo, s0
	s_cbranch_execz .LBB27_22
; %bb.21:                               ;   in Loop: Header=BB27_20 Depth=1
	s_delay_alu instid0(VALU_DEP_3) | instskip(SKIP_4) | instid1(VALU_DEP_4)
	v_cvt_f32_u32_e32 v1, v14
	v_cvt_f32_u32_e32 v7, v15
	v_sub_nc_u64_e32 v[18:19], 0, v[14:15]
	v_dual_mov_b32 v17, v6 :: v_dual_mov_b32 v25, v6
	v_mov_b32_e32 v27, v6
	v_fmac_f32_e32 v1, 0x4f800000, v7
	s_delay_alu instid0(VALU_DEP_1) | instskip(SKIP_1) | instid1(TRANS32_DEP_1)
	v_rcp_f32_e32 v1, v1
	v_nop
	v_mul_f32_e32 v1, 0x5f7ffffc, v1
	s_delay_alu instid0(VALU_DEP_1) | instskip(NEXT) | instid1(VALU_DEP_1)
	v_mul_f32_e32 v7, 0x2f800000, v1
	v_trunc_f32_e32 v7, v7
	s_delay_alu instid0(VALU_DEP_1) | instskip(SKIP_1) | instid1(VALU_DEP_2)
	v_fmac_f32_e32 v1, 0xcf800000, v7
	v_cvt_u32_f32_e32 v21, v7
	v_cvt_u32_f32_e32 v16, v1
	s_delay_alu instid0(VALU_DEP_1) | instskip(NEXT) | instid1(VALU_DEP_1)
	v_dual_mov_b32 v26, v21 :: v_dual_mov_b32 v20, v16
	v_mul_u64_e32 v[22:23], v[18:19], v[20:21]
	s_delay_alu instid0(VALU_DEP_1) | instskip(NEXT) | instid1(VALU_DEP_1)
	v_dual_mov_b32 v24, v23 :: v_dual_mov_b32 v23, v6
	v_mul_u64_e32 v[28:29], v[16:17], v[24:25]
	s_delay_alu instid0(VALU_DEP_2) | instskip(SKIP_2) | instid1(VALU_DEP_1)
	v_mul_u64_e32 v[30:31], v[26:27], v[22:23]
	v_mul_u64_e32 v[24:25], v[26:27], v[24:25]
	v_mul_hi_u32 v22, v16, v22
	v_add_nc_u64_e32 v[22:23], v[22:23], v[28:29]
	s_delay_alu instid0(VALU_DEP_1) | instskip(NEXT) | instid1(VALU_DEP_2)
	v_add_co_u32 v1, vcc_lo, v22, v30
	v_add_co_ci_u32_e32 v26, vcc_lo, v23, v31, vcc_lo
	v_add_co_ci_u32_e32 v25, vcc_lo, 0, v25, vcc_lo
	s_delay_alu instid0(VALU_DEP_1) | instskip(NEXT) | instid1(VALU_DEP_1)
	v_add_nc_u64_e32 v[22:23], v[26:27], v[24:25]
	v_add_co_u32 v16, vcc_lo, v16, v22
	s_delay_alu instid0(VALU_DEP_1) | instskip(SKIP_1) | instid1(VALU_DEP_2)
	v_add_co_ci_u32_e64 v20, null, v21, v23, vcc_lo
	v_dual_mov_b32 v23, v6 :: v_dual_mov_b32 v21, v6
	v_mov_b32_e32 v17, v20
	s_delay_alu instid0(VALU_DEP_1) | instskip(NEXT) | instid1(VALU_DEP_1)
	v_mul_u64_e32 v[18:19], v[18:19], v[16:17]
	v_dual_mov_b32 v17, v6 :: v_dual_mov_b32 v22, v19
	s_delay_alu instid0(VALU_DEP_2) | instskip(SKIP_1) | instid1(VALU_DEP_3)
	v_dual_mov_b32 v26, v18 :: v_dual_mov_b32 v19, v6
	v_mul_hi_u32 v18, v16, v18
	v_mul_u64_e32 v[24:25], v[16:17], v[22:23]
	s_delay_alu instid0(VALU_DEP_3) | instskip(SKIP_1) | instid1(VALU_DEP_3)
	v_mul_u64_e32 v[26:27], v[20:21], v[26:27]
	v_mul_u64_e32 v[22:23], v[20:21], v[22:23]
	v_add_nc_u64_e32 v[18:19], v[18:19], v[24:25]
	v_mov_b32_e32 v25, v6
	s_delay_alu instid0(VALU_DEP_2) | instskip(NEXT) | instid1(VALU_DEP_3)
	v_add_co_u32 v1, vcc_lo, v18, v26
	v_add_co_ci_u32_e32 v24, vcc_lo, v19, v27, vcc_lo
	v_add_co_ci_u32_e32 v23, vcc_lo, 0, v23, vcc_lo
	s_delay_alu instid0(VALU_DEP_1) | instskip(SKIP_1) | instid1(VALU_DEP_2)
	v_add_nc_u64_e32 v[18:19], v[24:25], v[22:23]
	v_dual_mov_b32 v22, v10 :: v_dual_mov_b32 v23, v6
	v_add_co_u32 v18, vcc_lo, v16, v18
	s_delay_alu instid0(VALU_DEP_1) | instskip(SKIP_1) | instid1(VALU_DEP_2)
	v_add_co_ci_u32_e64 v16, null, v20, v19, vcc_lo
	v_dual_mov_b32 v20, v11 :: v_dual_mov_b32 v19, v6
	v_mul_u64_e32 v[22:23], v[22:23], v[16:17]
	s_delay_alu instid0(VALU_DEP_2) | instskip(NEXT) | instid1(VALU_DEP_3)
	v_mul_u64_e32 v[16:17], v[20:21], v[16:17]
	v_mul_u64_e32 v[24:25], v[20:21], v[18:19]
	v_mul_hi_u32 v18, v10, v18
	s_delay_alu instid0(VALU_DEP_1) | instskip(NEXT) | instid1(VALU_DEP_1)
	v_add_nc_u64_e32 v[18:19], v[18:19], v[22:23]
	v_add_co_u32 v1, vcc_lo, v18, v24
	s_delay_alu instid0(VALU_DEP_2) | instskip(SKIP_1) | instid1(VALU_DEP_1)
	v_add_co_ci_u32_e32 v20, vcc_lo, v19, v25, vcc_lo
	v_add_co_ci_u32_e32 v17, vcc_lo, 0, v17, vcc_lo
	v_add_nc_u64_e32 v[16:17], v[20:21], v[16:17]
	s_delay_alu instid0(VALU_DEP_1) | instskip(NEXT) | instid1(VALU_DEP_1)
	v_mul_u64_e32 v[16:17], v[14:15], v[16:17]
	v_sub_nc_u32_e32 v1, v11, v17
	s_delay_alu instid0(VALU_DEP_2) | instskip(NEXT) | instid1(VALU_DEP_1)
	v_sub_co_u32 v7, vcc_lo, v10, v16
	v_sub_co_ci_u32_e64 v10, null, v11, v17, vcc_lo
	s_delay_alu instid0(VALU_DEP_3) | instskip(NEXT) | instid1(VALU_DEP_3)
	v_sub_co_ci_u32_e64 v1, null, v1, v15, vcc_lo
	v_sub_co_u32 v11, vcc_lo, v7, v14
	v_cmp_ge_u32_e64 s0, v7, v14
	s_delay_alu instid0(VALU_DEP_3) | instskip(SKIP_1) | instid1(VALU_DEP_3)
	v_subrev_co_ci_u32_e64 v16, null, 0, v1, vcc_lo
	v_sub_co_ci_u32_e64 v1, null, v1, v15, vcc_lo
	v_cndmask_b32_e64 v17, 0, -1, s0
	v_cmp_ge_u32_e64 s0, v11, v14
	v_cmp_ge_u32_e32 vcc_lo, v10, v15
	s_delay_alu instid0(VALU_DEP_2) | instskip(SKIP_3) | instid1(VALU_DEP_3)
	v_cndmask_b32_e64 v18, 0, -1, s0
	v_cmp_ge_u32_e64 s0, v16, v15
	v_cndmask_b32_e64 v20, 0, -1, vcc_lo
	v_cmp_eq_u32_e32 vcc_lo, v16, v15
	v_cndmask_b32_e64 v19, 0, -1, s0
	v_cmp_eq_u32_e64 s0, v10, v15
	s_delay_alu instid0(VALU_DEP_1) | instskip(SKIP_1) | instid1(VALU_DEP_1)
	v_dual_cndmask_b32 v18, v19, v18, vcc_lo :: v_dual_cndmask_b32 v17, v20, v17, s0
	v_sub_co_u32 v19, vcc_lo, v11, v14
	v_subrev_co_ci_u32_e64 v1, null, 0, v1, vcc_lo
	s_delay_alu instid0(VALU_DEP_3) | instskip(NEXT) | instid1(VALU_DEP_2)
	v_cmp_ne_u32_e32 vcc_lo, 0, v18
	v_dual_cndmask_b32 v1, v16, v1, vcc_lo :: v_dual_cndmask_b32 v11, v11, v19, vcc_lo
	v_cmp_ne_u32_e32 vcc_lo, 0, v17
	s_delay_alu instid0(VALU_DEP_2)
	v_dual_cndmask_b32 v17, v10, v1 :: v_dual_cndmask_b32 v16, v7, v11
                                        ; implicit-def: $vgpr10_vgpr11
.LBB27_22:                              ;   in Loop: Header=BB27_20 Depth=1
	s_and_not1_saveexec_b32 s0, s13
	s_cbranch_execz .LBB27_19
; %bb.23:                               ;   in Loop: Header=BB27_20 Depth=1
	v_cvt_f32_u32_e32 v1, v14
	v_dual_sub_nc_u32 v7, 0, v14 :: v_dual_mov_b32 v17, v6
	s_delay_alu instid0(VALU_DEP_2) | instskip(SKIP_1) | instid1(TRANS32_DEP_1)
	v_rcp_iflag_f32_e32 v1, v1
	v_nop
	v_mul_f32_e32 v1, 0x4f7ffffe, v1
	s_delay_alu instid0(VALU_DEP_1) | instskip(NEXT) | instid1(VALU_DEP_1)
	v_cvt_u32_f32_e32 v1, v1
	v_mul_lo_u32 v7, v7, v1
	s_delay_alu instid0(VALU_DEP_1) | instskip(NEXT) | instid1(VALU_DEP_1)
	v_mul_hi_u32 v7, v1, v7
	v_add_nc_u32_e32 v1, v1, v7
	s_delay_alu instid0(VALU_DEP_1) | instskip(NEXT) | instid1(VALU_DEP_1)
	v_mul_hi_u32 v1, v10, v1
	v_mul_lo_u32 v1, v1, v14
	s_delay_alu instid0(VALU_DEP_1) | instskip(NEXT) | instid1(VALU_DEP_1)
	v_sub_nc_u32_e32 v1, v10, v1
	v_sub_nc_u32_e32 v7, v1, v14
	v_cmp_ge_u32_e32 vcc_lo, v1, v14
	s_delay_alu instid0(VALU_DEP_2) | instskip(NEXT) | instid1(VALU_DEP_1)
	v_cndmask_b32_e32 v1, v1, v7, vcc_lo
	v_sub_nc_u32_e32 v7, v1, v14
	v_cmp_ge_u32_e32 vcc_lo, v1, v14
	s_delay_alu instid0(VALU_DEP_2)
	v_cndmask_b32_e32 v16, v1, v7, vcc_lo
	s_branch .LBB27_19
.LBB27_24:
	s_or_b32 exec_lo, exec_lo, s3
	v_mov_b64_e32 v[10:11], v[14:15]
.LBB27_25:
	s_or_b32 exec_lo, exec_lo, s1
	v_sub_nc_u64_e32 v[6:7], 0, v[12:13]
	s_mov_b32 s1, exec_lo
	s_delay_alu instid0(VALU_DEP_1)
	v_max_i64 v[12:13], v[12:13], v[6:7]
	v_cmpx_ne_u64_e32 0, v[8:9]
	s_cbranch_execz .LBB27_33
; %bb.26:
	v_sub_nc_u64_e32 v[6:7], 0, v[8:9]
	s_mov_b32 s3, 0
	s_delay_alu instid0(VALU_DEP_1)
	v_max_i64 v[14:15], v[8:9], v[6:7]
	v_mov_b32_e32 v6, 0
	s_branch .LBB27_28
.LBB27_27:                              ;   in Loop: Header=BB27_28 Depth=1
	s_or_b32 exec_lo, exec_lo, s0
	s_delay_alu instid0(VALU_DEP_1) | instskip(SKIP_2) | instid1(SALU_CYCLE_1)
	v_cmp_eq_u64_e32 vcc_lo, 0, v[14:15]
	v_mov_b64_e32 v[12:13], v[8:9]
	s_or_b32 s3, vcc_lo, s3
	s_and_not1_b32 exec_lo, exec_lo, s3
	s_cbranch_execz .LBB27_32
.LBB27_28:                              ; =>This Inner Loop Header: Depth=1
	s_delay_alu instid0(VALU_DEP_2) | instskip(SKIP_1) | instid1(VALU_DEP_1)
	v_mov_b64_e32 v[8:9], v[14:15]
                                        ; implicit-def: $vgpr14_vgpr15
	s_mov_b32 s0, exec_lo
	v_or_b32_e32 v7, v13, v9
	s_delay_alu instid0(VALU_DEP_1)
	v_cmpx_ne_u64_e32 0, v[6:7]
	s_xor_b32 s13, exec_lo, s0
	s_cbranch_execz .LBB27_30
; %bb.29:                               ;   in Loop: Header=BB27_28 Depth=1
	s_delay_alu instid0(VALU_DEP_3) | instskip(SKIP_4) | instid1(VALU_DEP_4)
	v_cvt_f32_u32_e32 v1, v8
	v_cvt_f32_u32_e32 v7, v9
	v_sub_nc_u64_e32 v[16:17], 0, v[8:9]
	v_dual_mov_b32 v15, v6 :: v_dual_mov_b32 v23, v6
	v_mov_b32_e32 v25, v6
	v_fmac_f32_e32 v1, 0x4f800000, v7
	s_delay_alu instid0(VALU_DEP_1) | instskip(SKIP_1) | instid1(TRANS32_DEP_1)
	v_rcp_f32_e32 v1, v1
	v_nop
	v_mul_f32_e32 v1, 0x5f7ffffc, v1
	s_delay_alu instid0(VALU_DEP_1) | instskip(NEXT) | instid1(VALU_DEP_1)
	v_mul_f32_e32 v7, 0x2f800000, v1
	v_trunc_f32_e32 v7, v7
	s_delay_alu instid0(VALU_DEP_1) | instskip(SKIP_1) | instid1(VALU_DEP_2)
	v_fmac_f32_e32 v1, 0xcf800000, v7
	v_cvt_u32_f32_e32 v19, v7
	v_cvt_u32_f32_e32 v14, v1
	s_delay_alu instid0(VALU_DEP_1) | instskip(NEXT) | instid1(VALU_DEP_1)
	v_dual_mov_b32 v24, v19 :: v_dual_mov_b32 v18, v14
	v_mul_u64_e32 v[20:21], v[16:17], v[18:19]
	s_delay_alu instid0(VALU_DEP_1) | instskip(NEXT) | instid1(VALU_DEP_1)
	v_dual_mov_b32 v22, v21 :: v_dual_mov_b32 v21, v6
	v_mul_u64_e32 v[26:27], v[14:15], v[22:23]
	s_delay_alu instid0(VALU_DEP_2) | instskip(SKIP_2) | instid1(VALU_DEP_1)
	v_mul_u64_e32 v[28:29], v[24:25], v[20:21]
	v_mul_u64_e32 v[22:23], v[24:25], v[22:23]
	v_mul_hi_u32 v20, v14, v20
	v_add_nc_u64_e32 v[20:21], v[20:21], v[26:27]
	s_delay_alu instid0(VALU_DEP_1) | instskip(NEXT) | instid1(VALU_DEP_2)
	v_add_co_u32 v1, vcc_lo, v20, v28
	v_add_co_ci_u32_e32 v24, vcc_lo, v21, v29, vcc_lo
	v_add_co_ci_u32_e32 v23, vcc_lo, 0, v23, vcc_lo
	s_delay_alu instid0(VALU_DEP_1) | instskip(NEXT) | instid1(VALU_DEP_1)
	v_add_nc_u64_e32 v[20:21], v[24:25], v[22:23]
	v_add_co_u32 v14, vcc_lo, v14, v20
	s_delay_alu instid0(VALU_DEP_1) | instskip(SKIP_1) | instid1(VALU_DEP_2)
	v_add_co_ci_u32_e64 v18, null, v19, v21, vcc_lo
	v_dual_mov_b32 v21, v6 :: v_dual_mov_b32 v19, v6
	v_mov_b32_e32 v15, v18
	s_delay_alu instid0(VALU_DEP_1) | instskip(NEXT) | instid1(VALU_DEP_1)
	v_mul_u64_e32 v[16:17], v[16:17], v[14:15]
	v_dual_mov_b32 v15, v6 :: v_dual_mov_b32 v20, v17
	s_delay_alu instid0(VALU_DEP_2) | instskip(SKIP_1) | instid1(VALU_DEP_3)
	v_dual_mov_b32 v24, v16 :: v_dual_mov_b32 v17, v6
	v_mul_hi_u32 v16, v14, v16
	v_mul_u64_e32 v[22:23], v[14:15], v[20:21]
	s_delay_alu instid0(VALU_DEP_3) | instskip(SKIP_1) | instid1(VALU_DEP_3)
	v_mul_u64_e32 v[24:25], v[18:19], v[24:25]
	v_mul_u64_e32 v[20:21], v[18:19], v[20:21]
	v_add_nc_u64_e32 v[16:17], v[16:17], v[22:23]
	v_mov_b32_e32 v23, v6
	s_delay_alu instid0(VALU_DEP_2) | instskip(NEXT) | instid1(VALU_DEP_3)
	v_add_co_u32 v1, vcc_lo, v16, v24
	v_add_co_ci_u32_e32 v22, vcc_lo, v17, v25, vcc_lo
	v_add_co_ci_u32_e32 v21, vcc_lo, 0, v21, vcc_lo
	s_delay_alu instid0(VALU_DEP_1) | instskip(SKIP_1) | instid1(VALU_DEP_2)
	v_add_nc_u64_e32 v[16:17], v[22:23], v[20:21]
	v_dual_mov_b32 v20, v12 :: v_dual_mov_b32 v21, v6
	v_add_co_u32 v16, vcc_lo, v14, v16
	s_delay_alu instid0(VALU_DEP_1) | instskip(SKIP_1) | instid1(VALU_DEP_2)
	v_add_co_ci_u32_e64 v14, null, v18, v17, vcc_lo
	v_dual_mov_b32 v18, v13 :: v_dual_mov_b32 v17, v6
	v_mul_u64_e32 v[20:21], v[20:21], v[14:15]
	s_delay_alu instid0(VALU_DEP_2) | instskip(NEXT) | instid1(VALU_DEP_3)
	v_mul_u64_e32 v[14:15], v[18:19], v[14:15]
	v_mul_u64_e32 v[22:23], v[18:19], v[16:17]
	v_mul_hi_u32 v16, v12, v16
	s_delay_alu instid0(VALU_DEP_1) | instskip(NEXT) | instid1(VALU_DEP_1)
	v_add_nc_u64_e32 v[16:17], v[16:17], v[20:21]
	v_add_co_u32 v1, vcc_lo, v16, v22
	s_delay_alu instid0(VALU_DEP_2) | instskip(SKIP_1) | instid1(VALU_DEP_1)
	v_add_co_ci_u32_e32 v18, vcc_lo, v17, v23, vcc_lo
	v_add_co_ci_u32_e32 v15, vcc_lo, 0, v15, vcc_lo
	v_add_nc_u64_e32 v[14:15], v[18:19], v[14:15]
	s_delay_alu instid0(VALU_DEP_1) | instskip(NEXT) | instid1(VALU_DEP_1)
	v_mul_u64_e32 v[14:15], v[8:9], v[14:15]
	v_sub_nc_u32_e32 v1, v13, v15
	s_delay_alu instid0(VALU_DEP_2) | instskip(NEXT) | instid1(VALU_DEP_1)
	v_sub_co_u32 v7, vcc_lo, v12, v14
	v_sub_co_ci_u32_e64 v12, null, v13, v15, vcc_lo
	s_delay_alu instid0(VALU_DEP_3) | instskip(NEXT) | instid1(VALU_DEP_3)
	v_sub_co_ci_u32_e64 v1, null, v1, v9, vcc_lo
	v_sub_co_u32 v13, vcc_lo, v7, v8
	v_cmp_ge_u32_e64 s0, v7, v8
	s_delay_alu instid0(VALU_DEP_3) | instskip(SKIP_1) | instid1(VALU_DEP_3)
	v_subrev_co_ci_u32_e64 v14, null, 0, v1, vcc_lo
	v_sub_co_ci_u32_e64 v1, null, v1, v9, vcc_lo
	v_cndmask_b32_e64 v15, 0, -1, s0
	v_cmp_ge_u32_e64 s0, v13, v8
	v_cmp_ge_u32_e32 vcc_lo, v12, v9
	s_delay_alu instid0(VALU_DEP_2) | instskip(SKIP_3) | instid1(VALU_DEP_3)
	v_cndmask_b32_e64 v16, 0, -1, s0
	v_cmp_ge_u32_e64 s0, v14, v9
	v_cndmask_b32_e64 v18, 0, -1, vcc_lo
	v_cmp_eq_u32_e32 vcc_lo, v14, v9
	v_cndmask_b32_e64 v17, 0, -1, s0
	v_cmp_eq_u32_e64 s0, v12, v9
	s_delay_alu instid0(VALU_DEP_1) | instskip(SKIP_1) | instid1(VALU_DEP_1)
	v_dual_cndmask_b32 v16, v17, v16, vcc_lo :: v_dual_cndmask_b32 v15, v18, v15, s0
	v_sub_co_u32 v17, vcc_lo, v13, v8
	v_subrev_co_ci_u32_e64 v1, null, 0, v1, vcc_lo
	s_delay_alu instid0(VALU_DEP_3) | instskip(NEXT) | instid1(VALU_DEP_2)
	v_cmp_ne_u32_e32 vcc_lo, 0, v16
	v_cndmask_b32_e32 v1, v14, v1, vcc_lo
	s_delay_alu instid0(VALU_DEP_4) | instskip(SKIP_1) | instid1(VALU_DEP_3)
	v_cndmask_b32_e32 v13, v13, v17, vcc_lo
	v_cmp_ne_u32_e32 vcc_lo, 0, v15
	v_cndmask_b32_e32 v15, v12, v1, vcc_lo
	s_delay_alu instid0(VALU_DEP_3)
	v_cndmask_b32_e32 v14, v7, v13, vcc_lo
.LBB27_30:                              ;   in Loop: Header=BB27_28 Depth=1
	s_and_not1_saveexec_b32 s0, s13
	s_cbranch_execz .LBB27_27
; %bb.31:                               ;   in Loop: Header=BB27_28 Depth=1
	v_cvt_f32_u32_e32 v1, v8
	v_dual_sub_nc_u32 v7, 0, v8 :: v_dual_mov_b32 v15, v6
	s_delay_alu instid0(VALU_DEP_2) | instskip(SKIP_1) | instid1(TRANS32_DEP_1)
	v_rcp_iflag_f32_e32 v1, v1
	v_nop
	v_mul_f32_e32 v1, 0x4f7ffffe, v1
	s_delay_alu instid0(VALU_DEP_1) | instskip(NEXT) | instid1(VALU_DEP_1)
	v_cvt_u32_f32_e32 v1, v1
	v_mul_lo_u32 v7, v7, v1
	s_delay_alu instid0(VALU_DEP_1) | instskip(NEXT) | instid1(VALU_DEP_1)
	v_mul_hi_u32 v7, v1, v7
	v_add_nc_u32_e32 v1, v1, v7
	s_delay_alu instid0(VALU_DEP_1) | instskip(NEXT) | instid1(VALU_DEP_1)
	v_mul_hi_u32 v1, v12, v1
	v_mul_lo_u32 v1, v1, v8
	s_delay_alu instid0(VALU_DEP_1) | instskip(NEXT) | instid1(VALU_DEP_1)
	v_sub_nc_u32_e32 v1, v12, v1
	v_sub_nc_u32_e32 v7, v1, v8
	v_cmp_ge_u32_e32 vcc_lo, v1, v8
	s_delay_alu instid0(VALU_DEP_2) | instskip(NEXT) | instid1(VALU_DEP_1)
	v_cndmask_b32_e32 v1, v1, v7, vcc_lo
	v_sub_nc_u32_e32 v7, v1, v8
	v_cmp_ge_u32_e32 vcc_lo, v1, v8
	s_delay_alu instid0(VALU_DEP_2)
	v_cndmask_b32_e32 v14, v1, v7, vcc_lo
	s_branch .LBB27_27
.LBB27_32:
	s_or_b32 exec_lo, exec_lo, s3
	v_mov_b64_e32 v[12:13], v[8:9]
.LBB27_33:
	s_or_b32 exec_lo, exec_lo, s1
	s_add_nc_u64 s[10:11], s[4:5], s[10:11]
	s_mov_b32 s0, 0
	s_clause 0x1
	global_store_b128 v0, v[2:5], s[10:11] scale_offset
	global_store_b128 v0, v[10:13], s[10:11] offset:4096 scale_offset
.LBB27_34:
	s_and_b32 vcc_lo, exec_lo, s0
	s_cbranch_vccz .LBB27_79
; %bb.35:
	v_mov_b64_e32 v[14:15], 0
	v_mov_b64_e32 v[16:17], 0
	s_wait_xcnt 0x1
	v_mov_b64_e32 v[2:3], 0
	v_cmp_gt_i32_e64 s0, s12, v0
	v_dual_mov_b32 v18, v0 :: v_dual_bitop2_b32 v1, s2, v0 bitop3:0x54
	v_or_b32_e32 v22, 0x100, v0
	s_wait_xcnt 0x0
	s_and_saveexec_b32 s1, s0
	s_cbranch_execz .LBB27_37
; %bb.36:
	s_clause 0x1
	global_load_b64 v[2:3], v1, s[8:9] scale_offset
	global_load_b64 v[16:17], v1, s[6:7] scale_offset
	v_or_b32_e32 v18, 0x100, v0
	s_wait_loadcnt 0x1
	v_sub_nc_u64_e32 v[4:5], 0, v[2:3]
	s_delay_alu instid0(VALU_DEP_1)
	v_max_i64 v[2:3], v[2:3], v[4:5]
.LBB27_37:
	s_wait_xcnt 0x0
	s_or_b32 exec_lo, exec_lo, s1
	v_mov_b64_e32 v[4:5], 0
	s_mov_b32 s1, exec_lo
	v_cmpx_gt_i32_e64 s12, v18
	s_cbranch_execz .LBB27_39
; %bb.38:
	v_add_nc_u32_e32 v6, s2, v18
	v_add_nc_u32_e32 v18, 0x100, v18
	s_clause 0x1
	global_load_b64 v[4:5], v6, s[8:9] scale_offset
	global_load_b64 v[14:15], v6, s[6:7] scale_offset
	s_wait_loadcnt 0x1
	s_wait_xcnt 0x0
	v_sub_nc_u64_e32 v[6:7], 0, v[4:5]
	s_delay_alu instid0(VALU_DEP_1)
	v_max_i64 v[4:5], v[4:5], v[6:7]
.LBB27_39:
	s_or_b32 exec_lo, exec_lo, s1
	v_mov_b64_e32 v[10:11], 0
	v_mov_b64_e32 v[12:13], 0
	;; [unrolled: 1-line block ×3, first 2 shown]
	s_mov_b32 s1, exec_lo
	v_cmpx_gt_i32_e64 s12, v18
	s_cbranch_execz .LBB27_41
; %bb.40:
	v_add_nc_u32_e32 v8, s2, v18
	v_add_nc_u32_e32 v18, 0x100, v18
	s_clause 0x1
	global_load_b64 v[6:7], v8, s[8:9] scale_offset
	global_load_b64 v[12:13], v8, s[6:7] scale_offset
	s_wait_loadcnt 0x1
	s_wait_xcnt 0x0
	v_sub_nc_u64_e32 v[8:9], 0, v[6:7]
	s_delay_alu instid0(VALU_DEP_1)
	v_max_i64 v[6:7], v[6:7], v[8:9]
.LBB27_41:
	s_or_b32 exec_lo, exec_lo, s1
	v_mov_b64_e32 v[8:9], 0
	s_mov_b32 s1, exec_lo
	v_cmpx_gt_i32_e64 s12, v18
	s_cbranch_execnz .LBB27_44
; %bb.42:
	s_or_b32 exec_lo, exec_lo, s1
	s_and_saveexec_b32 s3, s0
	s_cbranch_execnz .LBB27_45
.LBB27_43:
	s_or_b32 exec_lo, exec_lo, s3
	s_delay_alu instid0(SALU_CYCLE_1)
	s_mov_b32 s3, exec_lo
	v_cmpx_gt_i32_e64 s12, v22
	s_cbranch_execnz .LBB27_54
	s_branch .LBB27_63
.LBB27_44:
	v_add_nc_u32_e32 v18, s2, v18
	s_clause 0x1
	global_load_b64 v[8:9], v18, s[8:9] scale_offset
	global_load_b64 v[10:11], v18, s[6:7] scale_offset
	s_wait_loadcnt 0x1
	s_wait_xcnt 0x0
	v_sub_nc_u64_e32 v[18:19], 0, v[8:9]
	s_delay_alu instid0(VALU_DEP_1)
	v_max_i64 v[8:9], v[8:9], v[18:19]
	s_or_b32 exec_lo, exec_lo, s1
	s_and_saveexec_b32 s3, s0
	s_cbranch_execz .LBB27_43
.LBB27_45:
	s_mov_b32 s6, exec_lo
	s_wait_loadcnt 0x0
	v_cmpx_ne_u64_e32 0, v[16:17]
	s_cbranch_execz .LBB27_53
; %bb.46:
	v_sub_nc_u64_e32 v[18:19], 0, v[16:17]
	s_mov_b32 s7, 0
	s_delay_alu instid0(VALU_DEP_1)
	v_max_i64 v[20:21], v[16:17], v[18:19]
	v_mov_b32_e32 v16, 0
	s_branch .LBB27_48
.LBB27_47:                              ;   in Loop: Header=BB27_48 Depth=1
	s_or_b32 exec_lo, exec_lo, s1
	s_delay_alu instid0(VALU_DEP_1) | instskip(SKIP_2) | instid1(SALU_CYCLE_1)
	v_cmp_eq_u64_e32 vcc_lo, 0, v[20:21]
	v_mov_b64_e32 v[2:3], v[18:19]
	s_or_b32 s7, vcc_lo, s7
	s_and_not1_b32 exec_lo, exec_lo, s7
	s_cbranch_execz .LBB27_52
.LBB27_48:                              ; =>This Inner Loop Header: Depth=1
	s_delay_alu instid0(VALU_DEP_2) | instskip(SKIP_1) | instid1(VALU_DEP_1)
	v_mov_b64_e32 v[18:19], v[20:21]
                                        ; implicit-def: $vgpr20_vgpr21
	s_mov_b32 s1, exec_lo
	v_or_b32_e32 v17, v3, v19
	s_delay_alu instid0(VALU_DEP_1)
	v_cmpx_ne_u64_e32 0, v[16:17]
	s_xor_b32 s8, exec_lo, s1
	s_cbranch_execz .LBB27_50
; %bb.49:                               ;   in Loop: Header=BB27_48 Depth=1
	s_delay_alu instid0(VALU_DEP_3) | instskip(SKIP_3) | instid1(VALU_DEP_3)
	v_cvt_f32_u32_e32 v17, v18
	v_cvt_f32_u32_e32 v20, v19
	v_sub_nc_u64_e32 v[24:25], 0, v[18:19]
	v_dual_mov_b32 v31, v16 :: v_dual_mov_b32 v33, v16
	v_fmac_f32_e32 v17, 0x4f800000, v20
	s_delay_alu instid0(VALU_DEP_1) | instskip(SKIP_1) | instid1(TRANS32_DEP_1)
	v_rcp_f32_e32 v17, v17
	v_nop
	v_mul_f32_e32 v17, 0x5f7ffffc, v17
	s_delay_alu instid0(VALU_DEP_1) | instskip(NEXT) | instid1(VALU_DEP_1)
	v_mul_f32_e32 v20, 0x2f800000, v17
	v_trunc_f32_e32 v21, v20
	s_delay_alu instid0(VALU_DEP_1) | instskip(SKIP_1) | instid1(VALU_DEP_2)
	v_cvt_u32_f32_e32 v27, v21
	v_fmac_f32_e32 v17, 0xcf800000, v21
	v_dual_mov_b32 v21, v16 :: v_dual_mov_b32 v32, v27
	s_delay_alu instid0(VALU_DEP_2) | instskip(NEXT) | instid1(VALU_DEP_1)
	v_cvt_u32_f32_e32 v20, v17
	v_mov_b32_e32 v26, v20
	s_delay_alu instid0(VALU_DEP_1) | instskip(NEXT) | instid1(VALU_DEP_1)
	v_mul_u64_e32 v[28:29], v[24:25], v[26:27]
	v_dual_mov_b32 v30, v29 :: v_dual_mov_b32 v29, v16
	s_delay_alu instid0(VALU_DEP_1) | instskip(NEXT) | instid1(VALU_DEP_2)
	v_mul_u64_e32 v[34:35], v[20:21], v[30:31]
	v_mul_u64_e32 v[36:37], v[32:33], v[28:29]
	;; [unrolled: 1-line block ×3, first 2 shown]
	v_mul_hi_u32 v28, v20, v28
	s_delay_alu instid0(VALU_DEP_1) | instskip(NEXT) | instid1(VALU_DEP_1)
	v_add_nc_u64_e32 v[28:29], v[28:29], v[34:35]
	v_add_co_u32 v17, vcc_lo, v28, v36
	s_delay_alu instid0(VALU_DEP_2) | instskip(SKIP_1) | instid1(VALU_DEP_1)
	v_add_co_ci_u32_e32 v32, vcc_lo, v29, v37, vcc_lo
	v_add_co_ci_u32_e32 v31, vcc_lo, 0, v31, vcc_lo
	v_add_nc_u64_e32 v[28:29], v[32:33], v[30:31]
	s_delay_alu instid0(VALU_DEP_1) | instskip(NEXT) | instid1(VALU_DEP_1)
	v_add_co_u32 v20, vcc_lo, v20, v28
	v_add_co_ci_u32_e64 v26, null, v27, v29, vcc_lo
	v_dual_mov_b32 v29, v16 :: v_dual_mov_b32 v27, v16
	s_delay_alu instid0(VALU_DEP_2) | instskip(NEXT) | instid1(VALU_DEP_1)
	v_mov_b32_e32 v21, v26
	v_mul_u64_e32 v[24:25], v[24:25], v[20:21]
	s_delay_alu instid0(VALU_DEP_1) | instskip(NEXT) | instid1(VALU_DEP_2)
	v_dual_mov_b32 v21, v16 :: v_dual_mov_b32 v28, v25
	v_dual_mov_b32 v32, v24 :: v_dual_mov_b32 v25, v16
	v_mul_hi_u32 v24, v20, v24
	s_delay_alu instid0(VALU_DEP_3) | instskip(NEXT) | instid1(VALU_DEP_3)
	v_mul_u64_e32 v[30:31], v[20:21], v[28:29]
	v_mul_u64_e32 v[32:33], v[26:27], v[32:33]
	;; [unrolled: 1-line block ×3, first 2 shown]
	s_delay_alu instid0(VALU_DEP_3) | instskip(SKIP_1) | instid1(VALU_DEP_2)
	v_add_nc_u64_e32 v[24:25], v[24:25], v[30:31]
	v_mov_b32_e32 v31, v16
	v_add_co_u32 v17, vcc_lo, v24, v32
	s_delay_alu instid0(VALU_DEP_3) | instskip(SKIP_1) | instid1(VALU_DEP_1)
	v_add_co_ci_u32_e32 v30, vcc_lo, v25, v33, vcc_lo
	v_add_co_ci_u32_e32 v29, vcc_lo, 0, v29, vcc_lo
	v_add_nc_u64_e32 v[24:25], v[30:31], v[28:29]
	v_dual_mov_b32 v28, v2 :: v_dual_mov_b32 v29, v16
	s_delay_alu instid0(VALU_DEP_2) | instskip(NEXT) | instid1(VALU_DEP_1)
	v_add_co_u32 v24, vcc_lo, v20, v24
	v_add_co_ci_u32_e64 v20, null, v26, v25, vcc_lo
	v_dual_mov_b32 v26, v3 :: v_dual_mov_b32 v25, v16
	s_delay_alu instid0(VALU_DEP_2) | instskip(NEXT) | instid1(VALU_DEP_2)
	v_mul_u64_e32 v[28:29], v[28:29], v[20:21]
	v_mul_u64_e32 v[20:21], v[26:27], v[20:21]
	s_delay_alu instid0(VALU_DEP_3) | instskip(SKIP_1) | instid1(VALU_DEP_1)
	v_mul_u64_e32 v[30:31], v[26:27], v[24:25]
	v_mul_hi_u32 v24, v2, v24
	v_add_nc_u64_e32 v[24:25], v[24:25], v[28:29]
	s_delay_alu instid0(VALU_DEP_1) | instskip(NEXT) | instid1(VALU_DEP_2)
	v_add_co_u32 v17, vcc_lo, v24, v30
	v_add_co_ci_u32_e32 v26, vcc_lo, v25, v31, vcc_lo
	v_add_co_ci_u32_e32 v21, vcc_lo, 0, v21, vcc_lo
	s_delay_alu instid0(VALU_DEP_1) | instskip(NEXT) | instid1(VALU_DEP_1)
	v_add_nc_u64_e32 v[20:21], v[26:27], v[20:21]
	v_mul_u64_e32 v[20:21], v[18:19], v[20:21]
	s_delay_alu instid0(VALU_DEP_1) | instskip(NEXT) | instid1(VALU_DEP_2)
	v_sub_nc_u32_e32 v17, v3, v21
	v_sub_co_u32 v2, vcc_lo, v2, v20
	s_delay_alu instid0(VALU_DEP_1) | instskip(NEXT) | instid1(VALU_DEP_3)
	v_sub_co_ci_u32_e64 v3, null, v3, v21, vcc_lo
	v_sub_co_ci_u32_e64 v17, null, v17, v19, vcc_lo
	s_delay_alu instid0(VALU_DEP_3) | instskip(SKIP_1) | instid1(VALU_DEP_3)
	v_sub_co_u32 v20, vcc_lo, v2, v18
	v_cmp_ge_u32_e64 s1, v2, v18
	v_subrev_co_ci_u32_e64 v21, null, 0, v17, vcc_lo
	v_sub_co_ci_u32_e64 v17, null, v17, v19, vcc_lo
	s_delay_alu instid0(VALU_DEP_3) | instskip(SKIP_2) | instid1(VALU_DEP_2)
	v_cndmask_b32_e64 v23, 0, -1, s1
	v_cmp_ge_u32_e64 s1, v20, v18
	v_cmp_ge_u32_e32 vcc_lo, v3, v19
	v_cndmask_b32_e64 v24, 0, -1, s1
	v_cmp_ge_u32_e64 s1, v21, v19
	v_cndmask_b32_e64 v26, 0, -1, vcc_lo
	v_cmp_eq_u32_e32 vcc_lo, v21, v19
	s_delay_alu instid0(VALU_DEP_3) | instskip(SKIP_1) | instid1(VALU_DEP_1)
	v_cndmask_b32_e64 v25, 0, -1, s1
	v_cmp_eq_u32_e64 s1, v3, v19
	v_dual_cndmask_b32 v24, v25, v24, vcc_lo :: v_dual_cndmask_b32 v23, v26, v23, s1
	v_sub_co_u32 v25, vcc_lo, v20, v18
	s_delay_alu instid0(VALU_DEP_1) | instskip(NEXT) | instid1(VALU_DEP_3)
	v_subrev_co_ci_u32_e64 v17, null, 0, v17, vcc_lo
	v_cmp_ne_u32_e32 vcc_lo, 0, v24
	s_delay_alu instid0(VALU_DEP_3) | instskip(NEXT) | instid1(VALU_DEP_3)
	v_cndmask_b32_e32 v20, v20, v25, vcc_lo
	v_cndmask_b32_e32 v17, v21, v17, vcc_lo
	v_cmp_ne_u32_e32 vcc_lo, 0, v23
	s_delay_alu instid0(VALU_DEP_2)
	v_dual_cndmask_b32 v20, v2, v20 :: v_dual_cndmask_b32 v21, v3, v17
                                        ; implicit-def: $vgpr2_vgpr3
.LBB27_50:                              ;   in Loop: Header=BB27_48 Depth=1
	s_and_not1_saveexec_b32 s1, s8
	s_cbranch_execz .LBB27_47
; %bb.51:                               ;   in Loop: Header=BB27_48 Depth=1
	v_cvt_f32_u32_e32 v3, v18
	v_dual_sub_nc_u32 v17, 0, v18 :: v_dual_mov_b32 v21, v16
	s_delay_alu instid0(VALU_DEP_2) | instskip(SKIP_1) | instid1(TRANS32_DEP_1)
	v_rcp_iflag_f32_e32 v3, v3
	v_nop
	v_mul_f32_e32 v3, 0x4f7ffffe, v3
	s_delay_alu instid0(VALU_DEP_1) | instskip(NEXT) | instid1(VALU_DEP_1)
	v_cvt_u32_f32_e32 v3, v3
	v_mul_lo_u32 v17, v17, v3
	s_delay_alu instid0(VALU_DEP_1) | instskip(NEXT) | instid1(VALU_DEP_1)
	v_mul_hi_u32 v17, v3, v17
	v_add_nc_u32_e32 v3, v3, v17
	s_delay_alu instid0(VALU_DEP_1) | instskip(NEXT) | instid1(VALU_DEP_1)
	v_mul_hi_u32 v3, v2, v3
	v_mul_lo_u32 v3, v3, v18
	s_delay_alu instid0(VALU_DEP_1) | instskip(NEXT) | instid1(VALU_DEP_1)
	v_sub_nc_u32_e32 v2, v2, v3
	v_sub_nc_u32_e32 v3, v2, v18
	v_cmp_ge_u32_e32 vcc_lo, v2, v18
	s_delay_alu instid0(VALU_DEP_2) | instskip(NEXT) | instid1(VALU_DEP_1)
	v_cndmask_b32_e32 v2, v2, v3, vcc_lo
	v_sub_nc_u32_e32 v3, v2, v18
	v_cmp_ge_u32_e32 vcc_lo, v2, v18
	s_delay_alu instid0(VALU_DEP_2)
	v_cndmask_b32_e32 v20, v2, v3, vcc_lo
	s_branch .LBB27_47
.LBB27_52:
	s_or_b32 exec_lo, exec_lo, s7
	v_mov_b64_e32 v[2:3], v[18:19]
.LBB27_53:
	s_or_b32 exec_lo, exec_lo, s6
	s_delay_alu instid0(SALU_CYCLE_1) | instskip(NEXT) | instid1(SALU_CYCLE_1)
	s_or_b32 exec_lo, exec_lo, s3
	s_mov_b32 s3, exec_lo
	v_cmpx_gt_i32_e64 s12, v22
	s_cbranch_execz .LBB27_63
.LBB27_54:
	s_mov_b32 s6, exec_lo
	s_wait_loadcnt 0x0
	v_cmpx_ne_u64_e32 0, v[14:15]
	s_cbranch_execz .LBB27_62
; %bb.55:
	v_sub_nc_u64_e32 v[16:17], 0, v[14:15]
	s_mov_b32 s7, 0
	s_delay_alu instid0(VALU_DEP_1)
	v_max_i64 v[18:19], v[14:15], v[16:17]
	v_mov_b32_e32 v14, 0
	s_branch .LBB27_57
.LBB27_56:                              ;   in Loop: Header=BB27_57 Depth=1
	s_or_b32 exec_lo, exec_lo, s1
	s_delay_alu instid0(VALU_DEP_1) | instskip(SKIP_2) | instid1(SALU_CYCLE_1)
	v_cmp_eq_u64_e32 vcc_lo, 0, v[18:19]
	v_mov_b64_e32 v[4:5], v[16:17]
	s_or_b32 s7, vcc_lo, s7
	s_and_not1_b32 exec_lo, exec_lo, s7
	s_cbranch_execz .LBB27_61
.LBB27_57:                              ; =>This Inner Loop Header: Depth=1
	s_delay_alu instid0(VALU_DEP_2) | instskip(SKIP_1) | instid1(VALU_DEP_1)
	v_mov_b64_e32 v[16:17], v[18:19]
                                        ; implicit-def: $vgpr18_vgpr19
	s_mov_b32 s1, exec_lo
	v_or_b32_e32 v15, v5, v17
	s_delay_alu instid0(VALU_DEP_1)
	v_cmpx_ne_u64_e32 0, v[14:15]
	s_xor_b32 s8, exec_lo, s1
	s_cbranch_execz .LBB27_59
; %bb.58:                               ;   in Loop: Header=BB27_57 Depth=1
	s_delay_alu instid0(VALU_DEP_3) | instskip(SKIP_3) | instid1(VALU_DEP_3)
	v_cvt_f32_u32_e32 v15, v16
	v_cvt_f32_u32_e32 v18, v17
	v_sub_nc_u64_e32 v[20:21], 0, v[16:17]
	v_dual_mov_b32 v29, v14 :: v_dual_mov_b32 v31, v14
	v_fmac_f32_e32 v15, 0x4f800000, v18
	s_delay_alu instid0(VALU_DEP_1) | instskip(SKIP_1) | instid1(TRANS32_DEP_1)
	v_rcp_f32_e32 v15, v15
	v_nop
	v_mul_f32_e32 v15, 0x5f7ffffc, v15
	s_delay_alu instid0(VALU_DEP_1) | instskip(NEXT) | instid1(VALU_DEP_1)
	v_mul_f32_e32 v18, 0x2f800000, v15
	v_trunc_f32_e32 v19, v18
	s_delay_alu instid0(VALU_DEP_1) | instskip(SKIP_1) | instid1(VALU_DEP_2)
	v_cvt_u32_f32_e32 v25, v19
	v_fmac_f32_e32 v15, 0xcf800000, v19
	v_dual_mov_b32 v19, v14 :: v_dual_mov_b32 v30, v25
	s_delay_alu instid0(VALU_DEP_2) | instskip(NEXT) | instid1(VALU_DEP_1)
	v_cvt_u32_f32_e32 v18, v15
	v_mov_b32_e32 v24, v18
	s_delay_alu instid0(VALU_DEP_1) | instskip(NEXT) | instid1(VALU_DEP_1)
	v_mul_u64_e32 v[26:27], v[20:21], v[24:25]
	v_dual_mov_b32 v28, v27 :: v_dual_mov_b32 v27, v14
	s_delay_alu instid0(VALU_DEP_1) | instskip(NEXT) | instid1(VALU_DEP_2)
	v_mul_u64_e32 v[32:33], v[18:19], v[28:29]
	v_mul_u64_e32 v[34:35], v[30:31], v[26:27]
	;; [unrolled: 1-line block ×3, first 2 shown]
	v_mul_hi_u32 v26, v18, v26
	s_delay_alu instid0(VALU_DEP_1) | instskip(NEXT) | instid1(VALU_DEP_1)
	v_add_nc_u64_e32 v[26:27], v[26:27], v[32:33]
	v_add_co_u32 v15, vcc_lo, v26, v34
	s_delay_alu instid0(VALU_DEP_2) | instskip(SKIP_1) | instid1(VALU_DEP_1)
	v_add_co_ci_u32_e32 v30, vcc_lo, v27, v35, vcc_lo
	v_add_co_ci_u32_e32 v29, vcc_lo, 0, v29, vcc_lo
	v_add_nc_u64_e32 v[26:27], v[30:31], v[28:29]
	s_delay_alu instid0(VALU_DEP_1) | instskip(NEXT) | instid1(VALU_DEP_1)
	v_add_co_u32 v18, vcc_lo, v18, v26
	v_add_co_ci_u32_e64 v24, null, v25, v27, vcc_lo
	v_dual_mov_b32 v27, v14 :: v_dual_mov_b32 v25, v14
	s_delay_alu instid0(VALU_DEP_2) | instskip(NEXT) | instid1(VALU_DEP_1)
	v_mov_b32_e32 v19, v24
	v_mul_u64_e32 v[20:21], v[20:21], v[18:19]
	s_delay_alu instid0(VALU_DEP_1) | instskip(NEXT) | instid1(VALU_DEP_2)
	v_dual_mov_b32 v19, v14 :: v_dual_mov_b32 v26, v21
	v_dual_mov_b32 v30, v20 :: v_dual_mov_b32 v21, v14
	v_mul_hi_u32 v20, v18, v20
	s_delay_alu instid0(VALU_DEP_3) | instskip(NEXT) | instid1(VALU_DEP_3)
	v_mul_u64_e32 v[28:29], v[18:19], v[26:27]
	v_mul_u64_e32 v[30:31], v[24:25], v[30:31]
	;; [unrolled: 1-line block ×3, first 2 shown]
	s_delay_alu instid0(VALU_DEP_3) | instskip(SKIP_1) | instid1(VALU_DEP_2)
	v_add_nc_u64_e32 v[20:21], v[20:21], v[28:29]
	v_mov_b32_e32 v29, v14
	v_add_co_u32 v15, vcc_lo, v20, v30
	s_delay_alu instid0(VALU_DEP_3) | instskip(SKIP_1) | instid1(VALU_DEP_1)
	v_add_co_ci_u32_e32 v28, vcc_lo, v21, v31, vcc_lo
	v_add_co_ci_u32_e32 v27, vcc_lo, 0, v27, vcc_lo
	v_add_nc_u64_e32 v[20:21], v[28:29], v[26:27]
	v_dual_mov_b32 v26, v4 :: v_dual_mov_b32 v27, v14
	s_delay_alu instid0(VALU_DEP_2) | instskip(NEXT) | instid1(VALU_DEP_1)
	v_add_co_u32 v20, vcc_lo, v18, v20
	v_add_co_ci_u32_e64 v18, null, v24, v21, vcc_lo
	v_dual_mov_b32 v24, v5 :: v_dual_mov_b32 v21, v14
	s_delay_alu instid0(VALU_DEP_2) | instskip(NEXT) | instid1(VALU_DEP_2)
	v_mul_u64_e32 v[26:27], v[26:27], v[18:19]
	v_mul_u64_e32 v[18:19], v[24:25], v[18:19]
	s_delay_alu instid0(VALU_DEP_3) | instskip(SKIP_1) | instid1(VALU_DEP_1)
	v_mul_u64_e32 v[28:29], v[24:25], v[20:21]
	v_mul_hi_u32 v20, v4, v20
	v_add_nc_u64_e32 v[20:21], v[20:21], v[26:27]
	s_delay_alu instid0(VALU_DEP_1) | instskip(NEXT) | instid1(VALU_DEP_2)
	v_add_co_u32 v15, vcc_lo, v20, v28
	v_add_co_ci_u32_e32 v24, vcc_lo, v21, v29, vcc_lo
	v_add_co_ci_u32_e32 v19, vcc_lo, 0, v19, vcc_lo
	s_delay_alu instid0(VALU_DEP_1) | instskip(NEXT) | instid1(VALU_DEP_1)
	v_add_nc_u64_e32 v[18:19], v[24:25], v[18:19]
	v_mul_u64_e32 v[18:19], v[16:17], v[18:19]
	s_delay_alu instid0(VALU_DEP_1) | instskip(NEXT) | instid1(VALU_DEP_2)
	v_sub_nc_u32_e32 v15, v5, v19
	v_sub_co_u32 v4, vcc_lo, v4, v18
	s_delay_alu instid0(VALU_DEP_1) | instskip(NEXT) | instid1(VALU_DEP_3)
	v_sub_co_ci_u32_e64 v5, null, v5, v19, vcc_lo
	v_sub_co_ci_u32_e64 v15, null, v15, v17, vcc_lo
	s_delay_alu instid0(VALU_DEP_3) | instskip(SKIP_1) | instid1(VALU_DEP_3)
	v_sub_co_u32 v18, vcc_lo, v4, v16
	v_cmp_ge_u32_e64 s1, v4, v16
	v_subrev_co_ci_u32_e64 v19, null, 0, v15, vcc_lo
	v_sub_co_ci_u32_e64 v15, null, v15, v17, vcc_lo
	s_delay_alu instid0(VALU_DEP_3) | instskip(SKIP_2) | instid1(VALU_DEP_2)
	v_cndmask_b32_e64 v20, 0, -1, s1
	v_cmp_ge_u32_e64 s1, v18, v16
	v_cmp_ge_u32_e32 vcc_lo, v5, v17
	v_cndmask_b32_e64 v21, 0, -1, s1
	v_cmp_ge_u32_e64 s1, v19, v17
	v_cndmask_b32_e64 v24, 0, -1, vcc_lo
	v_cmp_eq_u32_e32 vcc_lo, v19, v17
	s_delay_alu instid0(VALU_DEP_3) | instskip(SKIP_1) | instid1(VALU_DEP_1)
	v_cndmask_b32_e64 v23, 0, -1, s1
	v_cmp_eq_u32_e64 s1, v5, v17
	v_dual_cndmask_b32 v21, v23, v21, vcc_lo :: v_dual_cndmask_b32 v20, v24, v20, s1
	v_sub_co_u32 v23, vcc_lo, v18, v16
	s_delay_alu instid0(VALU_DEP_1) | instskip(NEXT) | instid1(VALU_DEP_3)
	v_subrev_co_ci_u32_e64 v15, null, 0, v15, vcc_lo
	v_cmp_ne_u32_e32 vcc_lo, 0, v21
	s_delay_alu instid0(VALU_DEP_3) | instskip(NEXT) | instid1(VALU_DEP_3)
	v_cndmask_b32_e32 v18, v18, v23, vcc_lo
	v_cndmask_b32_e32 v15, v19, v15, vcc_lo
	v_cmp_ne_u32_e32 vcc_lo, 0, v20
	s_delay_alu instid0(VALU_DEP_2)
	v_dual_cndmask_b32 v18, v4, v18 :: v_dual_cndmask_b32 v19, v5, v15
                                        ; implicit-def: $vgpr4_vgpr5
.LBB27_59:                              ;   in Loop: Header=BB27_57 Depth=1
	s_and_not1_saveexec_b32 s1, s8
	s_cbranch_execz .LBB27_56
; %bb.60:                               ;   in Loop: Header=BB27_57 Depth=1
	v_cvt_f32_u32_e32 v5, v16
	v_dual_sub_nc_u32 v15, 0, v16 :: v_dual_mov_b32 v19, v14
	s_delay_alu instid0(VALU_DEP_2) | instskip(SKIP_1) | instid1(TRANS32_DEP_1)
	v_rcp_iflag_f32_e32 v5, v5
	v_nop
	v_mul_f32_e32 v5, 0x4f7ffffe, v5
	s_delay_alu instid0(VALU_DEP_1) | instskip(NEXT) | instid1(VALU_DEP_1)
	v_cvt_u32_f32_e32 v5, v5
	v_mul_lo_u32 v15, v15, v5
	s_delay_alu instid0(VALU_DEP_1) | instskip(NEXT) | instid1(VALU_DEP_1)
	v_mul_hi_u32 v15, v5, v15
	v_add_nc_u32_e32 v5, v5, v15
	s_delay_alu instid0(VALU_DEP_1) | instskip(NEXT) | instid1(VALU_DEP_1)
	v_mul_hi_u32 v5, v4, v5
	v_mul_lo_u32 v5, v5, v16
	s_delay_alu instid0(VALU_DEP_1) | instskip(NEXT) | instid1(VALU_DEP_1)
	v_sub_nc_u32_e32 v4, v4, v5
	v_sub_nc_u32_e32 v5, v4, v16
	v_cmp_ge_u32_e32 vcc_lo, v4, v16
	s_delay_alu instid0(VALU_DEP_2) | instskip(NEXT) | instid1(VALU_DEP_1)
	v_cndmask_b32_e32 v4, v4, v5, vcc_lo
	v_sub_nc_u32_e32 v5, v4, v16
	v_cmp_ge_u32_e32 vcc_lo, v4, v16
	s_delay_alu instid0(VALU_DEP_2)
	v_cndmask_b32_e32 v18, v4, v5, vcc_lo
	s_branch .LBB27_56
.LBB27_61:
	s_or_b32 exec_lo, exec_lo, s7
	v_mov_b64_e32 v[4:5], v[16:17]
.LBB27_62:
	s_or_b32 exec_lo, exec_lo, s6
.LBB27_63:
	s_delay_alu instid0(SALU_CYCLE_1) | instskip(SKIP_3) | instid1(VALU_DEP_1)
	s_or_b32 exec_lo, exec_lo, s3
	s_wait_loadcnt 0x0
	v_or_b32_e32 v14, 0x200, v0
	s_mov_b32 s3, exec_lo
	v_cmpx_gt_i32_e64 s12, v14
	s_cbranch_execz .LBB27_73
; %bb.64:
	s_mov_b32 s6, exec_lo
	v_cmpx_ne_u64_e32 0, v[12:13]
	s_cbranch_execz .LBB27_72
; %bb.65:
	v_sub_nc_u64_e32 v[14:15], 0, v[12:13]
	s_mov_b32 s7, 0
	s_delay_alu instid0(VALU_DEP_1)
	v_max_i64 v[16:17], v[12:13], v[14:15]
	v_mov_b32_e32 v12, 0
	s_branch .LBB27_67
.LBB27_66:                              ;   in Loop: Header=BB27_67 Depth=1
	s_or_b32 exec_lo, exec_lo, s1
	s_delay_alu instid0(VALU_DEP_1) | instskip(SKIP_2) | instid1(SALU_CYCLE_1)
	v_cmp_eq_u64_e32 vcc_lo, 0, v[16:17]
	v_mov_b64_e32 v[6:7], v[14:15]
	s_or_b32 s7, vcc_lo, s7
	s_and_not1_b32 exec_lo, exec_lo, s7
	s_cbranch_execz .LBB27_71
.LBB27_67:                              ; =>This Inner Loop Header: Depth=1
	s_delay_alu instid0(VALU_DEP_2) | instskip(SKIP_1) | instid1(VALU_DEP_1)
	v_mov_b64_e32 v[14:15], v[16:17]
                                        ; implicit-def: $vgpr16_vgpr17
	s_mov_b32 s1, exec_lo
	v_or_b32_e32 v13, v7, v15
	s_delay_alu instid0(VALU_DEP_1)
	v_cmpx_ne_u64_e32 0, v[12:13]
	s_xor_b32 s8, exec_lo, s1
	s_cbranch_execz .LBB27_69
; %bb.68:                               ;   in Loop: Header=BB27_67 Depth=1
	s_delay_alu instid0(VALU_DEP_3) | instskip(SKIP_3) | instid1(VALU_DEP_3)
	v_cvt_f32_u32_e32 v13, v14
	v_cvt_f32_u32_e32 v16, v15
	v_sub_nc_u64_e32 v[18:19], 0, v[14:15]
	v_dual_mov_b32 v27, v12 :: v_dual_mov_b32 v29, v12
	v_fmac_f32_e32 v13, 0x4f800000, v16
	s_delay_alu instid0(VALU_DEP_1) | instskip(SKIP_1) | instid1(TRANS32_DEP_1)
	v_rcp_f32_e32 v13, v13
	v_nop
	v_mul_f32_e32 v13, 0x5f7ffffc, v13
	s_delay_alu instid0(VALU_DEP_1) | instskip(NEXT) | instid1(VALU_DEP_1)
	v_mul_f32_e32 v16, 0x2f800000, v13
	v_trunc_f32_e32 v17, v16
	s_delay_alu instid0(VALU_DEP_1) | instskip(SKIP_1) | instid1(VALU_DEP_2)
	v_cvt_u32_f32_e32 v21, v17
	v_fmac_f32_e32 v13, 0xcf800000, v17
	v_dual_mov_b32 v17, v12 :: v_dual_mov_b32 v28, v21
	s_delay_alu instid0(VALU_DEP_2) | instskip(NEXT) | instid1(VALU_DEP_1)
	v_cvt_u32_f32_e32 v16, v13
	v_mov_b32_e32 v20, v16
	s_delay_alu instid0(VALU_DEP_1) | instskip(NEXT) | instid1(VALU_DEP_1)
	v_mul_u64_e32 v[24:25], v[18:19], v[20:21]
	v_dual_mov_b32 v26, v25 :: v_dual_mov_b32 v25, v12
	s_delay_alu instid0(VALU_DEP_1) | instskip(NEXT) | instid1(VALU_DEP_2)
	v_mul_u64_e32 v[30:31], v[16:17], v[26:27]
	v_mul_u64_e32 v[32:33], v[28:29], v[24:25]
	;; [unrolled: 1-line block ×3, first 2 shown]
	v_mul_hi_u32 v24, v16, v24
	s_delay_alu instid0(VALU_DEP_1) | instskip(NEXT) | instid1(VALU_DEP_1)
	v_add_nc_u64_e32 v[24:25], v[24:25], v[30:31]
	v_add_co_u32 v13, vcc_lo, v24, v32
	s_delay_alu instid0(VALU_DEP_2) | instskip(SKIP_1) | instid1(VALU_DEP_1)
	v_add_co_ci_u32_e32 v28, vcc_lo, v25, v33, vcc_lo
	v_add_co_ci_u32_e32 v27, vcc_lo, 0, v27, vcc_lo
	v_add_nc_u64_e32 v[24:25], v[28:29], v[26:27]
	s_delay_alu instid0(VALU_DEP_1) | instskip(NEXT) | instid1(VALU_DEP_1)
	v_add_co_u32 v16, vcc_lo, v16, v24
	v_add_co_ci_u32_e64 v20, null, v21, v25, vcc_lo
	v_dual_mov_b32 v25, v12 :: v_dual_mov_b32 v21, v12
	s_delay_alu instid0(VALU_DEP_2) | instskip(NEXT) | instid1(VALU_DEP_1)
	v_mov_b32_e32 v17, v20
	v_mul_u64_e32 v[18:19], v[18:19], v[16:17]
	s_delay_alu instid0(VALU_DEP_1) | instskip(NEXT) | instid1(VALU_DEP_2)
	v_dual_mov_b32 v17, v12 :: v_dual_mov_b32 v24, v19
	v_dual_mov_b32 v28, v18 :: v_dual_mov_b32 v19, v12
	v_mul_hi_u32 v18, v16, v18
	s_delay_alu instid0(VALU_DEP_3) | instskip(NEXT) | instid1(VALU_DEP_3)
	v_mul_u64_e32 v[26:27], v[16:17], v[24:25]
	v_mul_u64_e32 v[28:29], v[20:21], v[28:29]
	;; [unrolled: 1-line block ×3, first 2 shown]
	s_delay_alu instid0(VALU_DEP_3) | instskip(SKIP_1) | instid1(VALU_DEP_2)
	v_add_nc_u64_e32 v[18:19], v[18:19], v[26:27]
	v_mov_b32_e32 v27, v12
	v_add_co_u32 v13, vcc_lo, v18, v28
	s_delay_alu instid0(VALU_DEP_3) | instskip(SKIP_1) | instid1(VALU_DEP_1)
	v_add_co_ci_u32_e32 v26, vcc_lo, v19, v29, vcc_lo
	v_add_co_ci_u32_e32 v25, vcc_lo, 0, v25, vcc_lo
	v_add_nc_u64_e32 v[18:19], v[26:27], v[24:25]
	v_dual_mov_b32 v24, v6 :: v_dual_mov_b32 v25, v12
	s_delay_alu instid0(VALU_DEP_2) | instskip(NEXT) | instid1(VALU_DEP_1)
	v_add_co_u32 v18, vcc_lo, v16, v18
	v_add_co_ci_u32_e64 v16, null, v20, v19, vcc_lo
	v_dual_mov_b32 v20, v7 :: v_dual_mov_b32 v19, v12
	s_delay_alu instid0(VALU_DEP_2) | instskip(NEXT) | instid1(VALU_DEP_2)
	v_mul_u64_e32 v[24:25], v[24:25], v[16:17]
	v_mul_u64_e32 v[16:17], v[20:21], v[16:17]
	s_delay_alu instid0(VALU_DEP_3) | instskip(SKIP_1) | instid1(VALU_DEP_1)
	v_mul_u64_e32 v[26:27], v[20:21], v[18:19]
	v_mul_hi_u32 v18, v6, v18
	v_add_nc_u64_e32 v[18:19], v[18:19], v[24:25]
	s_delay_alu instid0(VALU_DEP_1) | instskip(NEXT) | instid1(VALU_DEP_2)
	v_add_co_u32 v13, vcc_lo, v18, v26
	v_add_co_ci_u32_e32 v20, vcc_lo, v19, v27, vcc_lo
	v_add_co_ci_u32_e32 v17, vcc_lo, 0, v17, vcc_lo
	s_delay_alu instid0(VALU_DEP_1) | instskip(NEXT) | instid1(VALU_DEP_1)
	v_add_nc_u64_e32 v[16:17], v[20:21], v[16:17]
	v_mul_u64_e32 v[16:17], v[14:15], v[16:17]
	s_delay_alu instid0(VALU_DEP_1) | instskip(NEXT) | instid1(VALU_DEP_2)
	v_sub_nc_u32_e32 v13, v7, v17
	v_sub_co_u32 v6, vcc_lo, v6, v16
	s_delay_alu instid0(VALU_DEP_1) | instskip(NEXT) | instid1(VALU_DEP_3)
	v_sub_co_ci_u32_e64 v7, null, v7, v17, vcc_lo
	v_sub_co_ci_u32_e64 v13, null, v13, v15, vcc_lo
	s_delay_alu instid0(VALU_DEP_3) | instskip(SKIP_1) | instid1(VALU_DEP_3)
	v_sub_co_u32 v16, vcc_lo, v6, v14
	v_cmp_ge_u32_e64 s1, v6, v14
	v_subrev_co_ci_u32_e64 v17, null, 0, v13, vcc_lo
	v_sub_co_ci_u32_e64 v13, null, v13, v15, vcc_lo
	s_delay_alu instid0(VALU_DEP_3) | instskip(SKIP_2) | instid1(VALU_DEP_2)
	v_cndmask_b32_e64 v18, 0, -1, s1
	v_cmp_ge_u32_e64 s1, v16, v14
	v_cmp_ge_u32_e32 vcc_lo, v7, v15
	v_cndmask_b32_e64 v19, 0, -1, s1
	v_cmp_ge_u32_e64 s1, v17, v15
	v_cndmask_b32_e64 v21, 0, -1, vcc_lo
	v_cmp_eq_u32_e32 vcc_lo, v17, v15
	s_delay_alu instid0(VALU_DEP_3) | instskip(SKIP_1) | instid1(VALU_DEP_1)
	v_cndmask_b32_e64 v20, 0, -1, s1
	v_cmp_eq_u32_e64 s1, v7, v15
	v_dual_cndmask_b32 v19, v20, v19, vcc_lo :: v_dual_cndmask_b32 v18, v21, v18, s1
	v_sub_co_u32 v20, vcc_lo, v16, v14
	s_delay_alu instid0(VALU_DEP_1) | instskip(NEXT) | instid1(VALU_DEP_3)
	v_subrev_co_ci_u32_e64 v13, null, 0, v13, vcc_lo
	v_cmp_ne_u32_e32 vcc_lo, 0, v19
	s_delay_alu instid0(VALU_DEP_2) | instskip(SKIP_1) | instid1(VALU_DEP_2)
	v_dual_cndmask_b32 v13, v17, v13 :: v_dual_cndmask_b32 v16, v16, v20
	v_cmp_ne_u32_e32 vcc_lo, 0, v18
	v_dual_cndmask_b32 v17, v7, v13 :: v_dual_cndmask_b32 v16, v6, v16
                                        ; implicit-def: $vgpr6_vgpr7
.LBB27_69:                              ;   in Loop: Header=BB27_67 Depth=1
	s_and_not1_saveexec_b32 s1, s8
	s_cbranch_execz .LBB27_66
; %bb.70:                               ;   in Loop: Header=BB27_67 Depth=1
	v_cvt_f32_u32_e32 v7, v14
	v_dual_sub_nc_u32 v13, 0, v14 :: v_dual_mov_b32 v17, v12
	s_delay_alu instid0(VALU_DEP_2) | instskip(SKIP_1) | instid1(TRANS32_DEP_1)
	v_rcp_iflag_f32_e32 v7, v7
	v_nop
	v_mul_f32_e32 v7, 0x4f7ffffe, v7
	s_delay_alu instid0(VALU_DEP_1) | instskip(NEXT) | instid1(VALU_DEP_1)
	v_cvt_u32_f32_e32 v7, v7
	v_mul_lo_u32 v13, v13, v7
	s_delay_alu instid0(VALU_DEP_1) | instskip(NEXT) | instid1(VALU_DEP_1)
	v_mul_hi_u32 v13, v7, v13
	v_add_nc_u32_e32 v7, v7, v13
	s_delay_alu instid0(VALU_DEP_1) | instskip(NEXT) | instid1(VALU_DEP_1)
	v_mul_hi_u32 v7, v6, v7
	v_mul_lo_u32 v7, v7, v14
	s_delay_alu instid0(VALU_DEP_1) | instskip(NEXT) | instid1(VALU_DEP_1)
	v_sub_nc_u32_e32 v6, v6, v7
	v_sub_nc_u32_e32 v7, v6, v14
	v_cmp_ge_u32_e32 vcc_lo, v6, v14
	s_delay_alu instid0(VALU_DEP_2) | instskip(NEXT) | instid1(VALU_DEP_1)
	v_cndmask_b32_e32 v6, v6, v7, vcc_lo
	v_sub_nc_u32_e32 v7, v6, v14
	v_cmp_ge_u32_e32 vcc_lo, v6, v14
	s_delay_alu instid0(VALU_DEP_2)
	v_cndmask_b32_e32 v16, v6, v7, vcc_lo
	s_branch .LBB27_66
.LBB27_71:
	s_or_b32 exec_lo, exec_lo, s7
	v_mov_b64_e32 v[6:7], v[14:15]
.LBB27_72:
	s_or_b32 exec_lo, exec_lo, s6
.LBB27_73:
	s_delay_alu instid0(SALU_CYCLE_1) | instskip(SKIP_2) | instid1(VALU_DEP_1)
	s_or_b32 exec_lo, exec_lo, s3
	v_or_b32_e32 v12, 0x300, v0
	s_mov_b32 s3, exec_lo
	v_cmpx_gt_i32_e64 s12, v12
	s_cbranch_execnz .LBB27_80
; %bb.74:
	s_or_b32 exec_lo, exec_lo, s3
	s_and_saveexec_b32 s1, s0
	s_delay_alu instid0(SALU_CYCLE_1)
	s_xor_b32 s0, exec_lo, s1
	s_cbranch_execnz .LBB27_89
.LBB27_75:
	s_or_b32 exec_lo, exec_lo, s0
	s_delay_alu instid0(SALU_CYCLE_1)
	s_mov_b32 s0, exec_lo
	v_cmpx_gt_i32_e64 s12, v0
	s_cbranch_execnz .LBB27_90
.LBB27_76:
	s_or_b32 exec_lo, exec_lo, s0
	s_delay_alu instid0(SALU_CYCLE_1)
	s_mov_b32 s0, exec_lo
	v_cmpx_gt_i32_e64 s12, v0
	s_cbranch_execnz .LBB27_91
.LBB27_77:
	s_or_b32 exec_lo, exec_lo, s0
	s_delay_alu instid0(SALU_CYCLE_1)
	s_mov_b32 s0, exec_lo
	v_cmpx_gt_i32_e64 s12, v0
	s_cbranch_execz .LBB27_79
.LBB27_78:
	v_add_nc_u32_e32 v0, s2, v0
	global_store_b64 v0, v[8:9], s[4:5] scale_offset
.LBB27_79:
	s_endpgm
.LBB27_80:
	s_mov_b32 s6, exec_lo
	v_cmpx_ne_u64_e32 0, v[10:11]
	s_cbranch_execz .LBB27_88
; %bb.81:
	v_sub_nc_u64_e32 v[12:13], 0, v[10:11]
	s_mov_b32 s7, 0
	s_delay_alu instid0(VALU_DEP_1)
	v_max_i64 v[14:15], v[10:11], v[12:13]
	v_mov_b32_e32 v10, 0
	s_branch .LBB27_83
.LBB27_82:                              ;   in Loop: Header=BB27_83 Depth=1
	s_or_b32 exec_lo, exec_lo, s1
	s_delay_alu instid0(VALU_DEP_1) | instskip(SKIP_2) | instid1(SALU_CYCLE_1)
	v_cmp_eq_u64_e32 vcc_lo, 0, v[14:15]
	v_mov_b64_e32 v[8:9], v[12:13]
	s_or_b32 s7, vcc_lo, s7
	s_and_not1_b32 exec_lo, exec_lo, s7
	s_cbranch_execz .LBB27_87
.LBB27_83:                              ; =>This Inner Loop Header: Depth=1
	s_delay_alu instid0(VALU_DEP_2) | instskip(SKIP_1) | instid1(VALU_DEP_1)
	v_mov_b64_e32 v[12:13], v[14:15]
                                        ; implicit-def: $vgpr14_vgpr15
	s_mov_b32 s1, exec_lo
	v_or_b32_e32 v11, v9, v13
	s_delay_alu instid0(VALU_DEP_1)
	v_cmpx_ne_u64_e32 0, v[10:11]
	s_xor_b32 s8, exec_lo, s1
	s_cbranch_execz .LBB27_85
; %bb.84:                               ;   in Loop: Header=BB27_83 Depth=1
	s_delay_alu instid0(VALU_DEP_3) | instskip(SKIP_3) | instid1(VALU_DEP_3)
	v_cvt_f32_u32_e32 v11, v12
	v_cvt_f32_u32_e32 v14, v13
	v_sub_nc_u64_e32 v[16:17], 0, v[12:13]
	v_dual_mov_b32 v25, v10 :: v_dual_mov_b32 v27, v10
	v_fmac_f32_e32 v11, 0x4f800000, v14
	s_delay_alu instid0(VALU_DEP_1) | instskip(SKIP_1) | instid1(TRANS32_DEP_1)
	v_rcp_f32_e32 v11, v11
	v_nop
	v_mul_f32_e32 v11, 0x5f7ffffc, v11
	s_delay_alu instid0(VALU_DEP_1) | instskip(NEXT) | instid1(VALU_DEP_1)
	v_mul_f32_e32 v14, 0x2f800000, v11
	v_trunc_f32_e32 v15, v14
	s_delay_alu instid0(VALU_DEP_1) | instskip(SKIP_1) | instid1(VALU_DEP_2)
	v_cvt_u32_f32_e32 v19, v15
	v_fmac_f32_e32 v11, 0xcf800000, v15
	v_dual_mov_b32 v15, v10 :: v_dual_mov_b32 v26, v19
	s_delay_alu instid0(VALU_DEP_2) | instskip(NEXT) | instid1(VALU_DEP_1)
	v_cvt_u32_f32_e32 v14, v11
	v_mov_b32_e32 v18, v14
	s_delay_alu instid0(VALU_DEP_1) | instskip(NEXT) | instid1(VALU_DEP_1)
	v_mul_u64_e32 v[20:21], v[16:17], v[18:19]
	v_dual_mov_b32 v24, v21 :: v_dual_mov_b32 v21, v10
	s_delay_alu instid0(VALU_DEP_1) | instskip(NEXT) | instid1(VALU_DEP_2)
	v_mul_u64_e32 v[28:29], v[14:15], v[24:25]
	v_mul_u64_e32 v[30:31], v[26:27], v[20:21]
	;; [unrolled: 1-line block ×3, first 2 shown]
	v_mul_hi_u32 v20, v14, v20
	s_delay_alu instid0(VALU_DEP_1) | instskip(NEXT) | instid1(VALU_DEP_1)
	v_add_nc_u64_e32 v[20:21], v[20:21], v[28:29]
	v_add_co_u32 v11, vcc_lo, v20, v30
	s_delay_alu instid0(VALU_DEP_2) | instskip(SKIP_1) | instid1(VALU_DEP_1)
	v_add_co_ci_u32_e32 v26, vcc_lo, v21, v31, vcc_lo
	v_add_co_ci_u32_e32 v25, vcc_lo, 0, v25, vcc_lo
	v_add_nc_u64_e32 v[20:21], v[26:27], v[24:25]
	s_delay_alu instid0(VALU_DEP_1) | instskip(NEXT) | instid1(VALU_DEP_1)
	v_add_co_u32 v14, vcc_lo, v14, v20
	v_add_co_ci_u32_e64 v18, null, v19, v21, vcc_lo
	v_dual_mov_b32 v21, v10 :: v_dual_mov_b32 v19, v10
	s_delay_alu instid0(VALU_DEP_2) | instskip(NEXT) | instid1(VALU_DEP_1)
	v_mov_b32_e32 v15, v18
	v_mul_u64_e32 v[16:17], v[16:17], v[14:15]
	s_delay_alu instid0(VALU_DEP_1) | instskip(NEXT) | instid1(VALU_DEP_2)
	v_dual_mov_b32 v15, v10 :: v_dual_mov_b32 v20, v17
	v_dual_mov_b32 v26, v16 :: v_dual_mov_b32 v17, v10
	v_mul_hi_u32 v16, v14, v16
	s_delay_alu instid0(VALU_DEP_3) | instskip(NEXT) | instid1(VALU_DEP_3)
	v_mul_u64_e32 v[24:25], v[14:15], v[20:21]
	v_mul_u64_e32 v[26:27], v[18:19], v[26:27]
	v_mul_u64_e32 v[20:21], v[18:19], v[20:21]
	s_delay_alu instid0(VALU_DEP_3) | instskip(SKIP_1) | instid1(VALU_DEP_2)
	v_add_nc_u64_e32 v[16:17], v[16:17], v[24:25]
	v_mov_b32_e32 v25, v10
	v_add_co_u32 v11, vcc_lo, v16, v26
	s_delay_alu instid0(VALU_DEP_3) | instskip(SKIP_1) | instid1(VALU_DEP_1)
	v_add_co_ci_u32_e32 v24, vcc_lo, v17, v27, vcc_lo
	v_add_co_ci_u32_e32 v21, vcc_lo, 0, v21, vcc_lo
	v_add_nc_u64_e32 v[16:17], v[24:25], v[20:21]
	v_dual_mov_b32 v20, v8 :: v_dual_mov_b32 v21, v10
	s_delay_alu instid0(VALU_DEP_2) | instskip(NEXT) | instid1(VALU_DEP_1)
	v_add_co_u32 v16, vcc_lo, v14, v16
	v_add_co_ci_u32_e64 v14, null, v18, v17, vcc_lo
	v_dual_mov_b32 v18, v9 :: v_dual_mov_b32 v17, v10
	s_delay_alu instid0(VALU_DEP_2) | instskip(NEXT) | instid1(VALU_DEP_2)
	v_mul_u64_e32 v[20:21], v[20:21], v[14:15]
	v_mul_u64_e32 v[14:15], v[18:19], v[14:15]
	s_delay_alu instid0(VALU_DEP_3) | instskip(SKIP_1) | instid1(VALU_DEP_1)
	v_mul_u64_e32 v[24:25], v[18:19], v[16:17]
	v_mul_hi_u32 v16, v8, v16
	v_add_nc_u64_e32 v[16:17], v[16:17], v[20:21]
	s_delay_alu instid0(VALU_DEP_1) | instskip(NEXT) | instid1(VALU_DEP_2)
	v_add_co_u32 v11, vcc_lo, v16, v24
	v_add_co_ci_u32_e32 v18, vcc_lo, v17, v25, vcc_lo
	v_add_co_ci_u32_e32 v15, vcc_lo, 0, v15, vcc_lo
	s_delay_alu instid0(VALU_DEP_1) | instskip(NEXT) | instid1(VALU_DEP_1)
	v_add_nc_u64_e32 v[14:15], v[18:19], v[14:15]
	v_mul_u64_e32 v[14:15], v[12:13], v[14:15]
	s_delay_alu instid0(VALU_DEP_1) | instskip(NEXT) | instid1(VALU_DEP_2)
	v_sub_nc_u32_e32 v11, v9, v15
	v_sub_co_u32 v8, vcc_lo, v8, v14
	s_delay_alu instid0(VALU_DEP_1) | instskip(NEXT) | instid1(VALU_DEP_3)
	v_sub_co_ci_u32_e64 v9, null, v9, v15, vcc_lo
	v_sub_co_ci_u32_e64 v11, null, v11, v13, vcc_lo
	s_delay_alu instid0(VALU_DEP_3) | instskip(SKIP_1) | instid1(VALU_DEP_3)
	v_sub_co_u32 v14, vcc_lo, v8, v12
	v_cmp_ge_u32_e64 s1, v8, v12
	v_subrev_co_ci_u32_e64 v15, null, 0, v11, vcc_lo
	v_sub_co_ci_u32_e64 v11, null, v11, v13, vcc_lo
	s_delay_alu instid0(VALU_DEP_3) | instskip(SKIP_2) | instid1(VALU_DEP_2)
	v_cndmask_b32_e64 v16, 0, -1, s1
	v_cmp_ge_u32_e64 s1, v14, v12
	v_cmp_ge_u32_e32 vcc_lo, v9, v13
	v_cndmask_b32_e64 v17, 0, -1, s1
	v_cmp_ge_u32_e64 s1, v15, v13
	v_cndmask_b32_e64 v19, 0, -1, vcc_lo
	v_cmp_eq_u32_e32 vcc_lo, v15, v13
	s_delay_alu instid0(VALU_DEP_3) | instskip(SKIP_1) | instid1(VALU_DEP_1)
	v_cndmask_b32_e64 v18, 0, -1, s1
	v_cmp_eq_u32_e64 s1, v9, v13
	v_dual_cndmask_b32 v17, v18, v17, vcc_lo :: v_dual_cndmask_b32 v16, v19, v16, s1
	v_sub_co_u32 v18, vcc_lo, v14, v12
	s_delay_alu instid0(VALU_DEP_1) | instskip(NEXT) | instid1(VALU_DEP_3)
	v_subrev_co_ci_u32_e64 v11, null, 0, v11, vcc_lo
	v_cmp_ne_u32_e32 vcc_lo, 0, v17
	s_delay_alu instid0(VALU_DEP_2) | instskip(SKIP_1) | instid1(VALU_DEP_2)
	v_dual_cndmask_b32 v11, v15, v11 :: v_dual_cndmask_b32 v14, v14, v18
	v_cmp_ne_u32_e32 vcc_lo, 0, v16
	v_dual_cndmask_b32 v15, v9, v11 :: v_dual_cndmask_b32 v14, v8, v14
                                        ; implicit-def: $vgpr8_vgpr9
.LBB27_85:                              ;   in Loop: Header=BB27_83 Depth=1
	s_and_not1_saveexec_b32 s1, s8
	s_cbranch_execz .LBB27_82
; %bb.86:                               ;   in Loop: Header=BB27_83 Depth=1
	v_cvt_f32_u32_e32 v9, v12
	v_dual_sub_nc_u32 v11, 0, v12 :: v_dual_mov_b32 v15, v10
	s_delay_alu instid0(VALU_DEP_2) | instskip(SKIP_1) | instid1(TRANS32_DEP_1)
	v_rcp_iflag_f32_e32 v9, v9
	v_nop
	v_mul_f32_e32 v9, 0x4f7ffffe, v9
	s_delay_alu instid0(VALU_DEP_1) | instskip(NEXT) | instid1(VALU_DEP_1)
	v_cvt_u32_f32_e32 v9, v9
	v_mul_lo_u32 v11, v11, v9
	s_delay_alu instid0(VALU_DEP_1) | instskip(NEXT) | instid1(VALU_DEP_1)
	v_mul_hi_u32 v11, v9, v11
	v_add_nc_u32_e32 v9, v9, v11
	s_delay_alu instid0(VALU_DEP_1) | instskip(NEXT) | instid1(VALU_DEP_1)
	v_mul_hi_u32 v9, v8, v9
	v_mul_lo_u32 v9, v9, v12
	s_delay_alu instid0(VALU_DEP_1) | instskip(NEXT) | instid1(VALU_DEP_1)
	v_sub_nc_u32_e32 v8, v8, v9
	v_sub_nc_u32_e32 v9, v8, v12
	v_cmp_ge_u32_e32 vcc_lo, v8, v12
	s_delay_alu instid0(VALU_DEP_2) | instskip(NEXT) | instid1(VALU_DEP_1)
	v_cndmask_b32_e32 v8, v8, v9, vcc_lo
	v_sub_nc_u32_e32 v9, v8, v12
	v_cmp_ge_u32_e32 vcc_lo, v8, v12
	s_delay_alu instid0(VALU_DEP_2)
	v_cndmask_b32_e32 v14, v8, v9, vcc_lo
	s_branch .LBB27_82
.LBB27_87:
	s_or_b32 exec_lo, exec_lo, s7
	v_mov_b64_e32 v[8:9], v[12:13]
.LBB27_88:
	s_or_b32 exec_lo, exec_lo, s6
	s_delay_alu instid0(SALU_CYCLE_1) | instskip(SKIP_1) | instid1(SALU_CYCLE_1)
	s_or_b32 exec_lo, exec_lo, s3
	s_and_saveexec_b32 s1, s0
	s_xor_b32 s0, exec_lo, s1
	s_cbranch_execz .LBB27_75
.LBB27_89:
	v_mov_b32_e32 v0, v22
	global_store_b64 v1, v[2:3], s[4:5] scale_offset
	s_wait_xcnt 0x0
	s_or_b32 exec_lo, exec_lo, s0
	s_delay_alu instid0(SALU_CYCLE_1)
	s_mov_b32 s0, exec_lo
	v_cmpx_gt_i32_e64 s12, v0
	s_cbranch_execz .LBB27_76
.LBB27_90:
	v_add_nc_u32_e32 v1, s2, v0
	v_add_nc_u32_e32 v0, 0x100, v0
	global_store_b64 v1, v[4:5], s[4:5] scale_offset
	s_wait_xcnt 0x0
	s_or_b32 exec_lo, exec_lo, s0
	s_delay_alu instid0(SALU_CYCLE_1)
	s_mov_b32 s0, exec_lo
	v_cmpx_gt_i32_e64 s12, v0
	s_cbranch_execz .LBB27_77
.LBB27_91:
	v_add_nc_u32_e32 v1, s2, v0
	v_add_nc_u32_e32 v0, 0x100, v0
	global_store_b64 v1, v[6:7], s[4:5] scale_offset
	s_wait_xcnt 0x0
	s_or_b32 exec_lo, exec_lo, s0
	s_delay_alu instid0(SALU_CYCLE_1)
	s_mov_b32 s0, exec_lo
	v_cmpx_gt_i32_e64 s12, v0
	s_cbranch_execnz .LBB27_78
	s_branch .LBB27_79
	.section	.rodata,"a",@progbits
	.p2align	6, 0x0
	.amdhsa_kernel _ZN2at6native29vectorized_elementwise_kernelILi2EZZZNS0_15gcd_kernel_cudaERNS_18TensorIteratorBaseEENKUlvE_clEvENKUlvE2_clEvEUlllE_St5arrayIPcLm3EEEEviT0_T1_
		.amdhsa_group_segment_fixed_size 0
		.amdhsa_private_segment_fixed_size 0
		.amdhsa_kernarg_size 32
		.amdhsa_user_sgpr_count 2
		.amdhsa_user_sgpr_dispatch_ptr 0
		.amdhsa_user_sgpr_queue_ptr 0
		.amdhsa_user_sgpr_kernarg_segment_ptr 1
		.amdhsa_user_sgpr_dispatch_id 0
		.amdhsa_user_sgpr_kernarg_preload_length 0
		.amdhsa_user_sgpr_kernarg_preload_offset 0
		.amdhsa_user_sgpr_private_segment_size 0
		.amdhsa_wavefront_size32 1
		.amdhsa_uses_dynamic_stack 0
		.amdhsa_enable_private_segment 0
		.amdhsa_system_sgpr_workgroup_id_x 1
		.amdhsa_system_sgpr_workgroup_id_y 0
		.amdhsa_system_sgpr_workgroup_id_z 0
		.amdhsa_system_sgpr_workgroup_info 0
		.amdhsa_system_vgpr_workitem_id 0
		.amdhsa_next_free_vgpr 38
		.amdhsa_next_free_sgpr 16
		.amdhsa_named_barrier_count 0
		.amdhsa_reserve_vcc 1
		.amdhsa_float_round_mode_32 0
		.amdhsa_float_round_mode_16_64 0
		.amdhsa_float_denorm_mode_32 3
		.amdhsa_float_denorm_mode_16_64 3
		.amdhsa_fp16_overflow 0
		.amdhsa_memory_ordered 1
		.amdhsa_forward_progress 1
		.amdhsa_inst_pref_size 63
		.amdhsa_round_robin_scheduling 0
		.amdhsa_exception_fp_ieee_invalid_op 0
		.amdhsa_exception_fp_denorm_src 0
		.amdhsa_exception_fp_ieee_div_zero 0
		.amdhsa_exception_fp_ieee_overflow 0
		.amdhsa_exception_fp_ieee_underflow 0
		.amdhsa_exception_fp_ieee_inexact 0
		.amdhsa_exception_int_div_zero 0
	.end_amdhsa_kernel
	.section	.text._ZN2at6native29vectorized_elementwise_kernelILi2EZZZNS0_15gcd_kernel_cudaERNS_18TensorIteratorBaseEENKUlvE_clEvENKUlvE2_clEvEUlllE_St5arrayIPcLm3EEEEviT0_T1_,"axG",@progbits,_ZN2at6native29vectorized_elementwise_kernelILi2EZZZNS0_15gcd_kernel_cudaERNS_18TensorIteratorBaseEENKUlvE_clEvENKUlvE2_clEvEUlllE_St5arrayIPcLm3EEEEviT0_T1_,comdat
.Lfunc_end27:
	.size	_ZN2at6native29vectorized_elementwise_kernelILi2EZZZNS0_15gcd_kernel_cudaERNS_18TensorIteratorBaseEENKUlvE_clEvENKUlvE2_clEvEUlllE_St5arrayIPcLm3EEEEviT0_T1_, .Lfunc_end27-_ZN2at6native29vectorized_elementwise_kernelILi2EZZZNS0_15gcd_kernel_cudaERNS_18TensorIteratorBaseEENKUlvE_clEvENKUlvE2_clEvEUlllE_St5arrayIPcLm3EEEEviT0_T1_
                                        ; -- End function
	.set _ZN2at6native29vectorized_elementwise_kernelILi2EZZZNS0_15gcd_kernel_cudaERNS_18TensorIteratorBaseEENKUlvE_clEvENKUlvE2_clEvEUlllE_St5arrayIPcLm3EEEEviT0_T1_.num_vgpr, 38
	.set _ZN2at6native29vectorized_elementwise_kernelILi2EZZZNS0_15gcd_kernel_cudaERNS_18TensorIteratorBaseEENKUlvE_clEvENKUlvE2_clEvEUlllE_St5arrayIPcLm3EEEEviT0_T1_.num_agpr, 0
	.set _ZN2at6native29vectorized_elementwise_kernelILi2EZZZNS0_15gcd_kernel_cudaERNS_18TensorIteratorBaseEENKUlvE_clEvENKUlvE2_clEvEUlllE_St5arrayIPcLm3EEEEviT0_T1_.numbered_sgpr, 16
	.set _ZN2at6native29vectorized_elementwise_kernelILi2EZZZNS0_15gcd_kernel_cudaERNS_18TensorIteratorBaseEENKUlvE_clEvENKUlvE2_clEvEUlllE_St5arrayIPcLm3EEEEviT0_T1_.num_named_barrier, 0
	.set _ZN2at6native29vectorized_elementwise_kernelILi2EZZZNS0_15gcd_kernel_cudaERNS_18TensorIteratorBaseEENKUlvE_clEvENKUlvE2_clEvEUlllE_St5arrayIPcLm3EEEEviT0_T1_.private_seg_size, 0
	.set _ZN2at6native29vectorized_elementwise_kernelILi2EZZZNS0_15gcd_kernel_cudaERNS_18TensorIteratorBaseEENKUlvE_clEvENKUlvE2_clEvEUlllE_St5arrayIPcLm3EEEEviT0_T1_.uses_vcc, 1
	.set _ZN2at6native29vectorized_elementwise_kernelILi2EZZZNS0_15gcd_kernel_cudaERNS_18TensorIteratorBaseEENKUlvE_clEvENKUlvE2_clEvEUlllE_St5arrayIPcLm3EEEEviT0_T1_.uses_flat_scratch, 0
	.set _ZN2at6native29vectorized_elementwise_kernelILi2EZZZNS0_15gcd_kernel_cudaERNS_18TensorIteratorBaseEENKUlvE_clEvENKUlvE2_clEvEUlllE_St5arrayIPcLm3EEEEviT0_T1_.has_dyn_sized_stack, 0
	.set _ZN2at6native29vectorized_elementwise_kernelILi2EZZZNS0_15gcd_kernel_cudaERNS_18TensorIteratorBaseEENKUlvE_clEvENKUlvE2_clEvEUlllE_St5arrayIPcLm3EEEEviT0_T1_.has_recursion, 0
	.set _ZN2at6native29vectorized_elementwise_kernelILi2EZZZNS0_15gcd_kernel_cudaERNS_18TensorIteratorBaseEENKUlvE_clEvENKUlvE2_clEvEUlllE_St5arrayIPcLm3EEEEviT0_T1_.has_indirect_call, 0
	.section	.AMDGPU.csdata,"",@progbits
; Kernel info:
; codeLenInByte = 8032
; TotalNumSgprs: 18
; NumVgprs: 38
; ScratchSize: 0
; MemoryBound: 0
; FloatMode: 240
; IeeeMode: 1
; LDSByteSize: 0 bytes/workgroup (compile time only)
; SGPRBlocks: 0
; VGPRBlocks: 2
; NumSGPRsForWavesPerEU: 18
; NumVGPRsForWavesPerEU: 38
; NamedBarCnt: 0
; Occupancy: 16
; WaveLimiterHint : 1
; COMPUTE_PGM_RSRC2:SCRATCH_EN: 0
; COMPUTE_PGM_RSRC2:USER_SGPR: 2
; COMPUTE_PGM_RSRC2:TRAP_HANDLER: 0
; COMPUTE_PGM_RSRC2:TGID_X_EN: 1
; COMPUTE_PGM_RSRC2:TGID_Y_EN: 0
; COMPUTE_PGM_RSRC2:TGID_Z_EN: 0
; COMPUTE_PGM_RSRC2:TIDIG_COMP_CNT: 0
	.section	.text._ZN2at6native27unrolled_elementwise_kernelIZZZNS0_15gcd_kernel_cudaERNS_18TensorIteratorBaseEENKUlvE_clEvENKUlvE2_clEvEUlllE_St5arrayIPcLm3EELi4E23TrivialOffsetCalculatorILi2EjESA_ILi1EjENS0_6memory15LoadWithoutCastENSD_16StoreWithoutCastEEEviT_T0_T2_T3_T4_T5_,"axG",@progbits,_ZN2at6native27unrolled_elementwise_kernelIZZZNS0_15gcd_kernel_cudaERNS_18TensorIteratorBaseEENKUlvE_clEvENKUlvE2_clEvEUlllE_St5arrayIPcLm3EELi4E23TrivialOffsetCalculatorILi2EjESA_ILi1EjENS0_6memory15LoadWithoutCastENSD_16StoreWithoutCastEEEviT_T0_T2_T3_T4_T5_,comdat
	.globl	_ZN2at6native27unrolled_elementwise_kernelIZZZNS0_15gcd_kernel_cudaERNS_18TensorIteratorBaseEENKUlvE_clEvENKUlvE2_clEvEUlllE_St5arrayIPcLm3EELi4E23TrivialOffsetCalculatorILi2EjESA_ILi1EjENS0_6memory15LoadWithoutCastENSD_16StoreWithoutCastEEEviT_T0_T2_T3_T4_T5_ ; -- Begin function _ZN2at6native27unrolled_elementwise_kernelIZZZNS0_15gcd_kernel_cudaERNS_18TensorIteratorBaseEENKUlvE_clEvENKUlvE2_clEvEUlllE_St5arrayIPcLm3EELi4E23TrivialOffsetCalculatorILi2EjESA_ILi1EjENS0_6memory15LoadWithoutCastENSD_16StoreWithoutCastEEEviT_T0_T2_T3_T4_T5_
	.p2align	8
	.type	_ZN2at6native27unrolled_elementwise_kernelIZZZNS0_15gcd_kernel_cudaERNS_18TensorIteratorBaseEENKUlvE_clEvENKUlvE2_clEvEUlllE_St5arrayIPcLm3EELi4E23TrivialOffsetCalculatorILi2EjESA_ILi1EjENS0_6memory15LoadWithoutCastENSD_16StoreWithoutCastEEEviT_T0_T2_T3_T4_T5_,@function
_ZN2at6native27unrolled_elementwise_kernelIZZZNS0_15gcd_kernel_cudaERNS_18TensorIteratorBaseEENKUlvE_clEvENKUlvE2_clEvEUlllE_St5arrayIPcLm3EELi4E23TrivialOffsetCalculatorILi2EjESA_ILi1EjENS0_6memory15LoadWithoutCastENSD_16StoreWithoutCastEEEviT_T0_T2_T3_T4_T5_: ; @_ZN2at6native27unrolled_elementwise_kernelIZZZNS0_15gcd_kernel_cudaERNS_18TensorIteratorBaseEENKUlvE_clEvENKUlvE2_clEvEUlllE_St5arrayIPcLm3EELi4E23TrivialOffsetCalculatorILi2EjESA_ILi1EjENS0_6memory15LoadWithoutCastENSD_16StoreWithoutCastEEEviT_T0_T2_T3_T4_T5_
; %bb.0:
	s_load_b32 s9, s[0:1], 0x0
	s_bfe_u32 s10, ttmp6, 0x4000c
	s_clause 0x1
	s_load_b128 s[4:7], s[0:1], 0x8
	s_load_b64 s[2:3], s[0:1], 0x18
	s_add_co_i32 s10, s10, 1
	s_and_b32 s8, ttmp6, 15
	s_wait_xcnt 0x0
	s_mul_i32 s1, ttmp9, s10
	s_getreg_b32 s0, hwreg(HW_REG_IB_STS2, 6, 4)
	s_add_co_i32 s8, s8, s1
	s_cmp_eq_u32 s0, 0
	v_mov_b64_e32 v[14:15], 0
	s_cselect_b32 s0, ttmp9, s8
	v_mov_b64_e32 v[16:17], 0
	s_lshl_b32 s8, s0, 10
	v_mov_b64_e32 v[2:3], 0
	v_or_b32_e32 v1, 0x100, v0
	v_dual_mov_b32 v18, v0 :: v_dual_bitop2_b32 v22, s8, v0 bitop3:0x54
	s_wait_kmcnt 0x0
	s_sub_co_i32 s9, s9, s8
	s_delay_alu instid0(SALU_CYCLE_1)
	v_cmp_gt_i32_e64 s0, s9, v0
	s_and_saveexec_b32 s1, s0
	s_cbranch_execz .LBB28_2
; %bb.1:
	s_clause 0x1
	global_load_b64 v[2:3], v22, s[2:3] scale_offset
	global_load_b64 v[16:17], v22, s[6:7] scale_offset
	v_or_b32_e32 v18, 0x100, v0
	s_wait_loadcnt 0x1
	v_sub_nc_u64_e32 v[4:5], 0, v[2:3]
	s_delay_alu instid0(VALU_DEP_1)
	v_max_i64 v[2:3], v[2:3], v[4:5]
.LBB28_2:
	s_wait_xcnt 0x0
	s_or_b32 exec_lo, exec_lo, s1
	v_mov_b64_e32 v[4:5], 0
	s_mov_b32 s1, exec_lo
	v_cmpx_gt_i32_e64 s9, v18
	s_cbranch_execz .LBB28_4
; %bb.3:
	v_add_nc_u32_e32 v6, s8, v18
	v_add_nc_u32_e32 v18, 0x100, v18
	s_clause 0x1
	global_load_b64 v[4:5], v6, s[2:3] scale_offset
	global_load_b64 v[14:15], v6, s[6:7] scale_offset
	s_wait_loadcnt 0x1
	s_wait_xcnt 0x0
	v_sub_nc_u64_e32 v[6:7], 0, v[4:5]
	s_delay_alu instid0(VALU_DEP_1)
	v_max_i64 v[4:5], v[4:5], v[6:7]
.LBB28_4:
	s_or_b32 exec_lo, exec_lo, s1
	v_mov_b64_e32 v[10:11], 0
	v_mov_b64_e32 v[12:13], 0
	;; [unrolled: 1-line block ×3, first 2 shown]
	s_mov_b32 s1, exec_lo
	v_cmpx_gt_i32_e64 s9, v18
	s_cbranch_execz .LBB28_6
; %bb.5:
	v_add_nc_u32_e32 v8, s8, v18
	v_add_nc_u32_e32 v18, 0x100, v18
	s_clause 0x1
	global_load_b64 v[6:7], v8, s[2:3] scale_offset
	global_load_b64 v[12:13], v8, s[6:7] scale_offset
	s_wait_loadcnt 0x1
	s_wait_xcnt 0x0
	v_sub_nc_u64_e32 v[8:9], 0, v[6:7]
	s_delay_alu instid0(VALU_DEP_1)
	v_max_i64 v[6:7], v[6:7], v[8:9]
.LBB28_6:
	s_or_b32 exec_lo, exec_lo, s1
	v_mov_b64_e32 v[8:9], 0
	s_mov_b32 s1, exec_lo
	v_cmpx_gt_i32_e64 s9, v18
	s_cbranch_execnz .LBB28_9
; %bb.7:
	s_or_b32 exec_lo, exec_lo, s1
	s_and_saveexec_b32 s2, s0
	s_cbranch_execnz .LBB28_10
.LBB28_8:
	s_or_b32 exec_lo, exec_lo, s2
	s_delay_alu instid0(SALU_CYCLE_1)
	s_mov_b32 s2, exec_lo
	v_cmpx_gt_i32_e64 s9, v1
	s_cbranch_execnz .LBB28_19
	s_branch .LBB28_28
.LBB28_9:
	v_add_nc_u32_e32 v18, s8, v18
	s_clause 0x1
	global_load_b64 v[8:9], v18, s[2:3] scale_offset
	global_load_b64 v[10:11], v18, s[6:7] scale_offset
	s_wait_loadcnt 0x1
	s_wait_xcnt 0x0
	v_sub_nc_u64_e32 v[18:19], 0, v[8:9]
	s_delay_alu instid0(VALU_DEP_1)
	v_max_i64 v[8:9], v[8:9], v[18:19]
	s_or_b32 exec_lo, exec_lo, s1
	s_and_saveexec_b32 s2, s0
	s_cbranch_execz .LBB28_8
.LBB28_10:
	s_mov_b32 s3, exec_lo
	s_wait_loadcnt 0x0
	v_cmpx_ne_u64_e32 0, v[16:17]
	s_cbranch_execz .LBB28_18
; %bb.11:
	v_sub_nc_u64_e32 v[18:19], 0, v[16:17]
	s_mov_b32 s6, 0
	s_delay_alu instid0(VALU_DEP_1)
	v_max_i64 v[20:21], v[16:17], v[18:19]
	v_mov_b32_e32 v16, 0
	s_branch .LBB28_13
.LBB28_12:                              ;   in Loop: Header=BB28_13 Depth=1
	s_or_b32 exec_lo, exec_lo, s1
	s_delay_alu instid0(VALU_DEP_1) | instskip(SKIP_2) | instid1(SALU_CYCLE_1)
	v_cmp_eq_u64_e32 vcc_lo, 0, v[20:21]
	v_mov_b64_e32 v[2:3], v[18:19]
	s_or_b32 s6, vcc_lo, s6
	s_and_not1_b32 exec_lo, exec_lo, s6
	s_cbranch_execz .LBB28_17
.LBB28_13:                              ; =>This Inner Loop Header: Depth=1
	s_delay_alu instid0(VALU_DEP_2) | instskip(SKIP_1) | instid1(VALU_DEP_1)
	v_mov_b64_e32 v[18:19], v[20:21]
                                        ; implicit-def: $vgpr20_vgpr21
	s_mov_b32 s1, exec_lo
	v_or_b32_e32 v17, v3, v19
	s_delay_alu instid0(VALU_DEP_1)
	v_cmpx_ne_u64_e32 0, v[16:17]
	s_xor_b32 s7, exec_lo, s1
	s_cbranch_execz .LBB28_15
; %bb.14:                               ;   in Loop: Header=BB28_13 Depth=1
	s_delay_alu instid0(VALU_DEP_3) | instskip(SKIP_3) | instid1(VALU_DEP_3)
	v_cvt_f32_u32_e32 v17, v18
	v_cvt_f32_u32_e32 v20, v19
	v_sub_nc_u64_e32 v[24:25], 0, v[18:19]
	v_dual_mov_b32 v31, v16 :: v_dual_mov_b32 v33, v16
	v_fmac_f32_e32 v17, 0x4f800000, v20
	s_delay_alu instid0(VALU_DEP_1) | instskip(SKIP_1) | instid1(TRANS32_DEP_1)
	v_rcp_f32_e32 v17, v17
	v_nop
	v_mul_f32_e32 v17, 0x5f7ffffc, v17
	s_delay_alu instid0(VALU_DEP_1) | instskip(NEXT) | instid1(VALU_DEP_1)
	v_mul_f32_e32 v20, 0x2f800000, v17
	v_trunc_f32_e32 v21, v20
	s_delay_alu instid0(VALU_DEP_1) | instskip(SKIP_1) | instid1(VALU_DEP_2)
	v_cvt_u32_f32_e32 v27, v21
	v_fmac_f32_e32 v17, 0xcf800000, v21
	v_dual_mov_b32 v21, v16 :: v_dual_mov_b32 v32, v27
	s_delay_alu instid0(VALU_DEP_2) | instskip(NEXT) | instid1(VALU_DEP_1)
	v_cvt_u32_f32_e32 v20, v17
	v_mov_b32_e32 v26, v20
	s_delay_alu instid0(VALU_DEP_1) | instskip(NEXT) | instid1(VALU_DEP_1)
	v_mul_u64_e32 v[28:29], v[24:25], v[26:27]
	v_dual_mov_b32 v30, v29 :: v_dual_mov_b32 v29, v16
	s_delay_alu instid0(VALU_DEP_1) | instskip(NEXT) | instid1(VALU_DEP_2)
	v_mul_u64_e32 v[34:35], v[20:21], v[30:31]
	v_mul_u64_e32 v[36:37], v[32:33], v[28:29]
	v_mul_u64_e32 v[30:31], v[32:33], v[30:31]
	v_mul_hi_u32 v28, v20, v28
	s_delay_alu instid0(VALU_DEP_1) | instskip(NEXT) | instid1(VALU_DEP_1)
	v_add_nc_u64_e32 v[28:29], v[28:29], v[34:35]
	v_add_co_u32 v17, vcc_lo, v28, v36
	s_delay_alu instid0(VALU_DEP_2) | instskip(SKIP_1) | instid1(VALU_DEP_1)
	v_add_co_ci_u32_e32 v32, vcc_lo, v29, v37, vcc_lo
	v_add_co_ci_u32_e32 v31, vcc_lo, 0, v31, vcc_lo
	v_add_nc_u64_e32 v[28:29], v[32:33], v[30:31]
	s_delay_alu instid0(VALU_DEP_1) | instskip(NEXT) | instid1(VALU_DEP_1)
	v_add_co_u32 v20, vcc_lo, v20, v28
	v_add_co_ci_u32_e64 v26, null, v27, v29, vcc_lo
	v_dual_mov_b32 v29, v16 :: v_dual_mov_b32 v27, v16
	s_delay_alu instid0(VALU_DEP_2) | instskip(NEXT) | instid1(VALU_DEP_1)
	v_mov_b32_e32 v21, v26
	v_mul_u64_e32 v[24:25], v[24:25], v[20:21]
	s_delay_alu instid0(VALU_DEP_1) | instskip(NEXT) | instid1(VALU_DEP_2)
	v_dual_mov_b32 v21, v16 :: v_dual_mov_b32 v28, v25
	v_dual_mov_b32 v32, v24 :: v_dual_mov_b32 v25, v16
	v_mul_hi_u32 v24, v20, v24
	s_delay_alu instid0(VALU_DEP_3) | instskip(NEXT) | instid1(VALU_DEP_3)
	v_mul_u64_e32 v[30:31], v[20:21], v[28:29]
	v_mul_u64_e32 v[32:33], v[26:27], v[32:33]
	;; [unrolled: 1-line block ×3, first 2 shown]
	s_delay_alu instid0(VALU_DEP_3) | instskip(SKIP_1) | instid1(VALU_DEP_2)
	v_add_nc_u64_e32 v[24:25], v[24:25], v[30:31]
	v_mov_b32_e32 v31, v16
	v_add_co_u32 v17, vcc_lo, v24, v32
	s_delay_alu instid0(VALU_DEP_3) | instskip(SKIP_1) | instid1(VALU_DEP_1)
	v_add_co_ci_u32_e32 v30, vcc_lo, v25, v33, vcc_lo
	v_add_co_ci_u32_e32 v29, vcc_lo, 0, v29, vcc_lo
	v_add_nc_u64_e32 v[24:25], v[30:31], v[28:29]
	v_dual_mov_b32 v28, v2 :: v_dual_mov_b32 v29, v16
	s_delay_alu instid0(VALU_DEP_2) | instskip(NEXT) | instid1(VALU_DEP_1)
	v_add_co_u32 v24, vcc_lo, v20, v24
	v_add_co_ci_u32_e64 v20, null, v26, v25, vcc_lo
	v_dual_mov_b32 v26, v3 :: v_dual_mov_b32 v25, v16
	s_delay_alu instid0(VALU_DEP_2) | instskip(NEXT) | instid1(VALU_DEP_2)
	v_mul_u64_e32 v[28:29], v[28:29], v[20:21]
	v_mul_u64_e32 v[20:21], v[26:27], v[20:21]
	s_delay_alu instid0(VALU_DEP_3) | instskip(SKIP_1) | instid1(VALU_DEP_1)
	v_mul_u64_e32 v[30:31], v[26:27], v[24:25]
	v_mul_hi_u32 v24, v2, v24
	v_add_nc_u64_e32 v[24:25], v[24:25], v[28:29]
	s_delay_alu instid0(VALU_DEP_1) | instskip(NEXT) | instid1(VALU_DEP_2)
	v_add_co_u32 v17, vcc_lo, v24, v30
	v_add_co_ci_u32_e32 v26, vcc_lo, v25, v31, vcc_lo
	v_add_co_ci_u32_e32 v21, vcc_lo, 0, v21, vcc_lo
	s_delay_alu instid0(VALU_DEP_1) | instskip(NEXT) | instid1(VALU_DEP_1)
	v_add_nc_u64_e32 v[20:21], v[26:27], v[20:21]
	v_mul_u64_e32 v[20:21], v[18:19], v[20:21]
	s_delay_alu instid0(VALU_DEP_1) | instskip(NEXT) | instid1(VALU_DEP_2)
	v_sub_nc_u32_e32 v17, v3, v21
	v_sub_co_u32 v2, vcc_lo, v2, v20
	s_delay_alu instid0(VALU_DEP_1) | instskip(NEXT) | instid1(VALU_DEP_3)
	v_sub_co_ci_u32_e64 v3, null, v3, v21, vcc_lo
	v_sub_co_ci_u32_e64 v17, null, v17, v19, vcc_lo
	s_delay_alu instid0(VALU_DEP_3) | instskip(SKIP_1) | instid1(VALU_DEP_3)
	v_sub_co_u32 v20, vcc_lo, v2, v18
	v_cmp_ge_u32_e64 s1, v2, v18
	v_subrev_co_ci_u32_e64 v21, null, 0, v17, vcc_lo
	v_sub_co_ci_u32_e64 v17, null, v17, v19, vcc_lo
	s_delay_alu instid0(VALU_DEP_3) | instskip(SKIP_2) | instid1(VALU_DEP_2)
	v_cndmask_b32_e64 v23, 0, -1, s1
	v_cmp_ge_u32_e64 s1, v20, v18
	v_cmp_ge_u32_e32 vcc_lo, v3, v19
	v_cndmask_b32_e64 v24, 0, -1, s1
	v_cmp_ge_u32_e64 s1, v21, v19
	v_cndmask_b32_e64 v26, 0, -1, vcc_lo
	v_cmp_eq_u32_e32 vcc_lo, v21, v19
	s_delay_alu instid0(VALU_DEP_3) | instskip(SKIP_1) | instid1(VALU_DEP_1)
	v_cndmask_b32_e64 v25, 0, -1, s1
	v_cmp_eq_u32_e64 s1, v3, v19
	v_dual_cndmask_b32 v24, v25, v24, vcc_lo :: v_dual_cndmask_b32 v23, v26, v23, s1
	v_sub_co_u32 v25, vcc_lo, v20, v18
	s_delay_alu instid0(VALU_DEP_1) | instskip(NEXT) | instid1(VALU_DEP_3)
	v_subrev_co_ci_u32_e64 v17, null, 0, v17, vcc_lo
	v_cmp_ne_u32_e32 vcc_lo, 0, v24
	s_delay_alu instid0(VALU_DEP_3) | instskip(NEXT) | instid1(VALU_DEP_3)
	v_cndmask_b32_e32 v20, v20, v25, vcc_lo
	v_cndmask_b32_e32 v17, v21, v17, vcc_lo
	v_cmp_ne_u32_e32 vcc_lo, 0, v23
	s_delay_alu instid0(VALU_DEP_2)
	v_dual_cndmask_b32 v20, v2, v20 :: v_dual_cndmask_b32 v21, v3, v17
                                        ; implicit-def: $vgpr2_vgpr3
.LBB28_15:                              ;   in Loop: Header=BB28_13 Depth=1
	s_and_not1_saveexec_b32 s1, s7
	s_cbranch_execz .LBB28_12
; %bb.16:                               ;   in Loop: Header=BB28_13 Depth=1
	v_cvt_f32_u32_e32 v3, v18
	v_dual_sub_nc_u32 v17, 0, v18 :: v_dual_mov_b32 v21, v16
	s_delay_alu instid0(VALU_DEP_2) | instskip(SKIP_1) | instid1(TRANS32_DEP_1)
	v_rcp_iflag_f32_e32 v3, v3
	v_nop
	v_mul_f32_e32 v3, 0x4f7ffffe, v3
	s_delay_alu instid0(VALU_DEP_1) | instskip(NEXT) | instid1(VALU_DEP_1)
	v_cvt_u32_f32_e32 v3, v3
	v_mul_lo_u32 v17, v17, v3
	s_delay_alu instid0(VALU_DEP_1) | instskip(NEXT) | instid1(VALU_DEP_1)
	v_mul_hi_u32 v17, v3, v17
	v_add_nc_u32_e32 v3, v3, v17
	s_delay_alu instid0(VALU_DEP_1) | instskip(NEXT) | instid1(VALU_DEP_1)
	v_mul_hi_u32 v3, v2, v3
	v_mul_lo_u32 v3, v3, v18
	s_delay_alu instid0(VALU_DEP_1) | instskip(NEXT) | instid1(VALU_DEP_1)
	v_sub_nc_u32_e32 v2, v2, v3
	v_sub_nc_u32_e32 v3, v2, v18
	v_cmp_ge_u32_e32 vcc_lo, v2, v18
	s_delay_alu instid0(VALU_DEP_2) | instskip(NEXT) | instid1(VALU_DEP_1)
	v_cndmask_b32_e32 v2, v2, v3, vcc_lo
	v_sub_nc_u32_e32 v3, v2, v18
	v_cmp_ge_u32_e32 vcc_lo, v2, v18
	s_delay_alu instid0(VALU_DEP_2)
	v_cndmask_b32_e32 v20, v2, v3, vcc_lo
	s_branch .LBB28_12
.LBB28_17:
	s_or_b32 exec_lo, exec_lo, s6
	v_mov_b64_e32 v[2:3], v[18:19]
.LBB28_18:
	s_or_b32 exec_lo, exec_lo, s3
	s_delay_alu instid0(SALU_CYCLE_1) | instskip(NEXT) | instid1(SALU_CYCLE_1)
	s_or_b32 exec_lo, exec_lo, s2
	s_mov_b32 s2, exec_lo
	v_cmpx_gt_i32_e64 s9, v1
	s_cbranch_execz .LBB28_28
.LBB28_19:
	s_mov_b32 s3, exec_lo
	s_wait_loadcnt 0x0
	v_cmpx_ne_u64_e32 0, v[14:15]
	s_cbranch_execz .LBB28_27
; %bb.20:
	v_sub_nc_u64_e32 v[16:17], 0, v[14:15]
	s_mov_b32 s6, 0
	s_delay_alu instid0(VALU_DEP_1)
	v_max_i64 v[18:19], v[14:15], v[16:17]
	v_mov_b32_e32 v14, 0
	s_branch .LBB28_22
.LBB28_21:                              ;   in Loop: Header=BB28_22 Depth=1
	s_or_b32 exec_lo, exec_lo, s1
	s_delay_alu instid0(VALU_DEP_1) | instskip(SKIP_2) | instid1(SALU_CYCLE_1)
	v_cmp_eq_u64_e32 vcc_lo, 0, v[18:19]
	v_mov_b64_e32 v[4:5], v[16:17]
	s_or_b32 s6, vcc_lo, s6
	s_and_not1_b32 exec_lo, exec_lo, s6
	s_cbranch_execz .LBB28_26
.LBB28_22:                              ; =>This Inner Loop Header: Depth=1
	s_delay_alu instid0(VALU_DEP_2) | instskip(SKIP_1) | instid1(VALU_DEP_1)
	v_mov_b64_e32 v[16:17], v[18:19]
                                        ; implicit-def: $vgpr18_vgpr19
	s_mov_b32 s1, exec_lo
	v_or_b32_e32 v15, v5, v17
	s_delay_alu instid0(VALU_DEP_1)
	v_cmpx_ne_u64_e32 0, v[14:15]
	s_xor_b32 s7, exec_lo, s1
	s_cbranch_execz .LBB28_24
; %bb.23:                               ;   in Loop: Header=BB28_22 Depth=1
	s_delay_alu instid0(VALU_DEP_3) | instskip(SKIP_3) | instid1(VALU_DEP_3)
	v_cvt_f32_u32_e32 v15, v16
	v_cvt_f32_u32_e32 v18, v17
	v_sub_nc_u64_e32 v[20:21], 0, v[16:17]
	v_dual_mov_b32 v29, v14 :: v_dual_mov_b32 v31, v14
	v_fmac_f32_e32 v15, 0x4f800000, v18
	s_delay_alu instid0(VALU_DEP_1) | instskip(SKIP_1) | instid1(TRANS32_DEP_1)
	v_rcp_f32_e32 v15, v15
	v_nop
	v_mul_f32_e32 v15, 0x5f7ffffc, v15
	s_delay_alu instid0(VALU_DEP_1) | instskip(NEXT) | instid1(VALU_DEP_1)
	v_mul_f32_e32 v18, 0x2f800000, v15
	v_trunc_f32_e32 v19, v18
	s_delay_alu instid0(VALU_DEP_1) | instskip(SKIP_1) | instid1(VALU_DEP_2)
	v_cvt_u32_f32_e32 v25, v19
	v_fmac_f32_e32 v15, 0xcf800000, v19
	v_dual_mov_b32 v19, v14 :: v_dual_mov_b32 v30, v25
	s_delay_alu instid0(VALU_DEP_2) | instskip(NEXT) | instid1(VALU_DEP_1)
	v_cvt_u32_f32_e32 v18, v15
	v_mov_b32_e32 v24, v18
	s_delay_alu instid0(VALU_DEP_1) | instskip(NEXT) | instid1(VALU_DEP_1)
	v_mul_u64_e32 v[26:27], v[20:21], v[24:25]
	v_dual_mov_b32 v28, v27 :: v_dual_mov_b32 v27, v14
	s_delay_alu instid0(VALU_DEP_1) | instskip(NEXT) | instid1(VALU_DEP_2)
	v_mul_u64_e32 v[32:33], v[18:19], v[28:29]
	v_mul_u64_e32 v[34:35], v[30:31], v[26:27]
	;; [unrolled: 1-line block ×3, first 2 shown]
	v_mul_hi_u32 v26, v18, v26
	s_delay_alu instid0(VALU_DEP_1) | instskip(NEXT) | instid1(VALU_DEP_1)
	v_add_nc_u64_e32 v[26:27], v[26:27], v[32:33]
	v_add_co_u32 v15, vcc_lo, v26, v34
	s_delay_alu instid0(VALU_DEP_2) | instskip(SKIP_1) | instid1(VALU_DEP_1)
	v_add_co_ci_u32_e32 v30, vcc_lo, v27, v35, vcc_lo
	v_add_co_ci_u32_e32 v29, vcc_lo, 0, v29, vcc_lo
	v_add_nc_u64_e32 v[26:27], v[30:31], v[28:29]
	s_delay_alu instid0(VALU_DEP_1) | instskip(NEXT) | instid1(VALU_DEP_1)
	v_add_co_u32 v18, vcc_lo, v18, v26
	v_add_co_ci_u32_e64 v24, null, v25, v27, vcc_lo
	v_dual_mov_b32 v27, v14 :: v_dual_mov_b32 v25, v14
	s_delay_alu instid0(VALU_DEP_2) | instskip(NEXT) | instid1(VALU_DEP_1)
	v_mov_b32_e32 v19, v24
	v_mul_u64_e32 v[20:21], v[20:21], v[18:19]
	s_delay_alu instid0(VALU_DEP_1) | instskip(NEXT) | instid1(VALU_DEP_2)
	v_dual_mov_b32 v19, v14 :: v_dual_mov_b32 v26, v21
	v_dual_mov_b32 v30, v20 :: v_dual_mov_b32 v21, v14
	v_mul_hi_u32 v20, v18, v20
	s_delay_alu instid0(VALU_DEP_3) | instskip(NEXT) | instid1(VALU_DEP_3)
	v_mul_u64_e32 v[28:29], v[18:19], v[26:27]
	v_mul_u64_e32 v[30:31], v[24:25], v[30:31]
	;; [unrolled: 1-line block ×3, first 2 shown]
	s_delay_alu instid0(VALU_DEP_3) | instskip(SKIP_1) | instid1(VALU_DEP_2)
	v_add_nc_u64_e32 v[20:21], v[20:21], v[28:29]
	v_mov_b32_e32 v29, v14
	v_add_co_u32 v15, vcc_lo, v20, v30
	s_delay_alu instid0(VALU_DEP_3) | instskip(SKIP_1) | instid1(VALU_DEP_1)
	v_add_co_ci_u32_e32 v28, vcc_lo, v21, v31, vcc_lo
	v_add_co_ci_u32_e32 v27, vcc_lo, 0, v27, vcc_lo
	v_add_nc_u64_e32 v[20:21], v[28:29], v[26:27]
	v_dual_mov_b32 v26, v4 :: v_dual_mov_b32 v27, v14
	s_delay_alu instid0(VALU_DEP_2) | instskip(NEXT) | instid1(VALU_DEP_1)
	v_add_co_u32 v20, vcc_lo, v18, v20
	v_add_co_ci_u32_e64 v18, null, v24, v21, vcc_lo
	v_dual_mov_b32 v24, v5 :: v_dual_mov_b32 v21, v14
	s_delay_alu instid0(VALU_DEP_2) | instskip(NEXT) | instid1(VALU_DEP_2)
	v_mul_u64_e32 v[26:27], v[26:27], v[18:19]
	v_mul_u64_e32 v[18:19], v[24:25], v[18:19]
	s_delay_alu instid0(VALU_DEP_3) | instskip(SKIP_1) | instid1(VALU_DEP_1)
	v_mul_u64_e32 v[28:29], v[24:25], v[20:21]
	v_mul_hi_u32 v20, v4, v20
	v_add_nc_u64_e32 v[20:21], v[20:21], v[26:27]
	s_delay_alu instid0(VALU_DEP_1) | instskip(NEXT) | instid1(VALU_DEP_2)
	v_add_co_u32 v15, vcc_lo, v20, v28
	v_add_co_ci_u32_e32 v24, vcc_lo, v21, v29, vcc_lo
	v_add_co_ci_u32_e32 v19, vcc_lo, 0, v19, vcc_lo
	s_delay_alu instid0(VALU_DEP_1) | instskip(NEXT) | instid1(VALU_DEP_1)
	v_add_nc_u64_e32 v[18:19], v[24:25], v[18:19]
	v_mul_u64_e32 v[18:19], v[16:17], v[18:19]
	s_delay_alu instid0(VALU_DEP_1) | instskip(NEXT) | instid1(VALU_DEP_2)
	v_sub_nc_u32_e32 v15, v5, v19
	v_sub_co_u32 v4, vcc_lo, v4, v18
	s_delay_alu instid0(VALU_DEP_1) | instskip(NEXT) | instid1(VALU_DEP_3)
	v_sub_co_ci_u32_e64 v5, null, v5, v19, vcc_lo
	v_sub_co_ci_u32_e64 v15, null, v15, v17, vcc_lo
	s_delay_alu instid0(VALU_DEP_3) | instskip(SKIP_1) | instid1(VALU_DEP_3)
	v_sub_co_u32 v18, vcc_lo, v4, v16
	v_cmp_ge_u32_e64 s1, v4, v16
	v_subrev_co_ci_u32_e64 v19, null, 0, v15, vcc_lo
	v_sub_co_ci_u32_e64 v15, null, v15, v17, vcc_lo
	s_delay_alu instid0(VALU_DEP_3) | instskip(SKIP_2) | instid1(VALU_DEP_2)
	v_cndmask_b32_e64 v20, 0, -1, s1
	v_cmp_ge_u32_e64 s1, v18, v16
	v_cmp_ge_u32_e32 vcc_lo, v5, v17
	v_cndmask_b32_e64 v21, 0, -1, s1
	v_cmp_ge_u32_e64 s1, v19, v17
	v_cndmask_b32_e64 v24, 0, -1, vcc_lo
	v_cmp_eq_u32_e32 vcc_lo, v19, v17
	s_delay_alu instid0(VALU_DEP_3) | instskip(SKIP_1) | instid1(VALU_DEP_1)
	v_cndmask_b32_e64 v23, 0, -1, s1
	v_cmp_eq_u32_e64 s1, v5, v17
	v_dual_cndmask_b32 v21, v23, v21, vcc_lo :: v_dual_cndmask_b32 v20, v24, v20, s1
	v_sub_co_u32 v23, vcc_lo, v18, v16
	s_delay_alu instid0(VALU_DEP_1) | instskip(NEXT) | instid1(VALU_DEP_3)
	v_subrev_co_ci_u32_e64 v15, null, 0, v15, vcc_lo
	v_cmp_ne_u32_e32 vcc_lo, 0, v21
	s_delay_alu instid0(VALU_DEP_3) | instskip(NEXT) | instid1(VALU_DEP_3)
	v_cndmask_b32_e32 v18, v18, v23, vcc_lo
	v_cndmask_b32_e32 v15, v19, v15, vcc_lo
	v_cmp_ne_u32_e32 vcc_lo, 0, v20
	s_delay_alu instid0(VALU_DEP_2)
	v_dual_cndmask_b32 v18, v4, v18 :: v_dual_cndmask_b32 v19, v5, v15
                                        ; implicit-def: $vgpr4_vgpr5
.LBB28_24:                              ;   in Loop: Header=BB28_22 Depth=1
	s_and_not1_saveexec_b32 s1, s7
	s_cbranch_execz .LBB28_21
; %bb.25:                               ;   in Loop: Header=BB28_22 Depth=1
	v_cvt_f32_u32_e32 v5, v16
	v_dual_sub_nc_u32 v15, 0, v16 :: v_dual_mov_b32 v19, v14
	s_delay_alu instid0(VALU_DEP_2) | instskip(SKIP_1) | instid1(TRANS32_DEP_1)
	v_rcp_iflag_f32_e32 v5, v5
	v_nop
	v_mul_f32_e32 v5, 0x4f7ffffe, v5
	s_delay_alu instid0(VALU_DEP_1) | instskip(NEXT) | instid1(VALU_DEP_1)
	v_cvt_u32_f32_e32 v5, v5
	v_mul_lo_u32 v15, v15, v5
	s_delay_alu instid0(VALU_DEP_1) | instskip(NEXT) | instid1(VALU_DEP_1)
	v_mul_hi_u32 v15, v5, v15
	v_add_nc_u32_e32 v5, v5, v15
	s_delay_alu instid0(VALU_DEP_1) | instskip(NEXT) | instid1(VALU_DEP_1)
	v_mul_hi_u32 v5, v4, v5
	v_mul_lo_u32 v5, v5, v16
	s_delay_alu instid0(VALU_DEP_1) | instskip(NEXT) | instid1(VALU_DEP_1)
	v_sub_nc_u32_e32 v4, v4, v5
	v_sub_nc_u32_e32 v5, v4, v16
	v_cmp_ge_u32_e32 vcc_lo, v4, v16
	s_delay_alu instid0(VALU_DEP_2) | instskip(NEXT) | instid1(VALU_DEP_1)
	v_cndmask_b32_e32 v4, v4, v5, vcc_lo
	v_sub_nc_u32_e32 v5, v4, v16
	v_cmp_ge_u32_e32 vcc_lo, v4, v16
	s_delay_alu instid0(VALU_DEP_2)
	v_cndmask_b32_e32 v18, v4, v5, vcc_lo
	s_branch .LBB28_21
.LBB28_26:
	s_or_b32 exec_lo, exec_lo, s6
	v_mov_b64_e32 v[4:5], v[16:17]
.LBB28_27:
	s_or_b32 exec_lo, exec_lo, s3
.LBB28_28:
	s_delay_alu instid0(SALU_CYCLE_1) | instskip(SKIP_3) | instid1(VALU_DEP_1)
	s_or_b32 exec_lo, exec_lo, s2
	s_wait_loadcnt 0x0
	v_or_b32_e32 v14, 0x200, v0
	s_mov_b32 s2, exec_lo
	v_cmpx_gt_i32_e64 s9, v14
	s_cbranch_execz .LBB28_38
; %bb.29:
	s_mov_b32 s3, exec_lo
	v_cmpx_ne_u64_e32 0, v[12:13]
	s_cbranch_execz .LBB28_37
; %bb.30:
	v_sub_nc_u64_e32 v[14:15], 0, v[12:13]
	s_mov_b32 s6, 0
	s_delay_alu instid0(VALU_DEP_1)
	v_max_i64 v[16:17], v[12:13], v[14:15]
	v_mov_b32_e32 v12, 0
	s_branch .LBB28_32
.LBB28_31:                              ;   in Loop: Header=BB28_32 Depth=1
	s_or_b32 exec_lo, exec_lo, s1
	s_delay_alu instid0(VALU_DEP_1) | instskip(SKIP_2) | instid1(SALU_CYCLE_1)
	v_cmp_eq_u64_e32 vcc_lo, 0, v[16:17]
	v_mov_b64_e32 v[6:7], v[14:15]
	s_or_b32 s6, vcc_lo, s6
	s_and_not1_b32 exec_lo, exec_lo, s6
	s_cbranch_execz .LBB28_36
.LBB28_32:                              ; =>This Inner Loop Header: Depth=1
	s_delay_alu instid0(VALU_DEP_2) | instskip(SKIP_1) | instid1(VALU_DEP_1)
	v_mov_b64_e32 v[14:15], v[16:17]
                                        ; implicit-def: $vgpr16_vgpr17
	s_mov_b32 s1, exec_lo
	v_or_b32_e32 v13, v7, v15
	s_delay_alu instid0(VALU_DEP_1)
	v_cmpx_ne_u64_e32 0, v[12:13]
	s_xor_b32 s7, exec_lo, s1
	s_cbranch_execz .LBB28_34
; %bb.33:                               ;   in Loop: Header=BB28_32 Depth=1
	s_delay_alu instid0(VALU_DEP_3) | instskip(SKIP_3) | instid1(VALU_DEP_3)
	v_cvt_f32_u32_e32 v13, v14
	v_cvt_f32_u32_e32 v16, v15
	v_sub_nc_u64_e32 v[18:19], 0, v[14:15]
	v_dual_mov_b32 v27, v12 :: v_dual_mov_b32 v29, v12
	v_fmac_f32_e32 v13, 0x4f800000, v16
	s_delay_alu instid0(VALU_DEP_1) | instskip(SKIP_1) | instid1(TRANS32_DEP_1)
	v_rcp_f32_e32 v13, v13
	v_nop
	v_mul_f32_e32 v13, 0x5f7ffffc, v13
	s_delay_alu instid0(VALU_DEP_1) | instskip(NEXT) | instid1(VALU_DEP_1)
	v_mul_f32_e32 v16, 0x2f800000, v13
	v_trunc_f32_e32 v17, v16
	s_delay_alu instid0(VALU_DEP_1) | instskip(SKIP_1) | instid1(VALU_DEP_2)
	v_cvt_u32_f32_e32 v21, v17
	v_fmac_f32_e32 v13, 0xcf800000, v17
	v_dual_mov_b32 v17, v12 :: v_dual_mov_b32 v28, v21
	s_delay_alu instid0(VALU_DEP_2) | instskip(NEXT) | instid1(VALU_DEP_1)
	v_cvt_u32_f32_e32 v16, v13
	v_mov_b32_e32 v20, v16
	s_delay_alu instid0(VALU_DEP_1) | instskip(NEXT) | instid1(VALU_DEP_1)
	v_mul_u64_e32 v[24:25], v[18:19], v[20:21]
	v_dual_mov_b32 v26, v25 :: v_dual_mov_b32 v25, v12
	s_delay_alu instid0(VALU_DEP_1) | instskip(NEXT) | instid1(VALU_DEP_2)
	v_mul_u64_e32 v[30:31], v[16:17], v[26:27]
	v_mul_u64_e32 v[32:33], v[28:29], v[24:25]
	;; [unrolled: 1-line block ×3, first 2 shown]
	v_mul_hi_u32 v24, v16, v24
	s_delay_alu instid0(VALU_DEP_1) | instskip(NEXT) | instid1(VALU_DEP_1)
	v_add_nc_u64_e32 v[24:25], v[24:25], v[30:31]
	v_add_co_u32 v13, vcc_lo, v24, v32
	s_delay_alu instid0(VALU_DEP_2) | instskip(SKIP_1) | instid1(VALU_DEP_1)
	v_add_co_ci_u32_e32 v28, vcc_lo, v25, v33, vcc_lo
	v_add_co_ci_u32_e32 v27, vcc_lo, 0, v27, vcc_lo
	v_add_nc_u64_e32 v[24:25], v[28:29], v[26:27]
	s_delay_alu instid0(VALU_DEP_1) | instskip(NEXT) | instid1(VALU_DEP_1)
	v_add_co_u32 v16, vcc_lo, v16, v24
	v_add_co_ci_u32_e64 v20, null, v21, v25, vcc_lo
	v_dual_mov_b32 v25, v12 :: v_dual_mov_b32 v21, v12
	s_delay_alu instid0(VALU_DEP_2) | instskip(NEXT) | instid1(VALU_DEP_1)
	v_mov_b32_e32 v17, v20
	v_mul_u64_e32 v[18:19], v[18:19], v[16:17]
	s_delay_alu instid0(VALU_DEP_1) | instskip(NEXT) | instid1(VALU_DEP_2)
	v_dual_mov_b32 v17, v12 :: v_dual_mov_b32 v24, v19
	v_dual_mov_b32 v28, v18 :: v_dual_mov_b32 v19, v12
	v_mul_hi_u32 v18, v16, v18
	s_delay_alu instid0(VALU_DEP_3) | instskip(NEXT) | instid1(VALU_DEP_3)
	v_mul_u64_e32 v[26:27], v[16:17], v[24:25]
	v_mul_u64_e32 v[28:29], v[20:21], v[28:29]
	;; [unrolled: 1-line block ×3, first 2 shown]
	s_delay_alu instid0(VALU_DEP_3) | instskip(SKIP_1) | instid1(VALU_DEP_2)
	v_add_nc_u64_e32 v[18:19], v[18:19], v[26:27]
	v_mov_b32_e32 v27, v12
	v_add_co_u32 v13, vcc_lo, v18, v28
	s_delay_alu instid0(VALU_DEP_3) | instskip(SKIP_1) | instid1(VALU_DEP_1)
	v_add_co_ci_u32_e32 v26, vcc_lo, v19, v29, vcc_lo
	v_add_co_ci_u32_e32 v25, vcc_lo, 0, v25, vcc_lo
	v_add_nc_u64_e32 v[18:19], v[26:27], v[24:25]
	v_dual_mov_b32 v24, v6 :: v_dual_mov_b32 v25, v12
	s_delay_alu instid0(VALU_DEP_2) | instskip(NEXT) | instid1(VALU_DEP_1)
	v_add_co_u32 v18, vcc_lo, v16, v18
	v_add_co_ci_u32_e64 v16, null, v20, v19, vcc_lo
	v_dual_mov_b32 v20, v7 :: v_dual_mov_b32 v19, v12
	s_delay_alu instid0(VALU_DEP_2) | instskip(NEXT) | instid1(VALU_DEP_2)
	v_mul_u64_e32 v[24:25], v[24:25], v[16:17]
	v_mul_u64_e32 v[16:17], v[20:21], v[16:17]
	s_delay_alu instid0(VALU_DEP_3) | instskip(SKIP_1) | instid1(VALU_DEP_1)
	v_mul_u64_e32 v[26:27], v[20:21], v[18:19]
	v_mul_hi_u32 v18, v6, v18
	v_add_nc_u64_e32 v[18:19], v[18:19], v[24:25]
	s_delay_alu instid0(VALU_DEP_1) | instskip(NEXT) | instid1(VALU_DEP_2)
	v_add_co_u32 v13, vcc_lo, v18, v26
	v_add_co_ci_u32_e32 v20, vcc_lo, v19, v27, vcc_lo
	v_add_co_ci_u32_e32 v17, vcc_lo, 0, v17, vcc_lo
	s_delay_alu instid0(VALU_DEP_1) | instskip(NEXT) | instid1(VALU_DEP_1)
	v_add_nc_u64_e32 v[16:17], v[20:21], v[16:17]
	v_mul_u64_e32 v[16:17], v[14:15], v[16:17]
	s_delay_alu instid0(VALU_DEP_1) | instskip(NEXT) | instid1(VALU_DEP_2)
	v_sub_nc_u32_e32 v13, v7, v17
	v_sub_co_u32 v6, vcc_lo, v6, v16
	s_delay_alu instid0(VALU_DEP_1) | instskip(NEXT) | instid1(VALU_DEP_3)
	v_sub_co_ci_u32_e64 v7, null, v7, v17, vcc_lo
	v_sub_co_ci_u32_e64 v13, null, v13, v15, vcc_lo
	s_delay_alu instid0(VALU_DEP_3) | instskip(SKIP_1) | instid1(VALU_DEP_3)
	v_sub_co_u32 v16, vcc_lo, v6, v14
	v_cmp_ge_u32_e64 s1, v6, v14
	v_subrev_co_ci_u32_e64 v17, null, 0, v13, vcc_lo
	v_sub_co_ci_u32_e64 v13, null, v13, v15, vcc_lo
	s_delay_alu instid0(VALU_DEP_3) | instskip(SKIP_2) | instid1(VALU_DEP_2)
	v_cndmask_b32_e64 v18, 0, -1, s1
	v_cmp_ge_u32_e64 s1, v16, v14
	v_cmp_ge_u32_e32 vcc_lo, v7, v15
	v_cndmask_b32_e64 v19, 0, -1, s1
	v_cmp_ge_u32_e64 s1, v17, v15
	v_cndmask_b32_e64 v21, 0, -1, vcc_lo
	v_cmp_eq_u32_e32 vcc_lo, v17, v15
	s_delay_alu instid0(VALU_DEP_3) | instskip(SKIP_1) | instid1(VALU_DEP_1)
	v_cndmask_b32_e64 v20, 0, -1, s1
	v_cmp_eq_u32_e64 s1, v7, v15
	v_dual_cndmask_b32 v19, v20, v19, vcc_lo :: v_dual_cndmask_b32 v18, v21, v18, s1
	v_sub_co_u32 v20, vcc_lo, v16, v14
	s_delay_alu instid0(VALU_DEP_1) | instskip(NEXT) | instid1(VALU_DEP_3)
	v_subrev_co_ci_u32_e64 v13, null, 0, v13, vcc_lo
	v_cmp_ne_u32_e32 vcc_lo, 0, v19
	s_delay_alu instid0(VALU_DEP_2) | instskip(SKIP_1) | instid1(VALU_DEP_2)
	v_dual_cndmask_b32 v13, v17, v13 :: v_dual_cndmask_b32 v16, v16, v20
	v_cmp_ne_u32_e32 vcc_lo, 0, v18
	v_dual_cndmask_b32 v17, v7, v13 :: v_dual_cndmask_b32 v16, v6, v16
                                        ; implicit-def: $vgpr6_vgpr7
.LBB28_34:                              ;   in Loop: Header=BB28_32 Depth=1
	s_and_not1_saveexec_b32 s1, s7
	s_cbranch_execz .LBB28_31
; %bb.35:                               ;   in Loop: Header=BB28_32 Depth=1
	v_cvt_f32_u32_e32 v7, v14
	v_dual_sub_nc_u32 v13, 0, v14 :: v_dual_mov_b32 v17, v12
	s_delay_alu instid0(VALU_DEP_2) | instskip(SKIP_1) | instid1(TRANS32_DEP_1)
	v_rcp_iflag_f32_e32 v7, v7
	v_nop
	v_mul_f32_e32 v7, 0x4f7ffffe, v7
	s_delay_alu instid0(VALU_DEP_1) | instskip(NEXT) | instid1(VALU_DEP_1)
	v_cvt_u32_f32_e32 v7, v7
	v_mul_lo_u32 v13, v13, v7
	s_delay_alu instid0(VALU_DEP_1) | instskip(NEXT) | instid1(VALU_DEP_1)
	v_mul_hi_u32 v13, v7, v13
	v_add_nc_u32_e32 v7, v7, v13
	s_delay_alu instid0(VALU_DEP_1) | instskip(NEXT) | instid1(VALU_DEP_1)
	v_mul_hi_u32 v7, v6, v7
	v_mul_lo_u32 v7, v7, v14
	s_delay_alu instid0(VALU_DEP_1) | instskip(NEXT) | instid1(VALU_DEP_1)
	v_sub_nc_u32_e32 v6, v6, v7
	v_sub_nc_u32_e32 v7, v6, v14
	v_cmp_ge_u32_e32 vcc_lo, v6, v14
	s_delay_alu instid0(VALU_DEP_2) | instskip(NEXT) | instid1(VALU_DEP_1)
	v_cndmask_b32_e32 v6, v6, v7, vcc_lo
	v_sub_nc_u32_e32 v7, v6, v14
	v_cmp_ge_u32_e32 vcc_lo, v6, v14
	s_delay_alu instid0(VALU_DEP_2)
	v_cndmask_b32_e32 v16, v6, v7, vcc_lo
	s_branch .LBB28_31
.LBB28_36:
	s_or_b32 exec_lo, exec_lo, s6
	v_mov_b64_e32 v[6:7], v[14:15]
.LBB28_37:
	s_or_b32 exec_lo, exec_lo, s3
.LBB28_38:
	s_delay_alu instid0(SALU_CYCLE_1) | instskip(SKIP_2) | instid1(VALU_DEP_1)
	s_or_b32 exec_lo, exec_lo, s2
	v_or_b32_e32 v12, 0x300, v0
	s_mov_b32 s2, exec_lo
	v_cmpx_gt_i32_e64 s9, v12
	s_cbranch_execnz .LBB28_44
; %bb.39:
	s_or_b32 exec_lo, exec_lo, s2
	s_and_saveexec_b32 s1, s0
	s_delay_alu instid0(SALU_CYCLE_1)
	s_xor_b32 s0, exec_lo, s1
	s_cbranch_execnz .LBB28_53
.LBB28_40:
	s_or_b32 exec_lo, exec_lo, s0
	s_delay_alu instid0(SALU_CYCLE_1)
	s_mov_b32 s0, exec_lo
	v_cmpx_gt_i32_e64 s9, v0
	s_cbranch_execnz .LBB28_54
.LBB28_41:
	s_or_b32 exec_lo, exec_lo, s0
	s_delay_alu instid0(SALU_CYCLE_1)
	s_mov_b32 s0, exec_lo
	v_cmpx_gt_i32_e64 s9, v0
	s_cbranch_execnz .LBB28_55
.LBB28_42:
	s_or_b32 exec_lo, exec_lo, s0
	s_delay_alu instid0(SALU_CYCLE_1)
	s_mov_b32 s0, exec_lo
	v_cmpx_gt_i32_e64 s9, v0
	s_cbranch_execnz .LBB28_56
.LBB28_43:
	s_endpgm
.LBB28_44:
	s_mov_b32 s3, exec_lo
	v_cmpx_ne_u64_e32 0, v[10:11]
	s_cbranch_execz .LBB28_52
; %bb.45:
	v_sub_nc_u64_e32 v[12:13], 0, v[10:11]
	s_mov_b32 s6, 0
	s_delay_alu instid0(VALU_DEP_1)
	v_max_i64 v[14:15], v[10:11], v[12:13]
	v_mov_b32_e32 v10, 0
	s_branch .LBB28_47
.LBB28_46:                              ;   in Loop: Header=BB28_47 Depth=1
	s_or_b32 exec_lo, exec_lo, s1
	s_delay_alu instid0(VALU_DEP_1) | instskip(SKIP_2) | instid1(SALU_CYCLE_1)
	v_cmp_eq_u64_e32 vcc_lo, 0, v[14:15]
	v_mov_b64_e32 v[8:9], v[12:13]
	s_or_b32 s6, vcc_lo, s6
	s_and_not1_b32 exec_lo, exec_lo, s6
	s_cbranch_execz .LBB28_51
.LBB28_47:                              ; =>This Inner Loop Header: Depth=1
	s_delay_alu instid0(VALU_DEP_2) | instskip(SKIP_1) | instid1(VALU_DEP_1)
	v_mov_b64_e32 v[12:13], v[14:15]
                                        ; implicit-def: $vgpr14_vgpr15
	s_mov_b32 s1, exec_lo
	v_or_b32_e32 v11, v9, v13
	s_delay_alu instid0(VALU_DEP_1)
	v_cmpx_ne_u64_e32 0, v[10:11]
	s_xor_b32 s7, exec_lo, s1
	s_cbranch_execz .LBB28_49
; %bb.48:                               ;   in Loop: Header=BB28_47 Depth=1
	s_delay_alu instid0(VALU_DEP_3) | instskip(SKIP_3) | instid1(VALU_DEP_3)
	v_cvt_f32_u32_e32 v11, v12
	v_cvt_f32_u32_e32 v14, v13
	v_sub_nc_u64_e32 v[16:17], 0, v[12:13]
	v_dual_mov_b32 v25, v10 :: v_dual_mov_b32 v27, v10
	v_fmac_f32_e32 v11, 0x4f800000, v14
	s_delay_alu instid0(VALU_DEP_1) | instskip(SKIP_1) | instid1(TRANS32_DEP_1)
	v_rcp_f32_e32 v11, v11
	v_nop
	v_mul_f32_e32 v11, 0x5f7ffffc, v11
	s_delay_alu instid0(VALU_DEP_1) | instskip(NEXT) | instid1(VALU_DEP_1)
	v_mul_f32_e32 v14, 0x2f800000, v11
	v_trunc_f32_e32 v15, v14
	s_delay_alu instid0(VALU_DEP_1) | instskip(SKIP_1) | instid1(VALU_DEP_2)
	v_cvt_u32_f32_e32 v19, v15
	v_fmac_f32_e32 v11, 0xcf800000, v15
	v_dual_mov_b32 v15, v10 :: v_dual_mov_b32 v26, v19
	s_delay_alu instid0(VALU_DEP_2) | instskip(NEXT) | instid1(VALU_DEP_1)
	v_cvt_u32_f32_e32 v14, v11
	v_mov_b32_e32 v18, v14
	s_delay_alu instid0(VALU_DEP_1) | instskip(NEXT) | instid1(VALU_DEP_1)
	v_mul_u64_e32 v[20:21], v[16:17], v[18:19]
	v_dual_mov_b32 v24, v21 :: v_dual_mov_b32 v21, v10
	s_delay_alu instid0(VALU_DEP_1) | instskip(NEXT) | instid1(VALU_DEP_2)
	v_mul_u64_e32 v[28:29], v[14:15], v[24:25]
	v_mul_u64_e32 v[30:31], v[26:27], v[20:21]
	;; [unrolled: 1-line block ×3, first 2 shown]
	v_mul_hi_u32 v20, v14, v20
	s_delay_alu instid0(VALU_DEP_1) | instskip(NEXT) | instid1(VALU_DEP_1)
	v_add_nc_u64_e32 v[20:21], v[20:21], v[28:29]
	v_add_co_u32 v11, vcc_lo, v20, v30
	s_delay_alu instid0(VALU_DEP_2) | instskip(SKIP_1) | instid1(VALU_DEP_1)
	v_add_co_ci_u32_e32 v26, vcc_lo, v21, v31, vcc_lo
	v_add_co_ci_u32_e32 v25, vcc_lo, 0, v25, vcc_lo
	v_add_nc_u64_e32 v[20:21], v[26:27], v[24:25]
	s_delay_alu instid0(VALU_DEP_1) | instskip(NEXT) | instid1(VALU_DEP_1)
	v_add_co_u32 v14, vcc_lo, v14, v20
	v_add_co_ci_u32_e64 v18, null, v19, v21, vcc_lo
	v_dual_mov_b32 v21, v10 :: v_dual_mov_b32 v19, v10
	s_delay_alu instid0(VALU_DEP_2) | instskip(NEXT) | instid1(VALU_DEP_1)
	v_mov_b32_e32 v15, v18
	v_mul_u64_e32 v[16:17], v[16:17], v[14:15]
	s_delay_alu instid0(VALU_DEP_1) | instskip(NEXT) | instid1(VALU_DEP_2)
	v_dual_mov_b32 v15, v10 :: v_dual_mov_b32 v20, v17
	v_dual_mov_b32 v26, v16 :: v_dual_mov_b32 v17, v10
	v_mul_hi_u32 v16, v14, v16
	s_delay_alu instid0(VALU_DEP_3) | instskip(NEXT) | instid1(VALU_DEP_3)
	v_mul_u64_e32 v[24:25], v[14:15], v[20:21]
	v_mul_u64_e32 v[26:27], v[18:19], v[26:27]
	;; [unrolled: 1-line block ×3, first 2 shown]
	s_delay_alu instid0(VALU_DEP_3) | instskip(SKIP_1) | instid1(VALU_DEP_2)
	v_add_nc_u64_e32 v[16:17], v[16:17], v[24:25]
	v_mov_b32_e32 v25, v10
	v_add_co_u32 v11, vcc_lo, v16, v26
	s_delay_alu instid0(VALU_DEP_3) | instskip(SKIP_1) | instid1(VALU_DEP_1)
	v_add_co_ci_u32_e32 v24, vcc_lo, v17, v27, vcc_lo
	v_add_co_ci_u32_e32 v21, vcc_lo, 0, v21, vcc_lo
	v_add_nc_u64_e32 v[16:17], v[24:25], v[20:21]
	v_dual_mov_b32 v20, v8 :: v_dual_mov_b32 v21, v10
	s_delay_alu instid0(VALU_DEP_2) | instskip(NEXT) | instid1(VALU_DEP_1)
	v_add_co_u32 v16, vcc_lo, v14, v16
	v_add_co_ci_u32_e64 v14, null, v18, v17, vcc_lo
	v_dual_mov_b32 v18, v9 :: v_dual_mov_b32 v17, v10
	s_delay_alu instid0(VALU_DEP_2) | instskip(NEXT) | instid1(VALU_DEP_2)
	v_mul_u64_e32 v[20:21], v[20:21], v[14:15]
	v_mul_u64_e32 v[14:15], v[18:19], v[14:15]
	s_delay_alu instid0(VALU_DEP_3) | instskip(SKIP_1) | instid1(VALU_DEP_1)
	v_mul_u64_e32 v[24:25], v[18:19], v[16:17]
	v_mul_hi_u32 v16, v8, v16
	v_add_nc_u64_e32 v[16:17], v[16:17], v[20:21]
	s_delay_alu instid0(VALU_DEP_1) | instskip(NEXT) | instid1(VALU_DEP_2)
	v_add_co_u32 v11, vcc_lo, v16, v24
	v_add_co_ci_u32_e32 v18, vcc_lo, v17, v25, vcc_lo
	v_add_co_ci_u32_e32 v15, vcc_lo, 0, v15, vcc_lo
	s_delay_alu instid0(VALU_DEP_1) | instskip(NEXT) | instid1(VALU_DEP_1)
	v_add_nc_u64_e32 v[14:15], v[18:19], v[14:15]
	v_mul_u64_e32 v[14:15], v[12:13], v[14:15]
	s_delay_alu instid0(VALU_DEP_1) | instskip(NEXT) | instid1(VALU_DEP_2)
	v_sub_nc_u32_e32 v11, v9, v15
	v_sub_co_u32 v8, vcc_lo, v8, v14
	s_delay_alu instid0(VALU_DEP_1) | instskip(NEXT) | instid1(VALU_DEP_3)
	v_sub_co_ci_u32_e64 v9, null, v9, v15, vcc_lo
	v_sub_co_ci_u32_e64 v11, null, v11, v13, vcc_lo
	s_delay_alu instid0(VALU_DEP_3) | instskip(SKIP_1) | instid1(VALU_DEP_3)
	v_sub_co_u32 v14, vcc_lo, v8, v12
	v_cmp_ge_u32_e64 s1, v8, v12
	v_subrev_co_ci_u32_e64 v15, null, 0, v11, vcc_lo
	v_sub_co_ci_u32_e64 v11, null, v11, v13, vcc_lo
	s_delay_alu instid0(VALU_DEP_3) | instskip(SKIP_2) | instid1(VALU_DEP_2)
	v_cndmask_b32_e64 v16, 0, -1, s1
	v_cmp_ge_u32_e64 s1, v14, v12
	v_cmp_ge_u32_e32 vcc_lo, v9, v13
	v_cndmask_b32_e64 v17, 0, -1, s1
	v_cmp_ge_u32_e64 s1, v15, v13
	v_cndmask_b32_e64 v19, 0, -1, vcc_lo
	v_cmp_eq_u32_e32 vcc_lo, v15, v13
	s_delay_alu instid0(VALU_DEP_3) | instskip(SKIP_1) | instid1(VALU_DEP_1)
	v_cndmask_b32_e64 v18, 0, -1, s1
	v_cmp_eq_u32_e64 s1, v9, v13
	v_dual_cndmask_b32 v17, v18, v17, vcc_lo :: v_dual_cndmask_b32 v16, v19, v16, s1
	v_sub_co_u32 v18, vcc_lo, v14, v12
	s_delay_alu instid0(VALU_DEP_1) | instskip(NEXT) | instid1(VALU_DEP_3)
	v_subrev_co_ci_u32_e64 v11, null, 0, v11, vcc_lo
	v_cmp_ne_u32_e32 vcc_lo, 0, v17
	s_delay_alu instid0(VALU_DEP_2) | instskip(SKIP_1) | instid1(VALU_DEP_2)
	v_dual_cndmask_b32 v11, v15, v11 :: v_dual_cndmask_b32 v14, v14, v18
	v_cmp_ne_u32_e32 vcc_lo, 0, v16
	v_dual_cndmask_b32 v15, v9, v11 :: v_dual_cndmask_b32 v14, v8, v14
                                        ; implicit-def: $vgpr8_vgpr9
.LBB28_49:                              ;   in Loop: Header=BB28_47 Depth=1
	s_and_not1_saveexec_b32 s1, s7
	s_cbranch_execz .LBB28_46
; %bb.50:                               ;   in Loop: Header=BB28_47 Depth=1
	v_cvt_f32_u32_e32 v9, v12
	v_dual_sub_nc_u32 v11, 0, v12 :: v_dual_mov_b32 v15, v10
	s_delay_alu instid0(VALU_DEP_2) | instskip(SKIP_1) | instid1(TRANS32_DEP_1)
	v_rcp_iflag_f32_e32 v9, v9
	v_nop
	v_mul_f32_e32 v9, 0x4f7ffffe, v9
	s_delay_alu instid0(VALU_DEP_1) | instskip(NEXT) | instid1(VALU_DEP_1)
	v_cvt_u32_f32_e32 v9, v9
	v_mul_lo_u32 v11, v11, v9
	s_delay_alu instid0(VALU_DEP_1) | instskip(NEXT) | instid1(VALU_DEP_1)
	v_mul_hi_u32 v11, v9, v11
	v_add_nc_u32_e32 v9, v9, v11
	s_delay_alu instid0(VALU_DEP_1) | instskip(NEXT) | instid1(VALU_DEP_1)
	v_mul_hi_u32 v9, v8, v9
	v_mul_lo_u32 v9, v9, v12
	s_delay_alu instid0(VALU_DEP_1) | instskip(NEXT) | instid1(VALU_DEP_1)
	v_sub_nc_u32_e32 v8, v8, v9
	v_sub_nc_u32_e32 v9, v8, v12
	v_cmp_ge_u32_e32 vcc_lo, v8, v12
	s_delay_alu instid0(VALU_DEP_2) | instskip(NEXT) | instid1(VALU_DEP_1)
	v_cndmask_b32_e32 v8, v8, v9, vcc_lo
	v_sub_nc_u32_e32 v9, v8, v12
	v_cmp_ge_u32_e32 vcc_lo, v8, v12
	s_delay_alu instid0(VALU_DEP_2)
	v_cndmask_b32_e32 v14, v8, v9, vcc_lo
	s_branch .LBB28_46
.LBB28_51:
	s_or_b32 exec_lo, exec_lo, s6
	v_mov_b64_e32 v[8:9], v[12:13]
.LBB28_52:
	s_or_b32 exec_lo, exec_lo, s3
	s_delay_alu instid0(SALU_CYCLE_1) | instskip(SKIP_1) | instid1(SALU_CYCLE_1)
	s_or_b32 exec_lo, exec_lo, s2
	s_and_saveexec_b32 s1, s0
	s_xor_b32 s0, exec_lo, s1
	s_cbranch_execz .LBB28_40
.LBB28_53:
	v_mov_b32_e32 v0, v1
	global_store_b64 v22, v[2:3], s[4:5] scale_offset
	s_wait_xcnt 0x0
	s_or_b32 exec_lo, exec_lo, s0
	s_delay_alu instid0(SALU_CYCLE_1)
	s_mov_b32 s0, exec_lo
	v_cmpx_gt_i32_e64 s9, v0
	s_cbranch_execz .LBB28_41
.LBB28_54:
	v_add_nc_u32_e32 v1, 0x100, v0
	s_delay_alu instid0(VALU_DEP_1) | instskip(SKIP_3) | instid1(SALU_CYCLE_1)
	v_dual_add_nc_u32 v2, s8, v0 :: v_dual_mov_b32 v0, v1
	global_store_b64 v2, v[4:5], s[4:5] scale_offset
	s_wait_xcnt 0x0
	s_or_b32 exec_lo, exec_lo, s0
	s_mov_b32 s0, exec_lo
	v_cmpx_gt_i32_e64 s9, v0
	s_cbranch_execz .LBB28_42
.LBB28_55:
	v_add_nc_u32_e32 v1, 0x100, v0
	s_delay_alu instid0(VALU_DEP_1) | instskip(SKIP_3) | instid1(SALU_CYCLE_1)
	v_dual_add_nc_u32 v2, s8, v0 :: v_dual_mov_b32 v0, v1
	global_store_b64 v2, v[6:7], s[4:5] scale_offset
	s_wait_xcnt 0x0
	s_or_b32 exec_lo, exec_lo, s0
	s_mov_b32 s0, exec_lo
	v_cmpx_gt_i32_e64 s9, v0
	s_cbranch_execz .LBB28_43
.LBB28_56:
	v_add_nc_u32_e32 v0, s8, v0
	global_store_b64 v0, v[8:9], s[4:5] scale_offset
	s_endpgm
	.section	.rodata,"a",@progbits
	.p2align	6, 0x0
	.amdhsa_kernel _ZN2at6native27unrolled_elementwise_kernelIZZZNS0_15gcd_kernel_cudaERNS_18TensorIteratorBaseEENKUlvE_clEvENKUlvE2_clEvEUlllE_St5arrayIPcLm3EELi4E23TrivialOffsetCalculatorILi2EjESA_ILi1EjENS0_6memory15LoadWithoutCastENSD_16StoreWithoutCastEEEviT_T0_T2_T3_T4_T5_
		.amdhsa_group_segment_fixed_size 0
		.amdhsa_private_segment_fixed_size 0
		.amdhsa_kernarg_size 36
		.amdhsa_user_sgpr_count 2
		.amdhsa_user_sgpr_dispatch_ptr 0
		.amdhsa_user_sgpr_queue_ptr 0
		.amdhsa_user_sgpr_kernarg_segment_ptr 1
		.amdhsa_user_sgpr_dispatch_id 0
		.amdhsa_user_sgpr_kernarg_preload_length 0
		.amdhsa_user_sgpr_kernarg_preload_offset 0
		.amdhsa_user_sgpr_private_segment_size 0
		.amdhsa_wavefront_size32 1
		.amdhsa_uses_dynamic_stack 0
		.amdhsa_enable_private_segment 0
		.amdhsa_system_sgpr_workgroup_id_x 1
		.amdhsa_system_sgpr_workgroup_id_y 0
		.amdhsa_system_sgpr_workgroup_id_z 0
		.amdhsa_system_sgpr_workgroup_info 0
		.amdhsa_system_vgpr_workitem_id 0
		.amdhsa_next_free_vgpr 38
		.amdhsa_next_free_sgpr 11
		.amdhsa_named_barrier_count 0
		.amdhsa_reserve_vcc 1
		.amdhsa_float_round_mode_32 0
		.amdhsa_float_round_mode_16_64 0
		.amdhsa_float_denorm_mode_32 3
		.amdhsa_float_denorm_mode_16_64 3
		.amdhsa_fp16_overflow 0
		.amdhsa_memory_ordered 1
		.amdhsa_forward_progress 1
		.amdhsa_inst_pref_size 35
		.amdhsa_round_robin_scheduling 0
		.amdhsa_exception_fp_ieee_invalid_op 0
		.amdhsa_exception_fp_denorm_src 0
		.amdhsa_exception_fp_ieee_div_zero 0
		.amdhsa_exception_fp_ieee_overflow 0
		.amdhsa_exception_fp_ieee_underflow 0
		.amdhsa_exception_fp_ieee_inexact 0
		.amdhsa_exception_int_div_zero 0
	.end_amdhsa_kernel
	.section	.text._ZN2at6native27unrolled_elementwise_kernelIZZZNS0_15gcd_kernel_cudaERNS_18TensorIteratorBaseEENKUlvE_clEvENKUlvE2_clEvEUlllE_St5arrayIPcLm3EELi4E23TrivialOffsetCalculatorILi2EjESA_ILi1EjENS0_6memory15LoadWithoutCastENSD_16StoreWithoutCastEEEviT_T0_T2_T3_T4_T5_,"axG",@progbits,_ZN2at6native27unrolled_elementwise_kernelIZZZNS0_15gcd_kernel_cudaERNS_18TensorIteratorBaseEENKUlvE_clEvENKUlvE2_clEvEUlllE_St5arrayIPcLm3EELi4E23TrivialOffsetCalculatorILi2EjESA_ILi1EjENS0_6memory15LoadWithoutCastENSD_16StoreWithoutCastEEEviT_T0_T2_T3_T4_T5_,comdat
.Lfunc_end28:
	.size	_ZN2at6native27unrolled_elementwise_kernelIZZZNS0_15gcd_kernel_cudaERNS_18TensorIteratorBaseEENKUlvE_clEvENKUlvE2_clEvEUlllE_St5arrayIPcLm3EELi4E23TrivialOffsetCalculatorILi2EjESA_ILi1EjENS0_6memory15LoadWithoutCastENSD_16StoreWithoutCastEEEviT_T0_T2_T3_T4_T5_, .Lfunc_end28-_ZN2at6native27unrolled_elementwise_kernelIZZZNS0_15gcd_kernel_cudaERNS_18TensorIteratorBaseEENKUlvE_clEvENKUlvE2_clEvEUlllE_St5arrayIPcLm3EELi4E23TrivialOffsetCalculatorILi2EjESA_ILi1EjENS0_6memory15LoadWithoutCastENSD_16StoreWithoutCastEEEviT_T0_T2_T3_T4_T5_
                                        ; -- End function
	.set _ZN2at6native27unrolled_elementwise_kernelIZZZNS0_15gcd_kernel_cudaERNS_18TensorIteratorBaseEENKUlvE_clEvENKUlvE2_clEvEUlllE_St5arrayIPcLm3EELi4E23TrivialOffsetCalculatorILi2EjESA_ILi1EjENS0_6memory15LoadWithoutCastENSD_16StoreWithoutCastEEEviT_T0_T2_T3_T4_T5_.num_vgpr, 38
	.set _ZN2at6native27unrolled_elementwise_kernelIZZZNS0_15gcd_kernel_cudaERNS_18TensorIteratorBaseEENKUlvE_clEvENKUlvE2_clEvEUlllE_St5arrayIPcLm3EELi4E23TrivialOffsetCalculatorILi2EjESA_ILi1EjENS0_6memory15LoadWithoutCastENSD_16StoreWithoutCastEEEviT_T0_T2_T3_T4_T5_.num_agpr, 0
	.set _ZN2at6native27unrolled_elementwise_kernelIZZZNS0_15gcd_kernel_cudaERNS_18TensorIteratorBaseEENKUlvE_clEvENKUlvE2_clEvEUlllE_St5arrayIPcLm3EELi4E23TrivialOffsetCalculatorILi2EjESA_ILi1EjENS0_6memory15LoadWithoutCastENSD_16StoreWithoutCastEEEviT_T0_T2_T3_T4_T5_.numbered_sgpr, 11
	.set _ZN2at6native27unrolled_elementwise_kernelIZZZNS0_15gcd_kernel_cudaERNS_18TensorIteratorBaseEENKUlvE_clEvENKUlvE2_clEvEUlllE_St5arrayIPcLm3EELi4E23TrivialOffsetCalculatorILi2EjESA_ILi1EjENS0_6memory15LoadWithoutCastENSD_16StoreWithoutCastEEEviT_T0_T2_T3_T4_T5_.num_named_barrier, 0
	.set _ZN2at6native27unrolled_elementwise_kernelIZZZNS0_15gcd_kernel_cudaERNS_18TensorIteratorBaseEENKUlvE_clEvENKUlvE2_clEvEUlllE_St5arrayIPcLm3EELi4E23TrivialOffsetCalculatorILi2EjESA_ILi1EjENS0_6memory15LoadWithoutCastENSD_16StoreWithoutCastEEEviT_T0_T2_T3_T4_T5_.private_seg_size, 0
	.set _ZN2at6native27unrolled_elementwise_kernelIZZZNS0_15gcd_kernel_cudaERNS_18TensorIteratorBaseEENKUlvE_clEvENKUlvE2_clEvEUlllE_St5arrayIPcLm3EELi4E23TrivialOffsetCalculatorILi2EjESA_ILi1EjENS0_6memory15LoadWithoutCastENSD_16StoreWithoutCastEEEviT_T0_T2_T3_T4_T5_.uses_vcc, 1
	.set _ZN2at6native27unrolled_elementwise_kernelIZZZNS0_15gcd_kernel_cudaERNS_18TensorIteratorBaseEENKUlvE_clEvENKUlvE2_clEvEUlllE_St5arrayIPcLm3EELi4E23TrivialOffsetCalculatorILi2EjESA_ILi1EjENS0_6memory15LoadWithoutCastENSD_16StoreWithoutCastEEEviT_T0_T2_T3_T4_T5_.uses_flat_scratch, 0
	.set _ZN2at6native27unrolled_elementwise_kernelIZZZNS0_15gcd_kernel_cudaERNS_18TensorIteratorBaseEENKUlvE_clEvENKUlvE2_clEvEUlllE_St5arrayIPcLm3EELi4E23TrivialOffsetCalculatorILi2EjESA_ILi1EjENS0_6memory15LoadWithoutCastENSD_16StoreWithoutCastEEEviT_T0_T2_T3_T4_T5_.has_dyn_sized_stack, 0
	.set _ZN2at6native27unrolled_elementwise_kernelIZZZNS0_15gcd_kernel_cudaERNS_18TensorIteratorBaseEENKUlvE_clEvENKUlvE2_clEvEUlllE_St5arrayIPcLm3EELi4E23TrivialOffsetCalculatorILi2EjESA_ILi1EjENS0_6memory15LoadWithoutCastENSD_16StoreWithoutCastEEEviT_T0_T2_T3_T4_T5_.has_recursion, 0
	.set _ZN2at6native27unrolled_elementwise_kernelIZZZNS0_15gcd_kernel_cudaERNS_18TensorIteratorBaseEENKUlvE_clEvENKUlvE2_clEvEUlllE_St5arrayIPcLm3EELi4E23TrivialOffsetCalculatorILi2EjESA_ILi1EjENS0_6memory15LoadWithoutCastENSD_16StoreWithoutCastEEEviT_T0_T2_T3_T4_T5_.has_indirect_call, 0
	.section	.AMDGPU.csdata,"",@progbits
; Kernel info:
; codeLenInByte = 4356
; TotalNumSgprs: 13
; NumVgprs: 38
; ScratchSize: 0
; MemoryBound: 0
; FloatMode: 240
; IeeeMode: 1
; LDSByteSize: 0 bytes/workgroup (compile time only)
; SGPRBlocks: 0
; VGPRBlocks: 2
; NumSGPRsForWavesPerEU: 13
; NumVGPRsForWavesPerEU: 38
; NamedBarCnt: 0
; Occupancy: 16
; WaveLimiterHint : 0
; COMPUTE_PGM_RSRC2:SCRATCH_EN: 0
; COMPUTE_PGM_RSRC2:USER_SGPR: 2
; COMPUTE_PGM_RSRC2:TRAP_HANDLER: 0
; COMPUTE_PGM_RSRC2:TGID_X_EN: 1
; COMPUTE_PGM_RSRC2:TGID_Y_EN: 0
; COMPUTE_PGM_RSRC2:TGID_Z_EN: 0
; COMPUTE_PGM_RSRC2:TIDIG_COMP_CNT: 0
	.section	.text._ZN2at6native32elementwise_kernel_manual_unrollILi128ELi4EZNS0_22gpu_kernel_impl_nocastIZZZNS0_15gcd_kernel_cudaERNS_18TensorIteratorBaseEENKUlvE_clEvENKUlvE2_clEvEUlllE_EEvS4_RKT_EUlibE_EEviT1_,"axG",@progbits,_ZN2at6native32elementwise_kernel_manual_unrollILi128ELi4EZNS0_22gpu_kernel_impl_nocastIZZZNS0_15gcd_kernel_cudaERNS_18TensorIteratorBaseEENKUlvE_clEvENKUlvE2_clEvEUlllE_EEvS4_RKT_EUlibE_EEviT1_,comdat
	.globl	_ZN2at6native32elementwise_kernel_manual_unrollILi128ELi4EZNS0_22gpu_kernel_impl_nocastIZZZNS0_15gcd_kernel_cudaERNS_18TensorIteratorBaseEENKUlvE_clEvENKUlvE2_clEvEUlllE_EEvS4_RKT_EUlibE_EEviT1_ ; -- Begin function _ZN2at6native32elementwise_kernel_manual_unrollILi128ELi4EZNS0_22gpu_kernel_impl_nocastIZZZNS0_15gcd_kernel_cudaERNS_18TensorIteratorBaseEENKUlvE_clEvENKUlvE2_clEvEUlllE_EEvS4_RKT_EUlibE_EEviT1_
	.p2align	8
	.type	_ZN2at6native32elementwise_kernel_manual_unrollILi128ELi4EZNS0_22gpu_kernel_impl_nocastIZZZNS0_15gcd_kernel_cudaERNS_18TensorIteratorBaseEENKUlvE_clEvENKUlvE2_clEvEUlllE_EEvS4_RKT_EUlibE_EEviT1_,@function
_ZN2at6native32elementwise_kernel_manual_unrollILi128ELi4EZNS0_22gpu_kernel_impl_nocastIZZZNS0_15gcd_kernel_cudaERNS_18TensorIteratorBaseEENKUlvE_clEvENKUlvE2_clEvEUlllE_EEvS4_RKT_EUlibE_EEviT1_: ; @_ZN2at6native32elementwise_kernel_manual_unrollILi128ELi4EZNS0_22gpu_kernel_impl_nocastIZZZNS0_15gcd_kernel_cudaERNS_18TensorIteratorBaseEENKUlvE_clEvENKUlvE2_clEvEUlllE_EEvS4_RKT_EUlibE_EEviT1_
; %bb.0:
	s_clause 0x1
	s_load_b32 s26, s[0:1], 0x8
	s_load_b32 s33, s[0:1], 0x0
	s_bfe_u32 s2, ttmp6, 0x4000c
	s_and_b32 s3, ttmp6, 15
	s_add_co_i32 s2, s2, 1
	s_getreg_b32 s4, hwreg(HW_REG_IB_STS2, 6, 4)
	s_mul_i32 s2, ttmp9, s2
	s_mov_b32 s21, 0
	s_add_co_i32 s3, s3, s2
	s_cmp_eq_u32 s4, 0
	s_cselect_b32 s2, ttmp9, s3
	s_delay_alu instid0(SALU_CYCLE_1) | instskip(SKIP_3) | instid1(VALU_DEP_1)
	v_lshl_or_b32 v0, s2, 9, v0
	s_add_nc_u64 s[2:3], s[0:1], 8
	s_wait_xcnt 0x0
	s_mov_b32 s0, exec_lo
	v_or_b32_e32 v1, 0x180, v0
	s_wait_kmcnt 0x0
	s_add_co_i32 s27, s26, -1
	s_delay_alu instid0(SALU_CYCLE_1)
	s_cmp_gt_u32 s27, 1
	s_cselect_b32 s28, -1, 0
	v_cmpx_le_i32_e64 s33, v1
	s_xor_b32 s29, exec_lo, s0
	s_cbranch_execz .LBB29_86
; %bb.1:
	s_clause 0x5
	s_load_b128 s[8:11], s[2:3], 0x4
	s_load_b64 s[0:1], s[2:3], 0x14
	s_load_b128 s[12:15], s[2:3], 0xc4
	s_load_b64 s[18:19], s[2:3], 0xd4
	s_load_b64 s[16:17], s[2:3], 0x198
	s_load_b128 s[4:7], s[2:3], 0x188
	s_cmp_lg_u32 s26, 0
	s_mov_b32 s23, s21
	s_cselect_b32 s34, -1, 0
	s_min_u32 s31, s27, 15
	s_cmp_gt_u32 s26, 1
	s_cselect_b32 s30, -1, 0
	s_wait_kmcnt 0x0
	s_mov_b32 s20, s9
	s_mov_b32 s22, s0
	s_mov_b32 s9, exec_lo
	v_cmpx_gt_i32_e64 s33, v0
	s_cbranch_execnz .LBB29_5
; %bb.2:
	s_or_b32 exec_lo, exec_lo, s9
	s_delay_alu instid0(SALU_CYCLE_1)
	s_mov_b32 s9, exec_lo
	v_cmpx_gt_i32_e64 s33, v0
	s_cbranch_execnz .LBB29_25
.LBB29_3:
	s_or_b32 exec_lo, exec_lo, s9
	s_delay_alu instid0(SALU_CYCLE_1)
	s_mov_b32 s9, exec_lo
	v_cmpx_gt_i32_e64 s33, v0
	s_cbranch_execnz .LBB29_45
.LBB29_4:
	s_or_b32 exec_lo, exec_lo, s9
	s_delay_alu instid0(SALU_CYCLE_1)
	s_mov_b32 s9, exec_lo
	v_cmpx_gt_i32_e64 s33, v0
	s_cbranch_execnz .LBB29_65
	s_branch .LBB29_85
.LBB29_5:
	s_and_not1_b32 vcc_lo, exec_lo, s28
	s_cbranch_vccnz .LBB29_11
; %bb.6:
	s_and_not1_b32 vcc_lo, exec_lo, s34
	s_cbranch_vccnz .LBB29_12
; %bb.7:
	v_dual_mov_b32 v10, 0 :: v_dual_mov_b32 v1, v0
	v_dual_mov_b32 v5, 0 :: v_dual_mov_b32 v4, 0
	s_add_co_i32 s0, s31, 1
	s_mov_b64 s[24:25], 0xffffffffffffffe8
	s_and_b32 s0, s0, 30
	s_add_nc_u64 s[24:25], s[2:3], s[24:25]
.LBB29_8:                               ; =>This Inner Loop Header: Depth=1
	s_clause 0x1
	s_load_b128 s[36:39], s[24:25], 0x1c
	s_load_b64 s[44:45], s[24:25], 0x2c
	s_add_co_i32 s0, s0, -2
	s_delay_alu instid0(SALU_CYCLE_1) | instskip(SKIP_2) | instid1(VALU_DEP_1)
	s_cmp_lg_u32 s0, 0
	s_wait_kmcnt 0x0
	v_mul_hi_u32 v2, s37, v1
	v_add_nc_u32_e32 v2, v1, v2
	s_delay_alu instid0(VALU_DEP_1) | instskip(NEXT) | instid1(VALU_DEP_1)
	v_lshrrev_b32_e32 v2, s38, v2
	v_mul_hi_u32 v3, s44, v2
	v_mul_lo_u32 v6, v2, s36
	s_clause 0x1
	s_load_b128 s[40:43], s[24:25], 0xdc
	s_load_b64 s[36:37], s[24:25], 0xec
	s_wait_xcnt 0x0
	s_add_nc_u64 s[24:25], s[24:25], 24
	s_delay_alu instid0(VALU_DEP_1) | instskip(NEXT) | instid1(VALU_DEP_1)
	v_dual_add_nc_u32 v3, v2, v3 :: v_dual_sub_nc_u32 v6, v1, v6
	v_lshrrev_b32_e32 v1, s45, v3
	s_wait_kmcnt 0x0
	s_delay_alu instid0(VALU_DEP_2) | instskip(NEXT) | instid1(VALU_DEP_2)
	v_mad_u32 v7, v6, s40, v10
	v_mul_lo_u32 v3, v1, s39
	v_mad_u32 v4, v6, s42, v4
	v_mad_u32 v5, v6, s41, v5
	s_delay_alu instid0(VALU_DEP_3) | instskip(NEXT) | instid1(VALU_DEP_1)
	v_sub_nc_u32_e32 v2, v2, v3
	v_mad_u32 v10, v2, s43, v7
	s_delay_alu instid0(VALU_DEP_4) | instskip(NEXT) | instid1(VALU_DEP_4)
	v_mad_u32 v4, v2, s37, v4
	v_mad_u32 v5, v2, s36, v5
	s_cbranch_scc1 .LBB29_8
; %bb.9:
	s_bitcmp1_b32 s31, 0
	s_cselect_b32 s0, -1, 0
	s_delay_alu instid0(SALU_CYCLE_1)
	s_and_b32 vcc_lo, exec_lo, s0
	s_cbranch_vccnz .LBB29_13
; %bb.10:
	s_clause 0x1
	s_load_b96 s[36:38], s[24:25], 0x1c
	s_load_b96 s[40:42], s[24:25], 0xdc
	s_wait_kmcnt 0x0
	v_mul_hi_u32 v2, s37, v1
	s_delay_alu instid0(VALU_DEP_1) | instskip(NEXT) | instid1(VALU_DEP_1)
	v_add_nc_u32_e32 v2, v1, v2
	v_lshrrev_b32_e32 v2, s38, v2
	s_delay_alu instid0(VALU_DEP_1) | instskip(NEXT) | instid1(VALU_DEP_1)
	v_mul_lo_u32 v2, v2, s36
	v_sub_nc_u32_e32 v1, v1, v2
	s_delay_alu instid0(VALU_DEP_1)
	v_mad_u32 v10, v1, s40, v10
	v_mad_u32 v5, v1, s41, v5
	;; [unrolled: 1-line block ×3, first 2 shown]
	s_cbranch_execz .LBB29_14
	s_branch .LBB29_16
.LBB29_11:
                                        ; implicit-def: $vgpr4
                                        ; implicit-def: $vgpr5
                                        ; implicit-def: $vgpr10
	s_branch .LBB29_14
.LBB29_12:
	v_dual_mov_b32 v4, 0 :: v_dual_mov_b32 v5, 0
	v_mov_b32_e32 v10, 0
.LBB29_13:
	s_cbranch_execnz .LBB29_16
.LBB29_14:
	v_mov_b32_e32 v1, 0
	s_and_not1_b32 vcc_lo, exec_lo, s30
	s_delay_alu instid0(VALU_DEP_1) | instskip(NEXT) | instid1(VALU_DEP_1)
	v_mul_u64_e32 v[2:3], s[20:21], v[0:1]
	v_add_nc_u32_e32 v2, v0, v3
	s_delay_alu instid0(VALU_DEP_1) | instskip(NEXT) | instid1(VALU_DEP_1)
	v_lshrrev_b32_e32 v2, s10, v2
	v_mul_lo_u32 v3, v2, s8
	s_delay_alu instid0(VALU_DEP_1) | instskip(NEXT) | instid1(VALU_DEP_1)
	v_sub_nc_u32_e32 v3, v0, v3
	v_mul_lo_u32 v10, v3, s12
	v_mul_lo_u32 v4, v3, s14
	;; [unrolled: 1-line block ×3, first 2 shown]
	s_cbranch_vccnz .LBB29_16
; %bb.15:
	v_mov_b32_e32 v3, v1
	s_delay_alu instid0(VALU_DEP_1) | instskip(NEXT) | instid1(VALU_DEP_1)
	v_mul_u64_e32 v[6:7], s[22:23], v[2:3]
	v_add_nc_u32_e32 v1, v2, v7
	s_delay_alu instid0(VALU_DEP_1) | instskip(NEXT) | instid1(VALU_DEP_1)
	v_lshrrev_b32_e32 v1, s1, v1
	v_mul_lo_u32 v1, v1, s11
	s_delay_alu instid0(VALU_DEP_1) | instskip(NEXT) | instid1(VALU_DEP_1)
	v_sub_nc_u32_e32 v1, v2, v1
	v_mad_u32 v10, v1, s15, v10
	v_mad_u32 v5, v1, s18, v5
	;; [unrolled: 1-line block ×3, first 2 shown]
.LBB29_16:
	global_load_b64 v[6:7], v4, s[16:17]
	global_load_b64 v[2:3], v5, s[6:7]
	s_mov_b32 s24, exec_lo
	s_wait_loadcnt 0x1
	s_wait_xcnt 0x0
	v_sub_nc_u64_e32 v[4:5], 0, v[6:7]
	s_delay_alu instid0(VALU_DEP_1)
	v_max_i64 v[6:7], v[6:7], v[4:5]
	s_wait_loadcnt 0x0
	v_cmpx_ne_u64_e32 0, v[2:3]
	s_cbranch_execz .LBB29_24
; %bb.17:
	v_sub_nc_u64_e32 v[4:5], 0, v[2:3]
	s_mov_b32 s25, 0
	s_delay_alu instid0(VALU_DEP_1)
	v_max_i64 v[8:9], v[2:3], v[4:5]
	v_mov_b32_e32 v2, 0
	s_branch .LBB29_19
.LBB29_18:                              ;   in Loop: Header=BB29_19 Depth=1
	s_or_b32 exec_lo, exec_lo, s0
	s_delay_alu instid0(VALU_DEP_1) | instskip(SKIP_2) | instid1(SALU_CYCLE_1)
	v_cmp_eq_u64_e32 vcc_lo, 0, v[8:9]
	v_mov_b64_e32 v[6:7], v[4:5]
	s_or_b32 s25, vcc_lo, s25
	s_and_not1_b32 exec_lo, exec_lo, s25
	s_cbranch_execz .LBB29_23
.LBB29_19:                              ; =>This Inner Loop Header: Depth=1
	s_delay_alu instid0(VALU_DEP_2) | instskip(SKIP_1) | instid1(VALU_DEP_1)
	v_mov_b64_e32 v[4:5], v[8:9]
                                        ; implicit-def: $vgpr8_vgpr9
	s_mov_b32 s0, exec_lo
	v_or_b32_e32 v3, v7, v5
	s_delay_alu instid0(VALU_DEP_1)
	v_cmpx_ne_u64_e32 0, v[2:3]
	s_xor_b32 s35, exec_lo, s0
	s_cbranch_execz .LBB29_21
; %bb.20:                               ;   in Loop: Header=BB29_19 Depth=1
	s_delay_alu instid0(VALU_DEP_3) | instskip(SKIP_4) | instid1(VALU_DEP_4)
	v_cvt_f32_u32_e32 v1, v4
	v_cvt_f32_u32_e32 v3, v5
	v_sub_nc_u64_e32 v[12:13], 0, v[4:5]
	v_dual_mov_b32 v9, v2 :: v_dual_mov_b32 v19, v2
	v_mov_b32_e32 v21, v2
	v_fmac_f32_e32 v1, 0x4f800000, v3
	s_delay_alu instid0(VALU_DEP_1) | instskip(SKIP_1) | instid1(TRANS32_DEP_1)
	v_rcp_f32_e32 v1, v1
	v_nop
	v_mul_f32_e32 v1, 0x5f7ffffc, v1
	s_delay_alu instid0(VALU_DEP_1) | instskip(NEXT) | instid1(VALU_DEP_1)
	v_mul_f32_e32 v3, 0x2f800000, v1
	v_trunc_f32_e32 v3, v3
	s_delay_alu instid0(VALU_DEP_1) | instskip(SKIP_1) | instid1(VALU_DEP_2)
	v_fmac_f32_e32 v1, 0xcf800000, v3
	v_cvt_u32_f32_e32 v15, v3
	v_cvt_u32_f32_e32 v8, v1
	s_delay_alu instid0(VALU_DEP_1) | instskip(NEXT) | instid1(VALU_DEP_1)
	v_dual_mov_b32 v20, v15 :: v_dual_mov_b32 v14, v8
	v_mul_u64_e32 v[16:17], v[12:13], v[14:15]
	s_delay_alu instid0(VALU_DEP_1) | instskip(NEXT) | instid1(VALU_DEP_1)
	v_dual_mov_b32 v18, v17 :: v_dual_mov_b32 v17, v2
	v_mul_u64_e32 v[22:23], v[8:9], v[18:19]
	s_delay_alu instid0(VALU_DEP_2) | instskip(SKIP_2) | instid1(VALU_DEP_1)
	v_mul_u64_e32 v[24:25], v[20:21], v[16:17]
	v_mul_u64_e32 v[18:19], v[20:21], v[18:19]
	v_mul_hi_u32 v16, v8, v16
	v_add_nc_u64_e32 v[16:17], v[16:17], v[22:23]
	s_delay_alu instid0(VALU_DEP_1) | instskip(NEXT) | instid1(VALU_DEP_2)
	v_add_co_u32 v1, vcc_lo, v16, v24
	v_add_co_ci_u32_e32 v20, vcc_lo, v17, v25, vcc_lo
	v_add_co_ci_u32_e32 v19, vcc_lo, 0, v19, vcc_lo
	s_delay_alu instid0(VALU_DEP_1) | instskip(NEXT) | instid1(VALU_DEP_1)
	v_add_nc_u64_e32 v[16:17], v[20:21], v[18:19]
	v_add_co_u32 v8, vcc_lo, v8, v16
	s_delay_alu instid0(VALU_DEP_1) | instskip(SKIP_1) | instid1(VALU_DEP_2)
	v_add_co_ci_u32_e64 v14, null, v15, v17, vcc_lo
	v_dual_mov_b32 v17, v2 :: v_dual_mov_b32 v15, v2
	v_mov_b32_e32 v9, v14
	s_delay_alu instid0(VALU_DEP_1) | instskip(NEXT) | instid1(VALU_DEP_1)
	v_mul_u64_e32 v[12:13], v[12:13], v[8:9]
	v_dual_mov_b32 v9, v2 :: v_dual_mov_b32 v16, v13
	s_delay_alu instid0(VALU_DEP_2) | instskip(SKIP_1) | instid1(VALU_DEP_3)
	v_dual_mov_b32 v20, v12 :: v_dual_mov_b32 v13, v2
	v_mul_hi_u32 v12, v8, v12
	v_mul_u64_e32 v[18:19], v[8:9], v[16:17]
	s_delay_alu instid0(VALU_DEP_3) | instskip(SKIP_1) | instid1(VALU_DEP_3)
	v_mul_u64_e32 v[20:21], v[14:15], v[20:21]
	v_mul_u64_e32 v[16:17], v[14:15], v[16:17]
	v_add_nc_u64_e32 v[12:13], v[12:13], v[18:19]
	v_mov_b32_e32 v19, v2
	s_delay_alu instid0(VALU_DEP_2) | instskip(NEXT) | instid1(VALU_DEP_3)
	v_add_co_u32 v1, vcc_lo, v12, v20
	v_add_co_ci_u32_e32 v18, vcc_lo, v13, v21, vcc_lo
	v_add_co_ci_u32_e32 v17, vcc_lo, 0, v17, vcc_lo
	s_delay_alu instid0(VALU_DEP_1) | instskip(SKIP_1) | instid1(VALU_DEP_2)
	v_add_nc_u64_e32 v[12:13], v[18:19], v[16:17]
	v_dual_mov_b32 v16, v6 :: v_dual_mov_b32 v17, v2
	v_add_co_u32 v12, vcc_lo, v8, v12
	s_delay_alu instid0(VALU_DEP_1) | instskip(SKIP_1) | instid1(VALU_DEP_2)
	v_add_co_ci_u32_e64 v8, null, v14, v13, vcc_lo
	v_dual_mov_b32 v14, v7 :: v_dual_mov_b32 v13, v2
	v_mul_u64_e32 v[16:17], v[16:17], v[8:9]
	s_delay_alu instid0(VALU_DEP_2) | instskip(NEXT) | instid1(VALU_DEP_3)
	v_mul_u64_e32 v[8:9], v[14:15], v[8:9]
	v_mul_u64_e32 v[18:19], v[14:15], v[12:13]
	v_mul_hi_u32 v12, v6, v12
	s_delay_alu instid0(VALU_DEP_1) | instskip(NEXT) | instid1(VALU_DEP_1)
	v_add_nc_u64_e32 v[12:13], v[12:13], v[16:17]
	v_add_co_u32 v1, vcc_lo, v12, v18
	s_delay_alu instid0(VALU_DEP_2) | instskip(SKIP_1) | instid1(VALU_DEP_1)
	v_add_co_ci_u32_e32 v14, vcc_lo, v13, v19, vcc_lo
	v_add_co_ci_u32_e32 v9, vcc_lo, 0, v9, vcc_lo
	v_add_nc_u64_e32 v[8:9], v[14:15], v[8:9]
	s_delay_alu instid0(VALU_DEP_1) | instskip(NEXT) | instid1(VALU_DEP_1)
	v_mul_u64_e32 v[8:9], v[4:5], v[8:9]
	v_sub_nc_u32_e32 v1, v7, v9
	s_delay_alu instid0(VALU_DEP_2) | instskip(NEXT) | instid1(VALU_DEP_1)
	v_sub_co_u32 v3, vcc_lo, v6, v8
	v_sub_co_ci_u32_e64 v6, null, v7, v9, vcc_lo
	s_delay_alu instid0(VALU_DEP_3) | instskip(NEXT) | instid1(VALU_DEP_3)
	v_sub_co_ci_u32_e64 v1, null, v1, v5, vcc_lo
	v_sub_co_u32 v7, vcc_lo, v3, v4
	v_cmp_ge_u32_e64 s0, v3, v4
	s_delay_alu instid0(VALU_DEP_3) | instskip(SKIP_1) | instid1(VALU_DEP_3)
	v_subrev_co_ci_u32_e64 v8, null, 0, v1, vcc_lo
	v_sub_co_ci_u32_e64 v1, null, v1, v5, vcc_lo
	v_cndmask_b32_e64 v9, 0, -1, s0
	v_cmp_ge_u32_e64 s0, v7, v4
	v_cmp_ge_u32_e32 vcc_lo, v6, v5
	s_delay_alu instid0(VALU_DEP_2) | instskip(SKIP_3) | instid1(VALU_DEP_3)
	v_cndmask_b32_e64 v11, 0, -1, s0
	v_cmp_ge_u32_e64 s0, v8, v5
	v_cndmask_b32_e64 v13, 0, -1, vcc_lo
	v_cmp_eq_u32_e32 vcc_lo, v8, v5
	v_cndmask_b32_e64 v12, 0, -1, s0
	v_cmp_eq_u32_e64 s0, v6, v5
	s_delay_alu instid0(VALU_DEP_1) | instskip(SKIP_1) | instid1(VALU_DEP_1)
	v_dual_cndmask_b32 v11, v12, v11, vcc_lo :: v_dual_cndmask_b32 v9, v13, v9, s0
	v_sub_co_u32 v12, vcc_lo, v7, v4
	v_subrev_co_ci_u32_e64 v1, null, 0, v1, vcc_lo
	s_delay_alu instid0(VALU_DEP_3) | instskip(NEXT) | instid1(VALU_DEP_2)
	v_cmp_ne_u32_e32 vcc_lo, 0, v11
	v_dual_cndmask_b32 v1, v8, v1, vcc_lo :: v_dual_cndmask_b32 v7, v7, v12, vcc_lo
	v_cmp_ne_u32_e32 vcc_lo, 0, v9
	s_delay_alu instid0(VALU_DEP_2)
	v_dual_cndmask_b32 v9, v6, v1 :: v_dual_cndmask_b32 v8, v3, v7
                                        ; implicit-def: $vgpr6_vgpr7
.LBB29_21:                              ;   in Loop: Header=BB29_19 Depth=1
	s_and_not1_saveexec_b32 s0, s35
	s_cbranch_execz .LBB29_18
; %bb.22:                               ;   in Loop: Header=BB29_19 Depth=1
	v_cvt_f32_u32_e32 v1, v4
	v_dual_sub_nc_u32 v3, 0, v4 :: v_dual_mov_b32 v9, v2
	s_delay_alu instid0(VALU_DEP_2) | instskip(SKIP_1) | instid1(TRANS32_DEP_1)
	v_rcp_iflag_f32_e32 v1, v1
	v_nop
	v_mul_f32_e32 v1, 0x4f7ffffe, v1
	s_delay_alu instid0(VALU_DEP_1) | instskip(NEXT) | instid1(VALU_DEP_1)
	v_cvt_u32_f32_e32 v1, v1
	v_mul_lo_u32 v3, v3, v1
	s_delay_alu instid0(VALU_DEP_1) | instskip(NEXT) | instid1(VALU_DEP_1)
	v_mul_hi_u32 v3, v1, v3
	v_add_nc_u32_e32 v1, v1, v3
	s_delay_alu instid0(VALU_DEP_1) | instskip(NEXT) | instid1(VALU_DEP_1)
	v_mul_hi_u32 v1, v6, v1
	v_mul_lo_u32 v1, v1, v4
	s_delay_alu instid0(VALU_DEP_1) | instskip(NEXT) | instid1(VALU_DEP_1)
	v_sub_nc_u32_e32 v1, v6, v1
	v_sub_nc_u32_e32 v3, v1, v4
	v_cmp_ge_u32_e32 vcc_lo, v1, v4
	s_delay_alu instid0(VALU_DEP_2) | instskip(NEXT) | instid1(VALU_DEP_1)
	v_cndmask_b32_e32 v1, v1, v3, vcc_lo
	v_sub_nc_u32_e32 v3, v1, v4
	v_cmp_ge_u32_e32 vcc_lo, v1, v4
	s_delay_alu instid0(VALU_DEP_2)
	v_cndmask_b32_e32 v8, v1, v3, vcc_lo
	s_branch .LBB29_18
.LBB29_23:
	s_or_b32 exec_lo, exec_lo, s25
	v_mov_b64_e32 v[6:7], v[4:5]
.LBB29_24:
	s_or_b32 exec_lo, exec_lo, s24
	v_add_nc_u32_e32 v0, 0x80, v0
	global_store_b64 v10, v[6:7], s[4:5]
	s_wait_xcnt 0x0
	s_or_b32 exec_lo, exec_lo, s9
	s_delay_alu instid0(SALU_CYCLE_1)
	s_mov_b32 s9, exec_lo
	v_cmpx_gt_i32_e64 s33, v0
	s_cbranch_execz .LBB29_3
.LBB29_25:
	s_and_not1_b32 vcc_lo, exec_lo, s28
	s_cbranch_vccnz .LBB29_31
; %bb.26:
	s_and_not1_b32 vcc_lo, exec_lo, s34
	s_cbranch_vccnz .LBB29_32
; %bb.27:
	v_dual_mov_b32 v10, 0 :: v_dual_mov_b32 v1, v0
	v_dual_mov_b32 v5, 0 :: v_dual_mov_b32 v4, 0
	s_add_co_i32 s0, s31, 1
	s_mov_b64 s[24:25], 0xffffffffffffffe8
	s_and_b32 s0, s0, 30
	s_add_nc_u64 s[24:25], s[2:3], s[24:25]
.LBB29_28:                              ; =>This Inner Loop Header: Depth=1
	s_clause 0x1
	s_load_b128 s[36:39], s[24:25], 0x1c
	s_load_b64 s[44:45], s[24:25], 0x2c
	s_add_co_i32 s0, s0, -2
	s_delay_alu instid0(SALU_CYCLE_1) | instskip(SKIP_2) | instid1(VALU_DEP_1)
	s_cmp_eq_u32 s0, 0
	s_wait_kmcnt 0x0
	v_mul_hi_u32 v2, s37, v1
	v_add_nc_u32_e32 v2, v1, v2
	s_delay_alu instid0(VALU_DEP_1) | instskip(NEXT) | instid1(VALU_DEP_1)
	v_lshrrev_b32_e32 v2, s38, v2
	v_mul_hi_u32 v3, s44, v2
	v_mul_lo_u32 v6, v2, s36
	s_clause 0x1
	s_load_b128 s[40:43], s[24:25], 0xdc
	s_load_b64 s[36:37], s[24:25], 0xec
	s_wait_xcnt 0x0
	s_add_nc_u64 s[24:25], s[24:25], 24
	s_delay_alu instid0(VALU_DEP_1) | instskip(NEXT) | instid1(VALU_DEP_1)
	v_dual_add_nc_u32 v3, v2, v3 :: v_dual_sub_nc_u32 v6, v1, v6
	v_lshrrev_b32_e32 v1, s45, v3
	s_wait_kmcnt 0x0
	s_delay_alu instid0(VALU_DEP_2) | instskip(NEXT) | instid1(VALU_DEP_2)
	v_mad_u32 v7, v6, s40, v10
	v_mul_lo_u32 v3, v1, s39
	v_mad_u32 v4, v6, s42, v4
	v_mad_u32 v5, v6, s41, v5
	s_delay_alu instid0(VALU_DEP_3) | instskip(NEXT) | instid1(VALU_DEP_1)
	v_sub_nc_u32_e32 v2, v2, v3
	v_mad_u32 v10, v2, s43, v7
	s_delay_alu instid0(VALU_DEP_4) | instskip(NEXT) | instid1(VALU_DEP_4)
	v_mad_u32 v4, v2, s37, v4
	v_mad_u32 v5, v2, s36, v5
	s_cbranch_scc0 .LBB29_28
; %bb.29:
	s_bitcmp1_b32 s31, 0
	s_cselect_b32 s0, -1, 0
	s_delay_alu instid0(SALU_CYCLE_1)
	s_and_b32 vcc_lo, exec_lo, s0
	s_cbranch_vccnz .LBB29_33
; %bb.30:
	s_clause 0x1
	s_load_b96 s[36:38], s[24:25], 0x1c
	s_load_b96 s[40:42], s[24:25], 0xdc
	s_wait_kmcnt 0x0
	v_mul_hi_u32 v2, s37, v1
	s_delay_alu instid0(VALU_DEP_1) | instskip(NEXT) | instid1(VALU_DEP_1)
	v_add_nc_u32_e32 v2, v1, v2
	v_lshrrev_b32_e32 v2, s38, v2
	s_delay_alu instid0(VALU_DEP_1) | instskip(NEXT) | instid1(VALU_DEP_1)
	v_mul_lo_u32 v2, v2, s36
	v_sub_nc_u32_e32 v1, v1, v2
	s_delay_alu instid0(VALU_DEP_1)
	v_mad_u32 v10, v1, s40, v10
	v_mad_u32 v5, v1, s41, v5
	;; [unrolled: 1-line block ×3, first 2 shown]
	s_branch .LBB29_33
.LBB29_31:
                                        ; implicit-def: $vgpr4
                                        ; implicit-def: $vgpr5
                                        ; implicit-def: $vgpr10
	s_branch .LBB29_34
.LBB29_32:
	v_dual_mov_b32 v4, 0 :: v_dual_mov_b32 v5, 0
	v_mov_b32_e32 v10, 0
.LBB29_33:
	s_cbranch_execnz .LBB29_36
.LBB29_34:
	v_mov_b32_e32 v1, 0
	s_and_not1_b32 vcc_lo, exec_lo, s30
	s_delay_alu instid0(VALU_DEP_1) | instskip(NEXT) | instid1(VALU_DEP_1)
	v_mul_u64_e32 v[2:3], s[20:21], v[0:1]
	v_add_nc_u32_e32 v2, v0, v3
	s_delay_alu instid0(VALU_DEP_1) | instskip(NEXT) | instid1(VALU_DEP_1)
	v_lshrrev_b32_e32 v2, s10, v2
	v_mul_lo_u32 v3, v2, s8
	s_delay_alu instid0(VALU_DEP_1) | instskip(NEXT) | instid1(VALU_DEP_1)
	v_sub_nc_u32_e32 v3, v0, v3
	v_mul_lo_u32 v10, v3, s12
	v_mul_lo_u32 v4, v3, s14
	;; [unrolled: 1-line block ×3, first 2 shown]
	s_cbranch_vccnz .LBB29_36
; %bb.35:
	v_mov_b32_e32 v3, v1
	s_delay_alu instid0(VALU_DEP_1) | instskip(NEXT) | instid1(VALU_DEP_1)
	v_mul_u64_e32 v[6:7], s[22:23], v[2:3]
	v_add_nc_u32_e32 v1, v2, v7
	s_delay_alu instid0(VALU_DEP_1) | instskip(NEXT) | instid1(VALU_DEP_1)
	v_lshrrev_b32_e32 v1, s1, v1
	v_mul_lo_u32 v1, v1, s11
	s_delay_alu instid0(VALU_DEP_1) | instskip(NEXT) | instid1(VALU_DEP_1)
	v_sub_nc_u32_e32 v1, v2, v1
	v_mad_u32 v10, v1, s15, v10
	v_mad_u32 v5, v1, s18, v5
	;; [unrolled: 1-line block ×3, first 2 shown]
.LBB29_36:
	global_load_b64 v[6:7], v4, s[16:17]
	global_load_b64 v[2:3], v5, s[6:7]
	s_mov_b32 s24, exec_lo
	s_wait_loadcnt 0x1
	s_wait_xcnt 0x0
	v_sub_nc_u64_e32 v[4:5], 0, v[6:7]
	s_delay_alu instid0(VALU_DEP_1)
	v_max_i64 v[6:7], v[6:7], v[4:5]
	s_wait_loadcnt 0x0
	v_cmpx_ne_u64_e32 0, v[2:3]
	s_cbranch_execz .LBB29_44
; %bb.37:
	v_sub_nc_u64_e32 v[4:5], 0, v[2:3]
	s_mov_b32 s25, 0
	s_delay_alu instid0(VALU_DEP_1)
	v_max_i64 v[8:9], v[2:3], v[4:5]
	v_mov_b32_e32 v2, 0
	s_branch .LBB29_39
.LBB29_38:                              ;   in Loop: Header=BB29_39 Depth=1
	s_or_b32 exec_lo, exec_lo, s0
	s_delay_alu instid0(VALU_DEP_1) | instskip(SKIP_2) | instid1(SALU_CYCLE_1)
	v_cmp_eq_u64_e32 vcc_lo, 0, v[8:9]
	v_mov_b64_e32 v[6:7], v[4:5]
	s_or_b32 s25, vcc_lo, s25
	s_and_not1_b32 exec_lo, exec_lo, s25
	s_cbranch_execz .LBB29_43
.LBB29_39:                              ; =>This Inner Loop Header: Depth=1
	s_delay_alu instid0(VALU_DEP_2) | instskip(SKIP_1) | instid1(VALU_DEP_1)
	v_mov_b64_e32 v[4:5], v[8:9]
                                        ; implicit-def: $vgpr8_vgpr9
	s_mov_b32 s0, exec_lo
	v_or_b32_e32 v3, v7, v5
	s_delay_alu instid0(VALU_DEP_1)
	v_cmpx_ne_u64_e32 0, v[2:3]
	s_xor_b32 s35, exec_lo, s0
	s_cbranch_execz .LBB29_41
; %bb.40:                               ;   in Loop: Header=BB29_39 Depth=1
	s_delay_alu instid0(VALU_DEP_3) | instskip(SKIP_4) | instid1(VALU_DEP_4)
	v_cvt_f32_u32_e32 v1, v4
	v_cvt_f32_u32_e32 v3, v5
	v_sub_nc_u64_e32 v[12:13], 0, v[4:5]
	v_dual_mov_b32 v9, v2 :: v_dual_mov_b32 v19, v2
	v_mov_b32_e32 v21, v2
	v_fmac_f32_e32 v1, 0x4f800000, v3
	s_delay_alu instid0(VALU_DEP_1) | instskip(SKIP_1) | instid1(TRANS32_DEP_1)
	v_rcp_f32_e32 v1, v1
	v_nop
	v_mul_f32_e32 v1, 0x5f7ffffc, v1
	s_delay_alu instid0(VALU_DEP_1) | instskip(NEXT) | instid1(VALU_DEP_1)
	v_mul_f32_e32 v3, 0x2f800000, v1
	v_trunc_f32_e32 v3, v3
	s_delay_alu instid0(VALU_DEP_1) | instskip(SKIP_1) | instid1(VALU_DEP_2)
	v_fmac_f32_e32 v1, 0xcf800000, v3
	v_cvt_u32_f32_e32 v15, v3
	v_cvt_u32_f32_e32 v8, v1
	s_delay_alu instid0(VALU_DEP_1) | instskip(NEXT) | instid1(VALU_DEP_1)
	v_dual_mov_b32 v20, v15 :: v_dual_mov_b32 v14, v8
	v_mul_u64_e32 v[16:17], v[12:13], v[14:15]
	s_delay_alu instid0(VALU_DEP_1) | instskip(NEXT) | instid1(VALU_DEP_1)
	v_dual_mov_b32 v18, v17 :: v_dual_mov_b32 v17, v2
	v_mul_u64_e32 v[22:23], v[8:9], v[18:19]
	s_delay_alu instid0(VALU_DEP_2) | instskip(SKIP_2) | instid1(VALU_DEP_1)
	v_mul_u64_e32 v[24:25], v[20:21], v[16:17]
	v_mul_u64_e32 v[18:19], v[20:21], v[18:19]
	v_mul_hi_u32 v16, v8, v16
	v_add_nc_u64_e32 v[16:17], v[16:17], v[22:23]
	s_delay_alu instid0(VALU_DEP_1) | instskip(NEXT) | instid1(VALU_DEP_2)
	v_add_co_u32 v1, vcc_lo, v16, v24
	v_add_co_ci_u32_e32 v20, vcc_lo, v17, v25, vcc_lo
	v_add_co_ci_u32_e32 v19, vcc_lo, 0, v19, vcc_lo
	s_delay_alu instid0(VALU_DEP_1) | instskip(NEXT) | instid1(VALU_DEP_1)
	v_add_nc_u64_e32 v[16:17], v[20:21], v[18:19]
	v_add_co_u32 v8, vcc_lo, v8, v16
	s_delay_alu instid0(VALU_DEP_1) | instskip(SKIP_1) | instid1(VALU_DEP_2)
	v_add_co_ci_u32_e64 v14, null, v15, v17, vcc_lo
	v_dual_mov_b32 v17, v2 :: v_dual_mov_b32 v15, v2
	v_mov_b32_e32 v9, v14
	s_delay_alu instid0(VALU_DEP_1) | instskip(NEXT) | instid1(VALU_DEP_1)
	v_mul_u64_e32 v[12:13], v[12:13], v[8:9]
	v_dual_mov_b32 v9, v2 :: v_dual_mov_b32 v16, v13
	s_delay_alu instid0(VALU_DEP_2) | instskip(SKIP_1) | instid1(VALU_DEP_3)
	v_dual_mov_b32 v20, v12 :: v_dual_mov_b32 v13, v2
	v_mul_hi_u32 v12, v8, v12
	v_mul_u64_e32 v[18:19], v[8:9], v[16:17]
	s_delay_alu instid0(VALU_DEP_3) | instskip(SKIP_1) | instid1(VALU_DEP_3)
	v_mul_u64_e32 v[20:21], v[14:15], v[20:21]
	v_mul_u64_e32 v[16:17], v[14:15], v[16:17]
	v_add_nc_u64_e32 v[12:13], v[12:13], v[18:19]
	v_mov_b32_e32 v19, v2
	s_delay_alu instid0(VALU_DEP_2) | instskip(NEXT) | instid1(VALU_DEP_3)
	v_add_co_u32 v1, vcc_lo, v12, v20
	v_add_co_ci_u32_e32 v18, vcc_lo, v13, v21, vcc_lo
	v_add_co_ci_u32_e32 v17, vcc_lo, 0, v17, vcc_lo
	s_delay_alu instid0(VALU_DEP_1) | instskip(SKIP_1) | instid1(VALU_DEP_2)
	v_add_nc_u64_e32 v[12:13], v[18:19], v[16:17]
	v_dual_mov_b32 v16, v6 :: v_dual_mov_b32 v17, v2
	v_add_co_u32 v12, vcc_lo, v8, v12
	s_delay_alu instid0(VALU_DEP_1) | instskip(SKIP_1) | instid1(VALU_DEP_2)
	v_add_co_ci_u32_e64 v8, null, v14, v13, vcc_lo
	v_dual_mov_b32 v14, v7 :: v_dual_mov_b32 v13, v2
	v_mul_u64_e32 v[16:17], v[16:17], v[8:9]
	s_delay_alu instid0(VALU_DEP_2) | instskip(NEXT) | instid1(VALU_DEP_3)
	v_mul_u64_e32 v[8:9], v[14:15], v[8:9]
	v_mul_u64_e32 v[18:19], v[14:15], v[12:13]
	v_mul_hi_u32 v12, v6, v12
	s_delay_alu instid0(VALU_DEP_1) | instskip(NEXT) | instid1(VALU_DEP_1)
	v_add_nc_u64_e32 v[12:13], v[12:13], v[16:17]
	v_add_co_u32 v1, vcc_lo, v12, v18
	s_delay_alu instid0(VALU_DEP_2) | instskip(SKIP_1) | instid1(VALU_DEP_1)
	v_add_co_ci_u32_e32 v14, vcc_lo, v13, v19, vcc_lo
	v_add_co_ci_u32_e32 v9, vcc_lo, 0, v9, vcc_lo
	v_add_nc_u64_e32 v[8:9], v[14:15], v[8:9]
	s_delay_alu instid0(VALU_DEP_1) | instskip(NEXT) | instid1(VALU_DEP_1)
	v_mul_u64_e32 v[8:9], v[4:5], v[8:9]
	v_sub_nc_u32_e32 v1, v7, v9
	s_delay_alu instid0(VALU_DEP_2) | instskip(NEXT) | instid1(VALU_DEP_1)
	v_sub_co_u32 v3, vcc_lo, v6, v8
	v_sub_co_ci_u32_e64 v6, null, v7, v9, vcc_lo
	s_delay_alu instid0(VALU_DEP_3) | instskip(NEXT) | instid1(VALU_DEP_3)
	v_sub_co_ci_u32_e64 v1, null, v1, v5, vcc_lo
	v_sub_co_u32 v7, vcc_lo, v3, v4
	v_cmp_ge_u32_e64 s0, v3, v4
	s_delay_alu instid0(VALU_DEP_3) | instskip(SKIP_1) | instid1(VALU_DEP_3)
	v_subrev_co_ci_u32_e64 v8, null, 0, v1, vcc_lo
	v_sub_co_ci_u32_e64 v1, null, v1, v5, vcc_lo
	v_cndmask_b32_e64 v9, 0, -1, s0
	v_cmp_ge_u32_e64 s0, v7, v4
	v_cmp_ge_u32_e32 vcc_lo, v6, v5
	s_delay_alu instid0(VALU_DEP_2) | instskip(SKIP_3) | instid1(VALU_DEP_3)
	v_cndmask_b32_e64 v11, 0, -1, s0
	v_cmp_ge_u32_e64 s0, v8, v5
	v_cndmask_b32_e64 v13, 0, -1, vcc_lo
	v_cmp_eq_u32_e32 vcc_lo, v8, v5
	v_cndmask_b32_e64 v12, 0, -1, s0
	v_cmp_eq_u32_e64 s0, v6, v5
	s_delay_alu instid0(VALU_DEP_1) | instskip(SKIP_1) | instid1(VALU_DEP_1)
	v_dual_cndmask_b32 v11, v12, v11, vcc_lo :: v_dual_cndmask_b32 v9, v13, v9, s0
	v_sub_co_u32 v12, vcc_lo, v7, v4
	v_subrev_co_ci_u32_e64 v1, null, 0, v1, vcc_lo
	s_delay_alu instid0(VALU_DEP_3) | instskip(NEXT) | instid1(VALU_DEP_2)
	v_cmp_ne_u32_e32 vcc_lo, 0, v11
	v_dual_cndmask_b32 v1, v8, v1, vcc_lo :: v_dual_cndmask_b32 v7, v7, v12, vcc_lo
	v_cmp_ne_u32_e32 vcc_lo, 0, v9
	s_delay_alu instid0(VALU_DEP_2)
	v_dual_cndmask_b32 v9, v6, v1 :: v_dual_cndmask_b32 v8, v3, v7
                                        ; implicit-def: $vgpr6_vgpr7
.LBB29_41:                              ;   in Loop: Header=BB29_39 Depth=1
	s_and_not1_saveexec_b32 s0, s35
	s_cbranch_execz .LBB29_38
; %bb.42:                               ;   in Loop: Header=BB29_39 Depth=1
	v_cvt_f32_u32_e32 v1, v4
	v_dual_sub_nc_u32 v3, 0, v4 :: v_dual_mov_b32 v9, v2
	s_delay_alu instid0(VALU_DEP_2) | instskip(SKIP_1) | instid1(TRANS32_DEP_1)
	v_rcp_iflag_f32_e32 v1, v1
	v_nop
	v_mul_f32_e32 v1, 0x4f7ffffe, v1
	s_delay_alu instid0(VALU_DEP_1) | instskip(NEXT) | instid1(VALU_DEP_1)
	v_cvt_u32_f32_e32 v1, v1
	v_mul_lo_u32 v3, v3, v1
	s_delay_alu instid0(VALU_DEP_1) | instskip(NEXT) | instid1(VALU_DEP_1)
	v_mul_hi_u32 v3, v1, v3
	v_add_nc_u32_e32 v1, v1, v3
	s_delay_alu instid0(VALU_DEP_1) | instskip(NEXT) | instid1(VALU_DEP_1)
	v_mul_hi_u32 v1, v6, v1
	v_mul_lo_u32 v1, v1, v4
	s_delay_alu instid0(VALU_DEP_1) | instskip(NEXT) | instid1(VALU_DEP_1)
	v_sub_nc_u32_e32 v1, v6, v1
	v_sub_nc_u32_e32 v3, v1, v4
	v_cmp_ge_u32_e32 vcc_lo, v1, v4
	s_delay_alu instid0(VALU_DEP_2) | instskip(NEXT) | instid1(VALU_DEP_1)
	v_cndmask_b32_e32 v1, v1, v3, vcc_lo
	v_sub_nc_u32_e32 v3, v1, v4
	v_cmp_ge_u32_e32 vcc_lo, v1, v4
	s_delay_alu instid0(VALU_DEP_2)
	v_cndmask_b32_e32 v8, v1, v3, vcc_lo
	s_branch .LBB29_38
.LBB29_43:
	s_or_b32 exec_lo, exec_lo, s25
	v_mov_b64_e32 v[6:7], v[4:5]
.LBB29_44:
	s_or_b32 exec_lo, exec_lo, s24
	v_add_nc_u32_e32 v0, 0x80, v0
	global_store_b64 v10, v[6:7], s[4:5]
	s_wait_xcnt 0x0
	s_or_b32 exec_lo, exec_lo, s9
	s_delay_alu instid0(SALU_CYCLE_1)
	s_mov_b32 s9, exec_lo
	v_cmpx_gt_i32_e64 s33, v0
	s_cbranch_execz .LBB29_4
.LBB29_45:
	s_and_not1_b32 vcc_lo, exec_lo, s28
	s_cbranch_vccnz .LBB29_51
; %bb.46:
	s_and_not1_b32 vcc_lo, exec_lo, s34
	s_cbranch_vccnz .LBB29_52
; %bb.47:
	v_dual_mov_b32 v10, 0 :: v_dual_mov_b32 v1, v0
	v_dual_mov_b32 v5, 0 :: v_dual_mov_b32 v4, 0
	s_add_co_i32 s0, s31, 1
	s_mov_b64 s[24:25], 0xffffffffffffffe8
	s_and_b32 s0, s0, 30
	s_add_nc_u64 s[24:25], s[2:3], s[24:25]
.LBB29_48:                              ; =>This Inner Loop Header: Depth=1
	s_clause 0x1
	s_load_b128 s[36:39], s[24:25], 0x1c
	s_load_b64 s[44:45], s[24:25], 0x2c
	s_add_co_i32 s0, s0, -2
	s_delay_alu instid0(SALU_CYCLE_1) | instskip(SKIP_2) | instid1(VALU_DEP_1)
	s_cmp_eq_u32 s0, 0
	s_wait_kmcnt 0x0
	v_mul_hi_u32 v2, s37, v1
	v_add_nc_u32_e32 v2, v1, v2
	s_delay_alu instid0(VALU_DEP_1) | instskip(NEXT) | instid1(VALU_DEP_1)
	v_lshrrev_b32_e32 v2, s38, v2
	v_mul_hi_u32 v3, s44, v2
	v_mul_lo_u32 v6, v2, s36
	s_clause 0x1
	s_load_b128 s[40:43], s[24:25], 0xdc
	s_load_b64 s[36:37], s[24:25], 0xec
	s_wait_xcnt 0x0
	s_add_nc_u64 s[24:25], s[24:25], 24
	s_delay_alu instid0(VALU_DEP_1) | instskip(NEXT) | instid1(VALU_DEP_1)
	v_dual_add_nc_u32 v3, v2, v3 :: v_dual_sub_nc_u32 v6, v1, v6
	v_lshrrev_b32_e32 v1, s45, v3
	s_wait_kmcnt 0x0
	s_delay_alu instid0(VALU_DEP_2) | instskip(NEXT) | instid1(VALU_DEP_2)
	v_mad_u32 v7, v6, s40, v10
	v_mul_lo_u32 v3, v1, s39
	v_mad_u32 v4, v6, s42, v4
	v_mad_u32 v5, v6, s41, v5
	s_delay_alu instid0(VALU_DEP_3) | instskip(NEXT) | instid1(VALU_DEP_1)
	v_sub_nc_u32_e32 v2, v2, v3
	v_mad_u32 v10, v2, s43, v7
	s_delay_alu instid0(VALU_DEP_4) | instskip(NEXT) | instid1(VALU_DEP_4)
	v_mad_u32 v4, v2, s37, v4
	v_mad_u32 v5, v2, s36, v5
	s_cbranch_scc0 .LBB29_48
; %bb.49:
	s_bitcmp1_b32 s31, 0
	s_cselect_b32 s0, -1, 0
	s_delay_alu instid0(SALU_CYCLE_1)
	s_and_b32 vcc_lo, exec_lo, s0
	s_cbranch_vccnz .LBB29_53
; %bb.50:
	s_clause 0x1
	s_load_b96 s[36:38], s[24:25], 0x1c
	s_load_b96 s[40:42], s[24:25], 0xdc
	s_wait_kmcnt 0x0
	v_mul_hi_u32 v2, s37, v1
	s_delay_alu instid0(VALU_DEP_1) | instskip(NEXT) | instid1(VALU_DEP_1)
	v_add_nc_u32_e32 v2, v1, v2
	v_lshrrev_b32_e32 v2, s38, v2
	s_delay_alu instid0(VALU_DEP_1) | instskip(NEXT) | instid1(VALU_DEP_1)
	v_mul_lo_u32 v2, v2, s36
	v_sub_nc_u32_e32 v1, v1, v2
	s_delay_alu instid0(VALU_DEP_1)
	v_mad_u32 v10, v1, s40, v10
	v_mad_u32 v5, v1, s41, v5
	;; [unrolled: 1-line block ×3, first 2 shown]
	s_branch .LBB29_53
.LBB29_51:
                                        ; implicit-def: $vgpr4
                                        ; implicit-def: $vgpr5
                                        ; implicit-def: $vgpr10
	s_branch .LBB29_54
.LBB29_52:
	v_dual_mov_b32 v4, 0 :: v_dual_mov_b32 v5, 0
	v_mov_b32_e32 v10, 0
.LBB29_53:
	s_cbranch_execnz .LBB29_56
.LBB29_54:
	v_mov_b32_e32 v1, 0
	s_and_not1_b32 vcc_lo, exec_lo, s30
	s_delay_alu instid0(VALU_DEP_1) | instskip(NEXT) | instid1(VALU_DEP_1)
	v_mul_u64_e32 v[2:3], s[20:21], v[0:1]
	v_add_nc_u32_e32 v2, v0, v3
	s_delay_alu instid0(VALU_DEP_1) | instskip(NEXT) | instid1(VALU_DEP_1)
	v_lshrrev_b32_e32 v2, s10, v2
	v_mul_lo_u32 v3, v2, s8
	s_delay_alu instid0(VALU_DEP_1) | instskip(NEXT) | instid1(VALU_DEP_1)
	v_sub_nc_u32_e32 v3, v0, v3
	v_mul_lo_u32 v10, v3, s12
	v_mul_lo_u32 v4, v3, s14
	;; [unrolled: 1-line block ×3, first 2 shown]
	s_cbranch_vccnz .LBB29_56
; %bb.55:
	v_mov_b32_e32 v3, v1
	s_delay_alu instid0(VALU_DEP_1) | instskip(NEXT) | instid1(VALU_DEP_1)
	v_mul_u64_e32 v[6:7], s[22:23], v[2:3]
	v_add_nc_u32_e32 v1, v2, v7
	s_delay_alu instid0(VALU_DEP_1) | instskip(NEXT) | instid1(VALU_DEP_1)
	v_lshrrev_b32_e32 v1, s1, v1
	v_mul_lo_u32 v1, v1, s11
	s_delay_alu instid0(VALU_DEP_1) | instskip(NEXT) | instid1(VALU_DEP_1)
	v_sub_nc_u32_e32 v1, v2, v1
	v_mad_u32 v10, v1, s15, v10
	v_mad_u32 v5, v1, s18, v5
	;; [unrolled: 1-line block ×3, first 2 shown]
.LBB29_56:
	global_load_b64 v[6:7], v4, s[16:17]
	global_load_b64 v[2:3], v5, s[6:7]
	s_mov_b32 s24, exec_lo
	s_wait_loadcnt 0x1
	s_wait_xcnt 0x0
	v_sub_nc_u64_e32 v[4:5], 0, v[6:7]
	s_delay_alu instid0(VALU_DEP_1)
	v_max_i64 v[6:7], v[6:7], v[4:5]
	s_wait_loadcnt 0x0
	v_cmpx_ne_u64_e32 0, v[2:3]
	s_cbranch_execz .LBB29_64
; %bb.57:
	v_sub_nc_u64_e32 v[4:5], 0, v[2:3]
	s_mov_b32 s25, 0
	s_delay_alu instid0(VALU_DEP_1)
	v_max_i64 v[8:9], v[2:3], v[4:5]
	v_mov_b32_e32 v2, 0
	s_branch .LBB29_59
.LBB29_58:                              ;   in Loop: Header=BB29_59 Depth=1
	s_or_b32 exec_lo, exec_lo, s0
	s_delay_alu instid0(VALU_DEP_1) | instskip(SKIP_2) | instid1(SALU_CYCLE_1)
	v_cmp_eq_u64_e32 vcc_lo, 0, v[8:9]
	v_mov_b64_e32 v[6:7], v[4:5]
	s_or_b32 s25, vcc_lo, s25
	s_and_not1_b32 exec_lo, exec_lo, s25
	s_cbranch_execz .LBB29_63
.LBB29_59:                              ; =>This Inner Loop Header: Depth=1
	s_delay_alu instid0(VALU_DEP_2) | instskip(SKIP_1) | instid1(VALU_DEP_1)
	v_mov_b64_e32 v[4:5], v[8:9]
                                        ; implicit-def: $vgpr8_vgpr9
	s_mov_b32 s0, exec_lo
	v_or_b32_e32 v3, v7, v5
	s_delay_alu instid0(VALU_DEP_1)
	v_cmpx_ne_u64_e32 0, v[2:3]
	s_xor_b32 s35, exec_lo, s0
	s_cbranch_execz .LBB29_61
; %bb.60:                               ;   in Loop: Header=BB29_59 Depth=1
	s_delay_alu instid0(VALU_DEP_3) | instskip(SKIP_4) | instid1(VALU_DEP_4)
	v_cvt_f32_u32_e32 v1, v4
	v_cvt_f32_u32_e32 v3, v5
	v_sub_nc_u64_e32 v[12:13], 0, v[4:5]
	v_dual_mov_b32 v9, v2 :: v_dual_mov_b32 v19, v2
	v_mov_b32_e32 v21, v2
	v_fmac_f32_e32 v1, 0x4f800000, v3
	s_delay_alu instid0(VALU_DEP_1) | instskip(SKIP_1) | instid1(TRANS32_DEP_1)
	v_rcp_f32_e32 v1, v1
	v_nop
	v_mul_f32_e32 v1, 0x5f7ffffc, v1
	s_delay_alu instid0(VALU_DEP_1) | instskip(NEXT) | instid1(VALU_DEP_1)
	v_mul_f32_e32 v3, 0x2f800000, v1
	v_trunc_f32_e32 v3, v3
	s_delay_alu instid0(VALU_DEP_1) | instskip(SKIP_1) | instid1(VALU_DEP_2)
	v_fmac_f32_e32 v1, 0xcf800000, v3
	v_cvt_u32_f32_e32 v15, v3
	v_cvt_u32_f32_e32 v8, v1
	s_delay_alu instid0(VALU_DEP_1) | instskip(NEXT) | instid1(VALU_DEP_1)
	v_dual_mov_b32 v20, v15 :: v_dual_mov_b32 v14, v8
	v_mul_u64_e32 v[16:17], v[12:13], v[14:15]
	s_delay_alu instid0(VALU_DEP_1) | instskip(NEXT) | instid1(VALU_DEP_1)
	v_dual_mov_b32 v18, v17 :: v_dual_mov_b32 v17, v2
	v_mul_u64_e32 v[22:23], v[8:9], v[18:19]
	s_delay_alu instid0(VALU_DEP_2) | instskip(SKIP_2) | instid1(VALU_DEP_1)
	v_mul_u64_e32 v[24:25], v[20:21], v[16:17]
	v_mul_u64_e32 v[18:19], v[20:21], v[18:19]
	v_mul_hi_u32 v16, v8, v16
	v_add_nc_u64_e32 v[16:17], v[16:17], v[22:23]
	s_delay_alu instid0(VALU_DEP_1) | instskip(NEXT) | instid1(VALU_DEP_2)
	v_add_co_u32 v1, vcc_lo, v16, v24
	v_add_co_ci_u32_e32 v20, vcc_lo, v17, v25, vcc_lo
	v_add_co_ci_u32_e32 v19, vcc_lo, 0, v19, vcc_lo
	s_delay_alu instid0(VALU_DEP_1) | instskip(NEXT) | instid1(VALU_DEP_1)
	v_add_nc_u64_e32 v[16:17], v[20:21], v[18:19]
	v_add_co_u32 v8, vcc_lo, v8, v16
	s_delay_alu instid0(VALU_DEP_1) | instskip(SKIP_1) | instid1(VALU_DEP_2)
	v_add_co_ci_u32_e64 v14, null, v15, v17, vcc_lo
	v_dual_mov_b32 v17, v2 :: v_dual_mov_b32 v15, v2
	v_mov_b32_e32 v9, v14
	s_delay_alu instid0(VALU_DEP_1) | instskip(NEXT) | instid1(VALU_DEP_1)
	v_mul_u64_e32 v[12:13], v[12:13], v[8:9]
	v_dual_mov_b32 v9, v2 :: v_dual_mov_b32 v16, v13
	s_delay_alu instid0(VALU_DEP_2) | instskip(SKIP_1) | instid1(VALU_DEP_3)
	v_dual_mov_b32 v20, v12 :: v_dual_mov_b32 v13, v2
	v_mul_hi_u32 v12, v8, v12
	v_mul_u64_e32 v[18:19], v[8:9], v[16:17]
	s_delay_alu instid0(VALU_DEP_3) | instskip(SKIP_1) | instid1(VALU_DEP_3)
	v_mul_u64_e32 v[20:21], v[14:15], v[20:21]
	v_mul_u64_e32 v[16:17], v[14:15], v[16:17]
	v_add_nc_u64_e32 v[12:13], v[12:13], v[18:19]
	v_mov_b32_e32 v19, v2
	s_delay_alu instid0(VALU_DEP_2) | instskip(NEXT) | instid1(VALU_DEP_3)
	v_add_co_u32 v1, vcc_lo, v12, v20
	v_add_co_ci_u32_e32 v18, vcc_lo, v13, v21, vcc_lo
	v_add_co_ci_u32_e32 v17, vcc_lo, 0, v17, vcc_lo
	s_delay_alu instid0(VALU_DEP_1) | instskip(SKIP_1) | instid1(VALU_DEP_2)
	v_add_nc_u64_e32 v[12:13], v[18:19], v[16:17]
	v_dual_mov_b32 v16, v6 :: v_dual_mov_b32 v17, v2
	v_add_co_u32 v12, vcc_lo, v8, v12
	s_delay_alu instid0(VALU_DEP_1) | instskip(SKIP_1) | instid1(VALU_DEP_2)
	v_add_co_ci_u32_e64 v8, null, v14, v13, vcc_lo
	v_dual_mov_b32 v14, v7 :: v_dual_mov_b32 v13, v2
	v_mul_u64_e32 v[16:17], v[16:17], v[8:9]
	s_delay_alu instid0(VALU_DEP_2) | instskip(NEXT) | instid1(VALU_DEP_3)
	v_mul_u64_e32 v[8:9], v[14:15], v[8:9]
	v_mul_u64_e32 v[18:19], v[14:15], v[12:13]
	v_mul_hi_u32 v12, v6, v12
	s_delay_alu instid0(VALU_DEP_1) | instskip(NEXT) | instid1(VALU_DEP_1)
	v_add_nc_u64_e32 v[12:13], v[12:13], v[16:17]
	v_add_co_u32 v1, vcc_lo, v12, v18
	s_delay_alu instid0(VALU_DEP_2) | instskip(SKIP_1) | instid1(VALU_DEP_1)
	v_add_co_ci_u32_e32 v14, vcc_lo, v13, v19, vcc_lo
	v_add_co_ci_u32_e32 v9, vcc_lo, 0, v9, vcc_lo
	v_add_nc_u64_e32 v[8:9], v[14:15], v[8:9]
	s_delay_alu instid0(VALU_DEP_1) | instskip(NEXT) | instid1(VALU_DEP_1)
	v_mul_u64_e32 v[8:9], v[4:5], v[8:9]
	v_sub_nc_u32_e32 v1, v7, v9
	s_delay_alu instid0(VALU_DEP_2) | instskip(NEXT) | instid1(VALU_DEP_1)
	v_sub_co_u32 v3, vcc_lo, v6, v8
	v_sub_co_ci_u32_e64 v6, null, v7, v9, vcc_lo
	s_delay_alu instid0(VALU_DEP_3) | instskip(NEXT) | instid1(VALU_DEP_3)
	v_sub_co_ci_u32_e64 v1, null, v1, v5, vcc_lo
	v_sub_co_u32 v7, vcc_lo, v3, v4
	v_cmp_ge_u32_e64 s0, v3, v4
	s_delay_alu instid0(VALU_DEP_3) | instskip(SKIP_1) | instid1(VALU_DEP_3)
	v_subrev_co_ci_u32_e64 v8, null, 0, v1, vcc_lo
	v_sub_co_ci_u32_e64 v1, null, v1, v5, vcc_lo
	v_cndmask_b32_e64 v9, 0, -1, s0
	v_cmp_ge_u32_e64 s0, v7, v4
	v_cmp_ge_u32_e32 vcc_lo, v6, v5
	s_delay_alu instid0(VALU_DEP_2) | instskip(SKIP_3) | instid1(VALU_DEP_3)
	v_cndmask_b32_e64 v11, 0, -1, s0
	v_cmp_ge_u32_e64 s0, v8, v5
	v_cndmask_b32_e64 v13, 0, -1, vcc_lo
	v_cmp_eq_u32_e32 vcc_lo, v8, v5
	v_cndmask_b32_e64 v12, 0, -1, s0
	v_cmp_eq_u32_e64 s0, v6, v5
	s_delay_alu instid0(VALU_DEP_1) | instskip(SKIP_1) | instid1(VALU_DEP_1)
	v_dual_cndmask_b32 v11, v12, v11, vcc_lo :: v_dual_cndmask_b32 v9, v13, v9, s0
	v_sub_co_u32 v12, vcc_lo, v7, v4
	v_subrev_co_ci_u32_e64 v1, null, 0, v1, vcc_lo
	s_delay_alu instid0(VALU_DEP_3) | instskip(NEXT) | instid1(VALU_DEP_2)
	v_cmp_ne_u32_e32 vcc_lo, 0, v11
	v_dual_cndmask_b32 v1, v8, v1, vcc_lo :: v_dual_cndmask_b32 v7, v7, v12, vcc_lo
	v_cmp_ne_u32_e32 vcc_lo, 0, v9
	s_delay_alu instid0(VALU_DEP_2)
	v_dual_cndmask_b32 v9, v6, v1 :: v_dual_cndmask_b32 v8, v3, v7
                                        ; implicit-def: $vgpr6_vgpr7
.LBB29_61:                              ;   in Loop: Header=BB29_59 Depth=1
	s_and_not1_saveexec_b32 s0, s35
	s_cbranch_execz .LBB29_58
; %bb.62:                               ;   in Loop: Header=BB29_59 Depth=1
	v_cvt_f32_u32_e32 v1, v4
	v_dual_sub_nc_u32 v3, 0, v4 :: v_dual_mov_b32 v9, v2
	s_delay_alu instid0(VALU_DEP_2) | instskip(SKIP_1) | instid1(TRANS32_DEP_1)
	v_rcp_iflag_f32_e32 v1, v1
	v_nop
	v_mul_f32_e32 v1, 0x4f7ffffe, v1
	s_delay_alu instid0(VALU_DEP_1) | instskip(NEXT) | instid1(VALU_DEP_1)
	v_cvt_u32_f32_e32 v1, v1
	v_mul_lo_u32 v3, v3, v1
	s_delay_alu instid0(VALU_DEP_1) | instskip(NEXT) | instid1(VALU_DEP_1)
	v_mul_hi_u32 v3, v1, v3
	v_add_nc_u32_e32 v1, v1, v3
	s_delay_alu instid0(VALU_DEP_1) | instskip(NEXT) | instid1(VALU_DEP_1)
	v_mul_hi_u32 v1, v6, v1
	v_mul_lo_u32 v1, v1, v4
	s_delay_alu instid0(VALU_DEP_1) | instskip(NEXT) | instid1(VALU_DEP_1)
	v_sub_nc_u32_e32 v1, v6, v1
	v_sub_nc_u32_e32 v3, v1, v4
	v_cmp_ge_u32_e32 vcc_lo, v1, v4
	s_delay_alu instid0(VALU_DEP_2) | instskip(NEXT) | instid1(VALU_DEP_1)
	v_cndmask_b32_e32 v1, v1, v3, vcc_lo
	v_sub_nc_u32_e32 v3, v1, v4
	v_cmp_ge_u32_e32 vcc_lo, v1, v4
	s_delay_alu instid0(VALU_DEP_2)
	v_cndmask_b32_e32 v8, v1, v3, vcc_lo
	s_branch .LBB29_58
.LBB29_63:
	s_or_b32 exec_lo, exec_lo, s25
	v_mov_b64_e32 v[6:7], v[4:5]
.LBB29_64:
	s_or_b32 exec_lo, exec_lo, s24
	v_add_nc_u32_e32 v0, 0x80, v0
	global_store_b64 v10, v[6:7], s[4:5]
	s_wait_xcnt 0x0
	s_or_b32 exec_lo, exec_lo, s9
	s_delay_alu instid0(SALU_CYCLE_1)
	s_mov_b32 s9, exec_lo
	v_cmpx_gt_i32_e64 s33, v0
	s_cbranch_execz .LBB29_85
.LBB29_65:
	s_and_not1_b32 vcc_lo, exec_lo, s28
	s_cbranch_vccnz .LBB29_71
; %bb.66:
	s_and_not1_b32 vcc_lo, exec_lo, s34
	s_cbranch_vccnz .LBB29_72
; %bb.67:
	v_dual_mov_b32 v8, 0 :: v_dual_mov_b32 v1, v0
	v_dual_mov_b32 v5, 0 :: v_dual_mov_b32 v4, 0
	s_add_co_i32 s0, s31, 1
	s_mov_b64 s[24:25], 0xffffffffffffffe8
	s_and_b32 s0, s0, 30
	s_add_nc_u64 s[24:25], s[2:3], s[24:25]
.LBB29_68:                              ; =>This Inner Loop Header: Depth=1
	s_clause 0x1
	s_load_b128 s[36:39], s[24:25], 0x1c
	s_load_b64 s[34:35], s[24:25], 0x2c
	s_add_co_i32 s0, s0, -2
	s_delay_alu instid0(SALU_CYCLE_1) | instskip(SKIP_2) | instid1(VALU_DEP_1)
	s_cmp_eq_u32 s0, 0
	s_wait_kmcnt 0x0
	v_mul_hi_u32 v2, s37, v1
	v_add_nc_u32_e32 v2, v1, v2
	s_delay_alu instid0(VALU_DEP_1) | instskip(NEXT) | instid1(VALU_DEP_1)
	v_lshrrev_b32_e32 v2, s38, v2
	v_mul_hi_u32 v3, s34, v2
	v_mul_lo_u32 v6, v2, s36
	s_clause 0x1
	s_load_b128 s[40:43], s[24:25], 0xdc
	s_load_b64 s[36:37], s[24:25], 0xec
	s_wait_xcnt 0x0
	s_add_nc_u64 s[24:25], s[24:25], 24
	s_delay_alu instid0(VALU_DEP_1) | instskip(NEXT) | instid1(VALU_DEP_1)
	v_dual_add_nc_u32 v3, v2, v3 :: v_dual_sub_nc_u32 v6, v1, v6
	v_lshrrev_b32_e32 v1, s35, v3
	s_wait_kmcnt 0x0
	s_delay_alu instid0(VALU_DEP_2) | instskip(NEXT) | instid1(VALU_DEP_2)
	v_mad_u32 v7, v6, s40, v8
	v_mul_lo_u32 v3, v1, s39
	v_mad_u32 v4, v6, s42, v4
	v_mad_u32 v5, v6, s41, v5
	s_delay_alu instid0(VALU_DEP_3) | instskip(NEXT) | instid1(VALU_DEP_1)
	v_sub_nc_u32_e32 v2, v2, v3
	v_mad_u32 v8, v2, s43, v7
	s_delay_alu instid0(VALU_DEP_4) | instskip(NEXT) | instid1(VALU_DEP_4)
	v_mad_u32 v4, v2, s37, v4
	v_mad_u32 v5, v2, s36, v5
	s_cbranch_scc0 .LBB29_68
; %bb.69:
	s_bitcmp1_b32 s31, 0
	s_cselect_b32 s0, -1, 0
	s_delay_alu instid0(SALU_CYCLE_1)
	s_and_b32 vcc_lo, exec_lo, s0
	s_cbranch_vccnz .LBB29_73
; %bb.70:
	s_clause 0x1
	s_load_b96 s[36:38], s[24:25], 0x1c
	s_load_b96 s[40:42], s[24:25], 0xdc
	s_wait_kmcnt 0x0
	v_mul_hi_u32 v2, s37, v1
	s_delay_alu instid0(VALU_DEP_1) | instskip(NEXT) | instid1(VALU_DEP_1)
	v_add_nc_u32_e32 v2, v1, v2
	v_lshrrev_b32_e32 v2, s38, v2
	s_delay_alu instid0(VALU_DEP_1) | instskip(NEXT) | instid1(VALU_DEP_1)
	v_mul_lo_u32 v2, v2, s36
	v_sub_nc_u32_e32 v1, v1, v2
	s_delay_alu instid0(VALU_DEP_1)
	v_mad_u32 v8, v1, s40, v8
	v_mad_u32 v5, v1, s41, v5
	;; [unrolled: 1-line block ×3, first 2 shown]
	s_branch .LBB29_73
.LBB29_71:
                                        ; implicit-def: $vgpr4
                                        ; implicit-def: $vgpr5
                                        ; implicit-def: $vgpr8
	s_branch .LBB29_74
.LBB29_72:
	v_dual_mov_b32 v4, 0 :: v_dual_mov_b32 v5, 0
	v_mov_b32_e32 v8, 0
.LBB29_73:
	s_cbranch_execnz .LBB29_76
.LBB29_74:
	v_mov_b32_e32 v1, 0
	s_and_not1_b32 vcc_lo, exec_lo, s30
	s_delay_alu instid0(VALU_DEP_1) | instskip(NEXT) | instid1(VALU_DEP_1)
	v_mul_u64_e32 v[2:3], s[20:21], v[0:1]
	v_add_nc_u32_e32 v2, v0, v3
	s_delay_alu instid0(VALU_DEP_1) | instskip(NEXT) | instid1(VALU_DEP_1)
	v_lshrrev_b32_e32 v2, s10, v2
	v_mul_lo_u32 v3, v2, s8
	s_delay_alu instid0(VALU_DEP_1) | instskip(NEXT) | instid1(VALU_DEP_1)
	v_sub_nc_u32_e32 v0, v0, v3
	v_mul_lo_u32 v8, v0, s12
	v_mul_lo_u32 v4, v0, s14
	v_mul_lo_u32 v5, v0, s13
	s_cbranch_vccnz .LBB29_76
; %bb.75:
	v_mov_b32_e32 v3, v1
	s_delay_alu instid0(VALU_DEP_1) | instskip(NEXT) | instid1(VALU_DEP_1)
	v_mul_u64_e32 v[0:1], s[22:23], v[2:3]
	v_add_nc_u32_e32 v0, v2, v1
	s_delay_alu instid0(VALU_DEP_1) | instskip(NEXT) | instid1(VALU_DEP_1)
	v_lshrrev_b32_e32 v0, s1, v0
	v_mul_lo_u32 v0, v0, s11
	s_delay_alu instid0(VALU_DEP_1) | instskip(NEXT) | instid1(VALU_DEP_1)
	v_sub_nc_u32_e32 v0, v2, v0
	v_mad_u32 v8, v0, s15, v8
	v_mad_u32 v5, v0, s18, v5
	;; [unrolled: 1-line block ×3, first 2 shown]
.LBB29_76:
	global_load_b64 v[2:3], v4, s[16:17]
	global_load_b64 v[0:1], v5, s[6:7]
	s_mov_b32 s1, exec_lo
	s_wait_loadcnt 0x1
	s_wait_xcnt 0x0
	v_sub_nc_u64_e32 v[4:5], 0, v[2:3]
	s_delay_alu instid0(VALU_DEP_1)
	v_max_i64 v[4:5], v[2:3], v[4:5]
	s_wait_loadcnt 0x0
	v_cmpx_ne_u64_e32 0, v[0:1]
	s_cbranch_execz .LBB29_84
; %bb.77:
	v_sub_nc_u64_e32 v[2:3], 0, v[0:1]
	s_mov_b32 s6, 0
	s_delay_alu instid0(VALU_DEP_1)
	v_max_i64 v[6:7], v[0:1], v[2:3]
	v_mov_b32_e32 v0, 0
	s_branch .LBB29_79
.LBB29_78:                              ;   in Loop: Header=BB29_79 Depth=1
	s_or_b32 exec_lo, exec_lo, s0
	s_delay_alu instid0(VALU_DEP_1) | instskip(SKIP_2) | instid1(SALU_CYCLE_1)
	v_cmp_eq_u64_e32 vcc_lo, 0, v[6:7]
	v_mov_b64_e32 v[4:5], v[2:3]
	s_or_b32 s6, vcc_lo, s6
	s_and_not1_b32 exec_lo, exec_lo, s6
	s_cbranch_execz .LBB29_83
.LBB29_79:                              ; =>This Inner Loop Header: Depth=1
	s_delay_alu instid0(VALU_DEP_2) | instskip(SKIP_1) | instid1(VALU_DEP_1)
	v_mov_b64_e32 v[2:3], v[6:7]
                                        ; implicit-def: $vgpr6_vgpr7
	s_mov_b32 s0, exec_lo
	v_or_b32_e32 v1, v5, v3
	s_delay_alu instid0(VALU_DEP_1)
	v_cmpx_ne_u64_e32 0, v[0:1]
	s_xor_b32 s7, exec_lo, s0
	s_cbranch_execz .LBB29_81
; %bb.80:                               ;   in Loop: Header=BB29_79 Depth=1
	s_delay_alu instid0(VALU_DEP_3) | instskip(SKIP_3) | instid1(VALU_DEP_3)
	v_cvt_f32_u32_e32 v1, v2
	v_cvt_f32_u32_e32 v6, v3
	v_sub_nc_u64_e32 v[10:11], 0, v[2:3]
	v_dual_mov_b32 v17, v0 :: v_dual_mov_b32 v19, v0
	v_fmac_f32_e32 v1, 0x4f800000, v6
	s_delay_alu instid0(VALU_DEP_1) | instskip(SKIP_1) | instid1(TRANS32_DEP_1)
	v_rcp_f32_e32 v1, v1
	v_nop
	v_mul_f32_e32 v1, 0x5f7ffffc, v1
	s_delay_alu instid0(VALU_DEP_1) | instskip(NEXT) | instid1(VALU_DEP_1)
	v_mul_f32_e32 v6, 0x2f800000, v1
	v_trunc_f32_e32 v7, v6
	s_delay_alu instid0(VALU_DEP_1) | instskip(SKIP_1) | instid1(VALU_DEP_2)
	v_cvt_u32_f32_e32 v13, v7
	v_fmac_f32_e32 v1, 0xcf800000, v7
	v_dual_mov_b32 v7, v0 :: v_dual_mov_b32 v18, v13
	s_delay_alu instid0(VALU_DEP_2) | instskip(NEXT) | instid1(VALU_DEP_1)
	v_cvt_u32_f32_e32 v6, v1
	v_mov_b32_e32 v12, v6
	s_delay_alu instid0(VALU_DEP_1) | instskip(NEXT) | instid1(VALU_DEP_1)
	v_mul_u64_e32 v[14:15], v[10:11], v[12:13]
	v_dual_mov_b32 v16, v15 :: v_dual_mov_b32 v15, v0
	s_delay_alu instid0(VALU_DEP_1) | instskip(NEXT) | instid1(VALU_DEP_2)
	v_mul_u64_e32 v[20:21], v[6:7], v[16:17]
	v_mul_u64_e32 v[22:23], v[18:19], v[14:15]
	;; [unrolled: 1-line block ×3, first 2 shown]
	v_mul_hi_u32 v14, v6, v14
	s_delay_alu instid0(VALU_DEP_1) | instskip(NEXT) | instid1(VALU_DEP_1)
	v_add_nc_u64_e32 v[14:15], v[14:15], v[20:21]
	v_add_co_u32 v1, vcc_lo, v14, v22
	s_delay_alu instid0(VALU_DEP_2) | instskip(SKIP_1) | instid1(VALU_DEP_1)
	v_add_co_ci_u32_e32 v18, vcc_lo, v15, v23, vcc_lo
	v_add_co_ci_u32_e32 v17, vcc_lo, 0, v17, vcc_lo
	v_add_nc_u64_e32 v[14:15], v[18:19], v[16:17]
	s_delay_alu instid0(VALU_DEP_1) | instskip(NEXT) | instid1(VALU_DEP_1)
	v_add_co_u32 v6, vcc_lo, v6, v14
	v_add_co_ci_u32_e64 v12, null, v13, v15, vcc_lo
	v_dual_mov_b32 v15, v0 :: v_dual_mov_b32 v13, v0
	s_delay_alu instid0(VALU_DEP_2) | instskip(NEXT) | instid1(VALU_DEP_1)
	v_mov_b32_e32 v7, v12
	v_mul_u64_e32 v[10:11], v[10:11], v[6:7]
	s_delay_alu instid0(VALU_DEP_1) | instskip(NEXT) | instid1(VALU_DEP_2)
	v_dual_mov_b32 v7, v0 :: v_dual_mov_b32 v14, v11
	v_dual_mov_b32 v18, v10 :: v_dual_mov_b32 v11, v0
	v_mul_hi_u32 v10, v6, v10
	s_delay_alu instid0(VALU_DEP_3) | instskip(NEXT) | instid1(VALU_DEP_3)
	v_mul_u64_e32 v[16:17], v[6:7], v[14:15]
	v_mul_u64_e32 v[18:19], v[12:13], v[18:19]
	;; [unrolled: 1-line block ×3, first 2 shown]
	s_delay_alu instid0(VALU_DEP_3) | instskip(SKIP_1) | instid1(VALU_DEP_2)
	v_add_nc_u64_e32 v[10:11], v[10:11], v[16:17]
	v_mov_b32_e32 v17, v0
	v_add_co_u32 v1, vcc_lo, v10, v18
	s_delay_alu instid0(VALU_DEP_3) | instskip(SKIP_1) | instid1(VALU_DEP_1)
	v_add_co_ci_u32_e32 v16, vcc_lo, v11, v19, vcc_lo
	v_add_co_ci_u32_e32 v15, vcc_lo, 0, v15, vcc_lo
	v_add_nc_u64_e32 v[10:11], v[16:17], v[14:15]
	v_dual_mov_b32 v14, v4 :: v_dual_mov_b32 v15, v0
	s_delay_alu instid0(VALU_DEP_2) | instskip(NEXT) | instid1(VALU_DEP_1)
	v_add_co_u32 v10, vcc_lo, v6, v10
	v_add_co_ci_u32_e64 v6, null, v12, v11, vcc_lo
	v_dual_mov_b32 v12, v5 :: v_dual_mov_b32 v11, v0
	s_delay_alu instid0(VALU_DEP_2) | instskip(NEXT) | instid1(VALU_DEP_2)
	v_mul_u64_e32 v[14:15], v[14:15], v[6:7]
	v_mul_u64_e32 v[6:7], v[12:13], v[6:7]
	s_delay_alu instid0(VALU_DEP_3) | instskip(SKIP_1) | instid1(VALU_DEP_1)
	v_mul_u64_e32 v[16:17], v[12:13], v[10:11]
	v_mul_hi_u32 v10, v4, v10
	v_add_nc_u64_e32 v[10:11], v[10:11], v[14:15]
	s_delay_alu instid0(VALU_DEP_1) | instskip(NEXT) | instid1(VALU_DEP_2)
	v_add_co_u32 v1, vcc_lo, v10, v16
	v_add_co_ci_u32_e32 v12, vcc_lo, v11, v17, vcc_lo
	v_add_co_ci_u32_e32 v7, vcc_lo, 0, v7, vcc_lo
	s_delay_alu instid0(VALU_DEP_1) | instskip(NEXT) | instid1(VALU_DEP_1)
	v_add_nc_u64_e32 v[6:7], v[12:13], v[6:7]
	v_mul_u64_e32 v[6:7], v[2:3], v[6:7]
	s_delay_alu instid0(VALU_DEP_1) | instskip(NEXT) | instid1(VALU_DEP_2)
	v_sub_nc_u32_e32 v1, v5, v7
	v_sub_co_u32 v4, vcc_lo, v4, v6
	s_delay_alu instid0(VALU_DEP_1) | instskip(NEXT) | instid1(VALU_DEP_3)
	v_sub_co_ci_u32_e64 v5, null, v5, v7, vcc_lo
	v_sub_co_ci_u32_e64 v1, null, v1, v3, vcc_lo
	s_delay_alu instid0(VALU_DEP_3) | instskip(SKIP_1) | instid1(VALU_DEP_3)
	v_sub_co_u32 v6, vcc_lo, v4, v2
	v_cmp_ge_u32_e64 s0, v4, v2
	v_subrev_co_ci_u32_e64 v7, null, 0, v1, vcc_lo
	v_sub_co_ci_u32_e64 v1, null, v1, v3, vcc_lo
	s_delay_alu instid0(VALU_DEP_3) | instskip(SKIP_2) | instid1(VALU_DEP_2)
	v_cndmask_b32_e64 v9, 0, -1, s0
	v_cmp_ge_u32_e64 s0, v6, v2
	v_cmp_ge_u32_e32 vcc_lo, v5, v3
	v_cndmask_b32_e64 v10, 0, -1, s0
	v_cmp_ge_u32_e64 s0, v7, v3
	v_cndmask_b32_e64 v12, 0, -1, vcc_lo
	v_cmp_eq_u32_e32 vcc_lo, v7, v3
	s_delay_alu instid0(VALU_DEP_3) | instskip(SKIP_1) | instid1(VALU_DEP_1)
	v_cndmask_b32_e64 v11, 0, -1, s0
	v_cmp_eq_u32_e64 s0, v5, v3
	v_dual_cndmask_b32 v10, v11, v10, vcc_lo :: v_dual_cndmask_b32 v9, v12, v9, s0
	v_sub_co_u32 v11, vcc_lo, v6, v2
	s_delay_alu instid0(VALU_DEP_1) | instskip(NEXT) | instid1(VALU_DEP_3)
	v_subrev_co_ci_u32_e64 v1, null, 0, v1, vcc_lo
	v_cmp_ne_u32_e32 vcc_lo, 0, v10
	s_delay_alu instid0(VALU_DEP_2) | instskip(SKIP_1) | instid1(VALU_DEP_2)
	v_dual_cndmask_b32 v1, v7, v1 :: v_dual_cndmask_b32 v6, v6, v11
	v_cmp_ne_u32_e32 vcc_lo, 0, v9
	v_dual_cndmask_b32 v7, v5, v1 :: v_dual_cndmask_b32 v6, v4, v6
                                        ; implicit-def: $vgpr4_vgpr5
.LBB29_81:                              ;   in Loop: Header=BB29_79 Depth=1
	s_and_not1_saveexec_b32 s0, s7
	s_cbranch_execz .LBB29_78
; %bb.82:                               ;   in Loop: Header=BB29_79 Depth=1
	v_cvt_f32_u32_e32 v1, v2
	v_dual_sub_nc_u32 v5, 0, v2 :: v_dual_mov_b32 v7, v0
	s_delay_alu instid0(VALU_DEP_2) | instskip(SKIP_1) | instid1(TRANS32_DEP_1)
	v_rcp_iflag_f32_e32 v1, v1
	v_nop
	v_mul_f32_e32 v1, 0x4f7ffffe, v1
	s_delay_alu instid0(VALU_DEP_1) | instskip(NEXT) | instid1(VALU_DEP_1)
	v_cvt_u32_f32_e32 v1, v1
	v_mul_lo_u32 v5, v5, v1
	s_delay_alu instid0(VALU_DEP_1) | instskip(NEXT) | instid1(VALU_DEP_1)
	v_mul_hi_u32 v5, v1, v5
	v_add_nc_u32_e32 v1, v1, v5
	s_delay_alu instid0(VALU_DEP_1) | instskip(NEXT) | instid1(VALU_DEP_1)
	v_mul_hi_u32 v1, v4, v1
	v_mul_lo_u32 v1, v1, v2
	s_delay_alu instid0(VALU_DEP_1) | instskip(NEXT) | instid1(VALU_DEP_1)
	v_sub_nc_u32_e32 v1, v4, v1
	v_sub_nc_u32_e32 v4, v1, v2
	v_cmp_ge_u32_e32 vcc_lo, v1, v2
	s_delay_alu instid0(VALU_DEP_2) | instskip(NEXT) | instid1(VALU_DEP_1)
	v_cndmask_b32_e32 v1, v1, v4, vcc_lo
	v_sub_nc_u32_e32 v4, v1, v2
	v_cmp_ge_u32_e32 vcc_lo, v1, v2
	s_delay_alu instid0(VALU_DEP_2)
	v_cndmask_b32_e32 v6, v1, v4, vcc_lo
	s_branch .LBB29_78
.LBB29_83:
	s_or_b32 exec_lo, exec_lo, s6
	v_mov_b64_e32 v[4:5], v[2:3]
.LBB29_84:
	s_or_b32 exec_lo, exec_lo, s1
	global_store_b64 v8, v[4:5], s[4:5]
.LBB29_85:
	s_wait_xcnt 0x0
	s_or_b32 exec_lo, exec_lo, s9
                                        ; implicit-def: $vgpr1
                                        ; implicit-def: $vgpr0
.LBB29_86:
	s_and_not1_saveexec_b32 s0, s29
	s_cbranch_execz .LBB29_93
; %bb.87:
	v_cndmask_b32_e64 v4, 0, 1, s28
	s_and_not1_b32 vcc_lo, exec_lo, s28
	s_cbranch_vccnz .LBB29_94
; %bb.88:
	s_cmp_lg_u32 s26, 0
	s_mov_b32 s4, 0
	s_cbranch_scc0 .LBB29_98
; %bb.89:
	s_min_u32 s5, s27, 15
	v_dual_mov_b32 v14, 0 :: v_dual_mov_b32 v5, v0
	v_dual_mov_b32 v3, 0 :: v_dual_mov_b32 v2, 0
	s_add_co_i32 s6, s5, 1
	s_mov_b64 s[0:1], 0xffffffffffffffe8
	s_and_b32 s6, s6, 30
	s_add_nc_u64 s[0:1], s[2:3], s[0:1]
.LBB29_90:                              ; =>This Inner Loop Header: Depth=1
	s_clause 0x1
	s_load_b128 s[8:11], s[0:1], 0x1c
	s_load_b64 s[16:17], s[0:1], 0x2c
	s_add_co_i32 s6, s6, -2
	s_delay_alu instid0(SALU_CYCLE_1) | instskip(SKIP_2) | instid1(VALU_DEP_1)
	s_cmp_lg_u32 s6, 0
	s_wait_kmcnt 0x0
	v_mul_hi_u32 v6, s9, v5
	v_add_nc_u32_e32 v6, v5, v6
	s_delay_alu instid0(VALU_DEP_1) | instskip(NEXT) | instid1(VALU_DEP_1)
	v_lshrrev_b32_e32 v6, s10, v6
	v_mul_hi_u32 v7, s16, v6
	v_mul_lo_u32 v8, v6, s8
	s_clause 0x1
	s_load_b128 s[12:15], s[0:1], 0xdc
	s_load_b64 s[8:9], s[0:1], 0xec
	s_wait_xcnt 0x0
	s_add_nc_u64 s[0:1], s[0:1], 24
	s_delay_alu instid0(VALU_DEP_1) | instskip(NEXT) | instid1(VALU_DEP_1)
	v_dual_add_nc_u32 v7, v6, v7 :: v_dual_sub_nc_u32 v8, v5, v8
	v_lshrrev_b32_e32 v5, s17, v7
	s_wait_kmcnt 0x0
	s_delay_alu instid0(VALU_DEP_2) | instskip(NEXT) | instid1(VALU_DEP_2)
	v_mad_u32 v9, v8, s12, v14
	v_mul_lo_u32 v7, v5, s11
	v_mad_u32 v2, v8, s14, v2
	v_mad_u32 v3, v8, s13, v3
	s_delay_alu instid0(VALU_DEP_3) | instskip(NEXT) | instid1(VALU_DEP_1)
	v_sub_nc_u32_e32 v6, v6, v7
	v_mad_u32 v14, v6, s15, v9
	s_delay_alu instid0(VALU_DEP_4) | instskip(NEXT) | instid1(VALU_DEP_4)
	v_mad_u32 v2, v6, s9, v2
	v_mad_u32 v3, v6, s8, v3
	s_cbranch_scc1 .LBB29_90
; %bb.91:
	s_bitcmp1_b32 s5, 0
	s_cselect_b32 s5, -1, 0
	s_delay_alu instid0(SALU_CYCLE_1)
	s_and_b32 vcc_lo, exec_lo, s5
	s_cbranch_vccnz .LBB29_95
; %bb.92:
	s_clause 0x1
	s_load_b96 s[8:10], s[0:1], 0x1c
	s_load_b96 s[12:14], s[0:1], 0xdc
	s_wait_kmcnt 0x0
	v_mul_hi_u32 v6, s9, v5
	s_delay_alu instid0(VALU_DEP_1) | instskip(NEXT) | instid1(VALU_DEP_1)
	v_add_nc_u32_e32 v6, v5, v6
	v_lshrrev_b32_e32 v6, s10, v6
	s_delay_alu instid0(VALU_DEP_1) | instskip(NEXT) | instid1(VALU_DEP_1)
	v_mul_lo_u32 v6, v6, s8
	v_sub_nc_u32_e32 v5, v5, v6
	s_delay_alu instid0(VALU_DEP_1)
	v_mad_u32 v14, v5, s12, v14
	v_mad_u32 v3, v5, s13, v3
	;; [unrolled: 1-line block ×3, first 2 shown]
	s_and_not1_b32 vcc_lo, exec_lo, s4
	s_cbranch_vccz .LBB29_96
	s_branch .LBB29_99
.LBB29_93:
	s_endpgm
.LBB29_94:
	s_mov_b32 s4, -1
                                        ; implicit-def: $vgpr2
                                        ; implicit-def: $vgpr3
                                        ; implicit-def: $vgpr14
.LBB29_95:
	s_delay_alu instid0(SALU_CYCLE_1)
	s_and_not1_b32 vcc_lo, exec_lo, s4
	s_cbranch_vccnz .LBB29_99
.LBB29_96:
	s_clause 0x1
	s_load_b96 s[4:6], s[2:3], 0x4
	s_load_b96 s[8:10], s[2:3], 0xc4
	s_cmp_lt_u32 s26, 2
	s_wait_kmcnt 0x0
	v_mul_hi_u32 v2, s5, v0
	s_delay_alu instid0(VALU_DEP_1) | instskip(NEXT) | instid1(VALU_DEP_1)
	v_add_nc_u32_e32 v2, v0, v2
	v_lshrrev_b32_e32 v5, s6, v2
	s_delay_alu instid0(VALU_DEP_1) | instskip(NEXT) | instid1(VALU_DEP_1)
	v_mul_lo_u32 v2, v5, s4
	v_sub_nc_u32_e32 v3, v0, v2
	s_delay_alu instid0(VALU_DEP_1)
	v_mul_lo_u32 v14, v3, s8
	v_mul_lo_u32 v2, v3, s10
	;; [unrolled: 1-line block ×3, first 2 shown]
	s_cbranch_scc1 .LBB29_99
; %bb.97:
	s_clause 0x1
	s_load_b96 s[4:6], s[2:3], 0x10
	s_load_b96 s[8:10], s[2:3], 0xd0
	s_wait_kmcnt 0x0
	v_mul_hi_u32 v6, s5, v5
	s_delay_alu instid0(VALU_DEP_1) | instskip(NEXT) | instid1(VALU_DEP_1)
	v_add_nc_u32_e32 v6, v5, v6
	v_lshrrev_b32_e32 v6, s6, v6
	s_delay_alu instid0(VALU_DEP_1) | instskip(NEXT) | instid1(VALU_DEP_1)
	v_mul_lo_u32 v6, v6, s4
	v_sub_nc_u32_e32 v5, v5, v6
	s_delay_alu instid0(VALU_DEP_1)
	v_mad_u32 v14, v5, s8, v14
	v_mad_u32 v3, v5, s9, v3
	;; [unrolled: 1-line block ×3, first 2 shown]
	s_branch .LBB29_99
.LBB29_98:
	v_dual_mov_b32 v2, 0 :: v_dual_mov_b32 v3, 0
	v_mov_b32_e32 v14, 0
	s_and_not1_b32 vcc_lo, exec_lo, s4
	s_cbranch_vccz .LBB29_96
.LBB29_99:
	v_cmp_ne_u32_e32 vcc_lo, 1, v4
	v_add_nc_u32_e32 v5, 0x80, v0
	s_cbranch_vccnz .LBB29_105
; %bb.100:
	s_cmp_lg_u32 s26, 0
	s_mov_b32 s4, 0
	s_cbranch_scc0 .LBB29_109
; %bb.101:
	s_min_u32 s5, s27, 15
	v_dual_mov_b32 v15, 0 :: v_dual_mov_b32 v6, v5
	v_dual_mov_b32 v9, 0 :: v_dual_mov_b32 v8, 0
	s_add_co_i32 s6, s5, 1
	s_mov_b64 s[0:1], 0xffffffffffffffe8
	s_and_b32 s6, s6, 30
	s_add_nc_u64 s[0:1], s[2:3], s[0:1]
.LBB29_102:                             ; =>This Inner Loop Header: Depth=1
	s_clause 0x1
	s_load_b128 s[8:11], s[0:1], 0x1c
	s_load_b64 s[16:17], s[0:1], 0x2c
	s_add_co_i32 s6, s6, -2
	s_delay_alu instid0(SALU_CYCLE_1) | instskip(SKIP_2) | instid1(VALU_DEP_1)
	s_cmp_lg_u32 s6, 0
	s_wait_kmcnt 0x0
	v_mul_hi_u32 v7, s9, v6
	v_add_nc_u32_e32 v7, v6, v7
	s_delay_alu instid0(VALU_DEP_1) | instskip(NEXT) | instid1(VALU_DEP_1)
	v_lshrrev_b32_e32 v7, s10, v7
	v_mul_hi_u32 v10, s16, v7
	v_mul_lo_u32 v11, v7, s8
	s_clause 0x1
	s_load_b128 s[12:15], s[0:1], 0xdc
	s_load_b64 s[8:9], s[0:1], 0xec
	s_wait_xcnt 0x0
	s_add_nc_u64 s[0:1], s[0:1], 24
	s_delay_alu instid0(VALU_DEP_1) | instskip(NEXT) | instid1(VALU_DEP_1)
	v_dual_add_nc_u32 v10, v7, v10 :: v_dual_sub_nc_u32 v11, v6, v11
	v_lshrrev_b32_e32 v6, s17, v10
	s_wait_kmcnt 0x0
	s_delay_alu instid0(VALU_DEP_2) | instskip(NEXT) | instid1(VALU_DEP_2)
	v_mad_u32 v12, v11, s12, v15
	v_mul_lo_u32 v10, v6, s11
	v_mad_u32 v8, v11, s14, v8
	v_mad_u32 v9, v11, s13, v9
	s_delay_alu instid0(VALU_DEP_3) | instskip(NEXT) | instid1(VALU_DEP_1)
	v_sub_nc_u32_e32 v7, v7, v10
	v_mad_u32 v15, v7, s15, v12
	s_delay_alu instid0(VALU_DEP_4) | instskip(NEXT) | instid1(VALU_DEP_4)
	v_mad_u32 v8, v7, s9, v8
	v_mad_u32 v9, v7, s8, v9
	s_cbranch_scc1 .LBB29_102
; %bb.103:
	s_bitcmp1_b32 s5, 0
	s_cselect_b32 s5, -1, 0
	s_delay_alu instid0(SALU_CYCLE_1)
	s_and_b32 vcc_lo, exec_lo, s5
	s_cbranch_vccnz .LBB29_106
; %bb.104:
	s_clause 0x1
	s_load_b96 s[8:10], s[0:1], 0x1c
	s_load_b96 s[12:14], s[0:1], 0xdc
	s_wait_kmcnt 0x0
	v_mul_hi_u32 v7, s9, v6
	s_delay_alu instid0(VALU_DEP_1) | instskip(NEXT) | instid1(VALU_DEP_1)
	v_add_nc_u32_e32 v7, v6, v7
	v_lshrrev_b32_e32 v7, s10, v7
	s_delay_alu instid0(VALU_DEP_1) | instskip(NEXT) | instid1(VALU_DEP_1)
	v_mul_lo_u32 v7, v7, s8
	v_sub_nc_u32_e32 v6, v6, v7
	s_delay_alu instid0(VALU_DEP_1)
	v_mad_u32 v15, v6, s12, v15
	v_mad_u32 v9, v6, s13, v9
	;; [unrolled: 1-line block ×3, first 2 shown]
	s_and_not1_b32 vcc_lo, exec_lo, s4
	s_cbranch_vccz .LBB29_107
	s_branch .LBB29_110
.LBB29_105:
	s_mov_b32 s4, -1
                                        ; implicit-def: $vgpr8
                                        ; implicit-def: $vgpr9
                                        ; implicit-def: $vgpr15
.LBB29_106:
	s_delay_alu instid0(SALU_CYCLE_1)
	s_and_not1_b32 vcc_lo, exec_lo, s4
	s_cbranch_vccnz .LBB29_110
.LBB29_107:
	s_clause 0x1
	s_load_b96 s[4:6], s[2:3], 0x4
	s_load_b96 s[8:10], s[2:3], 0xc4
	s_cmp_lt_u32 s26, 2
	s_wait_kmcnt 0x0
	v_mul_hi_u32 v6, s5, v5
	s_delay_alu instid0(VALU_DEP_1) | instskip(NEXT) | instid1(VALU_DEP_1)
	v_add_nc_u32_e32 v6, v5, v6
	v_lshrrev_b32_e32 v6, s6, v6
	s_delay_alu instid0(VALU_DEP_1) | instskip(NEXT) | instid1(VALU_DEP_1)
	v_mul_lo_u32 v7, v6, s4
	v_sub_nc_u32_e32 v5, v5, v7
	s_delay_alu instid0(VALU_DEP_1)
	v_mul_lo_u32 v15, v5, s8
	v_mul_lo_u32 v8, v5, s10
	v_mul_lo_u32 v9, v5, s9
	s_cbranch_scc1 .LBB29_110
; %bb.108:
	s_clause 0x1
	s_load_b96 s[4:6], s[2:3], 0x10
	s_load_b96 s[8:10], s[2:3], 0xd0
	s_wait_kmcnt 0x0
	v_mul_hi_u32 v5, s5, v6
	s_delay_alu instid0(VALU_DEP_1) | instskip(NEXT) | instid1(VALU_DEP_1)
	v_add_nc_u32_e32 v5, v6, v5
	v_lshrrev_b32_e32 v5, s6, v5
	s_delay_alu instid0(VALU_DEP_1) | instskip(NEXT) | instid1(VALU_DEP_1)
	v_mul_lo_u32 v5, v5, s4
	v_sub_nc_u32_e32 v5, v6, v5
	s_delay_alu instid0(VALU_DEP_1)
	v_mad_u32 v15, v5, s8, v15
	v_mad_u32 v9, v5, s9, v9
	;; [unrolled: 1-line block ×3, first 2 shown]
	s_branch .LBB29_110
.LBB29_109:
	v_dual_mov_b32 v8, 0 :: v_dual_mov_b32 v9, 0
	v_mov_b32_e32 v15, 0
	s_and_not1_b32 vcc_lo, exec_lo, s4
	s_cbranch_vccz .LBB29_107
.LBB29_110:
	v_cmp_ne_u32_e32 vcc_lo, 1, v4
	v_add_nc_u32_e32 v0, 0x100, v0
	s_cbranch_vccnz .LBB29_116
; %bb.111:
	s_cmp_lg_u32 s26, 0
	s_mov_b32 s4, 0
	s_cbranch_scc0 .LBB29_120
; %bb.112:
	s_min_u32 s5, s27, 15
	v_dual_mov_b32 v16, 0 :: v_dual_mov_b32 v5, v0
	v_dual_mov_b32 v11, 0 :: v_dual_mov_b32 v10, 0
	s_add_co_i32 s6, s5, 1
	s_mov_b64 s[0:1], 0xffffffffffffffe8
	s_and_b32 s6, s6, 30
	s_add_nc_u64 s[0:1], s[2:3], s[0:1]
.LBB29_113:                             ; =>This Inner Loop Header: Depth=1
	s_clause 0x1
	s_load_b128 s[8:11], s[0:1], 0x1c
	s_load_b64 s[16:17], s[0:1], 0x2c
	s_add_co_i32 s6, s6, -2
	s_delay_alu instid0(SALU_CYCLE_1) | instskip(SKIP_2) | instid1(VALU_DEP_1)
	s_cmp_lg_u32 s6, 0
	s_wait_kmcnt 0x0
	v_mul_hi_u32 v6, s9, v5
	v_add_nc_u32_e32 v6, v5, v6
	s_delay_alu instid0(VALU_DEP_1) | instskip(NEXT) | instid1(VALU_DEP_1)
	v_lshrrev_b32_e32 v6, s10, v6
	v_mul_hi_u32 v7, s16, v6
	v_mul_lo_u32 v12, v6, s8
	s_clause 0x1
	s_load_b128 s[12:15], s[0:1], 0xdc
	s_load_b64 s[8:9], s[0:1], 0xec
	s_wait_xcnt 0x0
	s_add_nc_u64 s[0:1], s[0:1], 24
	s_delay_alu instid0(VALU_DEP_1) | instskip(NEXT) | instid1(VALU_DEP_1)
	v_dual_add_nc_u32 v7, v6, v7 :: v_dual_sub_nc_u32 v12, v5, v12
	v_lshrrev_b32_e32 v5, s17, v7
	s_wait_kmcnt 0x0
	s_delay_alu instid0(VALU_DEP_2) | instskip(NEXT) | instid1(VALU_DEP_2)
	v_mad_u32 v13, v12, s12, v16
	v_mul_lo_u32 v7, v5, s11
	v_mad_u32 v10, v12, s14, v10
	v_mad_u32 v11, v12, s13, v11
	s_delay_alu instid0(VALU_DEP_3) | instskip(NEXT) | instid1(VALU_DEP_1)
	v_sub_nc_u32_e32 v6, v6, v7
	v_mad_u32 v16, v6, s15, v13
	s_delay_alu instid0(VALU_DEP_4) | instskip(NEXT) | instid1(VALU_DEP_4)
	v_mad_u32 v10, v6, s9, v10
	v_mad_u32 v11, v6, s8, v11
	s_cbranch_scc1 .LBB29_113
; %bb.114:
	s_bitcmp1_b32 s5, 0
	s_cselect_b32 s5, -1, 0
	s_delay_alu instid0(SALU_CYCLE_1)
	s_and_b32 vcc_lo, exec_lo, s5
	s_cbranch_vccnz .LBB29_117
; %bb.115:
	s_clause 0x1
	s_load_b96 s[8:10], s[0:1], 0x1c
	s_load_b96 s[12:14], s[0:1], 0xdc
	s_wait_kmcnt 0x0
	v_mul_hi_u32 v6, s9, v5
	s_delay_alu instid0(VALU_DEP_1) | instskip(NEXT) | instid1(VALU_DEP_1)
	v_add_nc_u32_e32 v6, v5, v6
	v_lshrrev_b32_e32 v6, s10, v6
	s_delay_alu instid0(VALU_DEP_1) | instskip(NEXT) | instid1(VALU_DEP_1)
	v_mul_lo_u32 v6, v6, s8
	v_sub_nc_u32_e32 v5, v5, v6
	s_delay_alu instid0(VALU_DEP_1)
	v_mad_u32 v16, v5, s12, v16
	v_mad_u32 v11, v5, s13, v11
	;; [unrolled: 1-line block ×3, first 2 shown]
	s_and_not1_b32 vcc_lo, exec_lo, s4
	s_cbranch_vccz .LBB29_118
	s_branch .LBB29_121
.LBB29_116:
	s_mov_b32 s4, -1
                                        ; implicit-def: $vgpr10
                                        ; implicit-def: $vgpr11
                                        ; implicit-def: $vgpr16
.LBB29_117:
	s_delay_alu instid0(SALU_CYCLE_1)
	s_and_not1_b32 vcc_lo, exec_lo, s4
	s_cbranch_vccnz .LBB29_121
.LBB29_118:
	s_clause 0x1
	s_load_b96 s[4:6], s[2:3], 0x4
	s_load_b96 s[8:10], s[2:3], 0xc4
	s_cmp_lt_u32 s26, 2
	s_wait_kmcnt 0x0
	v_mul_hi_u32 v5, s5, v0
	s_delay_alu instid0(VALU_DEP_1) | instskip(NEXT) | instid1(VALU_DEP_1)
	v_add_nc_u32_e32 v5, v0, v5
	v_lshrrev_b32_e32 v5, s6, v5
	s_delay_alu instid0(VALU_DEP_1) | instskip(NEXT) | instid1(VALU_DEP_1)
	v_mul_lo_u32 v6, v5, s4
	v_sub_nc_u32_e32 v0, v0, v6
	s_delay_alu instid0(VALU_DEP_1)
	v_mul_lo_u32 v16, v0, s8
	v_mul_lo_u32 v10, v0, s10
	;; [unrolled: 1-line block ×3, first 2 shown]
	s_cbranch_scc1 .LBB29_121
; %bb.119:
	s_clause 0x1
	s_load_b96 s[4:6], s[2:3], 0x10
	s_load_b96 s[8:10], s[2:3], 0xd0
	s_wait_kmcnt 0x0
	v_mul_hi_u32 v0, s5, v5
	s_delay_alu instid0(VALU_DEP_1) | instskip(NEXT) | instid1(VALU_DEP_1)
	v_add_nc_u32_e32 v0, v5, v0
	v_lshrrev_b32_e32 v0, s6, v0
	s_delay_alu instid0(VALU_DEP_1) | instskip(NEXT) | instid1(VALU_DEP_1)
	v_mul_lo_u32 v0, v0, s4
	v_sub_nc_u32_e32 v0, v5, v0
	s_delay_alu instid0(VALU_DEP_1)
	v_mad_u32 v16, v0, s8, v16
	v_mad_u32 v11, v0, s9, v11
	v_mad_u32 v10, v0, s10, v10
	s_branch .LBB29_121
.LBB29_120:
	v_dual_mov_b32 v10, 0 :: v_dual_mov_b32 v11, 0
	v_mov_b32_e32 v16, 0
	s_and_not1_b32 vcc_lo, exec_lo, s4
	s_cbranch_vccz .LBB29_118
.LBB29_121:
	v_cmp_ne_u32_e32 vcc_lo, 1, v4
	s_cbranch_vccnz .LBB29_127
; %bb.122:
	s_cmp_lg_u32 s26, 0
	s_mov_b32 s4, 0
	s_cbranch_scc0 .LBB29_131
; %bb.123:
	s_min_u32 s5, s27, 15
	v_dual_mov_b32 v17, 0 :: v_dual_mov_b32 v0, v1
	v_dual_mov_b32 v13, 0 :: v_dual_mov_b32 v12, 0
	s_add_co_i32 s6, s5, 1
	s_mov_b64 s[0:1], 0xffffffffffffffe8
	s_and_b32 s6, s6, 30
	s_add_nc_u64 s[0:1], s[2:3], s[0:1]
.LBB29_124:                             ; =>This Inner Loop Header: Depth=1
	s_clause 0x1
	s_load_b128 s[8:11], s[0:1], 0x1c
	s_load_b64 s[16:17], s[0:1], 0x2c
	s_add_co_i32 s6, s6, -2
	s_delay_alu instid0(SALU_CYCLE_1) | instskip(SKIP_2) | instid1(VALU_DEP_1)
	s_cmp_lg_u32 s6, 0
	s_wait_kmcnt 0x0
	v_mul_hi_u32 v4, s9, v0
	v_add_nc_u32_e32 v4, v0, v4
	s_delay_alu instid0(VALU_DEP_1) | instskip(NEXT) | instid1(VALU_DEP_1)
	v_lshrrev_b32_e32 v4, s10, v4
	v_mul_hi_u32 v5, s16, v4
	v_mul_lo_u32 v6, v4, s8
	s_clause 0x1
	s_load_b128 s[12:15], s[0:1], 0xdc
	s_load_b64 s[8:9], s[0:1], 0xec
	s_wait_xcnt 0x0
	s_add_nc_u64 s[0:1], s[0:1], 24
	s_delay_alu instid0(VALU_DEP_2) | instskip(NEXT) | instid1(VALU_DEP_1)
	v_add_nc_u32_e32 v5, v4, v5
	v_dual_sub_nc_u32 v6, v0, v6 :: v_dual_lshrrev_b32 v0, s17, v5
	s_wait_kmcnt 0x0
	s_delay_alu instid0(VALU_DEP_1) | instskip(NEXT) | instid1(VALU_DEP_2)
	v_mad_u32 v7, v6, s12, v17
	v_mul_lo_u32 v5, v0, s11
	v_mad_u32 v12, v6, s14, v12
	v_mad_u32 v6, v6, s13, v13
	s_delay_alu instid0(VALU_DEP_3) | instskip(NEXT) | instid1(VALU_DEP_1)
	v_sub_nc_u32_e32 v4, v4, v5
	v_mad_u32 v17, v4, s15, v7
	s_delay_alu instid0(VALU_DEP_4) | instskip(NEXT) | instid1(VALU_DEP_4)
	v_mad_u32 v12, v4, s9, v12
	v_mad_u32 v13, v4, s8, v6
	s_cbranch_scc1 .LBB29_124
; %bb.125:
	s_bitcmp1_b32 s5, 0
	s_cselect_b32 s5, -1, 0
	s_delay_alu instid0(SALU_CYCLE_1)
	s_and_b32 vcc_lo, exec_lo, s5
	s_cbranch_vccnz .LBB29_128
; %bb.126:
	s_clause 0x1
	s_load_b96 s[8:10], s[0:1], 0x1c
	s_load_b96 s[12:14], s[0:1], 0xdc
	s_wait_kmcnt 0x0
	v_mul_hi_u32 v4, s9, v0
	s_delay_alu instid0(VALU_DEP_1) | instskip(NEXT) | instid1(VALU_DEP_1)
	v_add_nc_u32_e32 v4, v0, v4
	v_lshrrev_b32_e32 v4, s10, v4
	s_delay_alu instid0(VALU_DEP_1) | instskip(NEXT) | instid1(VALU_DEP_1)
	v_mul_lo_u32 v4, v4, s8
	v_sub_nc_u32_e32 v0, v0, v4
	s_delay_alu instid0(VALU_DEP_1)
	v_mad_u32 v17, v0, s12, v17
	v_mad_u32 v13, v0, s13, v13
	;; [unrolled: 1-line block ×3, first 2 shown]
	s_and_not1_b32 vcc_lo, exec_lo, s4
	s_cbranch_vccz .LBB29_129
	s_branch .LBB29_132
.LBB29_127:
	s_mov_b32 s4, -1
                                        ; implicit-def: $vgpr12
                                        ; implicit-def: $vgpr13
                                        ; implicit-def: $vgpr17
.LBB29_128:
	s_delay_alu instid0(SALU_CYCLE_1)
	s_and_not1_b32 vcc_lo, exec_lo, s4
	s_cbranch_vccnz .LBB29_132
.LBB29_129:
	s_clause 0x1
	s_load_b96 s[4:6], s[2:3], 0x4
	s_load_b96 s[8:10], s[2:3], 0xc4
	s_cmp_lt_u32 s26, 2
	s_wait_kmcnt 0x0
	v_mul_hi_u32 v0, s5, v1
	s_delay_alu instid0(VALU_DEP_1) | instskip(NEXT) | instid1(VALU_DEP_1)
	v_add_nc_u32_e32 v0, v1, v0
	v_lshrrev_b32_e32 v0, s6, v0
	s_delay_alu instid0(VALU_DEP_1) | instskip(NEXT) | instid1(VALU_DEP_1)
	v_mul_lo_u32 v4, v0, s4
	v_sub_nc_u32_e32 v1, v1, v4
	s_delay_alu instid0(VALU_DEP_1)
	v_mul_lo_u32 v17, v1, s8
	v_mul_lo_u32 v12, v1, s10
	;; [unrolled: 1-line block ×3, first 2 shown]
	s_cbranch_scc1 .LBB29_132
; %bb.130:
	s_clause 0x1
	s_load_b96 s[4:6], s[2:3], 0x10
	s_load_b96 s[8:10], s[2:3], 0xd0
	s_wait_kmcnt 0x0
	v_mul_hi_u32 v1, s5, v0
	s_delay_alu instid0(VALU_DEP_1) | instskip(NEXT) | instid1(VALU_DEP_1)
	v_add_nc_u32_e32 v1, v0, v1
	v_lshrrev_b32_e32 v1, s6, v1
	s_delay_alu instid0(VALU_DEP_1) | instskip(NEXT) | instid1(VALU_DEP_1)
	v_mul_lo_u32 v1, v1, s4
	v_sub_nc_u32_e32 v0, v0, v1
	s_delay_alu instid0(VALU_DEP_1)
	v_mad_u32 v17, v0, s8, v17
	v_mad_u32 v13, v0, s9, v13
	;; [unrolled: 1-line block ×3, first 2 shown]
	s_branch .LBB29_132
.LBB29_131:
	v_dual_mov_b32 v12, 0 :: v_dual_mov_b32 v13, 0
	v_mov_b32_e32 v17, 0
	s_and_not1_b32 vcc_lo, exec_lo, s4
	s_cbranch_vccz .LBB29_129
.LBB29_132:
	s_clause 0x1
	s_load_b64 s[8:9], s[2:3], 0x198
	s_load_b128 s[4:7], s[2:3], 0x188
	s_mov_b32 s1, exec_lo
	s_wait_kmcnt 0x0
	global_load_b64 v[0:1], v2, s[8:9]
	global_load_b64 v[2:3], v3, s[6:7]
	s_wait_loadcnt 0x1
	v_sub_nc_u64_e32 v[4:5], 0, v[0:1]
	s_delay_alu instid0(VALU_DEP_1)
	v_max_i64 v[0:1], v[0:1], v[4:5]
	s_wait_loadcnt 0x0
	v_cmpx_ne_u64_e32 0, v[2:3]
	s_cbranch_execz .LBB29_140
; %bb.133:
	v_sub_nc_u64_e32 v[4:5], 0, v[2:3]
	s_mov_b32 s2, 0
	s_delay_alu instid0(VALU_DEP_1)
	v_max_i64 v[6:7], v[2:3], v[4:5]
	v_mov_b32_e32 v2, 0
	s_branch .LBB29_135
.LBB29_134:                             ;   in Loop: Header=BB29_135 Depth=1
	s_or_b32 exec_lo, exec_lo, s0
	s_delay_alu instid0(VALU_DEP_1) | instskip(SKIP_2) | instid1(SALU_CYCLE_1)
	v_cmp_eq_u64_e32 vcc_lo, 0, v[6:7]
	v_mov_b64_e32 v[0:1], v[4:5]
	s_or_b32 s2, vcc_lo, s2
	s_and_not1_b32 exec_lo, exec_lo, s2
	s_cbranch_execz .LBB29_139
.LBB29_135:                             ; =>This Inner Loop Header: Depth=1
	s_delay_alu instid0(VALU_DEP_2) | instskip(SKIP_1) | instid1(VALU_DEP_1)
	v_mov_b64_e32 v[4:5], v[6:7]
                                        ; implicit-def: $vgpr6_vgpr7
	s_mov_b32 s0, exec_lo
	v_or_b32_e32 v3, v1, v5
	s_delay_alu instid0(VALU_DEP_1)
	v_cmpx_ne_u64_e32 0, v[2:3]
	s_xor_b32 s3, exec_lo, s0
	s_cbranch_execz .LBB29_137
; %bb.136:                              ;   in Loop: Header=BB29_135 Depth=1
	s_delay_alu instid0(VALU_DEP_3) | instskip(SKIP_3) | instid1(VALU_DEP_3)
	v_cvt_f32_u32_e32 v3, v4
	v_cvt_f32_u32_e32 v6, v5
	v_sub_nc_u64_e32 v[18:19], 0, v[4:5]
	v_dual_mov_b32 v25, v2 :: v_dual_mov_b32 v27, v2
	v_fmac_f32_e32 v3, 0x4f800000, v6
	s_delay_alu instid0(VALU_DEP_1) | instskip(SKIP_1) | instid1(TRANS32_DEP_1)
	v_rcp_f32_e32 v3, v3
	v_nop
	v_mul_f32_e32 v3, 0x5f7ffffc, v3
	s_delay_alu instid0(VALU_DEP_1) | instskip(NEXT) | instid1(VALU_DEP_1)
	v_mul_f32_e32 v6, 0x2f800000, v3
	v_trunc_f32_e32 v7, v6
	s_delay_alu instid0(VALU_DEP_1) | instskip(SKIP_1) | instid1(VALU_DEP_2)
	v_cvt_u32_f32_e32 v21, v7
	v_fmac_f32_e32 v3, 0xcf800000, v7
	v_dual_mov_b32 v7, v2 :: v_dual_mov_b32 v26, v21
	s_delay_alu instid0(VALU_DEP_2) | instskip(NEXT) | instid1(VALU_DEP_1)
	v_cvt_u32_f32_e32 v6, v3
	v_mov_b32_e32 v20, v6
	s_delay_alu instid0(VALU_DEP_1) | instskip(NEXT) | instid1(VALU_DEP_1)
	v_mul_u64_e32 v[22:23], v[18:19], v[20:21]
	v_dual_mov_b32 v24, v23 :: v_dual_mov_b32 v23, v2
	s_delay_alu instid0(VALU_DEP_1) | instskip(NEXT) | instid1(VALU_DEP_2)
	v_mul_u64_e32 v[28:29], v[6:7], v[24:25]
	v_mul_u64_e32 v[30:31], v[26:27], v[22:23]
	;; [unrolled: 1-line block ×3, first 2 shown]
	v_mul_hi_u32 v22, v6, v22
	s_delay_alu instid0(VALU_DEP_1) | instskip(NEXT) | instid1(VALU_DEP_1)
	v_add_nc_u64_e32 v[22:23], v[22:23], v[28:29]
	v_add_co_u32 v3, vcc_lo, v22, v30
	s_delay_alu instid0(VALU_DEP_2) | instskip(SKIP_1) | instid1(VALU_DEP_1)
	v_add_co_ci_u32_e32 v26, vcc_lo, v23, v31, vcc_lo
	v_add_co_ci_u32_e32 v25, vcc_lo, 0, v25, vcc_lo
	v_add_nc_u64_e32 v[22:23], v[26:27], v[24:25]
	s_delay_alu instid0(VALU_DEP_1) | instskip(NEXT) | instid1(VALU_DEP_1)
	v_add_co_u32 v6, vcc_lo, v6, v22
	v_add_co_ci_u32_e64 v20, null, v21, v23, vcc_lo
	v_dual_mov_b32 v23, v2 :: v_dual_mov_b32 v21, v2
	s_delay_alu instid0(VALU_DEP_2) | instskip(NEXT) | instid1(VALU_DEP_1)
	v_mov_b32_e32 v7, v20
	v_mul_u64_e32 v[18:19], v[18:19], v[6:7]
	s_delay_alu instid0(VALU_DEP_1) | instskip(NEXT) | instid1(VALU_DEP_2)
	v_dual_mov_b32 v7, v2 :: v_dual_mov_b32 v22, v19
	v_dual_mov_b32 v26, v18 :: v_dual_mov_b32 v19, v2
	v_mul_hi_u32 v18, v6, v18
	s_delay_alu instid0(VALU_DEP_3) | instskip(NEXT) | instid1(VALU_DEP_3)
	v_mul_u64_e32 v[24:25], v[6:7], v[22:23]
	v_mul_u64_e32 v[26:27], v[20:21], v[26:27]
	;; [unrolled: 1-line block ×3, first 2 shown]
	s_delay_alu instid0(VALU_DEP_3) | instskip(SKIP_1) | instid1(VALU_DEP_2)
	v_add_nc_u64_e32 v[18:19], v[18:19], v[24:25]
	v_mov_b32_e32 v25, v2
	v_add_co_u32 v3, vcc_lo, v18, v26
	s_delay_alu instid0(VALU_DEP_3) | instskip(SKIP_1) | instid1(VALU_DEP_1)
	v_add_co_ci_u32_e32 v24, vcc_lo, v19, v27, vcc_lo
	v_add_co_ci_u32_e32 v23, vcc_lo, 0, v23, vcc_lo
	v_add_nc_u64_e32 v[18:19], v[24:25], v[22:23]
	v_dual_mov_b32 v22, v0 :: v_dual_mov_b32 v23, v2
	s_delay_alu instid0(VALU_DEP_2) | instskip(NEXT) | instid1(VALU_DEP_1)
	v_add_co_u32 v18, vcc_lo, v6, v18
	v_add_co_ci_u32_e64 v6, null, v20, v19, vcc_lo
	v_dual_mov_b32 v20, v1 :: v_dual_mov_b32 v19, v2
	s_delay_alu instid0(VALU_DEP_2) | instskip(NEXT) | instid1(VALU_DEP_2)
	v_mul_u64_e32 v[22:23], v[22:23], v[6:7]
	v_mul_u64_e32 v[6:7], v[20:21], v[6:7]
	s_delay_alu instid0(VALU_DEP_3) | instskip(SKIP_1) | instid1(VALU_DEP_1)
	v_mul_u64_e32 v[24:25], v[20:21], v[18:19]
	v_mul_hi_u32 v18, v0, v18
	v_add_nc_u64_e32 v[18:19], v[18:19], v[22:23]
	s_delay_alu instid0(VALU_DEP_1) | instskip(NEXT) | instid1(VALU_DEP_2)
	v_add_co_u32 v3, vcc_lo, v18, v24
	v_add_co_ci_u32_e32 v20, vcc_lo, v19, v25, vcc_lo
	v_add_co_ci_u32_e32 v7, vcc_lo, 0, v7, vcc_lo
	s_delay_alu instid0(VALU_DEP_1) | instskip(NEXT) | instid1(VALU_DEP_1)
	v_add_nc_u64_e32 v[6:7], v[20:21], v[6:7]
	v_mul_u64_e32 v[6:7], v[4:5], v[6:7]
	s_delay_alu instid0(VALU_DEP_1) | instskip(NEXT) | instid1(VALU_DEP_2)
	v_sub_nc_u32_e32 v3, v1, v7
	v_sub_co_u32 v0, vcc_lo, v0, v6
	s_delay_alu instid0(VALU_DEP_1) | instskip(NEXT) | instid1(VALU_DEP_3)
	v_sub_co_ci_u32_e64 v1, null, v1, v7, vcc_lo
	v_sub_co_ci_u32_e64 v3, null, v3, v5, vcc_lo
	s_delay_alu instid0(VALU_DEP_3) | instskip(SKIP_1) | instid1(VALU_DEP_3)
	v_sub_co_u32 v6, vcc_lo, v0, v4
	v_cmp_ge_u32_e64 s0, v0, v4
	v_subrev_co_ci_u32_e64 v7, null, 0, v3, vcc_lo
	v_sub_co_ci_u32_e64 v3, null, v3, v5, vcc_lo
	s_delay_alu instid0(VALU_DEP_3) | instskip(SKIP_2) | instid1(VALU_DEP_2)
	v_cndmask_b32_e64 v18, 0, -1, s0
	v_cmp_ge_u32_e64 s0, v6, v4
	v_cmp_ge_u32_e32 vcc_lo, v1, v5
	v_cndmask_b32_e64 v19, 0, -1, s0
	v_cmp_ge_u32_e64 s0, v7, v5
	v_cndmask_b32_e64 v21, 0, -1, vcc_lo
	v_cmp_eq_u32_e32 vcc_lo, v7, v5
	s_delay_alu instid0(VALU_DEP_3) | instskip(SKIP_1) | instid1(VALU_DEP_1)
	v_cndmask_b32_e64 v20, 0, -1, s0
	v_cmp_eq_u32_e64 s0, v1, v5
	v_dual_cndmask_b32 v19, v20, v19, vcc_lo :: v_dual_cndmask_b32 v18, v21, v18, s0
	v_sub_co_u32 v20, vcc_lo, v6, v4
	s_delay_alu instid0(VALU_DEP_1) | instskip(NEXT) | instid1(VALU_DEP_3)
	v_subrev_co_ci_u32_e64 v3, null, 0, v3, vcc_lo
	v_cmp_ne_u32_e32 vcc_lo, 0, v19
	s_delay_alu instid0(VALU_DEP_2) | instskip(SKIP_1) | instid1(VALU_DEP_2)
	v_dual_cndmask_b32 v3, v7, v3 :: v_dual_cndmask_b32 v6, v6, v20
	v_cmp_ne_u32_e32 vcc_lo, 0, v18
	v_dual_cndmask_b32 v7, v1, v3 :: v_dual_cndmask_b32 v6, v0, v6
                                        ; implicit-def: $vgpr0_vgpr1
.LBB29_137:                             ;   in Loop: Header=BB29_135 Depth=1
	s_and_not1_saveexec_b32 s0, s3
	s_cbranch_execz .LBB29_134
; %bb.138:                              ;   in Loop: Header=BB29_135 Depth=1
	v_cvt_f32_u32_e32 v1, v4
	v_dual_sub_nc_u32 v3, 0, v4 :: v_dual_mov_b32 v7, v2
	s_delay_alu instid0(VALU_DEP_2) | instskip(SKIP_1) | instid1(TRANS32_DEP_1)
	v_rcp_iflag_f32_e32 v1, v1
	v_nop
	v_mul_f32_e32 v1, 0x4f7ffffe, v1
	s_delay_alu instid0(VALU_DEP_1) | instskip(NEXT) | instid1(VALU_DEP_1)
	v_cvt_u32_f32_e32 v1, v1
	v_mul_lo_u32 v3, v3, v1
	s_delay_alu instid0(VALU_DEP_1) | instskip(NEXT) | instid1(VALU_DEP_1)
	v_mul_hi_u32 v3, v1, v3
	v_add_nc_u32_e32 v1, v1, v3
	s_delay_alu instid0(VALU_DEP_1) | instskip(NEXT) | instid1(VALU_DEP_1)
	v_mul_hi_u32 v1, v0, v1
	v_mul_lo_u32 v1, v1, v4
	s_delay_alu instid0(VALU_DEP_1) | instskip(NEXT) | instid1(VALU_DEP_1)
	v_sub_nc_u32_e32 v0, v0, v1
	v_sub_nc_u32_e32 v1, v0, v4
	v_cmp_ge_u32_e32 vcc_lo, v0, v4
	s_delay_alu instid0(VALU_DEP_2) | instskip(NEXT) | instid1(VALU_DEP_1)
	v_cndmask_b32_e32 v0, v0, v1, vcc_lo
	v_sub_nc_u32_e32 v1, v0, v4
	v_cmp_ge_u32_e32 vcc_lo, v0, v4
	s_delay_alu instid0(VALU_DEP_2)
	v_cndmask_b32_e32 v6, v0, v1, vcc_lo
	s_branch .LBB29_134
.LBB29_139:
	s_or_b32 exec_lo, exec_lo, s2
	v_mov_b64_e32 v[0:1], v[4:5]
.LBB29_140:
	s_or_b32 exec_lo, exec_lo, s1
	global_load_b64 v[2:3], v8, s[8:9]
	global_load_b64 v[4:5], v9, s[6:7]
	s_mov_b32 s1, exec_lo
	s_wait_loadcnt 0x1
	v_sub_nc_u64_e32 v[6:7], 0, v[2:3]
	s_delay_alu instid0(VALU_DEP_1)
	v_max_i64 v[2:3], v[2:3], v[6:7]
	s_wait_loadcnt 0x0
	v_cmpx_ne_u64_e32 0, v[4:5]
	s_cbranch_execz .LBB29_148
; %bb.141:
	v_sub_nc_u64_e32 v[6:7], 0, v[4:5]
	s_mov_b32 s2, 0
	s_delay_alu instid0(VALU_DEP_1)
	v_max_i64 v[8:9], v[4:5], v[6:7]
	v_mov_b32_e32 v4, 0
	s_branch .LBB29_143
.LBB29_142:                             ;   in Loop: Header=BB29_143 Depth=1
	s_or_b32 exec_lo, exec_lo, s0
	s_delay_alu instid0(VALU_DEP_1) | instskip(SKIP_2) | instid1(SALU_CYCLE_1)
	v_cmp_eq_u64_e32 vcc_lo, 0, v[8:9]
	v_mov_b64_e32 v[2:3], v[6:7]
	s_or_b32 s2, vcc_lo, s2
	s_and_not1_b32 exec_lo, exec_lo, s2
	s_cbranch_execz .LBB29_147
.LBB29_143:                             ; =>This Inner Loop Header: Depth=1
	s_delay_alu instid0(VALU_DEP_2) | instskip(SKIP_1) | instid1(VALU_DEP_1)
	v_mov_b64_e32 v[6:7], v[8:9]
                                        ; implicit-def: $vgpr8_vgpr9
	s_mov_b32 s0, exec_lo
	v_or_b32_e32 v5, v3, v7
	s_delay_alu instid0(VALU_DEP_1)
	v_cmpx_ne_u64_e32 0, v[4:5]
	s_xor_b32 s3, exec_lo, s0
	s_cbranch_execz .LBB29_145
; %bb.144:                              ;   in Loop: Header=BB29_143 Depth=1
	s_delay_alu instid0(VALU_DEP_3) | instskip(SKIP_3) | instid1(VALU_DEP_3)
	v_cvt_f32_u32_e32 v5, v6
	v_cvt_f32_u32_e32 v8, v7
	v_sub_nc_u64_e32 v[18:19], 0, v[6:7]
	v_dual_mov_b32 v25, v4 :: v_dual_mov_b32 v27, v4
	v_fmac_f32_e32 v5, 0x4f800000, v8
	s_delay_alu instid0(VALU_DEP_1) | instskip(SKIP_1) | instid1(TRANS32_DEP_1)
	v_rcp_f32_e32 v5, v5
	v_nop
	v_mul_f32_e32 v5, 0x5f7ffffc, v5
	s_delay_alu instid0(VALU_DEP_1) | instskip(NEXT) | instid1(VALU_DEP_1)
	v_mul_f32_e32 v8, 0x2f800000, v5
	v_trunc_f32_e32 v9, v8
	s_delay_alu instid0(VALU_DEP_1) | instskip(SKIP_1) | instid1(VALU_DEP_2)
	v_cvt_u32_f32_e32 v21, v9
	v_fmac_f32_e32 v5, 0xcf800000, v9
	v_dual_mov_b32 v9, v4 :: v_dual_mov_b32 v26, v21
	s_delay_alu instid0(VALU_DEP_2) | instskip(NEXT) | instid1(VALU_DEP_1)
	v_cvt_u32_f32_e32 v8, v5
	v_mov_b32_e32 v20, v8
	s_delay_alu instid0(VALU_DEP_1) | instskip(NEXT) | instid1(VALU_DEP_1)
	v_mul_u64_e32 v[22:23], v[18:19], v[20:21]
	v_dual_mov_b32 v24, v23 :: v_dual_mov_b32 v23, v4
	s_delay_alu instid0(VALU_DEP_1) | instskip(NEXT) | instid1(VALU_DEP_2)
	v_mul_u64_e32 v[28:29], v[8:9], v[24:25]
	v_mul_u64_e32 v[30:31], v[26:27], v[22:23]
	;; [unrolled: 1-line block ×3, first 2 shown]
	v_mul_hi_u32 v22, v8, v22
	s_delay_alu instid0(VALU_DEP_1) | instskip(NEXT) | instid1(VALU_DEP_1)
	v_add_nc_u64_e32 v[22:23], v[22:23], v[28:29]
	v_add_co_u32 v5, vcc_lo, v22, v30
	s_delay_alu instid0(VALU_DEP_2) | instskip(SKIP_1) | instid1(VALU_DEP_1)
	v_add_co_ci_u32_e32 v26, vcc_lo, v23, v31, vcc_lo
	v_add_co_ci_u32_e32 v25, vcc_lo, 0, v25, vcc_lo
	v_add_nc_u64_e32 v[22:23], v[26:27], v[24:25]
	s_delay_alu instid0(VALU_DEP_1) | instskip(NEXT) | instid1(VALU_DEP_1)
	v_add_co_u32 v8, vcc_lo, v8, v22
	v_add_co_ci_u32_e64 v20, null, v21, v23, vcc_lo
	v_dual_mov_b32 v23, v4 :: v_dual_mov_b32 v21, v4
	s_delay_alu instid0(VALU_DEP_2) | instskip(NEXT) | instid1(VALU_DEP_1)
	v_mov_b32_e32 v9, v20
	v_mul_u64_e32 v[18:19], v[18:19], v[8:9]
	s_delay_alu instid0(VALU_DEP_1) | instskip(NEXT) | instid1(VALU_DEP_2)
	v_dual_mov_b32 v9, v4 :: v_dual_mov_b32 v22, v19
	v_dual_mov_b32 v26, v18 :: v_dual_mov_b32 v19, v4
	v_mul_hi_u32 v18, v8, v18
	s_delay_alu instid0(VALU_DEP_3) | instskip(NEXT) | instid1(VALU_DEP_3)
	v_mul_u64_e32 v[24:25], v[8:9], v[22:23]
	v_mul_u64_e32 v[26:27], v[20:21], v[26:27]
	;; [unrolled: 1-line block ×3, first 2 shown]
	s_delay_alu instid0(VALU_DEP_3) | instskip(SKIP_1) | instid1(VALU_DEP_2)
	v_add_nc_u64_e32 v[18:19], v[18:19], v[24:25]
	v_mov_b32_e32 v25, v4
	v_add_co_u32 v5, vcc_lo, v18, v26
	s_delay_alu instid0(VALU_DEP_3) | instskip(SKIP_1) | instid1(VALU_DEP_1)
	v_add_co_ci_u32_e32 v24, vcc_lo, v19, v27, vcc_lo
	v_add_co_ci_u32_e32 v23, vcc_lo, 0, v23, vcc_lo
	v_add_nc_u64_e32 v[18:19], v[24:25], v[22:23]
	v_dual_mov_b32 v22, v2 :: v_dual_mov_b32 v23, v4
	s_delay_alu instid0(VALU_DEP_2) | instskip(NEXT) | instid1(VALU_DEP_1)
	v_add_co_u32 v18, vcc_lo, v8, v18
	v_add_co_ci_u32_e64 v8, null, v20, v19, vcc_lo
	v_dual_mov_b32 v20, v3 :: v_dual_mov_b32 v19, v4
	s_delay_alu instid0(VALU_DEP_2) | instskip(NEXT) | instid1(VALU_DEP_2)
	v_mul_u64_e32 v[22:23], v[22:23], v[8:9]
	v_mul_u64_e32 v[8:9], v[20:21], v[8:9]
	s_delay_alu instid0(VALU_DEP_3) | instskip(SKIP_1) | instid1(VALU_DEP_1)
	v_mul_u64_e32 v[24:25], v[20:21], v[18:19]
	v_mul_hi_u32 v18, v2, v18
	v_add_nc_u64_e32 v[18:19], v[18:19], v[22:23]
	s_delay_alu instid0(VALU_DEP_1) | instskip(NEXT) | instid1(VALU_DEP_2)
	v_add_co_u32 v5, vcc_lo, v18, v24
	v_add_co_ci_u32_e32 v20, vcc_lo, v19, v25, vcc_lo
	v_add_co_ci_u32_e32 v9, vcc_lo, 0, v9, vcc_lo
	s_delay_alu instid0(VALU_DEP_1) | instskip(NEXT) | instid1(VALU_DEP_1)
	v_add_nc_u64_e32 v[8:9], v[20:21], v[8:9]
	v_mul_u64_e32 v[8:9], v[6:7], v[8:9]
	s_delay_alu instid0(VALU_DEP_1) | instskip(NEXT) | instid1(VALU_DEP_2)
	v_sub_nc_u32_e32 v5, v3, v9
	v_sub_co_u32 v2, vcc_lo, v2, v8
	s_delay_alu instid0(VALU_DEP_1) | instskip(NEXT) | instid1(VALU_DEP_3)
	v_sub_co_ci_u32_e64 v3, null, v3, v9, vcc_lo
	v_sub_co_ci_u32_e64 v5, null, v5, v7, vcc_lo
	s_delay_alu instid0(VALU_DEP_3) | instskip(SKIP_1) | instid1(VALU_DEP_3)
	v_sub_co_u32 v8, vcc_lo, v2, v6
	v_cmp_ge_u32_e64 s0, v2, v6
	v_subrev_co_ci_u32_e64 v9, null, 0, v5, vcc_lo
	v_sub_co_ci_u32_e64 v5, null, v5, v7, vcc_lo
	s_delay_alu instid0(VALU_DEP_3) | instskip(SKIP_2) | instid1(VALU_DEP_2)
	v_cndmask_b32_e64 v18, 0, -1, s0
	v_cmp_ge_u32_e64 s0, v8, v6
	v_cmp_ge_u32_e32 vcc_lo, v3, v7
	v_cndmask_b32_e64 v19, 0, -1, s0
	v_cmp_ge_u32_e64 s0, v9, v7
	v_cndmask_b32_e64 v21, 0, -1, vcc_lo
	v_cmp_eq_u32_e32 vcc_lo, v9, v7
	s_delay_alu instid0(VALU_DEP_3) | instskip(SKIP_1) | instid1(VALU_DEP_1)
	v_cndmask_b32_e64 v20, 0, -1, s0
	v_cmp_eq_u32_e64 s0, v3, v7
	v_dual_cndmask_b32 v19, v20, v19, vcc_lo :: v_dual_cndmask_b32 v18, v21, v18, s0
	v_sub_co_u32 v20, vcc_lo, v8, v6
	s_delay_alu instid0(VALU_DEP_1) | instskip(NEXT) | instid1(VALU_DEP_3)
	v_subrev_co_ci_u32_e64 v5, null, 0, v5, vcc_lo
	v_cmp_ne_u32_e32 vcc_lo, 0, v19
	s_delay_alu instid0(VALU_DEP_2) | instskip(SKIP_1) | instid1(VALU_DEP_2)
	v_dual_cndmask_b32 v5, v9, v5 :: v_dual_cndmask_b32 v8, v8, v20
	v_cmp_ne_u32_e32 vcc_lo, 0, v18
	v_dual_cndmask_b32 v9, v3, v5 :: v_dual_cndmask_b32 v8, v2, v8
                                        ; implicit-def: $vgpr2_vgpr3
.LBB29_145:                             ;   in Loop: Header=BB29_143 Depth=1
	s_and_not1_saveexec_b32 s0, s3
	s_cbranch_execz .LBB29_142
; %bb.146:                              ;   in Loop: Header=BB29_143 Depth=1
	v_cvt_f32_u32_e32 v3, v6
	v_dual_sub_nc_u32 v5, 0, v6 :: v_dual_mov_b32 v9, v4
	s_delay_alu instid0(VALU_DEP_2) | instskip(SKIP_1) | instid1(TRANS32_DEP_1)
	v_rcp_iflag_f32_e32 v3, v3
	v_nop
	v_mul_f32_e32 v3, 0x4f7ffffe, v3
	s_delay_alu instid0(VALU_DEP_1) | instskip(NEXT) | instid1(VALU_DEP_1)
	v_cvt_u32_f32_e32 v3, v3
	v_mul_lo_u32 v5, v5, v3
	s_delay_alu instid0(VALU_DEP_1) | instskip(NEXT) | instid1(VALU_DEP_1)
	v_mul_hi_u32 v5, v3, v5
	v_add_nc_u32_e32 v3, v3, v5
	s_delay_alu instid0(VALU_DEP_1) | instskip(NEXT) | instid1(VALU_DEP_1)
	v_mul_hi_u32 v3, v2, v3
	v_mul_lo_u32 v3, v3, v6
	s_delay_alu instid0(VALU_DEP_1) | instskip(NEXT) | instid1(VALU_DEP_1)
	v_sub_nc_u32_e32 v2, v2, v3
	v_sub_nc_u32_e32 v3, v2, v6
	v_cmp_ge_u32_e32 vcc_lo, v2, v6
	s_delay_alu instid0(VALU_DEP_2) | instskip(NEXT) | instid1(VALU_DEP_1)
	v_cndmask_b32_e32 v2, v2, v3, vcc_lo
	v_sub_nc_u32_e32 v3, v2, v6
	v_cmp_ge_u32_e32 vcc_lo, v2, v6
	s_delay_alu instid0(VALU_DEP_2)
	v_cndmask_b32_e32 v8, v2, v3, vcc_lo
	s_branch .LBB29_142
.LBB29_147:
	s_or_b32 exec_lo, exec_lo, s2
	v_mov_b64_e32 v[2:3], v[6:7]
.LBB29_148:
	s_or_b32 exec_lo, exec_lo, s1
	global_load_b64 v[4:5], v10, s[8:9]
	global_load_b64 v[6:7], v11, s[6:7]
	s_mov_b32 s1, exec_lo
	s_wait_loadcnt 0x1
	v_sub_nc_u64_e32 v[8:9], 0, v[4:5]
	s_delay_alu instid0(VALU_DEP_1)
	v_max_i64 v[4:5], v[4:5], v[8:9]
	s_wait_loadcnt 0x0
	v_cmpx_ne_u64_e32 0, v[6:7]
	s_cbranch_execz .LBB29_156
; %bb.149:
	v_sub_nc_u64_e32 v[8:9], 0, v[6:7]
	s_mov_b32 s2, 0
	s_delay_alu instid0(VALU_DEP_1)
	v_max_i64 v[10:11], v[6:7], v[8:9]
	v_mov_b32_e32 v6, 0
	s_branch .LBB29_151
.LBB29_150:                             ;   in Loop: Header=BB29_151 Depth=1
	s_or_b32 exec_lo, exec_lo, s0
	s_delay_alu instid0(VALU_DEP_1) | instskip(SKIP_2) | instid1(SALU_CYCLE_1)
	v_cmp_eq_u64_e32 vcc_lo, 0, v[10:11]
	v_mov_b64_e32 v[4:5], v[8:9]
	s_or_b32 s2, vcc_lo, s2
	s_and_not1_b32 exec_lo, exec_lo, s2
	s_cbranch_execz .LBB29_155
.LBB29_151:                             ; =>This Inner Loop Header: Depth=1
	s_delay_alu instid0(VALU_DEP_2) | instskip(SKIP_1) | instid1(VALU_DEP_1)
	v_mov_b64_e32 v[8:9], v[10:11]
                                        ; implicit-def: $vgpr10_vgpr11
	s_mov_b32 s0, exec_lo
	v_or_b32_e32 v7, v5, v9
	s_delay_alu instid0(VALU_DEP_1)
	v_cmpx_ne_u64_e32 0, v[6:7]
	s_xor_b32 s3, exec_lo, s0
	s_cbranch_execz .LBB29_153
; %bb.152:                              ;   in Loop: Header=BB29_151 Depth=1
	s_delay_alu instid0(VALU_DEP_3) | instskip(SKIP_3) | instid1(VALU_DEP_3)
	v_cvt_f32_u32_e32 v7, v8
	v_cvt_f32_u32_e32 v10, v9
	v_sub_nc_u64_e32 v[18:19], 0, v[8:9]
	v_dual_mov_b32 v25, v6 :: v_dual_mov_b32 v27, v6
	v_fmac_f32_e32 v7, 0x4f800000, v10
	s_delay_alu instid0(VALU_DEP_1) | instskip(SKIP_1) | instid1(TRANS32_DEP_1)
	v_rcp_f32_e32 v7, v7
	v_nop
	v_mul_f32_e32 v7, 0x5f7ffffc, v7
	s_delay_alu instid0(VALU_DEP_1) | instskip(NEXT) | instid1(VALU_DEP_1)
	v_mul_f32_e32 v10, 0x2f800000, v7
	v_trunc_f32_e32 v11, v10
	s_delay_alu instid0(VALU_DEP_1) | instskip(SKIP_1) | instid1(VALU_DEP_2)
	v_cvt_u32_f32_e32 v21, v11
	v_fmac_f32_e32 v7, 0xcf800000, v11
	v_dual_mov_b32 v11, v6 :: v_dual_mov_b32 v26, v21
	s_delay_alu instid0(VALU_DEP_2) | instskip(NEXT) | instid1(VALU_DEP_1)
	v_cvt_u32_f32_e32 v10, v7
	v_mov_b32_e32 v20, v10
	s_delay_alu instid0(VALU_DEP_1) | instskip(NEXT) | instid1(VALU_DEP_1)
	v_mul_u64_e32 v[22:23], v[18:19], v[20:21]
	v_dual_mov_b32 v24, v23 :: v_dual_mov_b32 v23, v6
	s_delay_alu instid0(VALU_DEP_1) | instskip(NEXT) | instid1(VALU_DEP_2)
	v_mul_u64_e32 v[28:29], v[10:11], v[24:25]
	v_mul_u64_e32 v[30:31], v[26:27], v[22:23]
	;; [unrolled: 1-line block ×3, first 2 shown]
	v_mul_hi_u32 v22, v10, v22
	s_delay_alu instid0(VALU_DEP_1) | instskip(NEXT) | instid1(VALU_DEP_1)
	v_add_nc_u64_e32 v[22:23], v[22:23], v[28:29]
	v_add_co_u32 v7, vcc_lo, v22, v30
	s_delay_alu instid0(VALU_DEP_2) | instskip(SKIP_1) | instid1(VALU_DEP_1)
	v_add_co_ci_u32_e32 v26, vcc_lo, v23, v31, vcc_lo
	v_add_co_ci_u32_e32 v25, vcc_lo, 0, v25, vcc_lo
	v_add_nc_u64_e32 v[22:23], v[26:27], v[24:25]
	s_delay_alu instid0(VALU_DEP_1) | instskip(NEXT) | instid1(VALU_DEP_1)
	v_add_co_u32 v10, vcc_lo, v10, v22
	v_add_co_ci_u32_e64 v20, null, v21, v23, vcc_lo
	v_dual_mov_b32 v23, v6 :: v_dual_mov_b32 v21, v6
	s_delay_alu instid0(VALU_DEP_2) | instskip(NEXT) | instid1(VALU_DEP_1)
	v_mov_b32_e32 v11, v20
	v_mul_u64_e32 v[18:19], v[18:19], v[10:11]
	s_delay_alu instid0(VALU_DEP_1) | instskip(NEXT) | instid1(VALU_DEP_2)
	v_dual_mov_b32 v11, v6 :: v_dual_mov_b32 v22, v19
	v_dual_mov_b32 v26, v18 :: v_dual_mov_b32 v19, v6
	v_mul_hi_u32 v18, v10, v18
	s_delay_alu instid0(VALU_DEP_3) | instskip(NEXT) | instid1(VALU_DEP_3)
	v_mul_u64_e32 v[24:25], v[10:11], v[22:23]
	v_mul_u64_e32 v[26:27], v[20:21], v[26:27]
	v_mul_u64_e32 v[22:23], v[20:21], v[22:23]
	s_delay_alu instid0(VALU_DEP_3) | instskip(SKIP_1) | instid1(VALU_DEP_2)
	v_add_nc_u64_e32 v[18:19], v[18:19], v[24:25]
	v_mov_b32_e32 v25, v6
	v_add_co_u32 v7, vcc_lo, v18, v26
	s_delay_alu instid0(VALU_DEP_3) | instskip(SKIP_1) | instid1(VALU_DEP_1)
	v_add_co_ci_u32_e32 v24, vcc_lo, v19, v27, vcc_lo
	v_add_co_ci_u32_e32 v23, vcc_lo, 0, v23, vcc_lo
	v_add_nc_u64_e32 v[18:19], v[24:25], v[22:23]
	v_dual_mov_b32 v22, v4 :: v_dual_mov_b32 v23, v6
	s_delay_alu instid0(VALU_DEP_2) | instskip(NEXT) | instid1(VALU_DEP_1)
	v_add_co_u32 v18, vcc_lo, v10, v18
	v_add_co_ci_u32_e64 v10, null, v20, v19, vcc_lo
	v_dual_mov_b32 v20, v5 :: v_dual_mov_b32 v19, v6
	s_delay_alu instid0(VALU_DEP_2) | instskip(NEXT) | instid1(VALU_DEP_2)
	v_mul_u64_e32 v[22:23], v[22:23], v[10:11]
	v_mul_u64_e32 v[10:11], v[20:21], v[10:11]
	s_delay_alu instid0(VALU_DEP_3) | instskip(SKIP_1) | instid1(VALU_DEP_1)
	v_mul_u64_e32 v[24:25], v[20:21], v[18:19]
	v_mul_hi_u32 v18, v4, v18
	v_add_nc_u64_e32 v[18:19], v[18:19], v[22:23]
	s_delay_alu instid0(VALU_DEP_1) | instskip(NEXT) | instid1(VALU_DEP_2)
	v_add_co_u32 v7, vcc_lo, v18, v24
	v_add_co_ci_u32_e32 v20, vcc_lo, v19, v25, vcc_lo
	v_add_co_ci_u32_e32 v11, vcc_lo, 0, v11, vcc_lo
	s_delay_alu instid0(VALU_DEP_1) | instskip(NEXT) | instid1(VALU_DEP_1)
	v_add_nc_u64_e32 v[10:11], v[20:21], v[10:11]
	v_mul_u64_e32 v[10:11], v[8:9], v[10:11]
	s_delay_alu instid0(VALU_DEP_1) | instskip(NEXT) | instid1(VALU_DEP_2)
	v_sub_nc_u32_e32 v7, v5, v11
	v_sub_co_u32 v4, vcc_lo, v4, v10
	s_delay_alu instid0(VALU_DEP_1) | instskip(NEXT) | instid1(VALU_DEP_3)
	v_sub_co_ci_u32_e64 v5, null, v5, v11, vcc_lo
	v_sub_co_ci_u32_e64 v7, null, v7, v9, vcc_lo
	s_delay_alu instid0(VALU_DEP_3) | instskip(SKIP_1) | instid1(VALU_DEP_3)
	v_sub_co_u32 v10, vcc_lo, v4, v8
	v_cmp_ge_u32_e64 s0, v4, v8
	v_subrev_co_ci_u32_e64 v11, null, 0, v7, vcc_lo
	v_sub_co_ci_u32_e64 v7, null, v7, v9, vcc_lo
	s_delay_alu instid0(VALU_DEP_3) | instskip(SKIP_2) | instid1(VALU_DEP_2)
	v_cndmask_b32_e64 v18, 0, -1, s0
	v_cmp_ge_u32_e64 s0, v10, v8
	v_cmp_ge_u32_e32 vcc_lo, v5, v9
	v_cndmask_b32_e64 v19, 0, -1, s0
	v_cmp_ge_u32_e64 s0, v11, v9
	v_cndmask_b32_e64 v21, 0, -1, vcc_lo
	v_cmp_eq_u32_e32 vcc_lo, v11, v9
	s_delay_alu instid0(VALU_DEP_3) | instskip(SKIP_1) | instid1(VALU_DEP_1)
	v_cndmask_b32_e64 v20, 0, -1, s0
	v_cmp_eq_u32_e64 s0, v5, v9
	v_dual_cndmask_b32 v19, v20, v19, vcc_lo :: v_dual_cndmask_b32 v18, v21, v18, s0
	v_sub_co_u32 v20, vcc_lo, v10, v8
	s_delay_alu instid0(VALU_DEP_1) | instskip(NEXT) | instid1(VALU_DEP_3)
	v_subrev_co_ci_u32_e64 v7, null, 0, v7, vcc_lo
	v_cmp_ne_u32_e32 vcc_lo, 0, v19
	s_delay_alu instid0(VALU_DEP_2) | instskip(SKIP_1) | instid1(VALU_DEP_2)
	v_dual_cndmask_b32 v7, v11, v7 :: v_dual_cndmask_b32 v10, v10, v20
	v_cmp_ne_u32_e32 vcc_lo, 0, v18
	v_dual_cndmask_b32 v11, v5, v7 :: v_dual_cndmask_b32 v10, v4, v10
                                        ; implicit-def: $vgpr4_vgpr5
.LBB29_153:                             ;   in Loop: Header=BB29_151 Depth=1
	s_and_not1_saveexec_b32 s0, s3
	s_cbranch_execz .LBB29_150
; %bb.154:                              ;   in Loop: Header=BB29_151 Depth=1
	v_cvt_f32_u32_e32 v5, v8
	v_dual_sub_nc_u32 v7, 0, v8 :: v_dual_mov_b32 v11, v6
	s_delay_alu instid0(VALU_DEP_2) | instskip(SKIP_1) | instid1(TRANS32_DEP_1)
	v_rcp_iflag_f32_e32 v5, v5
	v_nop
	v_mul_f32_e32 v5, 0x4f7ffffe, v5
	s_delay_alu instid0(VALU_DEP_1) | instskip(NEXT) | instid1(VALU_DEP_1)
	v_cvt_u32_f32_e32 v5, v5
	v_mul_lo_u32 v7, v7, v5
	s_delay_alu instid0(VALU_DEP_1) | instskip(NEXT) | instid1(VALU_DEP_1)
	v_mul_hi_u32 v7, v5, v7
	v_add_nc_u32_e32 v5, v5, v7
	s_delay_alu instid0(VALU_DEP_1) | instskip(NEXT) | instid1(VALU_DEP_1)
	v_mul_hi_u32 v5, v4, v5
	v_mul_lo_u32 v5, v5, v8
	s_delay_alu instid0(VALU_DEP_1) | instskip(NEXT) | instid1(VALU_DEP_1)
	v_sub_nc_u32_e32 v4, v4, v5
	v_sub_nc_u32_e32 v5, v4, v8
	v_cmp_ge_u32_e32 vcc_lo, v4, v8
	s_delay_alu instid0(VALU_DEP_2) | instskip(NEXT) | instid1(VALU_DEP_1)
	v_cndmask_b32_e32 v4, v4, v5, vcc_lo
	v_sub_nc_u32_e32 v5, v4, v8
	v_cmp_ge_u32_e32 vcc_lo, v4, v8
	s_delay_alu instid0(VALU_DEP_2)
	v_cndmask_b32_e32 v10, v4, v5, vcc_lo
	s_branch .LBB29_150
.LBB29_155:
	s_or_b32 exec_lo, exec_lo, s2
	v_mov_b64_e32 v[4:5], v[8:9]
.LBB29_156:
	s_or_b32 exec_lo, exec_lo, s1
	global_load_b64 v[8:9], v12, s[8:9]
	global_load_b64 v[6:7], v13, s[6:7]
	s_mov_b32 s1, exec_lo
	s_wait_loadcnt 0x1
	v_sub_nc_u64_e32 v[10:11], 0, v[8:9]
	s_delay_alu instid0(VALU_DEP_1)
	v_max_i64 v[10:11], v[8:9], v[10:11]
	s_wait_loadcnt 0x0
	v_cmpx_ne_u64_e32 0, v[6:7]
	s_cbranch_execz .LBB29_164
; %bb.157:
	v_sub_nc_u64_e32 v[8:9], 0, v[6:7]
	s_mov_b32 s2, 0
	s_delay_alu instid0(VALU_DEP_1)
	v_max_i64 v[12:13], v[6:7], v[8:9]
	v_mov_b32_e32 v6, 0
	s_branch .LBB29_159
.LBB29_158:                             ;   in Loop: Header=BB29_159 Depth=1
	s_or_b32 exec_lo, exec_lo, s0
	s_delay_alu instid0(VALU_DEP_1) | instskip(SKIP_2) | instid1(SALU_CYCLE_1)
	v_cmp_eq_u64_e32 vcc_lo, 0, v[12:13]
	v_mov_b64_e32 v[10:11], v[8:9]
	s_or_b32 s2, vcc_lo, s2
	s_and_not1_b32 exec_lo, exec_lo, s2
	s_cbranch_execz .LBB29_163
.LBB29_159:                             ; =>This Inner Loop Header: Depth=1
	s_delay_alu instid0(VALU_DEP_2) | instskip(SKIP_1) | instid1(VALU_DEP_1)
	v_mov_b64_e32 v[8:9], v[12:13]
                                        ; implicit-def: $vgpr12_vgpr13
	s_mov_b32 s0, exec_lo
	v_or_b32_e32 v7, v11, v9
	s_delay_alu instid0(VALU_DEP_1)
	v_cmpx_ne_u64_e32 0, v[6:7]
	s_xor_b32 s3, exec_lo, s0
	s_cbranch_execz .LBB29_161
; %bb.160:                              ;   in Loop: Header=BB29_159 Depth=1
	s_delay_alu instid0(VALU_DEP_3) | instskip(SKIP_3) | instid1(VALU_DEP_3)
	v_cvt_f32_u32_e32 v7, v8
	v_cvt_f32_u32_e32 v12, v9
	v_sub_nc_u64_e32 v[18:19], 0, v[8:9]
	v_dual_mov_b32 v25, v6 :: v_dual_mov_b32 v27, v6
	v_fmac_f32_e32 v7, 0x4f800000, v12
	s_delay_alu instid0(VALU_DEP_1) | instskip(SKIP_1) | instid1(TRANS32_DEP_1)
	v_rcp_f32_e32 v7, v7
	v_nop
	v_mul_f32_e32 v7, 0x5f7ffffc, v7
	s_delay_alu instid0(VALU_DEP_1) | instskip(NEXT) | instid1(VALU_DEP_1)
	v_mul_f32_e32 v12, 0x2f800000, v7
	v_trunc_f32_e32 v13, v12
	s_delay_alu instid0(VALU_DEP_1) | instskip(SKIP_1) | instid1(VALU_DEP_2)
	v_cvt_u32_f32_e32 v21, v13
	v_fmac_f32_e32 v7, 0xcf800000, v13
	v_dual_mov_b32 v13, v6 :: v_dual_mov_b32 v26, v21
	s_delay_alu instid0(VALU_DEP_2) | instskip(NEXT) | instid1(VALU_DEP_1)
	v_cvt_u32_f32_e32 v12, v7
	v_mov_b32_e32 v20, v12
	s_delay_alu instid0(VALU_DEP_1) | instskip(NEXT) | instid1(VALU_DEP_1)
	v_mul_u64_e32 v[22:23], v[18:19], v[20:21]
	v_dual_mov_b32 v24, v23 :: v_dual_mov_b32 v23, v6
	s_delay_alu instid0(VALU_DEP_1) | instskip(NEXT) | instid1(VALU_DEP_2)
	v_mul_u64_e32 v[28:29], v[12:13], v[24:25]
	v_mul_u64_e32 v[30:31], v[26:27], v[22:23]
	v_mul_u64_e32 v[24:25], v[26:27], v[24:25]
	v_mul_hi_u32 v22, v12, v22
	s_delay_alu instid0(VALU_DEP_1) | instskip(NEXT) | instid1(VALU_DEP_1)
	v_add_nc_u64_e32 v[22:23], v[22:23], v[28:29]
	v_add_co_u32 v7, vcc_lo, v22, v30
	s_delay_alu instid0(VALU_DEP_2) | instskip(SKIP_1) | instid1(VALU_DEP_1)
	v_add_co_ci_u32_e32 v26, vcc_lo, v23, v31, vcc_lo
	v_add_co_ci_u32_e32 v25, vcc_lo, 0, v25, vcc_lo
	v_add_nc_u64_e32 v[22:23], v[26:27], v[24:25]
	s_delay_alu instid0(VALU_DEP_1) | instskip(NEXT) | instid1(VALU_DEP_1)
	v_add_co_u32 v12, vcc_lo, v12, v22
	v_add_co_ci_u32_e64 v20, null, v21, v23, vcc_lo
	v_dual_mov_b32 v23, v6 :: v_dual_mov_b32 v21, v6
	s_delay_alu instid0(VALU_DEP_2) | instskip(NEXT) | instid1(VALU_DEP_1)
	v_mov_b32_e32 v13, v20
	v_mul_u64_e32 v[18:19], v[18:19], v[12:13]
	s_delay_alu instid0(VALU_DEP_1) | instskip(NEXT) | instid1(VALU_DEP_2)
	v_dual_mov_b32 v13, v6 :: v_dual_mov_b32 v22, v19
	v_dual_mov_b32 v26, v18 :: v_dual_mov_b32 v19, v6
	v_mul_hi_u32 v18, v12, v18
	s_delay_alu instid0(VALU_DEP_3) | instskip(NEXT) | instid1(VALU_DEP_3)
	v_mul_u64_e32 v[24:25], v[12:13], v[22:23]
	v_mul_u64_e32 v[26:27], v[20:21], v[26:27]
	;; [unrolled: 1-line block ×3, first 2 shown]
	s_delay_alu instid0(VALU_DEP_3) | instskip(SKIP_1) | instid1(VALU_DEP_2)
	v_add_nc_u64_e32 v[18:19], v[18:19], v[24:25]
	v_mov_b32_e32 v25, v6
	v_add_co_u32 v7, vcc_lo, v18, v26
	s_delay_alu instid0(VALU_DEP_3) | instskip(SKIP_1) | instid1(VALU_DEP_1)
	v_add_co_ci_u32_e32 v24, vcc_lo, v19, v27, vcc_lo
	v_add_co_ci_u32_e32 v23, vcc_lo, 0, v23, vcc_lo
	v_add_nc_u64_e32 v[18:19], v[24:25], v[22:23]
	v_dual_mov_b32 v22, v10 :: v_dual_mov_b32 v23, v6
	s_delay_alu instid0(VALU_DEP_2) | instskip(NEXT) | instid1(VALU_DEP_1)
	v_add_co_u32 v18, vcc_lo, v12, v18
	v_add_co_ci_u32_e64 v12, null, v20, v19, vcc_lo
	v_dual_mov_b32 v20, v11 :: v_dual_mov_b32 v19, v6
	s_delay_alu instid0(VALU_DEP_2) | instskip(NEXT) | instid1(VALU_DEP_2)
	v_mul_u64_e32 v[22:23], v[22:23], v[12:13]
	v_mul_u64_e32 v[12:13], v[20:21], v[12:13]
	s_delay_alu instid0(VALU_DEP_3) | instskip(SKIP_1) | instid1(VALU_DEP_1)
	v_mul_u64_e32 v[24:25], v[20:21], v[18:19]
	v_mul_hi_u32 v18, v10, v18
	v_add_nc_u64_e32 v[18:19], v[18:19], v[22:23]
	s_delay_alu instid0(VALU_DEP_1) | instskip(NEXT) | instid1(VALU_DEP_2)
	v_add_co_u32 v7, vcc_lo, v18, v24
	v_add_co_ci_u32_e32 v20, vcc_lo, v19, v25, vcc_lo
	v_add_co_ci_u32_e32 v13, vcc_lo, 0, v13, vcc_lo
	s_delay_alu instid0(VALU_DEP_1) | instskip(NEXT) | instid1(VALU_DEP_1)
	v_add_nc_u64_e32 v[12:13], v[20:21], v[12:13]
	v_mul_u64_e32 v[12:13], v[8:9], v[12:13]
	s_delay_alu instid0(VALU_DEP_1) | instskip(NEXT) | instid1(VALU_DEP_2)
	v_sub_nc_u32_e32 v7, v11, v13
	v_sub_co_u32 v10, vcc_lo, v10, v12
	s_delay_alu instid0(VALU_DEP_1) | instskip(NEXT) | instid1(VALU_DEP_3)
	v_sub_co_ci_u32_e64 v11, null, v11, v13, vcc_lo
	v_sub_co_ci_u32_e64 v7, null, v7, v9, vcc_lo
	s_delay_alu instid0(VALU_DEP_3) | instskip(SKIP_1) | instid1(VALU_DEP_3)
	v_sub_co_u32 v12, vcc_lo, v10, v8
	v_cmp_ge_u32_e64 s0, v10, v8
	v_subrev_co_ci_u32_e64 v13, null, 0, v7, vcc_lo
	v_sub_co_ci_u32_e64 v7, null, v7, v9, vcc_lo
	s_delay_alu instid0(VALU_DEP_3) | instskip(SKIP_2) | instid1(VALU_DEP_2)
	v_cndmask_b32_e64 v18, 0, -1, s0
	v_cmp_ge_u32_e64 s0, v12, v8
	v_cmp_ge_u32_e32 vcc_lo, v11, v9
	v_cndmask_b32_e64 v19, 0, -1, s0
	v_cmp_ge_u32_e64 s0, v13, v9
	v_cndmask_b32_e64 v21, 0, -1, vcc_lo
	v_cmp_eq_u32_e32 vcc_lo, v13, v9
	s_delay_alu instid0(VALU_DEP_3) | instskip(SKIP_1) | instid1(VALU_DEP_1)
	v_cndmask_b32_e64 v20, 0, -1, s0
	v_cmp_eq_u32_e64 s0, v11, v9
	v_dual_cndmask_b32 v19, v20, v19, vcc_lo :: v_dual_cndmask_b32 v18, v21, v18, s0
	v_sub_co_u32 v20, vcc_lo, v12, v8
	s_delay_alu instid0(VALU_DEP_1) | instskip(NEXT) | instid1(VALU_DEP_3)
	v_subrev_co_ci_u32_e64 v7, null, 0, v7, vcc_lo
	v_cmp_ne_u32_e32 vcc_lo, 0, v19
	s_delay_alu instid0(VALU_DEP_2) | instskip(SKIP_1) | instid1(VALU_DEP_2)
	v_dual_cndmask_b32 v7, v13, v7 :: v_dual_cndmask_b32 v12, v12, v20
	v_cmp_ne_u32_e32 vcc_lo, 0, v18
	v_dual_cndmask_b32 v13, v11, v7 :: v_dual_cndmask_b32 v12, v10, v12
                                        ; implicit-def: $vgpr10_vgpr11
.LBB29_161:                             ;   in Loop: Header=BB29_159 Depth=1
	s_and_not1_saveexec_b32 s0, s3
	s_cbranch_execz .LBB29_158
; %bb.162:                              ;   in Loop: Header=BB29_159 Depth=1
	v_cvt_f32_u32_e32 v7, v8
	v_dual_sub_nc_u32 v11, 0, v8 :: v_dual_mov_b32 v13, v6
	s_delay_alu instid0(VALU_DEP_2) | instskip(SKIP_1) | instid1(TRANS32_DEP_1)
	v_rcp_iflag_f32_e32 v7, v7
	v_nop
	v_mul_f32_e32 v7, 0x4f7ffffe, v7
	s_delay_alu instid0(VALU_DEP_1) | instskip(NEXT) | instid1(VALU_DEP_1)
	v_cvt_u32_f32_e32 v7, v7
	v_mul_lo_u32 v11, v11, v7
	s_delay_alu instid0(VALU_DEP_1) | instskip(NEXT) | instid1(VALU_DEP_1)
	v_mul_hi_u32 v11, v7, v11
	v_add_nc_u32_e32 v7, v7, v11
	s_delay_alu instid0(VALU_DEP_1) | instskip(NEXT) | instid1(VALU_DEP_1)
	v_mul_hi_u32 v7, v10, v7
	v_mul_lo_u32 v7, v7, v8
	s_delay_alu instid0(VALU_DEP_1) | instskip(NEXT) | instid1(VALU_DEP_1)
	v_sub_nc_u32_e32 v7, v10, v7
	v_sub_nc_u32_e32 v10, v7, v8
	v_cmp_ge_u32_e32 vcc_lo, v7, v8
	s_delay_alu instid0(VALU_DEP_2) | instskip(NEXT) | instid1(VALU_DEP_1)
	v_cndmask_b32_e32 v7, v7, v10, vcc_lo
	v_sub_nc_u32_e32 v10, v7, v8
	v_cmp_ge_u32_e32 vcc_lo, v7, v8
	s_delay_alu instid0(VALU_DEP_2)
	v_cndmask_b32_e32 v12, v7, v10, vcc_lo
	s_branch .LBB29_158
.LBB29_163:
	s_or_b32 exec_lo, exec_lo, s2
	v_mov_b64_e32 v[10:11], v[8:9]
.LBB29_164:
	s_or_b32 exec_lo, exec_lo, s1
	s_clause 0x3
	global_store_b64 v14, v[0:1], s[4:5]
	global_store_b64 v15, v[2:3], s[4:5]
	;; [unrolled: 1-line block ×4, first 2 shown]
	s_endpgm
	.section	.rodata,"a",@progbits
	.p2align	6, 0x0
	.amdhsa_kernel _ZN2at6native32elementwise_kernel_manual_unrollILi128ELi4EZNS0_22gpu_kernel_impl_nocastIZZZNS0_15gcd_kernel_cudaERNS_18TensorIteratorBaseEENKUlvE_clEvENKUlvE2_clEvEUlllE_EEvS4_RKT_EUlibE_EEviT1_
		.amdhsa_group_segment_fixed_size 0
		.amdhsa_private_segment_fixed_size 0
		.amdhsa_kernarg_size 432
		.amdhsa_user_sgpr_count 2
		.amdhsa_user_sgpr_dispatch_ptr 0
		.amdhsa_user_sgpr_queue_ptr 0
		.amdhsa_user_sgpr_kernarg_segment_ptr 1
		.amdhsa_user_sgpr_dispatch_id 0
		.amdhsa_user_sgpr_kernarg_preload_length 0
		.amdhsa_user_sgpr_kernarg_preload_offset 0
		.amdhsa_user_sgpr_private_segment_size 0
		.amdhsa_wavefront_size32 1
		.amdhsa_uses_dynamic_stack 0
		.amdhsa_enable_private_segment 0
		.amdhsa_system_sgpr_workgroup_id_x 1
		.amdhsa_system_sgpr_workgroup_id_y 0
		.amdhsa_system_sgpr_workgroup_id_z 0
		.amdhsa_system_sgpr_workgroup_info 0
		.amdhsa_system_vgpr_workitem_id 0
		.amdhsa_next_free_vgpr 32
		.amdhsa_next_free_sgpr 46
		.amdhsa_named_barrier_count 0
		.amdhsa_reserve_vcc 1
		.amdhsa_float_round_mode_32 0
		.amdhsa_float_round_mode_16_64 0
		.amdhsa_float_denorm_mode_32 3
		.amdhsa_float_denorm_mode_16_64 3
		.amdhsa_fp16_overflow 0
		.amdhsa_memory_ordered 1
		.amdhsa_forward_progress 1
		.amdhsa_inst_pref_size 97
		.amdhsa_round_robin_scheduling 0
		.amdhsa_exception_fp_ieee_invalid_op 0
		.amdhsa_exception_fp_denorm_src 0
		.amdhsa_exception_fp_ieee_div_zero 0
		.amdhsa_exception_fp_ieee_overflow 0
		.amdhsa_exception_fp_ieee_underflow 0
		.amdhsa_exception_fp_ieee_inexact 0
		.amdhsa_exception_int_div_zero 0
	.end_amdhsa_kernel
	.section	.text._ZN2at6native32elementwise_kernel_manual_unrollILi128ELi4EZNS0_22gpu_kernel_impl_nocastIZZZNS0_15gcd_kernel_cudaERNS_18TensorIteratorBaseEENKUlvE_clEvENKUlvE2_clEvEUlllE_EEvS4_RKT_EUlibE_EEviT1_,"axG",@progbits,_ZN2at6native32elementwise_kernel_manual_unrollILi128ELi4EZNS0_22gpu_kernel_impl_nocastIZZZNS0_15gcd_kernel_cudaERNS_18TensorIteratorBaseEENKUlvE_clEvENKUlvE2_clEvEUlllE_EEvS4_RKT_EUlibE_EEviT1_,comdat
.Lfunc_end29:
	.size	_ZN2at6native32elementwise_kernel_manual_unrollILi128ELi4EZNS0_22gpu_kernel_impl_nocastIZZZNS0_15gcd_kernel_cudaERNS_18TensorIteratorBaseEENKUlvE_clEvENKUlvE2_clEvEUlllE_EEvS4_RKT_EUlibE_EEviT1_, .Lfunc_end29-_ZN2at6native32elementwise_kernel_manual_unrollILi128ELi4EZNS0_22gpu_kernel_impl_nocastIZZZNS0_15gcd_kernel_cudaERNS_18TensorIteratorBaseEENKUlvE_clEvENKUlvE2_clEvEUlllE_EEvS4_RKT_EUlibE_EEviT1_
                                        ; -- End function
	.set _ZN2at6native32elementwise_kernel_manual_unrollILi128ELi4EZNS0_22gpu_kernel_impl_nocastIZZZNS0_15gcd_kernel_cudaERNS_18TensorIteratorBaseEENKUlvE_clEvENKUlvE2_clEvEUlllE_EEvS4_RKT_EUlibE_EEviT1_.num_vgpr, 32
	.set _ZN2at6native32elementwise_kernel_manual_unrollILi128ELi4EZNS0_22gpu_kernel_impl_nocastIZZZNS0_15gcd_kernel_cudaERNS_18TensorIteratorBaseEENKUlvE_clEvENKUlvE2_clEvEUlllE_EEvS4_RKT_EUlibE_EEviT1_.num_agpr, 0
	.set _ZN2at6native32elementwise_kernel_manual_unrollILi128ELi4EZNS0_22gpu_kernel_impl_nocastIZZZNS0_15gcd_kernel_cudaERNS_18TensorIteratorBaseEENKUlvE_clEvENKUlvE2_clEvEUlllE_EEvS4_RKT_EUlibE_EEviT1_.numbered_sgpr, 46
	.set _ZN2at6native32elementwise_kernel_manual_unrollILi128ELi4EZNS0_22gpu_kernel_impl_nocastIZZZNS0_15gcd_kernel_cudaERNS_18TensorIteratorBaseEENKUlvE_clEvENKUlvE2_clEvEUlllE_EEvS4_RKT_EUlibE_EEviT1_.num_named_barrier, 0
	.set _ZN2at6native32elementwise_kernel_manual_unrollILi128ELi4EZNS0_22gpu_kernel_impl_nocastIZZZNS0_15gcd_kernel_cudaERNS_18TensorIteratorBaseEENKUlvE_clEvENKUlvE2_clEvEUlllE_EEvS4_RKT_EUlibE_EEviT1_.private_seg_size, 0
	.set _ZN2at6native32elementwise_kernel_manual_unrollILi128ELi4EZNS0_22gpu_kernel_impl_nocastIZZZNS0_15gcd_kernel_cudaERNS_18TensorIteratorBaseEENKUlvE_clEvENKUlvE2_clEvEUlllE_EEvS4_RKT_EUlibE_EEviT1_.uses_vcc, 1
	.set _ZN2at6native32elementwise_kernel_manual_unrollILi128ELi4EZNS0_22gpu_kernel_impl_nocastIZZZNS0_15gcd_kernel_cudaERNS_18TensorIteratorBaseEENKUlvE_clEvENKUlvE2_clEvEUlllE_EEvS4_RKT_EUlibE_EEviT1_.uses_flat_scratch, 0
	.set _ZN2at6native32elementwise_kernel_manual_unrollILi128ELi4EZNS0_22gpu_kernel_impl_nocastIZZZNS0_15gcd_kernel_cudaERNS_18TensorIteratorBaseEENKUlvE_clEvENKUlvE2_clEvEUlllE_EEvS4_RKT_EUlibE_EEviT1_.has_dyn_sized_stack, 0
	.set _ZN2at6native32elementwise_kernel_manual_unrollILi128ELi4EZNS0_22gpu_kernel_impl_nocastIZZZNS0_15gcd_kernel_cudaERNS_18TensorIteratorBaseEENKUlvE_clEvENKUlvE2_clEvEUlllE_EEvS4_RKT_EUlibE_EEviT1_.has_recursion, 0
	.set _ZN2at6native32elementwise_kernel_manual_unrollILi128ELi4EZNS0_22gpu_kernel_impl_nocastIZZZNS0_15gcd_kernel_cudaERNS_18TensorIteratorBaseEENKUlvE_clEvENKUlvE2_clEvEUlllE_EEvS4_RKT_EUlibE_EEviT1_.has_indirect_call, 0
	.section	.AMDGPU.csdata,"",@progbits
; Kernel info:
; codeLenInByte = 12392
; TotalNumSgprs: 48
; NumVgprs: 32
; ScratchSize: 0
; MemoryBound: 0
; FloatMode: 240
; IeeeMode: 1
; LDSByteSize: 0 bytes/workgroup (compile time only)
; SGPRBlocks: 0
; VGPRBlocks: 1
; NumSGPRsForWavesPerEU: 48
; NumVGPRsForWavesPerEU: 32
; NamedBarCnt: 0
; Occupancy: 16
; WaveLimiterHint : 1
; COMPUTE_PGM_RSRC2:SCRATCH_EN: 0
; COMPUTE_PGM_RSRC2:USER_SGPR: 2
; COMPUTE_PGM_RSRC2:TRAP_HANDLER: 0
; COMPUTE_PGM_RSRC2:TGID_X_EN: 1
; COMPUTE_PGM_RSRC2:TGID_Y_EN: 0
; COMPUTE_PGM_RSRC2:TGID_Z_EN: 0
; COMPUTE_PGM_RSRC2:TIDIG_COMP_CNT: 0
	.section	.text._ZN2at6native32elementwise_kernel_manual_unrollILi128ELi4EZNS0_15gpu_kernel_implIZZZNS0_15gcd_kernel_cudaERNS_18TensorIteratorBaseEENKUlvE_clEvENKUlvE2_clEvEUlllE_EEvS4_RKT_EUlibE_EEviT1_,"axG",@progbits,_ZN2at6native32elementwise_kernel_manual_unrollILi128ELi4EZNS0_15gpu_kernel_implIZZZNS0_15gcd_kernel_cudaERNS_18TensorIteratorBaseEENKUlvE_clEvENKUlvE2_clEvEUlllE_EEvS4_RKT_EUlibE_EEviT1_,comdat
	.globl	_ZN2at6native32elementwise_kernel_manual_unrollILi128ELi4EZNS0_15gpu_kernel_implIZZZNS0_15gcd_kernel_cudaERNS_18TensorIteratorBaseEENKUlvE_clEvENKUlvE2_clEvEUlllE_EEvS4_RKT_EUlibE_EEviT1_ ; -- Begin function _ZN2at6native32elementwise_kernel_manual_unrollILi128ELi4EZNS0_15gpu_kernel_implIZZZNS0_15gcd_kernel_cudaERNS_18TensorIteratorBaseEENKUlvE_clEvENKUlvE2_clEvEUlllE_EEvS4_RKT_EUlibE_EEviT1_
	.p2align	8
	.type	_ZN2at6native32elementwise_kernel_manual_unrollILi128ELi4EZNS0_15gpu_kernel_implIZZZNS0_15gcd_kernel_cudaERNS_18TensorIteratorBaseEENKUlvE_clEvENKUlvE2_clEvEUlllE_EEvS4_RKT_EUlibE_EEviT1_,@function
_ZN2at6native32elementwise_kernel_manual_unrollILi128ELi4EZNS0_15gpu_kernel_implIZZZNS0_15gcd_kernel_cudaERNS_18TensorIteratorBaseEENKUlvE_clEvENKUlvE2_clEvEUlllE_EEvS4_RKT_EUlibE_EEviT1_: ; @_ZN2at6native32elementwise_kernel_manual_unrollILi128ELi4EZNS0_15gpu_kernel_implIZZZNS0_15gcd_kernel_cudaERNS_18TensorIteratorBaseEENKUlvE_clEvENKUlvE2_clEvEUlllE_EEvS4_RKT_EUlibE_EEviT1_
; %bb.0:
	v_mov_b32_e32 v1, 0
	s_bfe_u32 s4, ttmp6, 0x4000c
	s_load_b32 s16, s[0:1], 0x0
	s_add_co_i32 s13, s4, 1
	s_load_b128 s[4:7], s[0:1], 0x8
	s_clause 0x1
	global_load_u16 v2, v1, s[0:1] offset:45
	global_load_i8 v3, v1, s[0:1] offset:47
	s_clause 0x1
	s_load_b64 s[2:3], s[0:1], 0x18
	s_load_b96 s[8:10], s[0:1], 0x20
	s_and_b32 s12, ttmp6, 15
	s_wait_xcnt 0x0
	s_mul_i32 s0, ttmp9, s13
	s_getreg_b32 s14, hwreg(HW_REG_IB_STS2, 6, 4)
	s_add_co_i32 s12, s12, s0
	s_mov_b32 s15, 0
	s_wait_loadcnt 0x1
	v_readfirstlane_b32 s11, v2
	s_wait_loadcnt 0x0
	v_readfirstlane_b32 s1, v3
	s_lshr_b32 s13, s11, 8
	s_cmp_eq_u32 s14, 0
	s_cselect_b32 s0, ttmp9, s12
	s_mov_b32 s12, 0
	v_lshl_or_b32 v16, s0, 9, v0
	s_mov_b32 s0, exec_lo
	s_delay_alu instid0(VALU_DEP_1) | instskip(SKIP_1) | instid1(VALU_DEP_1)
	v_or_b32_e32 v0, 0x180, v16
	s_wait_kmcnt 0x0
	v_cmpx_le_i32_e64 s16, v0
	s_xor_b32 s14, exec_lo, s0
	s_cbranch_execz .LBB30_1547
; %bb.1:
	s_mov_b32 s23, -1
	s_mov_b32 s20, 0
	s_mov_b32 s18, 0
	;; [unrolled: 1-line block ×3, first 2 shown]
	s_mov_b32 s19, exec_lo
	v_cmpx_gt_i32_e64 s16, v16
	s_cbranch_execz .LBB30_382
; %bb.2:
	v_mul_lo_u32 v0, v16, s9
	s_and_b32 s0, s13, 0xff
	s_delay_alu instid0(SALU_CYCLE_1) | instskip(NEXT) | instid1(VALU_DEP_1)
	s_cmp_lt_i32 s0, 11
	v_ashrrev_i32_e32 v1, 31, v0
	s_delay_alu instid0(VALU_DEP_1)
	v_add_nc_u64_e32 v[2:3], s[6:7], v[0:1]
	s_cbranch_scc1 .LBB30_9
; %bb.3:
	s_and_b32 s15, 0xffff, s0
	s_delay_alu instid0(SALU_CYCLE_1)
	s_cmp_gt_i32 s15, 25
	s_cbranch_scc0 .LBB30_18
; %bb.4:
	s_cmp_gt_i32 s15, 28
	s_cbranch_scc0 .LBB30_28
; %bb.5:
	;; [unrolled: 3-line block ×4, first 2 shown]
	s_cmp_eq_u32 s15, 46
	s_mov_b32 s21, 0
	s_cbranch_scc0 .LBB30_45
; %bb.8:
	global_load_b32 v0, v[2:3], off
	s_mov_b32 s17, -1
	s_wait_loadcnt 0x0
	v_lshlrev_b32_e32 v0, 16, v0
	s_delay_alu instid0(VALU_DEP_1) | instskip(NEXT) | instid1(VALU_DEP_1)
	v_trunc_f32_e32 v0, v0
	v_mul_f32_e64 v1, 0x2f800000, |v0|
	s_delay_alu instid0(VALU_DEP_1) | instskip(NEXT) | instid1(VALU_DEP_1)
	v_floor_f32_e32 v1, v1
	v_fma_f32 v4, 0xcf800000, v1, |v0|
	v_ashrrev_i32_e32 v0, 31, v0
	v_cvt_u32_f32_e32 v5, v1
	s_delay_alu instid0(VALU_DEP_3) | instskip(NEXT) | instid1(VALU_DEP_2)
	v_cvt_u32_f32_e32 v4, v4
	v_dual_mov_b32 v1, v0 :: v_dual_bitop2_b32 v5, v5, v0 bitop3:0x14
	s_delay_alu instid0(VALU_DEP_2) | instskip(NEXT) | instid1(VALU_DEP_1)
	v_xor_b32_e32 v4, v4, v0
	v_sub_nc_u64_e32 v[0:1], v[4:5], v[0:1]
	s_branch .LBB30_47
.LBB30_9:
                                        ; implicit-def: $vgpr0_vgpr1
	s_cbranch_execnz .LBB30_109
.LBB30_10:
	s_and_not1_b32 vcc_lo, exec_lo, s17
	s_cbranch_vccnz .LBB30_156
.LBB30_11:
	s_wait_xcnt 0x0
	v_mul_lo_u32 v2, v16, s10
	s_and_b32 s0, s1, 0xff
	s_delay_alu instid0(SALU_CYCLE_1) | instskip(NEXT) | instid1(VALU_DEP_1)
	s_cmp_lt_i32 s0, 11
	v_ashrrev_i32_e32 v3, 31, v2
	s_delay_alu instid0(VALU_DEP_1)
	v_add_nc_u64_e32 v[2:3], s[2:3], v[2:3]
	s_cbranch_scc1 .LBB30_19
; %bb.12:
	s_and_b32 s15, 0xffff, s0
	s_delay_alu instid0(SALU_CYCLE_1)
	s_cmp_gt_i32 s15, 25
	s_cbranch_scc0 .LBB30_29
; %bb.13:
	s_cmp_gt_i32 s15, 28
	s_cbranch_scc0 .LBB30_40
; %bb.14:
	;; [unrolled: 3-line block ×4, first 2 shown]
	s_cmp_eq_u32 s15, 46
	s_mov_b32 s22, 0
	s_cbranch_scc0 .LBB30_157
; %bb.17:
	global_load_b32 v4, v[2:3], off
	s_mov_b32 s21, -1
	s_mov_b32 s17, 0
	s_wait_loadcnt 0x0
	v_lshlrev_b32_e32 v4, 16, v4
	s_delay_alu instid0(VALU_DEP_1) | instskip(NEXT) | instid1(VALU_DEP_1)
	v_trunc_f32_e32 v4, v4
	v_mul_f32_e64 v5, 0x2f800000, |v4|
	s_delay_alu instid0(VALU_DEP_1) | instskip(NEXT) | instid1(VALU_DEP_1)
	v_floor_f32_e32 v5, v5
	v_fma_f32 v6, 0xcf800000, v5, |v4|
	v_ashrrev_i32_e32 v4, 31, v4
	v_cvt_u32_f32_e32 v7, v5
	s_delay_alu instid0(VALU_DEP_3) | instskip(NEXT) | instid1(VALU_DEP_2)
	v_cvt_u32_f32_e32 v6, v6
	v_dual_mov_b32 v5, v4 :: v_dual_bitop2_b32 v7, v7, v4 bitop3:0x14
	s_delay_alu instid0(VALU_DEP_2) | instskip(NEXT) | instid1(VALU_DEP_1)
	v_xor_b32_e32 v6, v6, v4
	v_sub_nc_u64_e32 v[4:5], v[6:7], v[4:5]
	s_branch .LBB30_159
.LBB30_18:
                                        ; implicit-def: $vgpr0_vgpr1
	s_cbranch_execnz .LBB30_76
	s_branch .LBB30_108
.LBB30_19:
	s_mov_b32 s17, 0
	s_mov_b32 s21, 0
                                        ; implicit-def: $vgpr4_vgpr5
	s_cbranch_execnz .LBB30_331
.LBB30_20:
	s_and_not1_b32 vcc_lo, exec_lo, s21
	s_cbranch_vccnz .LBB30_379
.LBB30_21:
	s_wait_loadcnt 0x0
	s_delay_alu instid0(VALU_DEP_1) | instskip(SKIP_1) | instid1(VALU_DEP_1)
	v_sub_nc_u64_e32 v[2:3], 0, v[4:5]
	s_mov_b32 s15, exec_lo
	v_max_i64 v[2:3], v[4:5], v[2:3]
	v_cmpx_ne_u64_e32 0, v[0:1]
	s_cbranch_execz .LBB30_31
; %bb.22:
	v_sub_nc_u64_e32 v[4:5], 0, v[0:1]
	s_mov_b32 s21, 0
	s_delay_alu instid0(VALU_DEP_1)
	v_max_i64 v[6:7], v[0:1], v[4:5]
	v_mov_b32_e32 v0, 0
	s_branch .LBB30_24
.LBB30_23:                              ;   in Loop: Header=BB30_24 Depth=1
	s_or_b32 exec_lo, exec_lo, s0
	s_delay_alu instid0(VALU_DEP_1) | instskip(SKIP_2) | instid1(SALU_CYCLE_1)
	v_cmp_eq_u64_e32 vcc_lo, 0, v[6:7]
	v_mov_b64_e32 v[2:3], v[4:5]
	s_or_b32 s21, vcc_lo, s21
	s_and_not1_b32 exec_lo, exec_lo, s21
	s_cbranch_execz .LBB30_30
.LBB30_24:                              ; =>This Inner Loop Header: Depth=1
	s_delay_alu instid0(VALU_DEP_2) | instskip(SKIP_1) | instid1(VALU_DEP_1)
	v_mov_b64_e32 v[4:5], v[6:7]
                                        ; implicit-def: $vgpr6_vgpr7
	s_mov_b32 s0, exec_lo
	v_or_b32_e32 v1, v3, v5
	s_delay_alu instid0(VALU_DEP_1)
	v_cmpx_ne_u64_e32 0, v[0:1]
	s_xor_b32 s22, exec_lo, s0
	s_cbranch_execz .LBB30_26
; %bb.25:                               ;   in Loop: Header=BB30_24 Depth=1
	s_delay_alu instid0(VALU_DEP_3) | instskip(SKIP_3) | instid1(VALU_DEP_3)
	v_cvt_f32_u32_e32 v1, v4
	v_cvt_f32_u32_e32 v6, v5
	v_sub_nc_u64_e32 v[8:9], 0, v[4:5]
	v_dual_mov_b32 v15, v0 :: v_dual_mov_b32 v19, v0
	v_fmac_f32_e32 v1, 0x4f800000, v6
	s_delay_alu instid0(VALU_DEP_1) | instskip(SKIP_1) | instid1(TRANS32_DEP_1)
	v_rcp_f32_e32 v1, v1
	v_nop
	v_mul_f32_e32 v1, 0x5f7ffffc, v1
	s_delay_alu instid0(VALU_DEP_1) | instskip(NEXT) | instid1(VALU_DEP_1)
	v_mul_f32_e32 v6, 0x2f800000, v1
	v_trunc_f32_e32 v7, v6
	s_delay_alu instid0(VALU_DEP_1) | instskip(SKIP_1) | instid1(VALU_DEP_2)
	v_cvt_u32_f32_e32 v11, v7
	v_fmac_f32_e32 v1, 0xcf800000, v7
	v_dual_mov_b32 v7, v0 :: v_dual_mov_b32 v18, v11
	s_delay_alu instid0(VALU_DEP_2) | instskip(NEXT) | instid1(VALU_DEP_1)
	v_cvt_u32_f32_e32 v6, v1
	v_mov_b32_e32 v10, v6
	s_delay_alu instid0(VALU_DEP_1) | instskip(NEXT) | instid1(VALU_DEP_1)
	v_mul_u64_e32 v[12:13], v[8:9], v[10:11]
	v_dual_mov_b32 v14, v13 :: v_dual_mov_b32 v13, v0
	s_delay_alu instid0(VALU_DEP_1) | instskip(NEXT) | instid1(VALU_DEP_2)
	v_mul_u64_e32 v[20:21], v[6:7], v[14:15]
	v_mul_u64_e32 v[22:23], v[18:19], v[12:13]
	;; [unrolled: 1-line block ×3, first 2 shown]
	v_mul_hi_u32 v12, v6, v12
	s_delay_alu instid0(VALU_DEP_1) | instskip(NEXT) | instid1(VALU_DEP_1)
	v_add_nc_u64_e32 v[12:13], v[12:13], v[20:21]
	v_add_co_u32 v1, vcc_lo, v12, v22
	s_delay_alu instid0(VALU_DEP_2) | instskip(SKIP_1) | instid1(VALU_DEP_1)
	v_add_co_ci_u32_e32 v18, vcc_lo, v13, v23, vcc_lo
	v_add_co_ci_u32_e32 v15, vcc_lo, 0, v15, vcc_lo
	v_add_nc_u64_e32 v[12:13], v[18:19], v[14:15]
	s_delay_alu instid0(VALU_DEP_1) | instskip(NEXT) | instid1(VALU_DEP_1)
	v_add_co_u32 v6, vcc_lo, v6, v12
	v_add_co_ci_u32_e64 v10, null, v11, v13, vcc_lo
	v_dual_mov_b32 v13, v0 :: v_dual_mov_b32 v11, v0
	s_delay_alu instid0(VALU_DEP_2) | instskip(NEXT) | instid1(VALU_DEP_1)
	v_mov_b32_e32 v7, v10
	v_mul_u64_e32 v[8:9], v[8:9], v[6:7]
	s_delay_alu instid0(VALU_DEP_1) | instskip(NEXT) | instid1(VALU_DEP_2)
	v_dual_mov_b32 v7, v0 :: v_dual_mov_b32 v12, v9
	v_dual_mov_b32 v18, v8 :: v_dual_mov_b32 v9, v0
	v_mul_hi_u32 v8, v6, v8
	s_delay_alu instid0(VALU_DEP_3) | instskip(NEXT) | instid1(VALU_DEP_3)
	v_mul_u64_e32 v[14:15], v[6:7], v[12:13]
	v_mul_u64_e32 v[18:19], v[10:11], v[18:19]
	;; [unrolled: 1-line block ×3, first 2 shown]
	s_delay_alu instid0(VALU_DEP_3) | instskip(SKIP_1) | instid1(VALU_DEP_2)
	v_add_nc_u64_e32 v[8:9], v[8:9], v[14:15]
	v_mov_b32_e32 v15, v0
	v_add_co_u32 v1, vcc_lo, v8, v18
	s_delay_alu instid0(VALU_DEP_3) | instskip(SKIP_1) | instid1(VALU_DEP_1)
	v_add_co_ci_u32_e32 v14, vcc_lo, v9, v19, vcc_lo
	v_add_co_ci_u32_e32 v13, vcc_lo, 0, v13, vcc_lo
	v_add_nc_u64_e32 v[8:9], v[14:15], v[12:13]
	v_dual_mov_b32 v12, v2 :: v_dual_mov_b32 v13, v0
	s_delay_alu instid0(VALU_DEP_2) | instskip(NEXT) | instid1(VALU_DEP_1)
	v_add_co_u32 v8, vcc_lo, v6, v8
	v_add_co_ci_u32_e64 v6, null, v10, v9, vcc_lo
	v_dual_mov_b32 v10, v3 :: v_dual_mov_b32 v9, v0
	s_delay_alu instid0(VALU_DEP_2) | instskip(NEXT) | instid1(VALU_DEP_2)
	v_mul_u64_e32 v[12:13], v[12:13], v[6:7]
	v_mul_u64_e32 v[6:7], v[10:11], v[6:7]
	s_delay_alu instid0(VALU_DEP_3) | instskip(SKIP_1) | instid1(VALU_DEP_1)
	v_mul_u64_e32 v[14:15], v[10:11], v[8:9]
	v_mul_hi_u32 v8, v2, v8
	v_add_nc_u64_e32 v[8:9], v[8:9], v[12:13]
	s_delay_alu instid0(VALU_DEP_1) | instskip(NEXT) | instid1(VALU_DEP_2)
	v_add_co_u32 v1, vcc_lo, v8, v14
	v_add_co_ci_u32_e32 v10, vcc_lo, v9, v15, vcc_lo
	v_add_co_ci_u32_e32 v7, vcc_lo, 0, v7, vcc_lo
	s_delay_alu instid0(VALU_DEP_1) | instskip(NEXT) | instid1(VALU_DEP_1)
	v_add_nc_u64_e32 v[6:7], v[10:11], v[6:7]
	v_mul_u64_e32 v[6:7], v[4:5], v[6:7]
	s_delay_alu instid0(VALU_DEP_1) | instskip(NEXT) | instid1(VALU_DEP_2)
	v_sub_nc_u32_e32 v1, v3, v7
	v_sub_co_u32 v2, vcc_lo, v2, v6
	s_delay_alu instid0(VALU_DEP_1) | instskip(NEXT) | instid1(VALU_DEP_3)
	v_sub_co_ci_u32_e64 v3, null, v3, v7, vcc_lo
	v_sub_co_ci_u32_e64 v1, null, v1, v5, vcc_lo
	s_delay_alu instid0(VALU_DEP_3) | instskip(SKIP_1) | instid1(VALU_DEP_3)
	v_sub_co_u32 v6, vcc_lo, v2, v4
	v_cmp_ge_u32_e64 s0, v2, v4
	v_subrev_co_ci_u32_e64 v7, null, 0, v1, vcc_lo
	v_sub_co_ci_u32_e64 v1, null, v1, v5, vcc_lo
	s_delay_alu instid0(VALU_DEP_3) | instskip(SKIP_2) | instid1(VALU_DEP_2)
	v_cndmask_b32_e64 v8, 0, -1, s0
	v_cmp_ge_u32_e64 s0, v6, v4
	v_cmp_ge_u32_e32 vcc_lo, v3, v5
	v_cndmask_b32_e64 v9, 0, -1, s0
	v_cmp_ge_u32_e64 s0, v7, v5
	v_cndmask_b32_e64 v11, 0, -1, vcc_lo
	v_cmp_eq_u32_e32 vcc_lo, v7, v5
	s_delay_alu instid0(VALU_DEP_3) | instskip(SKIP_1) | instid1(VALU_DEP_1)
	v_cndmask_b32_e64 v10, 0, -1, s0
	v_cmp_eq_u32_e64 s0, v3, v5
	v_dual_cndmask_b32 v9, v10, v9, vcc_lo :: v_dual_cndmask_b32 v8, v11, v8, s0
	v_sub_co_u32 v10, vcc_lo, v6, v4
	s_delay_alu instid0(VALU_DEP_1) | instskip(NEXT) | instid1(VALU_DEP_3)
	v_subrev_co_ci_u32_e64 v1, null, 0, v1, vcc_lo
	v_cmp_ne_u32_e32 vcc_lo, 0, v9
	s_delay_alu instid0(VALU_DEP_2) | instskip(SKIP_1) | instid1(VALU_DEP_2)
	v_dual_cndmask_b32 v1, v7, v1 :: v_dual_cndmask_b32 v6, v6, v10
	v_cmp_ne_u32_e32 vcc_lo, 0, v8
	v_dual_cndmask_b32 v7, v3, v1 :: v_dual_cndmask_b32 v6, v2, v6
                                        ; implicit-def: $vgpr2_vgpr3
.LBB30_26:                              ;   in Loop: Header=BB30_24 Depth=1
	s_and_not1_saveexec_b32 s0, s22
	s_cbranch_execz .LBB30_23
; %bb.27:                               ;   in Loop: Header=BB30_24 Depth=1
	v_cvt_f32_u32_e32 v1, v4
	v_dual_sub_nc_u32 v3, 0, v4 :: v_dual_mov_b32 v7, v0
	s_delay_alu instid0(VALU_DEP_2) | instskip(SKIP_1) | instid1(TRANS32_DEP_1)
	v_rcp_iflag_f32_e32 v1, v1
	v_nop
	v_mul_f32_e32 v1, 0x4f7ffffe, v1
	s_delay_alu instid0(VALU_DEP_1) | instskip(NEXT) | instid1(VALU_DEP_1)
	v_cvt_u32_f32_e32 v1, v1
	v_mul_lo_u32 v3, v3, v1
	s_delay_alu instid0(VALU_DEP_1) | instskip(NEXT) | instid1(VALU_DEP_1)
	v_mul_hi_u32 v3, v1, v3
	v_add_nc_u32_e32 v1, v1, v3
	s_delay_alu instid0(VALU_DEP_1) | instskip(NEXT) | instid1(VALU_DEP_1)
	v_mul_hi_u32 v1, v2, v1
	v_mul_lo_u32 v1, v1, v4
	s_delay_alu instid0(VALU_DEP_1) | instskip(NEXT) | instid1(VALU_DEP_1)
	v_sub_nc_u32_e32 v1, v2, v1
	v_sub_nc_u32_e32 v2, v1, v4
	v_cmp_ge_u32_e32 vcc_lo, v1, v4
	s_delay_alu instid0(VALU_DEP_2) | instskip(NEXT) | instid1(VALU_DEP_1)
	v_cndmask_b32_e32 v1, v1, v2, vcc_lo
	v_sub_nc_u32_e32 v2, v1, v4
	v_cmp_ge_u32_e32 vcc_lo, v1, v4
	s_delay_alu instid0(VALU_DEP_2)
	v_cndmask_b32_e32 v6, v1, v2, vcc_lo
	s_branch .LBB30_23
.LBB30_28:
	s_mov_b32 s21, -1
                                        ; implicit-def: $vgpr0_vgpr1
	s_branch .LBB30_59
.LBB30_29:
	s_mov_b32 s22, -1
	s_mov_b32 s17, 0
	s_mov_b32 s21, 0
                                        ; implicit-def: $vgpr4_vgpr5
	s_branch .LBB30_297
.LBB30_30:
	s_or_b32 exec_lo, exec_lo, s21
	v_mov_b64_e32 v[2:3], v[4:5]
.LBB30_31:
	s_or_b32 exec_lo, exec_lo, s15
	v_mul_lo_u32 v0, v16, s8
	s_and_b32 s15, s11, 0xff
	s_delay_alu instid0(SALU_CYCLE_1) | instskip(NEXT) | instid1(VALU_DEP_1)
	s_cmp_lt_i32 s15, 11
	v_ashrrev_i32_e32 v1, 31, v0
	s_delay_alu instid0(VALU_DEP_1)
	v_add_nc_u64_e32 v[0:1], s[4:5], v[0:1]
	s_cbranch_scc1 .LBB30_38
; %bb.32:
	s_and_b32 s21, 0xffff, s15
	s_delay_alu instid0(SALU_CYCLE_1)
	s_cmp_gt_i32 s21, 25
	s_cbranch_scc0 .LBB30_41
; %bb.33:
	s_cmp_gt_i32 s21, 28
	s_cbranch_scc0 .LBB30_44
; %bb.34:
	;; [unrolled: 3-line block ×4, first 2 shown]
	s_mov_b32 s23, 0
	s_mov_b32 s0, -1
	s_cmp_eq_u32 s21, 46
	s_mov_b32 s22, 0
	s_cbranch_scc0 .LBB30_163
; %bb.37:
	s_delay_alu instid0(VALU_DEP_4) | instskip(SKIP_2) | instid1(VALU_DEP_1)
	v_clz_i32_u32_e32 v4, v3
	s_mov_b32 s22, -1
	s_mov_b32 s0, 0
	v_min_u32_e32 v6, 32, v4
	s_delay_alu instid0(VALU_DEP_1) | instskip(NEXT) | instid1(VALU_DEP_1)
	v_lshlrev_b64_e32 v[4:5], v6, v[2:3]
	v_min_u32_e32 v4, 1, v4
	s_delay_alu instid0(VALU_DEP_1) | instskip(NEXT) | instid1(VALU_DEP_1)
	v_dual_sub_nc_u32 v5, 32, v6 :: v_dual_bitop2_b32 v4, v5, v4 bitop3:0x54
	v_cvt_f32_u32_e32 v4, v4
	s_delay_alu instid0(VALU_DEP_1) | instskip(NEXT) | instid1(VALU_DEP_1)
	v_ldexp_f32 v4, v4, v5
	v_bfe_u32 v5, v4, 16, 1
	s_delay_alu instid0(VALU_DEP_1) | instskip(NEXT) | instid1(VALU_DEP_1)
	v_add3_u32 v4, v4, v5, 0x7fff
	v_lshrrev_b32_e32 v4, 16, v4
	global_store_b32 v[0:1], v4, off
	s_branch .LBB30_163
.LBB30_38:
	s_mov_b32 s21, -1
	s_mov_b32 s0, 0
	s_mov_b32 s22, 0
	s_branch .LBB30_232
.LBB30_39:
	s_mov_b32 s21, -1
                                        ; implicit-def: $vgpr0_vgpr1
	s_branch .LBB30_54
.LBB30_40:
	s_mov_b32 s22, -1
	s_mov_b32 s17, 0
	s_mov_b32 s21, 0
                                        ; implicit-def: $vgpr4_vgpr5
	s_branch .LBB30_280
.LBB30_41:
	s_mov_b32 s23, -1
	s_mov_b32 s0, 0
	s_mov_b32 s22, 0
	s_branch .LBB30_190
.LBB30_42:
	s_mov_b32 s21, -1
	s_branch .LBB30_46
.LBB30_43:
	s_mov_b32 s22, -1
	s_mov_b32 s17, 0
	s_mov_b32 s21, 0
                                        ; implicit-def: $vgpr4_vgpr5
	s_branch .LBB30_275
.LBB30_44:
	s_mov_b32 s23, -1
	s_mov_b32 s0, 0
	s_mov_b32 s22, 0
	s_branch .LBB30_173
.LBB30_45:
	s_mov_b32 s18, -1
.LBB30_46:
                                        ; implicit-def: $vgpr0_vgpr1
.LBB30_47:
	s_and_b32 vcc_lo, exec_lo, s21
	s_cbranch_vccz .LBB30_53
; %bb.48:
	s_cmp_eq_u32 s15, 44
	s_cbranch_scc0 .LBB30_52
; %bb.49:
	global_load_u8 v6, v[2:3], off
	s_mov_b32 s18, 0
	s_mov_b32 s17, -1
	s_wait_loadcnt 0x0
	v_cmp_ne_u32_e32 vcc_lo, 0, v6
	v_lshlrev_b32_e32 v0, 23, v6
	s_delay_alu instid0(VALU_DEP_1) | instskip(NEXT) | instid1(VALU_DEP_1)
	v_trunc_f32_e32 v0, v0
	v_mul_f32_e64 v1, 0x2f800000, |v0|
	s_delay_alu instid0(VALU_DEP_1) | instskip(NEXT) | instid1(VALU_DEP_1)
	v_floor_f32_e32 v1, v1
	v_fma_f32 v4, 0xcf800000, v1, |v0|
	v_ashrrev_i32_e32 v0, 31, v0
	v_cvt_u32_f32_e32 v5, v1
	s_delay_alu instid0(VALU_DEP_3) | instskip(NEXT) | instid1(VALU_DEP_2)
	v_cvt_u32_f32_e32 v4, v4
	v_dual_mov_b32 v1, v0 :: v_dual_bitop2_b32 v5, v5, v0 bitop3:0x14
	s_delay_alu instid0(VALU_DEP_2) | instskip(NEXT) | instid1(VALU_DEP_1)
	v_xor_b32_e32 v4, v4, v0
	v_sub_nc_u64_e32 v[0:1], v[4:5], v[0:1]
	s_delay_alu instid0(VALU_DEP_1)
	v_dual_cndmask_b32 v1, 0, v1 :: v_dual_cndmask_b32 v0, 0, v0
	s_branch .LBB30_53
.LBB30_50:
	s_mov_b32 s22, -1
	s_mov_b32 s17, 0
	s_branch .LBB30_158
.LBB30_51:
	s_mov_b32 s23, -1
	s_mov_b32 s0, 0
	s_mov_b32 s22, 0
	s_branch .LBB30_169
.LBB30_52:
	s_mov_b32 s18, -1
                                        ; implicit-def: $vgpr0_vgpr1
.LBB30_53:
	s_mov_b32 s21, 0
.LBB30_54:
	s_delay_alu instid0(SALU_CYCLE_1)
	s_and_b32 vcc_lo, exec_lo, s21
	s_cbranch_vccz .LBB30_58
; %bb.55:
	s_cmp_eq_u32 s15, 29
	s_cbranch_scc0 .LBB30_57
; %bb.56:
	global_load_b64 v[0:1], v[2:3], off
	s_mov_b32 s17, -1
	s_mov_b32 s18, 0
	s_branch .LBB30_58
.LBB30_57:
	s_mov_b32 s18, -1
                                        ; implicit-def: $vgpr0_vgpr1
.LBB30_58:
	s_mov_b32 s21, 0
.LBB30_59:
	s_delay_alu instid0(SALU_CYCLE_1)
	s_and_b32 vcc_lo, exec_lo, s21
	s_cbranch_vccz .LBB30_75
; %bb.60:
	s_cmp_lt_i32 s15, 27
	s_cbranch_scc1 .LBB30_63
; %bb.61:
	s_cmp_gt_i32 s15, 27
	s_cbranch_scc0 .LBB30_64
; %bb.62:
	s_wait_loadcnt 0x0
	global_load_b32 v0, v[2:3], off
	v_mov_b32_e32 v1, 0
	s_mov_b32 s17, 0
	s_branch .LBB30_65
.LBB30_63:
	s_mov_b32 s17, -1
                                        ; implicit-def: $vgpr0_vgpr1
	s_branch .LBB30_68
.LBB30_64:
	s_mov_b32 s17, -1
                                        ; implicit-def: $vgpr0_vgpr1
.LBB30_65:
	s_delay_alu instid0(SALU_CYCLE_1)
	s_and_not1_b32 vcc_lo, exec_lo, s17
	s_cbranch_vccnz .LBB30_67
; %bb.66:
	s_wait_loadcnt 0x0
	global_load_u16 v0, v[2:3], off
	s_mov_b32 s17, 0
	s_delay_alu instid0(SALU_CYCLE_1)
	v_mov_b32_e32 v1, s17
	s_wait_loadcnt 0x0
	v_and_b32_e32 v0, 0xffff, v0
.LBB30_67:
	s_mov_b32 s17, 0
.LBB30_68:
	s_delay_alu instid0(SALU_CYCLE_1)
	s_and_not1_b32 vcc_lo, exec_lo, s17
	s_cbranch_vccnz .LBB30_74
; %bb.69:
	global_load_u8 v4, v[2:3], off
	s_mov_b32 s21, 0
	s_mov_b32 s17, exec_lo
	s_wait_loadcnt 0x0
	v_cmpx_lt_i16_e32 0x7f, v4
	s_xor_b32 s17, exec_lo, s17
	s_cbranch_execz .LBB30_85
; %bb.70:
	v_cmp_ne_u16_e32 vcc_lo, 0x80, v4
	s_and_b32 s21, vcc_lo, exec_lo
	s_and_not1_saveexec_b32 s17, s17
	s_cbranch_execnz .LBB30_86
.LBB30_71:
	s_or_b32 exec_lo, exec_lo, s17
	v_mov_b64_e32 v[0:1], 0
	s_and_saveexec_b32 s17, s21
	s_cbranch_execz .LBB30_73
.LBB30_72:
	v_and_b32_e32 v0, 0xffff, v4
	s_delay_alu instid0(VALU_DEP_1) | instskip(SKIP_1) | instid1(VALU_DEP_2)
	v_and_b32_e32 v1, 7, v0
	v_bfe_u32 v7, v0, 3, 4
	v_clz_i32_u32_e32 v5, v1
	s_delay_alu instid0(VALU_DEP_2) | instskip(NEXT) | instid1(VALU_DEP_2)
	v_cmp_eq_u32_e32 vcc_lo, 0, v7
	v_min_u32_e32 v5, 32, v5
	s_delay_alu instid0(VALU_DEP_1) | instskip(NEXT) | instid1(VALU_DEP_1)
	v_subrev_nc_u32_e32 v6, 28, v5
	v_dual_lshlrev_b32 v0, v6, v0 :: v_dual_sub_nc_u32 v5, 29, v5
	s_delay_alu instid0(VALU_DEP_1) | instskip(NEXT) | instid1(VALU_DEP_2)
	v_and_b32_e32 v0, 7, v0
	v_dual_cndmask_b32 v5, v7, v5 :: v_dual_lshlrev_b32 v4, 24, v4
	s_delay_alu instid0(VALU_DEP_2) | instskip(NEXT) | instid1(VALU_DEP_2)
	v_cndmask_b32_e32 v0, v1, v0, vcc_lo
	v_and_b32_e32 v1, 0x80000000, v4
	s_delay_alu instid0(VALU_DEP_3) | instskip(NEXT) | instid1(VALU_DEP_3)
	v_lshl_add_u32 v4, v5, 23, 0x3b800000
	v_lshlrev_b32_e32 v0, 20, v0
	s_delay_alu instid0(VALU_DEP_1) | instskip(NEXT) | instid1(VALU_DEP_1)
	v_or3_b32 v0, v1, v4, v0
	v_trunc_f32_e32 v0, v0
	s_delay_alu instid0(VALU_DEP_1) | instskip(NEXT) | instid1(VALU_DEP_1)
	v_mul_f32_e64 v1, 0x2f800000, |v0|
	v_floor_f32_e32 v1, v1
	s_delay_alu instid0(VALU_DEP_1) | instskip(SKIP_2) | instid1(VALU_DEP_3)
	v_fma_f32 v4, 0xcf800000, v1, |v0|
	v_ashrrev_i32_e32 v0, 31, v0
	v_cvt_u32_f32_e32 v5, v1
	v_cvt_u32_f32_e32 v4, v4
	s_delay_alu instid0(VALU_DEP_2) | instskip(NEXT) | instid1(VALU_DEP_2)
	v_dual_mov_b32 v1, v0 :: v_dual_bitop2_b32 v5, v5, v0 bitop3:0x14
	v_xor_b32_e32 v4, v4, v0
	s_delay_alu instid0(VALU_DEP_1)
	v_sub_nc_u64_e32 v[0:1], v[4:5], v[0:1]
.LBB30_73:
	s_or_b32 exec_lo, exec_lo, s17
.LBB30_74:
	s_mov_b32 s17, -1
.LBB30_75:
	s_branch .LBB30_108
.LBB30_76:
	s_cmp_gt_i32 s15, 22
	s_cbranch_scc0 .LBB30_84
; %bb.77:
	s_cmp_lt_i32 s15, 24
	s_cbranch_scc1 .LBB30_87
; %bb.78:
	s_cmp_gt_i32 s15, 24
	s_cbranch_scc0 .LBB30_88
; %bb.79:
	global_load_u8 v4, v[2:3], off
	s_mov_b32 s21, 0
	s_mov_b32 s17, exec_lo
	s_wait_loadcnt 0x0
	v_cmpx_lt_i16_e32 0x7f, v4
	s_xor_b32 s17, exec_lo, s17
	s_cbranch_execz .LBB30_100
; %bb.80:
	v_cmp_ne_u16_e32 vcc_lo, 0x80, v4
	s_and_b32 s21, vcc_lo, exec_lo
	s_and_not1_saveexec_b32 s17, s17
	s_cbranch_execnz .LBB30_101
.LBB30_81:
	s_or_b32 exec_lo, exec_lo, s17
	v_mov_b64_e32 v[0:1], 0
	s_and_saveexec_b32 s17, s21
	s_cbranch_execz .LBB30_83
.LBB30_82:
	v_and_b32_e32 v0, 0xffff, v4
	s_delay_alu instid0(VALU_DEP_1) | instskip(SKIP_1) | instid1(VALU_DEP_2)
	v_and_b32_e32 v1, 3, v0
	v_bfe_u32 v7, v0, 2, 5
	v_clz_i32_u32_e32 v5, v1
	s_delay_alu instid0(VALU_DEP_2) | instskip(NEXT) | instid1(VALU_DEP_2)
	v_cmp_eq_u32_e32 vcc_lo, 0, v7
	v_min_u32_e32 v5, 32, v5
	s_delay_alu instid0(VALU_DEP_1) | instskip(NEXT) | instid1(VALU_DEP_1)
	v_subrev_nc_u32_e32 v6, 29, v5
	v_dual_lshlrev_b32 v0, v6, v0 :: v_dual_sub_nc_u32 v5, 30, v5
	s_delay_alu instid0(VALU_DEP_1) | instskip(NEXT) | instid1(VALU_DEP_2)
	v_and_b32_e32 v0, 3, v0
	v_dual_cndmask_b32 v5, v7, v5 :: v_dual_lshlrev_b32 v4, 24, v4
	s_delay_alu instid0(VALU_DEP_2) | instskip(NEXT) | instid1(VALU_DEP_2)
	v_cndmask_b32_e32 v0, v1, v0, vcc_lo
	v_and_b32_e32 v1, 0x80000000, v4
	s_delay_alu instid0(VALU_DEP_3) | instskip(NEXT) | instid1(VALU_DEP_3)
	v_lshl_add_u32 v4, v5, 23, 0x37800000
	v_lshlrev_b32_e32 v0, 21, v0
	s_delay_alu instid0(VALU_DEP_1) | instskip(NEXT) | instid1(VALU_DEP_1)
	v_or3_b32 v0, v1, v4, v0
	v_trunc_f32_e32 v0, v0
	s_delay_alu instid0(VALU_DEP_1) | instskip(NEXT) | instid1(VALU_DEP_1)
	v_mul_f32_e64 v1, 0x2f800000, |v0|
	v_floor_f32_e32 v1, v1
	s_delay_alu instid0(VALU_DEP_1) | instskip(SKIP_2) | instid1(VALU_DEP_3)
	v_fma_f32 v4, 0xcf800000, v1, |v0|
	v_ashrrev_i32_e32 v0, 31, v0
	v_cvt_u32_f32_e32 v5, v1
	v_cvt_u32_f32_e32 v4, v4
	s_delay_alu instid0(VALU_DEP_2) | instskip(NEXT) | instid1(VALU_DEP_2)
	v_dual_mov_b32 v1, v0 :: v_dual_bitop2_b32 v5, v5, v0 bitop3:0x14
	v_xor_b32_e32 v4, v4, v0
	s_delay_alu instid0(VALU_DEP_1)
	v_sub_nc_u64_e32 v[0:1], v[4:5], v[0:1]
.LBB30_83:
	s_or_b32 exec_lo, exec_lo, s17
	s_mov_b32 s17, 0
	s_branch .LBB30_89
.LBB30_84:
	s_mov_b32 s21, -1
                                        ; implicit-def: $vgpr0_vgpr1
	s_branch .LBB30_95
.LBB30_85:
	s_and_not1_saveexec_b32 s17, s17
	s_cbranch_execz .LBB30_71
.LBB30_86:
	v_cmp_ne_u16_e32 vcc_lo, 0, v4
	s_and_not1_b32 s21, s21, exec_lo
	s_and_b32 s22, vcc_lo, exec_lo
	s_delay_alu instid0(SALU_CYCLE_1)
	s_or_b32 s21, s21, s22
	s_or_b32 exec_lo, exec_lo, s17
	v_mov_b64_e32 v[0:1], 0
	s_and_saveexec_b32 s17, s21
	s_cbranch_execnz .LBB30_72
	s_branch .LBB30_73
.LBB30_87:
	s_mov_b32 s17, -1
                                        ; implicit-def: $vgpr0_vgpr1
	s_branch .LBB30_92
.LBB30_88:
	s_mov_b32 s17, -1
                                        ; implicit-def: $vgpr0_vgpr1
.LBB30_89:
	s_delay_alu instid0(SALU_CYCLE_1)
	s_and_b32 vcc_lo, exec_lo, s17
	s_cbranch_vccz .LBB30_91
; %bb.90:
	s_wait_loadcnt 0x0
	global_load_u8 v0, v[2:3], off
	s_wait_loadcnt 0x0
	v_lshlrev_b32_e32 v0, 24, v0
	s_delay_alu instid0(VALU_DEP_1) | instskip(NEXT) | instid1(VALU_DEP_1)
	v_and_b32_e32 v1, 0x7f000000, v0
	v_clz_i32_u32_e32 v4, v1
	v_cmp_ne_u32_e32 vcc_lo, 0, v1
	v_add_nc_u32_e32 v6, 0x1000000, v1
	s_delay_alu instid0(VALU_DEP_3) | instskip(NEXT) | instid1(VALU_DEP_1)
	v_min_u32_e32 v4, 32, v4
	v_sub_nc_u32_e64 v4, v4, 4 clamp
	s_delay_alu instid0(VALU_DEP_1) | instskip(NEXT) | instid1(VALU_DEP_1)
	v_dual_lshlrev_b32 v5, v4, v1 :: v_dual_lshlrev_b32 v4, 23, v4
	v_lshrrev_b32_e32 v5, 4, v5
	s_delay_alu instid0(VALU_DEP_1) | instskip(NEXT) | instid1(VALU_DEP_1)
	v_dual_sub_nc_u32 v4, v5, v4 :: v_dual_ashrrev_i32 v5, 8, v6
	v_add_nc_u32_e32 v4, 0x3c000000, v4
	s_delay_alu instid0(VALU_DEP_1) | instskip(NEXT) | instid1(VALU_DEP_1)
	v_and_or_b32 v4, 0x7f800000, v5, v4
	v_cndmask_b32_e32 v1, 0, v4, vcc_lo
	s_delay_alu instid0(VALU_DEP_1) | instskip(NEXT) | instid1(VALU_DEP_1)
	v_and_or_b32 v0, 0x80000000, v0, v1
	v_trunc_f32_e32 v0, v0
	s_delay_alu instid0(VALU_DEP_1) | instskip(NEXT) | instid1(VALU_DEP_1)
	v_mul_f32_e64 v1, 0x2f800000, |v0|
	v_floor_f32_e32 v1, v1
	s_delay_alu instid0(VALU_DEP_1) | instskip(SKIP_2) | instid1(VALU_DEP_3)
	v_fma_f32 v4, 0xcf800000, v1, |v0|
	v_ashrrev_i32_e32 v0, 31, v0
	v_cvt_u32_f32_e32 v5, v1
	v_cvt_u32_f32_e32 v4, v4
	s_delay_alu instid0(VALU_DEP_2) | instskip(NEXT) | instid1(VALU_DEP_2)
	v_dual_mov_b32 v1, v0 :: v_dual_bitop2_b32 v5, v5, v0 bitop3:0x14
	v_xor_b32_e32 v4, v4, v0
	s_delay_alu instid0(VALU_DEP_1)
	v_sub_nc_u64_e32 v[0:1], v[4:5], v[0:1]
.LBB30_91:
	s_mov_b32 s17, 0
.LBB30_92:
	s_delay_alu instid0(SALU_CYCLE_1)
	s_and_not1_b32 vcc_lo, exec_lo, s17
	s_cbranch_vccnz .LBB30_94
; %bb.93:
	s_wait_loadcnt 0x0
	global_load_u8 v0, v[2:3], off
	s_wait_loadcnt 0x0
	v_lshlrev_b32_e32 v1, 25, v0
	v_lshlrev_b16 v0, 8, v0
	s_delay_alu instid0(VALU_DEP_1) | instskip(SKIP_1) | instid1(VALU_DEP_2)
	v_and_or_b32 v5, 0x7f00, v0, 0.5
	v_bfe_i32 v0, v0, 0, 16
	v_add_f32_e32 v5, -0.5, v5
	v_lshrrev_b32_e32 v4, 4, v1
	v_cmp_gt_u32_e32 vcc_lo, 0x8000000, v1
	s_delay_alu instid0(VALU_DEP_2) | instskip(NEXT) | instid1(VALU_DEP_1)
	v_or_b32_e32 v4, 0x70000000, v4
	v_mul_f32_e32 v4, 0x7800000, v4
	s_delay_alu instid0(VALU_DEP_1) | instskip(NEXT) | instid1(VALU_DEP_1)
	v_cndmask_b32_e32 v1, v4, v5, vcc_lo
	v_and_or_b32 v0, 0x80000000, v0, v1
	s_delay_alu instid0(VALU_DEP_1) | instskip(NEXT) | instid1(VALU_DEP_1)
	v_trunc_f32_e32 v0, v0
	v_mul_f32_e64 v1, 0x2f800000, |v0|
	s_delay_alu instid0(VALU_DEP_1) | instskip(NEXT) | instid1(VALU_DEP_1)
	v_floor_f32_e32 v1, v1
	v_fma_f32 v4, 0xcf800000, v1, |v0|
	v_ashrrev_i32_e32 v0, 31, v0
	v_cvt_u32_f32_e32 v5, v1
	s_delay_alu instid0(VALU_DEP_3) | instskip(NEXT) | instid1(VALU_DEP_2)
	v_cvt_u32_f32_e32 v4, v4
	v_dual_mov_b32 v1, v0 :: v_dual_bitop2_b32 v5, v5, v0 bitop3:0x14
	s_delay_alu instid0(VALU_DEP_2) | instskip(NEXT) | instid1(VALU_DEP_1)
	v_xor_b32_e32 v4, v4, v0
	v_sub_nc_u64_e32 v[0:1], v[4:5], v[0:1]
.LBB30_94:
	s_mov_b32 s21, 0
	s_mov_b32 s17, -1
.LBB30_95:
	s_and_not1_b32 vcc_lo, exec_lo, s21
	s_cbranch_vccnz .LBB30_108
; %bb.96:
	s_cmp_gt_i32 s15, 14
	s_cbranch_scc0 .LBB30_99
; %bb.97:
	s_cmp_eq_u32 s15, 15
	s_cbranch_scc0 .LBB30_102
; %bb.98:
	s_wait_loadcnt 0x0
	global_load_u16 v0, v[2:3], off
	s_mov_b32 s17, -1
	s_mov_b32 s18, 0
	s_wait_loadcnt 0x0
	v_lshlrev_b32_e32 v0, 16, v0
	s_delay_alu instid0(VALU_DEP_1) | instskip(NEXT) | instid1(VALU_DEP_1)
	v_trunc_f32_e32 v0, v0
	v_mul_f32_e64 v1, 0x2f800000, |v0|
	s_delay_alu instid0(VALU_DEP_1) | instskip(NEXT) | instid1(VALU_DEP_1)
	v_floor_f32_e32 v1, v1
	v_fma_f32 v4, 0xcf800000, v1, |v0|
	v_ashrrev_i32_e32 v0, 31, v0
	v_cvt_u32_f32_e32 v5, v1
	s_delay_alu instid0(VALU_DEP_3) | instskip(NEXT) | instid1(VALU_DEP_2)
	v_cvt_u32_f32_e32 v4, v4
	v_dual_mov_b32 v1, v0 :: v_dual_bitop2_b32 v5, v5, v0 bitop3:0x14
	s_delay_alu instid0(VALU_DEP_2) | instskip(NEXT) | instid1(VALU_DEP_1)
	v_xor_b32_e32 v4, v4, v0
	v_sub_nc_u64_e32 v[0:1], v[4:5], v[0:1]
	s_branch .LBB30_103
.LBB30_99:
	s_mov_b32 s21, -1
                                        ; implicit-def: $vgpr0_vgpr1
	s_branch .LBB30_104
.LBB30_100:
	s_and_not1_saveexec_b32 s17, s17
	s_cbranch_execz .LBB30_81
.LBB30_101:
	v_cmp_ne_u16_e32 vcc_lo, 0, v4
	s_and_not1_b32 s21, s21, exec_lo
	s_and_b32 s22, vcc_lo, exec_lo
	s_delay_alu instid0(SALU_CYCLE_1)
	s_or_b32 s21, s21, s22
	s_or_b32 exec_lo, exec_lo, s17
	v_mov_b64_e32 v[0:1], 0
	s_and_saveexec_b32 s17, s21
	s_cbranch_execnz .LBB30_82
	s_branch .LBB30_83
.LBB30_102:
	s_mov_b32 s18, -1
                                        ; implicit-def: $vgpr0_vgpr1
.LBB30_103:
	s_mov_b32 s21, 0
.LBB30_104:
	s_delay_alu instid0(SALU_CYCLE_1)
	s_and_b32 vcc_lo, exec_lo, s21
	s_cbranch_vccz .LBB30_108
; %bb.105:
	s_cmp_eq_u32 s15, 11
	s_cbranch_scc0 .LBB30_107
; %bb.106:
	s_wait_loadcnt 0x0
	global_load_u8 v0, v[2:3], off
	s_mov_b32 s18, 0
	s_mov_b32 s17, -1
	v_mov_b32_e32 v1, s18
	s_wait_loadcnt 0x0
	v_cmp_ne_u16_e32 vcc_lo, 0, v0
	v_cndmask_b32_e64 v0, 0, 1, vcc_lo
	s_branch .LBB30_108
.LBB30_107:
	s_mov_b32 s18, -1
                                        ; implicit-def: $vgpr0_vgpr1
.LBB30_108:
	s_branch .LBB30_10
.LBB30_109:
	s_and_b32 s0, 0xffff, s0
	s_delay_alu instid0(SALU_CYCLE_1)
	s_cmp_lt_i32 s0, 5
	s_cbranch_scc1 .LBB30_114
; %bb.110:
	s_cmp_lt_i32 s0, 8
	s_cbranch_scc1 .LBB30_115
; %bb.111:
	s_cmp_lt_i32 s0, 9
	s_cbranch_scc1 .LBB30_116
; %bb.112:
	s_cmp_gt_i32 s0, 9
	s_cbranch_scc0 .LBB30_117
; %bb.113:
	s_wait_loadcnt 0x0
	global_load_b64 v[0:1], v[2:3], off
	s_mov_b32 s15, 0
	s_wait_loadcnt 0x0
	v_trunc_f64_e32 v[0:1], v[0:1]
	s_delay_alu instid0(VALU_DEP_1) | instskip(NEXT) | instid1(VALU_DEP_1)
	v_ldexp_f64 v[4:5], v[0:1], 0xffffffe0
	v_floor_f64_e32 v[4:5], v[4:5]
	s_delay_alu instid0(VALU_DEP_1) | instskip(SKIP_1) | instid1(VALU_DEP_2)
	v_fmamk_f64 v[6:7], v[4:5], 0xc1f00000, v[0:1]
	v_cvt_i32_f64_e32 v1, v[4:5]
	v_cvt_u32_f64_e32 v0, v[6:7]
	s_branch .LBB30_118
.LBB30_114:
                                        ; implicit-def: $vgpr0_vgpr1
	s_branch .LBB30_136
.LBB30_115:
	s_mov_b32 s15, -1
                                        ; implicit-def: $vgpr0_vgpr1
	s_branch .LBB30_124
.LBB30_116:
	s_mov_b32 s15, -1
                                        ; implicit-def: $vgpr0_vgpr1
	s_branch .LBB30_121
.LBB30_117:
	s_mov_b32 s15, -1
                                        ; implicit-def: $vgpr0_vgpr1
.LBB30_118:
	s_delay_alu instid0(SALU_CYCLE_1)
	s_and_not1_b32 vcc_lo, exec_lo, s15
	s_cbranch_vccnz .LBB30_120
; %bb.119:
	s_wait_loadcnt 0x0
	global_load_b32 v0, v[2:3], off
	s_wait_loadcnt 0x0
	v_trunc_f32_e32 v0, v0
	s_delay_alu instid0(VALU_DEP_1) | instskip(NEXT) | instid1(VALU_DEP_1)
	v_mul_f32_e64 v1, 0x2f800000, |v0|
	v_floor_f32_e32 v1, v1
	s_delay_alu instid0(VALU_DEP_1) | instskip(SKIP_2) | instid1(VALU_DEP_3)
	v_fma_f32 v4, 0xcf800000, v1, |v0|
	v_ashrrev_i32_e32 v0, 31, v0
	v_cvt_u32_f32_e32 v5, v1
	v_cvt_u32_f32_e32 v4, v4
	s_delay_alu instid0(VALU_DEP_2) | instskip(NEXT) | instid1(VALU_DEP_2)
	v_dual_mov_b32 v1, v0 :: v_dual_bitop2_b32 v5, v5, v0 bitop3:0x14
	v_xor_b32_e32 v4, v4, v0
	s_delay_alu instid0(VALU_DEP_1)
	v_sub_nc_u64_e32 v[0:1], v[4:5], v[0:1]
.LBB30_120:
	s_mov_b32 s15, 0
.LBB30_121:
	s_delay_alu instid0(SALU_CYCLE_1)
	s_and_not1_b32 vcc_lo, exec_lo, s15
	s_cbranch_vccnz .LBB30_123
; %bb.122:
	s_wait_loadcnt 0x0
	global_load_b32 v0, v[2:3], off
	s_wait_loadcnt 0x0
	v_cvt_f32_f16_e32 v0, v0
	s_delay_alu instid0(VALU_DEP_1) | instskip(NEXT) | instid1(VALU_DEP_1)
	v_cvt_i32_f32_e32 v0, v0
	v_ashrrev_i32_e32 v1, 31, v0
.LBB30_123:
	s_mov_b32 s15, 0
.LBB30_124:
	s_delay_alu instid0(SALU_CYCLE_1)
	s_and_not1_b32 vcc_lo, exec_lo, s15
	s_cbranch_vccnz .LBB30_135
; %bb.125:
	s_cmp_lt_i32 s0, 6
	s_cbranch_scc1 .LBB30_128
; %bb.126:
	s_cmp_gt_i32 s0, 6
	s_cbranch_scc0 .LBB30_129
; %bb.127:
	s_wait_loadcnt 0x0
	global_load_b64 v[0:1], v[2:3], off
	s_mov_b32 s15, 0
	s_wait_loadcnt 0x0
	v_trunc_f64_e32 v[0:1], v[0:1]
	s_delay_alu instid0(VALU_DEP_1) | instskip(NEXT) | instid1(VALU_DEP_1)
	v_ldexp_f64 v[4:5], v[0:1], 0xffffffe0
	v_floor_f64_e32 v[4:5], v[4:5]
	s_delay_alu instid0(VALU_DEP_1) | instskip(SKIP_1) | instid1(VALU_DEP_2)
	v_fmamk_f64 v[6:7], v[4:5], 0xc1f00000, v[0:1]
	v_cvt_i32_f64_e32 v1, v[4:5]
	v_cvt_u32_f64_e32 v0, v[6:7]
	s_branch .LBB30_130
.LBB30_128:
	s_mov_b32 s15, -1
                                        ; implicit-def: $vgpr0_vgpr1
	s_branch .LBB30_133
.LBB30_129:
	s_mov_b32 s15, -1
                                        ; implicit-def: $vgpr0_vgpr1
.LBB30_130:
	s_delay_alu instid0(SALU_CYCLE_1)
	s_and_not1_b32 vcc_lo, exec_lo, s15
	s_cbranch_vccnz .LBB30_132
; %bb.131:
	s_wait_loadcnt 0x0
	global_load_b32 v0, v[2:3], off
	s_wait_loadcnt 0x0
	v_trunc_f32_e32 v0, v0
	s_delay_alu instid0(VALU_DEP_1) | instskip(NEXT) | instid1(VALU_DEP_1)
	v_mul_f32_e64 v1, 0x2f800000, |v0|
	v_floor_f32_e32 v1, v1
	s_delay_alu instid0(VALU_DEP_1) | instskip(SKIP_2) | instid1(VALU_DEP_3)
	v_fma_f32 v4, 0xcf800000, v1, |v0|
	v_ashrrev_i32_e32 v0, 31, v0
	v_cvt_u32_f32_e32 v5, v1
	v_cvt_u32_f32_e32 v4, v4
	s_delay_alu instid0(VALU_DEP_2) | instskip(NEXT) | instid1(VALU_DEP_2)
	v_dual_mov_b32 v1, v0 :: v_dual_bitop2_b32 v5, v5, v0 bitop3:0x14
	v_xor_b32_e32 v4, v4, v0
	s_delay_alu instid0(VALU_DEP_1)
	v_sub_nc_u64_e32 v[0:1], v[4:5], v[0:1]
.LBB30_132:
	s_mov_b32 s15, 0
.LBB30_133:
	s_delay_alu instid0(SALU_CYCLE_1)
	s_and_not1_b32 vcc_lo, exec_lo, s15
	s_cbranch_vccnz .LBB30_135
; %bb.134:
	s_wait_loadcnt 0x0
	global_load_u16 v0, v[2:3], off
	s_wait_loadcnt 0x0
	v_cvt_f32_f16_e32 v0, v0
	s_delay_alu instid0(VALU_DEP_1) | instskip(NEXT) | instid1(VALU_DEP_1)
	v_cvt_i32_f32_e32 v0, v0
	v_ashrrev_i32_e32 v1, 31, v0
.LBB30_135:
	s_cbranch_execnz .LBB30_155
.LBB30_136:
	s_cmp_lt_i32 s0, 2
	s_cbranch_scc1 .LBB30_140
; %bb.137:
	s_cmp_lt_i32 s0, 3
	s_cbranch_scc1 .LBB30_141
; %bb.138:
	s_cmp_gt_i32 s0, 3
	s_cbranch_scc0 .LBB30_142
; %bb.139:
	s_wait_loadcnt 0x0
	global_load_b64 v[0:1], v[2:3], off
	s_mov_b32 s15, 0
	s_branch .LBB30_143
.LBB30_140:
	s_mov_b32 s15, -1
                                        ; implicit-def: $vgpr0_vgpr1
	s_branch .LBB30_149
.LBB30_141:
	s_mov_b32 s15, -1
                                        ; implicit-def: $vgpr0_vgpr1
	s_branch .LBB30_146
.LBB30_142:
	s_mov_b32 s15, -1
                                        ; implicit-def: $vgpr0_vgpr1
.LBB30_143:
	s_delay_alu instid0(SALU_CYCLE_1)
	s_and_not1_b32 vcc_lo, exec_lo, s15
	s_cbranch_vccnz .LBB30_145
; %bb.144:
	s_wait_loadcnt 0x0
	global_load_b32 v0, v[2:3], off
	s_wait_loadcnt 0x0
	v_ashrrev_i32_e32 v1, 31, v0
.LBB30_145:
	s_mov_b32 s15, 0
.LBB30_146:
	s_delay_alu instid0(SALU_CYCLE_1)
	s_and_not1_b32 vcc_lo, exec_lo, s15
	s_cbranch_vccnz .LBB30_148
; %bb.147:
	s_wait_loadcnt 0x0
	global_load_u16 v0, v[2:3], off
	s_wait_loadcnt 0x0
	v_bfe_i32 v0, v0, 0, 16
	s_delay_alu instid0(VALU_DEP_1)
	v_ashrrev_i32_e32 v1, 31, v0
.LBB30_148:
	s_mov_b32 s15, 0
.LBB30_149:
	s_delay_alu instid0(SALU_CYCLE_1)
	s_and_not1_b32 vcc_lo, exec_lo, s15
	s_cbranch_vccnz .LBB30_155
; %bb.150:
	s_cmp_gt_i32 s0, 0
	s_mov_b32 s0, 0
	s_cbranch_scc0 .LBB30_152
; %bb.151:
	s_wait_loadcnt 0x0
	global_load_i8 v0, v[2:3], off
	s_wait_loadcnt 0x0
	v_bfe_i32 v0, v0, 0, 16
	s_delay_alu instid0(VALU_DEP_1)
	v_ashrrev_i32_e32 v1, 31, v0
	s_branch .LBB30_153
.LBB30_152:
	s_mov_b32 s0, -1
                                        ; implicit-def: $vgpr0_vgpr1
.LBB30_153:
	s_delay_alu instid0(SALU_CYCLE_1)
	s_and_not1_b32 vcc_lo, exec_lo, s0
	s_cbranch_vccnz .LBB30_155
; %bb.154:
	s_wait_loadcnt 0x0
	global_load_u8 v0, v[2:3], off
	s_mov_b32 s0, 0
	s_delay_alu instid0(SALU_CYCLE_1)
	v_mov_b32_e32 v1, s0
	s_wait_loadcnt 0x0
	v_and_b32_e32 v0, 0xffff, v0
.LBB30_155:
	s_branch .LBB30_11
.LBB30_156:
	s_mov_b32 s0, 0
	s_mov_b32 s17, 0
	s_branch .LBB30_380
.LBB30_157:
	s_mov_b32 s17, -1
.LBB30_158:
	s_mov_b32 s21, 0
                                        ; implicit-def: $vgpr4_vgpr5
.LBB30_159:
	s_and_b32 vcc_lo, exec_lo, s22
	s_cbranch_vccz .LBB30_274
; %bb.160:
	s_cmp_eq_u32 s15, 44
	s_cbranch_scc0 .LBB30_273
; %bb.161:
	global_load_u8 v8, v[2:3], off
	s_mov_b32 s17, 0
	s_mov_b32 s21, -1
	s_wait_loadcnt 0x0
	v_cmp_ne_u32_e32 vcc_lo, 0, v8
	v_lshlrev_b32_e32 v4, 23, v8
	s_delay_alu instid0(VALU_DEP_1) | instskip(NEXT) | instid1(VALU_DEP_1)
	v_trunc_f32_e32 v4, v4
	v_mul_f32_e64 v5, 0x2f800000, |v4|
	s_delay_alu instid0(VALU_DEP_1) | instskip(NEXT) | instid1(VALU_DEP_1)
	v_floor_f32_e32 v5, v5
	v_fma_f32 v6, 0xcf800000, v5, |v4|
	v_ashrrev_i32_e32 v4, 31, v4
	v_cvt_u32_f32_e32 v7, v5
	s_delay_alu instid0(VALU_DEP_3) | instskip(NEXT) | instid1(VALU_DEP_2)
	v_cvt_u32_f32_e32 v6, v6
	v_dual_mov_b32 v5, v4 :: v_dual_bitop2_b32 v7, v7, v4 bitop3:0x14
	s_delay_alu instid0(VALU_DEP_2) | instskip(NEXT) | instid1(VALU_DEP_1)
	v_xor_b32_e32 v6, v6, v4
	v_sub_nc_u64_e32 v[4:5], v[6:7], v[4:5]
	s_delay_alu instid0(VALU_DEP_1)
	v_dual_cndmask_b32 v5, 0, v5 :: v_dual_cndmask_b32 v4, 0, v4
	s_branch .LBB30_274
.LBB30_162:
	s_mov_b32 s23, -1
	s_mov_b32 s0, 0
	s_mov_b32 s22, 0
.LBB30_163:
	s_and_b32 vcc_lo, exec_lo, s23
	s_cbranch_vccz .LBB30_168
; %bb.164:
	s_cmp_eq_u32 s21, 44
	s_mov_b32 s0, -1
	s_cbranch_scc0 .LBB30_168
; %bb.165:
	s_wait_xcnt 0x0
	s_delay_alu instid0(VALU_DEP_4) | instskip(SKIP_1) | instid1(VALU_DEP_1)
	v_clz_i32_u32_e32 v4, v3
	s_mov_b32 s22, exec_lo
	v_min_u32_e32 v6, 32, v4
	s_delay_alu instid0(VALU_DEP_1) | instskip(NEXT) | instid1(VALU_DEP_1)
	v_lshlrev_b64_e32 v[4:5], v6, v[2:3]
	v_min_u32_e32 v4, 1, v4
	s_delay_alu instid0(VALU_DEP_1) | instskip(NEXT) | instid1(VALU_DEP_1)
	v_dual_sub_nc_u32 v5, 32, v6 :: v_dual_bitop2_b32 v4, v5, v4 bitop3:0x54
	v_cvt_f32_u32_e32 v4, v4
	s_delay_alu instid0(VALU_DEP_1) | instskip(NEXT) | instid1(VALU_DEP_1)
	v_ldexp_f32 v6, v4, v5
	v_dual_mov_b32 v5, 0xff :: v_dual_lshrrev_b32 v4, 23, v6
	s_delay_alu instid0(VALU_DEP_1)
	v_cmpx_ne_u32_e32 0xff, v4
; %bb.166:
	v_and_b32_e32 v5, 0x400000, v6
	v_and_or_b32 v6, 0x3fffff, v6, v4
	s_delay_alu instid0(VALU_DEP_2) | instskip(NEXT) | instid1(VALU_DEP_2)
	v_cmp_ne_u32_e32 vcc_lo, 0, v5
	v_cmp_ne_u32_e64 s0, 0, v6
	s_and_b32 s0, vcc_lo, s0
	s_delay_alu instid0(SALU_CYCLE_1) | instskip(NEXT) | instid1(VALU_DEP_1)
	v_cndmask_b32_e64 v5, 0, 1, s0
	v_add_nc_u32_e32 v5, v4, v5
; %bb.167:
	s_or_b32 exec_lo, exec_lo, s22
	s_mov_b32 s22, -1
	s_mov_b32 s0, 0
	global_store_b8 v[0:1], v5, off
.LBB30_168:
	s_mov_b32 s23, 0
.LBB30_169:
	s_delay_alu instid0(SALU_CYCLE_1)
	s_and_b32 vcc_lo, exec_lo, s23
	s_cbranch_vccz .LBB30_172
; %bb.170:
	s_cmp_eq_u32 s21, 29
	s_mov_b32 s0, -1
	s_cbranch_scc0 .LBB30_172
; %bb.171:
	s_mov_b32 s22, -1
	s_mov_b32 s0, 0
	global_store_b64 v[0:1], v[2:3], off
.LBB30_172:
	s_mov_b32 s23, 0
.LBB30_173:
	s_delay_alu instid0(SALU_CYCLE_1)
	s_and_b32 vcc_lo, exec_lo, s23
	s_cbranch_vccz .LBB30_189
; %bb.174:
	s_cmp_lt_i32 s21, 27
	s_mov_b32 s22, -1
	s_cbranch_scc1 .LBB30_180
; %bb.175:
	s_cmp_gt_i32 s21, 27
	s_cbranch_scc0 .LBB30_177
; %bb.176:
	s_mov_b32 s22, 0
	global_store_b32 v[0:1], v2, off
.LBB30_177:
	s_and_not1_b32 vcc_lo, exec_lo, s22
	s_cbranch_vccnz .LBB30_179
; %bb.178:
	global_store_b16 v[0:1], v2, off
.LBB30_179:
	s_mov_b32 s22, 0
.LBB30_180:
	s_delay_alu instid0(SALU_CYCLE_1)
	s_and_not1_b32 vcc_lo, exec_lo, s22
	s_cbranch_vccnz .LBB30_188
; %bb.181:
	s_wait_xcnt 0x0
	s_delay_alu instid0(VALU_DEP_4) | instskip(SKIP_1) | instid1(VALU_DEP_1)
	v_clz_i32_u32_e32 v4, v3
	s_mov_b32 s22, exec_lo
	v_min_u32_e32 v6, 32, v4
	s_delay_alu instid0(VALU_DEP_1) | instskip(NEXT) | instid1(VALU_DEP_1)
	v_lshlrev_b64_e32 v[4:5], v6, v[2:3]
	v_min_u32_e32 v4, 1, v4
	s_delay_alu instid0(VALU_DEP_1) | instskip(SKIP_1) | instid1(VALU_DEP_2)
	v_dual_sub_nc_u32 v5, 32, v6 :: v_dual_bitop2_b32 v4, v5, v4 bitop3:0x54
	v_mov_b32_e32 v6, 0x80
	v_cvt_f32_u32_e32 v4, v4
	s_delay_alu instid0(VALU_DEP_1) | instskip(NEXT) | instid1(VALU_DEP_1)
	v_ldexp_f32 v5, v4, v5
	v_cmpx_gt_u32_e32 0x43800000, v5
	s_cbranch_execz .LBB30_187
; %bb.182:
	s_mov_b32 s23, 0
	s_mov_b32 s24, exec_lo
                                        ; implicit-def: $vgpr4
	v_cmpx_lt_u32_e32 0x3bffffff, v5
	s_xor_b32 s24, exec_lo, s24
	s_cbranch_execz .LBB30_411
; %bb.183:
	v_bfe_u32 v4, v5, 20, 1
	s_mov_b32 s23, exec_lo
	s_delay_alu instid0(VALU_DEP_1) | instskip(NEXT) | instid1(VALU_DEP_1)
	v_add3_u32 v4, v5, v4, 0x487ffff
                                        ; implicit-def: $vgpr5
	v_lshrrev_b32_e32 v4, 20, v4
	s_and_not1_saveexec_b32 s24, s24
	s_cbranch_execnz .LBB30_412
.LBB30_184:
	s_or_b32 exec_lo, exec_lo, s24
	v_mov_b32_e32 v6, 0
	s_and_saveexec_b32 s24, s23
.LBB30_185:
	v_mov_b32_e32 v6, v4
.LBB30_186:
	s_or_b32 exec_lo, exec_lo, s24
.LBB30_187:
	s_delay_alu instid0(SALU_CYCLE_1)
	s_or_b32 exec_lo, exec_lo, s22
	global_store_b8 v[0:1], v6, off
.LBB30_188:
	s_mov_b32 s22, -1
.LBB30_189:
	s_mov_b32 s23, 0
.LBB30_190:
	s_delay_alu instid0(SALU_CYCLE_1)
	s_and_b32 vcc_lo, exec_lo, s23
	s_cbranch_vccz .LBB30_231
; %bb.191:
	s_cmp_gt_i32 s21, 22
	s_mov_b32 s23, -1
	s_cbranch_scc0 .LBB30_223
; %bb.192:
	s_cmp_lt_i32 s21, 24
	s_mov_b32 s22, -1
	s_cbranch_scc1 .LBB30_212
; %bb.193:
	s_cmp_gt_i32 s21, 24
	s_cbranch_scc0 .LBB30_201
; %bb.194:
	s_wait_xcnt 0x0
	s_delay_alu instid0(VALU_DEP_4) | instskip(SKIP_1) | instid1(VALU_DEP_1)
	v_clz_i32_u32_e32 v4, v3
	s_mov_b32 s22, exec_lo
	v_min_u32_e32 v6, 32, v4
	s_delay_alu instid0(VALU_DEP_1) | instskip(NEXT) | instid1(VALU_DEP_1)
	v_lshlrev_b64_e32 v[4:5], v6, v[2:3]
	v_min_u32_e32 v4, 1, v4
	s_delay_alu instid0(VALU_DEP_1) | instskip(SKIP_1) | instid1(VALU_DEP_2)
	v_dual_sub_nc_u32 v5, 32, v6 :: v_dual_bitop2_b32 v4, v5, v4 bitop3:0x54
	v_mov_b32_e32 v6, 0x80
	v_cvt_f32_u32_e32 v4, v4
	s_delay_alu instid0(VALU_DEP_1) | instskip(NEXT) | instid1(VALU_DEP_1)
	v_ldexp_f32 v5, v4, v5
	v_cmpx_gt_u32_e32 0x47800000, v5
	s_cbranch_execz .LBB30_200
; %bb.195:
	s_mov_b32 s23, 0
	s_mov_b32 s24, exec_lo
                                        ; implicit-def: $vgpr4
	v_cmpx_lt_u32_e32 0x37ffffff, v5
	s_xor_b32 s24, exec_lo, s24
	s_cbranch_execz .LBB30_526
; %bb.196:
	v_bfe_u32 v4, v5, 21, 1
	s_mov_b32 s23, exec_lo
	s_delay_alu instid0(VALU_DEP_1) | instskip(NEXT) | instid1(VALU_DEP_1)
	v_add3_u32 v4, v5, v4, 0x88fffff
                                        ; implicit-def: $vgpr5
	v_lshrrev_b32_e32 v4, 21, v4
	s_and_not1_saveexec_b32 s24, s24
	s_cbranch_execnz .LBB30_527
.LBB30_197:
	s_or_b32 exec_lo, exec_lo, s24
	v_mov_b32_e32 v6, 0
	s_and_saveexec_b32 s24, s23
.LBB30_198:
	v_mov_b32_e32 v6, v4
.LBB30_199:
	s_or_b32 exec_lo, exec_lo, s24
.LBB30_200:
	s_delay_alu instid0(SALU_CYCLE_1)
	s_or_b32 exec_lo, exec_lo, s22
	s_mov_b32 s22, 0
	global_store_b8 v[0:1], v6, off
.LBB30_201:
	s_and_b32 vcc_lo, exec_lo, s22
	s_cbranch_vccz .LBB30_211
; %bb.202:
	s_wait_xcnt 0x0
	s_delay_alu instid0(VALU_DEP_4) | instskip(SKIP_1) | instid1(VALU_DEP_1)
	v_clz_i32_u32_e32 v4, v3
	s_mov_b32 s22, exec_lo
	v_min_u32_e32 v6, 32, v4
	s_delay_alu instid0(VALU_DEP_1) | instskip(NEXT) | instid1(VALU_DEP_1)
	v_lshlrev_b64_e32 v[4:5], v6, v[2:3]
	v_min_u32_e32 v4, 1, v4
	s_delay_alu instid0(VALU_DEP_1) | instskip(NEXT) | instid1(VALU_DEP_1)
	v_dual_sub_nc_u32 v5, 32, v6 :: v_dual_bitop2_b32 v4, v5, v4 bitop3:0x54
	v_cvt_f32_u32_e32 v4, v4
	s_delay_alu instid0(VALU_DEP_1) | instskip(NEXT) | instid1(VALU_DEP_1)
	v_ldexp_f32 v5, v4, v5
                                        ; implicit-def: $vgpr4
	v_cmpx_gt_u32_e32 0x43f00000, v5
	s_xor_b32 s22, exec_lo, s22
	s_cbranch_execz .LBB30_208
; %bb.203:
	s_mov_b32 s23, exec_lo
                                        ; implicit-def: $vgpr4
	v_cmpx_lt_u32_e32 0x3c7fffff, v5
	s_xor_b32 s23, exec_lo, s23
; %bb.204:
	v_bfe_u32 v4, v5, 20, 1
	s_delay_alu instid0(VALU_DEP_1) | instskip(NEXT) | instid1(VALU_DEP_1)
	v_add3_u32 v4, v5, v4, 0x407ffff
	v_and_b32_e32 v5, 0xff00000, v4
	v_lshrrev_b32_e32 v4, 20, v4
	s_delay_alu instid0(VALU_DEP_2) | instskip(NEXT) | instid1(VALU_DEP_2)
	v_cmp_ne_u32_e32 vcc_lo, 0x7f00000, v5
                                        ; implicit-def: $vgpr5
	v_cndmask_b32_e32 v4, 0x7e, v4, vcc_lo
; %bb.205:
	s_and_not1_saveexec_b32 s23, s23
; %bb.206:
	v_add_f32_e32 v4, 0x46800000, v5
; %bb.207:
	s_or_b32 exec_lo, exec_lo, s23
                                        ; implicit-def: $vgpr5
.LBB30_208:
	s_and_not1_saveexec_b32 s22, s22
; %bb.209:
	v_mov_b32_e32 v4, 0x7f
	v_cmp_lt_u32_e32 vcc_lo, 0x7f800000, v5
	s_delay_alu instid0(VALU_DEP_2)
	v_cndmask_b32_e32 v4, 0x7e, v4, vcc_lo
; %bb.210:
	s_or_b32 exec_lo, exec_lo, s22
	global_store_b8 v[0:1], v4, off
.LBB30_211:
	s_mov_b32 s22, 0
.LBB30_212:
	s_delay_alu instid0(SALU_CYCLE_1)
	s_and_not1_b32 vcc_lo, exec_lo, s22
	s_cbranch_vccnz .LBB30_222
; %bb.213:
	s_wait_xcnt 0x0
	s_delay_alu instid0(VALU_DEP_4) | instskip(SKIP_1) | instid1(VALU_DEP_1)
	v_clz_i32_u32_e32 v4, v3
	s_mov_b32 s22, exec_lo
	v_min_u32_e32 v6, 32, v4
	s_delay_alu instid0(VALU_DEP_1) | instskip(NEXT) | instid1(VALU_DEP_1)
	v_lshlrev_b64_e32 v[4:5], v6, v[2:3]
	v_min_u32_e32 v4, 1, v4
	s_delay_alu instid0(VALU_DEP_1) | instskip(NEXT) | instid1(VALU_DEP_1)
	v_dual_sub_nc_u32 v5, 32, v6 :: v_dual_bitop2_b32 v4, v5, v4 bitop3:0x54
	v_cvt_f32_u32_e32 v4, v4
	s_delay_alu instid0(VALU_DEP_1) | instskip(NEXT) | instid1(VALU_DEP_1)
	v_ldexp_f32 v5, v4, v5
                                        ; implicit-def: $vgpr4
	v_cmpx_gt_u32_e32 0x47800000, v5
	s_xor_b32 s22, exec_lo, s22
	s_cbranch_execz .LBB30_219
; %bb.214:
	s_mov_b32 s23, exec_lo
                                        ; implicit-def: $vgpr4
	v_cmpx_lt_u32_e32 0x387fffff, v5
	s_xor_b32 s23, exec_lo, s23
; %bb.215:
	v_bfe_u32 v4, v5, 21, 1
	s_delay_alu instid0(VALU_DEP_1) | instskip(NEXT) | instid1(VALU_DEP_1)
	v_add3_u32 v4, v5, v4, 0x80fffff
                                        ; implicit-def: $vgpr5
	v_lshrrev_b32_e32 v4, 21, v4
; %bb.216:
	s_and_not1_saveexec_b32 s23, s23
; %bb.217:
	v_add_f32_e32 v4, 0x43000000, v5
; %bb.218:
	s_or_b32 exec_lo, exec_lo, s23
                                        ; implicit-def: $vgpr5
.LBB30_219:
	s_and_not1_saveexec_b32 s22, s22
; %bb.220:
	v_mov_b32_e32 v4, 0x7f
	v_cmp_lt_u32_e32 vcc_lo, 0x7f800000, v5
	s_delay_alu instid0(VALU_DEP_2)
	v_cndmask_b32_e32 v4, 0x7c, v4, vcc_lo
; %bb.221:
	s_or_b32 exec_lo, exec_lo, s22
	global_store_b8 v[0:1], v4, off
.LBB30_222:
	s_mov_b32 s23, 0
	s_mov_b32 s22, -1
.LBB30_223:
	s_and_not1_b32 vcc_lo, exec_lo, s23
	s_cbranch_vccnz .LBB30_231
; %bb.224:
	s_cmp_gt_i32 s21, 14
	s_mov_b32 s23, -1
	s_cbranch_scc0 .LBB30_228
; %bb.225:
	s_cmp_eq_u32 s21, 15
	s_mov_b32 s0, -1
	s_cbranch_scc0 .LBB30_227
; %bb.226:
	s_wait_xcnt 0x0
	s_delay_alu instid0(VALU_DEP_4) | instskip(SKIP_2) | instid1(VALU_DEP_1)
	v_clz_i32_u32_e32 v4, v3
	s_mov_b32 s22, -1
	s_mov_b32 s0, 0
	v_min_u32_e32 v6, 32, v4
	s_delay_alu instid0(VALU_DEP_1) | instskip(NEXT) | instid1(VALU_DEP_1)
	v_lshlrev_b64_e32 v[4:5], v6, v[2:3]
	v_min_u32_e32 v4, 1, v4
	s_delay_alu instid0(VALU_DEP_1) | instskip(NEXT) | instid1(VALU_DEP_1)
	v_dual_sub_nc_u32 v5, 32, v6 :: v_dual_bitop2_b32 v4, v5, v4 bitop3:0x54
	v_cvt_f32_u32_e32 v4, v4
	s_delay_alu instid0(VALU_DEP_1) | instskip(NEXT) | instid1(VALU_DEP_1)
	v_ldexp_f32 v4, v4, v5
	v_bfe_u32 v5, v4, 16, 1
	s_delay_alu instid0(VALU_DEP_1)
	v_add3_u32 v4, v4, v5, 0x7fff
	global_store_d16_hi_b16 v[0:1], v4, off
.LBB30_227:
	s_mov_b32 s23, 0
.LBB30_228:
	s_delay_alu instid0(SALU_CYCLE_1)
	s_and_b32 vcc_lo, exec_lo, s23
	s_cbranch_vccz .LBB30_231
; %bb.229:
	s_cmp_eq_u32 s21, 11
	s_mov_b32 s0, -1
	s_cbranch_scc0 .LBB30_231
; %bb.230:
	v_cmp_ne_u64_e32 vcc_lo, 0, v[2:3]
	s_mov_b32 s22, -1
	s_mov_b32 s0, 0
	s_wait_xcnt 0x0
	v_cndmask_b32_e64 v4, 0, 1, vcc_lo
	global_store_b8 v[0:1], v4, off
.LBB30_231:
	s_mov_b32 s21, 0
.LBB30_232:
	s_delay_alu instid0(SALU_CYCLE_1)
	s_and_b32 vcc_lo, exec_lo, s21
	s_cbranch_vccz .LBB30_271
; %bb.233:
	s_and_b32 s15, 0xffff, s15
	s_mov_b32 s21, -1
	s_cmp_lt_i32 s15, 5
	s_cbranch_scc1 .LBB30_254
; %bb.234:
	s_cmp_lt_i32 s15, 8
	s_cbranch_scc1 .LBB30_244
; %bb.235:
	;; [unrolled: 3-line block ×3, first 2 shown]
	s_cmp_gt_i32 s15, 9
	s_cbranch_scc0 .LBB30_238
; %bb.237:
	s_wait_xcnt 0x0
	s_delay_alu instid0(VALU_DEP_4) | instskip(SKIP_2) | instid1(VALU_DEP_2)
	v_cvt_f64_u32_e32 v[4:5], v3
	v_cvt_f64_u32_e32 v[6:7], v2
	s_mov_b32 s21, 0
	v_ldexp_f64 v[4:5], v[4:5], 32
	s_delay_alu instid0(VALU_DEP_1) | instskip(NEXT) | instid1(VALU_DEP_1)
	v_dual_add_f64 v[4:5], v[4:5], v[6:7] :: v_dual_mov_b32 v6, 0
	v_mov_b32_e32 v7, v6
	global_store_b128 v[0:1], v[4:7], off
.LBB30_238:
	s_and_not1_b32 vcc_lo, exec_lo, s21
	s_cbranch_vccnz .LBB30_240
; %bb.239:
	s_wait_xcnt 0x0
	s_delay_alu instid0(VALU_DEP_4) | instskip(NEXT) | instid1(VALU_DEP_1)
	v_clz_i32_u32_e32 v4, v3
	v_min_u32_e32 v6, 32, v4
	s_delay_alu instid0(VALU_DEP_1) | instskip(NEXT) | instid1(VALU_DEP_1)
	v_lshlrev_b64_e32 v[4:5], v6, v[2:3]
	v_min_u32_e32 v4, 1, v4
	s_delay_alu instid0(VALU_DEP_1) | instskip(NEXT) | instid1(VALU_DEP_1)
	v_dual_sub_nc_u32 v5, 32, v6 :: v_dual_bitop2_b32 v4, v5, v4 bitop3:0x54
	v_cvt_f32_u32_e32 v4, v4
	s_delay_alu instid0(VALU_DEP_1)
	v_ldexp_f32 v4, v4, v5
	v_mov_b32_e32 v5, 0
	global_store_b64 v[0:1], v[4:5], off
.LBB30_240:
	s_mov_b32 s21, 0
.LBB30_241:
	s_delay_alu instid0(SALU_CYCLE_1)
	s_and_not1_b32 vcc_lo, exec_lo, s21
	s_cbranch_vccnz .LBB30_243
; %bb.242:
	s_wait_xcnt 0x0
	s_delay_alu instid0(VALU_DEP_4) | instskip(NEXT) | instid1(VALU_DEP_1)
	v_clz_i32_u32_e32 v4, v3
	v_min_u32_e32 v6, 32, v4
	s_delay_alu instid0(VALU_DEP_1) | instskip(NEXT) | instid1(VALU_DEP_1)
	v_lshlrev_b64_e32 v[4:5], v6, v[2:3]
	v_min_u32_e32 v4, 1, v4
	s_delay_alu instid0(VALU_DEP_1) | instskip(NEXT) | instid1(VALU_DEP_1)
	v_dual_sub_nc_u32 v5, 32, v6 :: v_dual_bitop2_b32 v4, v5, v4 bitop3:0x54
	v_cvt_f32_u32_e32 v4, v4
	s_delay_alu instid0(VALU_DEP_1) | instskip(NEXT) | instid1(VALU_DEP_1)
	v_ldexp_f32 v4, v4, v5
	v_cvt_f16_f32_e32 v4, v4
	s_delay_alu instid0(VALU_DEP_1)
	v_and_b32_e32 v4, 0xffff, v4
	global_store_b32 v[0:1], v4, off
.LBB30_243:
	s_mov_b32 s21, 0
.LBB30_244:
	s_delay_alu instid0(SALU_CYCLE_1)
	s_and_not1_b32 vcc_lo, exec_lo, s21
	s_cbranch_vccnz .LBB30_253
; %bb.245:
	s_cmp_lt_i32 s15, 6
	s_mov_b32 s21, -1
	s_cbranch_scc1 .LBB30_251
; %bb.246:
	s_cmp_gt_i32 s15, 6
	s_cbranch_scc0 .LBB30_248
; %bb.247:
	s_wait_xcnt 0x0
	s_delay_alu instid0(VALU_DEP_4) | instskip(SKIP_2) | instid1(VALU_DEP_2)
	v_cvt_f64_u32_e32 v[4:5], v3
	v_cvt_f64_u32_e32 v[6:7], v2
	s_mov_b32 s21, 0
	v_ldexp_f64 v[4:5], v[4:5], 32
	s_delay_alu instid0(VALU_DEP_1)
	v_add_f64_e32 v[4:5], v[4:5], v[6:7]
	global_store_b64 v[0:1], v[4:5], off
.LBB30_248:
	s_and_not1_b32 vcc_lo, exec_lo, s21
	s_cbranch_vccnz .LBB30_250
; %bb.249:
	s_wait_xcnt 0x0
	v_clz_i32_u32_e32 v4, v3
	s_delay_alu instid0(VALU_DEP_1) | instskip(NEXT) | instid1(VALU_DEP_1)
	v_min_u32_e32 v6, 32, v4
	v_lshlrev_b64_e32 v[4:5], v6, v[2:3]
	s_delay_alu instid0(VALU_DEP_1) | instskip(NEXT) | instid1(VALU_DEP_1)
	v_min_u32_e32 v4, 1, v4
	v_dual_sub_nc_u32 v5, 32, v6 :: v_dual_bitop2_b32 v4, v5, v4 bitop3:0x54
	s_delay_alu instid0(VALU_DEP_1) | instskip(NEXT) | instid1(VALU_DEP_1)
	v_cvt_f32_u32_e32 v4, v4
	v_ldexp_f32 v4, v4, v5
	global_store_b32 v[0:1], v4, off
.LBB30_250:
	s_mov_b32 s21, 0
.LBB30_251:
	s_delay_alu instid0(SALU_CYCLE_1)
	s_and_not1_b32 vcc_lo, exec_lo, s21
	s_cbranch_vccnz .LBB30_253
; %bb.252:
	s_wait_xcnt 0x0
	s_delay_alu instid0(VALU_DEP_4) | instskip(NEXT) | instid1(VALU_DEP_1)
	v_clz_i32_u32_e32 v4, v3
	v_min_u32_e32 v6, 32, v4
	s_delay_alu instid0(VALU_DEP_1) | instskip(NEXT) | instid1(VALU_DEP_1)
	v_lshlrev_b64_e32 v[4:5], v6, v[2:3]
	v_min_u32_e32 v4, 1, v4
	s_delay_alu instid0(VALU_DEP_1) | instskip(NEXT) | instid1(VALU_DEP_1)
	v_dual_sub_nc_u32 v5, 32, v6 :: v_dual_bitop2_b32 v4, v5, v4 bitop3:0x54
	v_cvt_f32_u32_e32 v4, v4
	s_delay_alu instid0(VALU_DEP_1) | instskip(NEXT) | instid1(VALU_DEP_1)
	v_ldexp_f32 v4, v4, v5
	v_cvt_f16_f32_e32 v4, v4
	global_store_b16 v[0:1], v4, off
.LBB30_253:
	s_mov_b32 s21, 0
.LBB30_254:
	s_delay_alu instid0(SALU_CYCLE_1)
	s_and_not1_b32 vcc_lo, exec_lo, s21
	s_cbranch_vccnz .LBB30_270
; %bb.255:
	s_cmp_lt_i32 s15, 2
	s_mov_b32 s21, -1
	s_cbranch_scc1 .LBB30_265
; %bb.256:
	s_cmp_lt_i32 s15, 3
	s_cbranch_scc1 .LBB30_262
; %bb.257:
	s_cmp_gt_i32 s15, 3
	s_cbranch_scc0 .LBB30_259
; %bb.258:
	s_mov_b32 s21, 0
	global_store_b64 v[0:1], v[2:3], off
.LBB30_259:
	s_and_not1_b32 vcc_lo, exec_lo, s21
	s_cbranch_vccnz .LBB30_261
; %bb.260:
	global_store_b32 v[0:1], v2, off
.LBB30_261:
	s_mov_b32 s21, 0
.LBB30_262:
	s_delay_alu instid0(SALU_CYCLE_1)
	s_and_not1_b32 vcc_lo, exec_lo, s21
	s_cbranch_vccnz .LBB30_264
; %bb.263:
	global_store_b16 v[0:1], v2, off
.LBB30_264:
	s_mov_b32 s21, 0
.LBB30_265:
	s_delay_alu instid0(SALU_CYCLE_1)
	s_and_not1_b32 vcc_lo, exec_lo, s21
	s_cbranch_vccnz .LBB30_270
; %bb.266:
	s_cmp_gt_i32 s15, 0
	s_mov_b32 s15, -1
	s_cbranch_scc0 .LBB30_268
; %bb.267:
	s_mov_b32 s15, 0
	global_store_b8 v[0:1], v2, off
.LBB30_268:
	s_and_not1_b32 vcc_lo, exec_lo, s15
	s_cbranch_vccnz .LBB30_270
; %bb.269:
	global_store_b8 v[0:1], v2, off
.LBB30_270:
	s_mov_b32 s22, -1
.LBB30_271:
	s_delay_alu instid0(SALU_CYCLE_1)
	s_and_not1_b32 vcc_lo, exec_lo, s22
	s_cbranch_vccnz .LBB30_380
; %bb.272:
	v_add_nc_u32_e32 v16, 0x80, v16
	s_mov_b32 s21, -1
	s_branch .LBB30_381
.LBB30_273:
	s_mov_b32 s17, -1
                                        ; implicit-def: $vgpr4_vgpr5
.LBB30_274:
	s_mov_b32 s22, 0
.LBB30_275:
	s_delay_alu instid0(SALU_CYCLE_1)
	s_and_b32 vcc_lo, exec_lo, s22
	s_cbranch_vccz .LBB30_279
; %bb.276:
	s_cmp_eq_u32 s15, 29
	s_cbranch_scc0 .LBB30_278
; %bb.277:
	global_load_b64 v[4:5], v[2:3], off
	s_mov_b32 s21, -1
	s_mov_b32 s17, 0
	s_branch .LBB30_279
.LBB30_278:
	s_mov_b32 s17, -1
                                        ; implicit-def: $vgpr4_vgpr5
.LBB30_279:
	s_mov_b32 s22, 0
.LBB30_280:
	s_delay_alu instid0(SALU_CYCLE_1)
	s_and_b32 vcc_lo, exec_lo, s22
	s_cbranch_vccz .LBB30_296
; %bb.281:
	s_cmp_lt_i32 s15, 27
	s_cbranch_scc1 .LBB30_284
; %bb.282:
	s_cmp_gt_i32 s15, 27
	s_cbranch_scc0 .LBB30_285
; %bb.283:
	s_wait_loadcnt 0x0
	global_load_b32 v4, v[2:3], off
	v_mov_b32_e32 v5, 0
	s_mov_b32 s21, 0
	s_branch .LBB30_286
.LBB30_284:
	s_mov_b32 s21, -1
                                        ; implicit-def: $vgpr4_vgpr5
	s_branch .LBB30_289
.LBB30_285:
	s_mov_b32 s21, -1
                                        ; implicit-def: $vgpr4_vgpr5
.LBB30_286:
	s_delay_alu instid0(SALU_CYCLE_1)
	s_and_not1_b32 vcc_lo, exec_lo, s21
	s_cbranch_vccnz .LBB30_288
; %bb.287:
	s_wait_loadcnt 0x0
	global_load_u16 v4, v[2:3], off
	s_mov_b32 s21, 0
	s_delay_alu instid0(SALU_CYCLE_1)
	v_mov_b32_e32 v5, s21
	s_wait_loadcnt 0x0
	v_and_b32_e32 v4, 0xffff, v4
.LBB30_288:
	s_mov_b32 s21, 0
.LBB30_289:
	s_delay_alu instid0(SALU_CYCLE_1)
	s_and_not1_b32 vcc_lo, exec_lo, s21
	s_cbranch_vccnz .LBB30_295
; %bb.290:
	global_load_u8 v6, v[2:3], off
	s_mov_b32 s22, 0
	s_mov_b32 s21, exec_lo
	s_wait_loadcnt 0x0
	v_cmpx_lt_i16_e32 0x7f, v6
	s_xor_b32 s21, exec_lo, s21
	s_cbranch_execz .LBB30_307
; %bb.291:
	v_cmp_ne_u16_e32 vcc_lo, 0x80, v6
	s_and_b32 s22, vcc_lo, exec_lo
	s_and_not1_saveexec_b32 s21, s21
	s_cbranch_execnz .LBB30_308
.LBB30_292:
	s_or_b32 exec_lo, exec_lo, s21
	v_mov_b64_e32 v[4:5], 0
	s_and_saveexec_b32 s21, s22
	s_cbranch_execz .LBB30_294
.LBB30_293:
	v_and_b32_e32 v4, 0xffff, v6
	s_delay_alu instid0(VALU_DEP_1) | instskip(SKIP_1) | instid1(VALU_DEP_2)
	v_and_b32_e32 v5, 7, v4
	v_bfe_u32 v9, v4, 3, 4
	v_clz_i32_u32_e32 v7, v5
	s_delay_alu instid0(VALU_DEP_2) | instskip(NEXT) | instid1(VALU_DEP_2)
	v_cmp_eq_u32_e32 vcc_lo, 0, v9
	v_min_u32_e32 v7, 32, v7
	s_delay_alu instid0(VALU_DEP_1) | instskip(NEXT) | instid1(VALU_DEP_1)
	v_subrev_nc_u32_e32 v8, 28, v7
	v_dual_lshlrev_b32 v4, v8, v4 :: v_dual_sub_nc_u32 v7, 29, v7
	s_delay_alu instid0(VALU_DEP_1) | instskip(NEXT) | instid1(VALU_DEP_2)
	v_dual_lshlrev_b32 v6, 24, v6 :: v_dual_bitop2_b32 v4, 7, v4 bitop3:0x40
	v_cndmask_b32_e32 v7, v9, v7, vcc_lo
	s_delay_alu instid0(VALU_DEP_2) | instskip(NEXT) | instid1(VALU_DEP_3)
	v_cndmask_b32_e32 v4, v5, v4, vcc_lo
	v_and_b32_e32 v5, 0x80000000, v6
	s_delay_alu instid0(VALU_DEP_3) | instskip(NEXT) | instid1(VALU_DEP_3)
	v_lshl_add_u32 v6, v7, 23, 0x3b800000
	v_lshlrev_b32_e32 v4, 20, v4
	s_delay_alu instid0(VALU_DEP_1) | instskip(NEXT) | instid1(VALU_DEP_1)
	v_or3_b32 v4, v5, v6, v4
	v_trunc_f32_e32 v4, v4
	s_delay_alu instid0(VALU_DEP_1) | instskip(NEXT) | instid1(VALU_DEP_1)
	v_mul_f32_e64 v5, 0x2f800000, |v4|
	v_floor_f32_e32 v5, v5
	s_delay_alu instid0(VALU_DEP_1) | instskip(SKIP_2) | instid1(VALU_DEP_3)
	v_fma_f32 v6, 0xcf800000, v5, |v4|
	v_ashrrev_i32_e32 v4, 31, v4
	v_cvt_u32_f32_e32 v7, v5
	v_cvt_u32_f32_e32 v6, v6
	s_delay_alu instid0(VALU_DEP_2) | instskip(NEXT) | instid1(VALU_DEP_2)
	v_dual_mov_b32 v5, v4 :: v_dual_bitop2_b32 v7, v7, v4 bitop3:0x14
	v_xor_b32_e32 v6, v6, v4
	s_delay_alu instid0(VALU_DEP_1)
	v_sub_nc_u64_e32 v[4:5], v[6:7], v[4:5]
.LBB30_294:
	s_or_b32 exec_lo, exec_lo, s21
.LBB30_295:
	s_mov_b32 s21, -1
.LBB30_296:
	s_mov_b32 s22, 0
.LBB30_297:
	s_delay_alu instid0(SALU_CYCLE_1)
	s_and_b32 vcc_lo, exec_lo, s22
	s_cbranch_vccz .LBB30_330
; %bb.298:
	s_cmp_gt_i32 s15, 22
	s_cbranch_scc0 .LBB30_306
; %bb.299:
	s_cmp_lt_i32 s15, 24
	s_cbranch_scc1 .LBB30_309
; %bb.300:
	s_cmp_gt_i32 s15, 24
	s_cbranch_scc0 .LBB30_310
; %bb.301:
	global_load_u8 v6, v[2:3], off
	s_mov_b32 s22, 0
	s_mov_b32 s21, exec_lo
	s_wait_loadcnt 0x0
	v_cmpx_lt_i16_e32 0x7f, v6
	s_xor_b32 s21, exec_lo, s21
	s_cbranch_execz .LBB30_322
; %bb.302:
	v_cmp_ne_u16_e32 vcc_lo, 0x80, v6
	s_and_b32 s22, vcc_lo, exec_lo
	s_and_not1_saveexec_b32 s21, s21
	s_cbranch_execnz .LBB30_323
.LBB30_303:
	s_or_b32 exec_lo, exec_lo, s21
	v_mov_b64_e32 v[4:5], 0
	s_and_saveexec_b32 s21, s22
	s_cbranch_execz .LBB30_305
.LBB30_304:
	v_and_b32_e32 v4, 0xffff, v6
	s_delay_alu instid0(VALU_DEP_1) | instskip(SKIP_1) | instid1(VALU_DEP_2)
	v_and_b32_e32 v5, 3, v4
	v_bfe_u32 v9, v4, 2, 5
	v_clz_i32_u32_e32 v7, v5
	s_delay_alu instid0(VALU_DEP_2) | instskip(NEXT) | instid1(VALU_DEP_2)
	v_cmp_eq_u32_e32 vcc_lo, 0, v9
	v_min_u32_e32 v7, 32, v7
	s_delay_alu instid0(VALU_DEP_1) | instskip(NEXT) | instid1(VALU_DEP_1)
	v_subrev_nc_u32_e32 v8, 29, v7
	v_dual_lshlrev_b32 v4, v8, v4 :: v_dual_sub_nc_u32 v7, 30, v7
	s_delay_alu instid0(VALU_DEP_1) | instskip(NEXT) | instid1(VALU_DEP_2)
	v_dual_lshlrev_b32 v6, 24, v6 :: v_dual_bitop2_b32 v4, 3, v4 bitop3:0x40
	v_cndmask_b32_e32 v7, v9, v7, vcc_lo
	s_delay_alu instid0(VALU_DEP_2) | instskip(NEXT) | instid1(VALU_DEP_3)
	v_cndmask_b32_e32 v4, v5, v4, vcc_lo
	v_and_b32_e32 v5, 0x80000000, v6
	s_delay_alu instid0(VALU_DEP_3) | instskip(NEXT) | instid1(VALU_DEP_3)
	v_lshl_add_u32 v6, v7, 23, 0x37800000
	v_lshlrev_b32_e32 v4, 21, v4
	s_delay_alu instid0(VALU_DEP_1) | instskip(NEXT) | instid1(VALU_DEP_1)
	v_or3_b32 v4, v5, v6, v4
	v_trunc_f32_e32 v4, v4
	s_delay_alu instid0(VALU_DEP_1) | instskip(NEXT) | instid1(VALU_DEP_1)
	v_mul_f32_e64 v5, 0x2f800000, |v4|
	v_floor_f32_e32 v5, v5
	s_delay_alu instid0(VALU_DEP_1) | instskip(SKIP_2) | instid1(VALU_DEP_3)
	v_fma_f32 v6, 0xcf800000, v5, |v4|
	v_ashrrev_i32_e32 v4, 31, v4
	v_cvt_u32_f32_e32 v7, v5
	v_cvt_u32_f32_e32 v6, v6
	s_delay_alu instid0(VALU_DEP_2) | instskip(NEXT) | instid1(VALU_DEP_2)
	v_dual_mov_b32 v5, v4 :: v_dual_bitop2_b32 v7, v7, v4 bitop3:0x14
	v_xor_b32_e32 v6, v6, v4
	s_delay_alu instid0(VALU_DEP_1)
	v_sub_nc_u64_e32 v[4:5], v[6:7], v[4:5]
.LBB30_305:
	s_or_b32 exec_lo, exec_lo, s21
	s_mov_b32 s21, 0
	s_branch .LBB30_311
.LBB30_306:
	s_mov_b32 s22, -1
                                        ; implicit-def: $vgpr4_vgpr5
	s_branch .LBB30_317
.LBB30_307:
	s_and_not1_saveexec_b32 s21, s21
	s_cbranch_execz .LBB30_292
.LBB30_308:
	v_cmp_ne_u16_e32 vcc_lo, 0, v6
	s_and_not1_b32 s22, s22, exec_lo
	s_and_b32 s23, vcc_lo, exec_lo
	s_delay_alu instid0(SALU_CYCLE_1)
	s_or_b32 s22, s22, s23
	s_or_b32 exec_lo, exec_lo, s21
	v_mov_b64_e32 v[4:5], 0
	s_and_saveexec_b32 s21, s22
	s_cbranch_execnz .LBB30_293
	s_branch .LBB30_294
.LBB30_309:
	s_mov_b32 s21, -1
                                        ; implicit-def: $vgpr4_vgpr5
	s_branch .LBB30_314
.LBB30_310:
	s_mov_b32 s21, -1
                                        ; implicit-def: $vgpr4_vgpr5
.LBB30_311:
	s_delay_alu instid0(SALU_CYCLE_1)
	s_and_b32 vcc_lo, exec_lo, s21
	s_cbranch_vccz .LBB30_313
; %bb.312:
	s_wait_loadcnt 0x0
	global_load_u8 v4, v[2:3], off
	s_wait_loadcnt 0x0
	v_lshlrev_b32_e32 v4, 24, v4
	s_delay_alu instid0(VALU_DEP_1) | instskip(NEXT) | instid1(VALU_DEP_1)
	v_and_b32_e32 v5, 0x7f000000, v4
	v_clz_i32_u32_e32 v6, v5
	v_cmp_ne_u32_e32 vcc_lo, 0, v5
	v_add_nc_u32_e32 v8, 0x1000000, v5
	s_delay_alu instid0(VALU_DEP_3) | instskip(NEXT) | instid1(VALU_DEP_1)
	v_min_u32_e32 v6, 32, v6
	v_sub_nc_u32_e64 v6, v6, 4 clamp
	s_delay_alu instid0(VALU_DEP_1) | instskip(NEXT) | instid1(VALU_DEP_1)
	v_dual_lshlrev_b32 v7, v6, v5 :: v_dual_lshlrev_b32 v6, 23, v6
	v_lshrrev_b32_e32 v7, 4, v7
	s_delay_alu instid0(VALU_DEP_1) | instskip(NEXT) | instid1(VALU_DEP_1)
	v_dual_sub_nc_u32 v6, v7, v6 :: v_dual_ashrrev_i32 v7, 8, v8
	v_add_nc_u32_e32 v6, 0x3c000000, v6
	s_delay_alu instid0(VALU_DEP_1) | instskip(NEXT) | instid1(VALU_DEP_1)
	v_and_or_b32 v6, 0x7f800000, v7, v6
	v_cndmask_b32_e32 v5, 0, v6, vcc_lo
	s_delay_alu instid0(VALU_DEP_1) | instskip(NEXT) | instid1(VALU_DEP_1)
	v_and_or_b32 v4, 0x80000000, v4, v5
	v_trunc_f32_e32 v4, v4
	s_delay_alu instid0(VALU_DEP_1) | instskip(NEXT) | instid1(VALU_DEP_1)
	v_mul_f32_e64 v5, 0x2f800000, |v4|
	v_floor_f32_e32 v5, v5
	s_delay_alu instid0(VALU_DEP_1) | instskip(SKIP_2) | instid1(VALU_DEP_3)
	v_fma_f32 v6, 0xcf800000, v5, |v4|
	v_ashrrev_i32_e32 v4, 31, v4
	v_cvt_u32_f32_e32 v7, v5
	v_cvt_u32_f32_e32 v6, v6
	s_delay_alu instid0(VALU_DEP_2) | instskip(NEXT) | instid1(VALU_DEP_2)
	v_dual_mov_b32 v5, v4 :: v_dual_bitop2_b32 v7, v7, v4 bitop3:0x14
	v_xor_b32_e32 v6, v6, v4
	s_delay_alu instid0(VALU_DEP_1)
	v_sub_nc_u64_e32 v[4:5], v[6:7], v[4:5]
.LBB30_313:
	s_mov_b32 s21, 0
.LBB30_314:
	s_delay_alu instid0(SALU_CYCLE_1)
	s_and_not1_b32 vcc_lo, exec_lo, s21
	s_cbranch_vccnz .LBB30_316
; %bb.315:
	s_wait_loadcnt 0x0
	global_load_u8 v4, v[2:3], off
	s_wait_loadcnt 0x0
	v_lshlrev_b32_e32 v5, 25, v4
	v_lshlrev_b16 v4, 8, v4
	s_delay_alu instid0(VALU_DEP_1) | instskip(SKIP_1) | instid1(VALU_DEP_2)
	v_and_or_b32 v7, 0x7f00, v4, 0.5
	v_bfe_i32 v4, v4, 0, 16
	v_dual_add_f32 v7, -0.5, v7 :: v_dual_lshrrev_b32 v6, 4, v5
	v_cmp_gt_u32_e32 vcc_lo, 0x8000000, v5
	s_delay_alu instid0(VALU_DEP_2) | instskip(NEXT) | instid1(VALU_DEP_1)
	v_or_b32_e32 v6, 0x70000000, v6
	v_mul_f32_e32 v6, 0x7800000, v6
	s_delay_alu instid0(VALU_DEP_1) | instskip(NEXT) | instid1(VALU_DEP_1)
	v_cndmask_b32_e32 v5, v6, v7, vcc_lo
	v_and_or_b32 v4, 0x80000000, v4, v5
	s_delay_alu instid0(VALU_DEP_1) | instskip(NEXT) | instid1(VALU_DEP_1)
	v_trunc_f32_e32 v4, v4
	v_mul_f32_e64 v5, 0x2f800000, |v4|
	s_delay_alu instid0(VALU_DEP_1) | instskip(NEXT) | instid1(VALU_DEP_1)
	v_floor_f32_e32 v5, v5
	v_fma_f32 v6, 0xcf800000, v5, |v4|
	v_ashrrev_i32_e32 v4, 31, v4
	v_cvt_u32_f32_e32 v7, v5
	s_delay_alu instid0(VALU_DEP_3) | instskip(NEXT) | instid1(VALU_DEP_2)
	v_cvt_u32_f32_e32 v6, v6
	v_dual_mov_b32 v5, v4 :: v_dual_bitop2_b32 v7, v7, v4 bitop3:0x14
	s_delay_alu instid0(VALU_DEP_2) | instskip(NEXT) | instid1(VALU_DEP_1)
	v_xor_b32_e32 v6, v6, v4
	v_sub_nc_u64_e32 v[4:5], v[6:7], v[4:5]
.LBB30_316:
	s_mov_b32 s22, 0
	s_mov_b32 s21, -1
.LBB30_317:
	s_and_not1_b32 vcc_lo, exec_lo, s22
	s_cbranch_vccnz .LBB30_330
; %bb.318:
	s_cmp_gt_i32 s15, 14
	s_cbranch_scc0 .LBB30_321
; %bb.319:
	s_cmp_eq_u32 s15, 15
	s_cbranch_scc0 .LBB30_324
; %bb.320:
	s_wait_loadcnt 0x0
	global_load_u16 v4, v[2:3], off
	s_mov_b32 s21, -1
	s_mov_b32 s17, 0
	s_wait_loadcnt 0x0
	v_lshlrev_b32_e32 v4, 16, v4
	s_delay_alu instid0(VALU_DEP_1) | instskip(NEXT) | instid1(VALU_DEP_1)
	v_trunc_f32_e32 v4, v4
	v_mul_f32_e64 v5, 0x2f800000, |v4|
	s_delay_alu instid0(VALU_DEP_1) | instskip(NEXT) | instid1(VALU_DEP_1)
	v_floor_f32_e32 v5, v5
	v_fma_f32 v6, 0xcf800000, v5, |v4|
	v_ashrrev_i32_e32 v4, 31, v4
	v_cvt_u32_f32_e32 v7, v5
	s_delay_alu instid0(VALU_DEP_3) | instskip(NEXT) | instid1(VALU_DEP_2)
	v_cvt_u32_f32_e32 v6, v6
	v_dual_mov_b32 v5, v4 :: v_dual_bitop2_b32 v7, v7, v4 bitop3:0x14
	s_delay_alu instid0(VALU_DEP_2) | instskip(NEXT) | instid1(VALU_DEP_1)
	v_xor_b32_e32 v6, v6, v4
	v_sub_nc_u64_e32 v[4:5], v[6:7], v[4:5]
	s_branch .LBB30_325
.LBB30_321:
	s_mov_b32 s22, -1
                                        ; implicit-def: $vgpr4_vgpr5
	s_branch .LBB30_326
.LBB30_322:
	s_and_not1_saveexec_b32 s21, s21
	s_cbranch_execz .LBB30_303
.LBB30_323:
	v_cmp_ne_u16_e32 vcc_lo, 0, v6
	s_and_not1_b32 s22, s22, exec_lo
	s_and_b32 s23, vcc_lo, exec_lo
	s_delay_alu instid0(SALU_CYCLE_1)
	s_or_b32 s22, s22, s23
	s_or_b32 exec_lo, exec_lo, s21
	v_mov_b64_e32 v[4:5], 0
	s_and_saveexec_b32 s21, s22
	s_cbranch_execnz .LBB30_304
	s_branch .LBB30_305
.LBB30_324:
	s_mov_b32 s17, -1
                                        ; implicit-def: $vgpr4_vgpr5
.LBB30_325:
	s_mov_b32 s22, 0
.LBB30_326:
	s_delay_alu instid0(SALU_CYCLE_1)
	s_and_b32 vcc_lo, exec_lo, s22
	s_cbranch_vccz .LBB30_330
; %bb.327:
	s_cmp_eq_u32 s15, 11
	s_cbranch_scc0 .LBB30_329
; %bb.328:
	s_wait_loadcnt 0x0
	global_load_u8 v4, v[2:3], off
	s_mov_b32 s17, 0
	s_mov_b32 s21, -1
	v_mov_b32_e32 v5, s17
	s_wait_loadcnt 0x0
	v_cmp_ne_u16_e32 vcc_lo, 0, v4
	v_cndmask_b32_e64 v4, 0, 1, vcc_lo
	s_branch .LBB30_330
.LBB30_329:
	s_mov_b32 s17, -1
                                        ; implicit-def: $vgpr4_vgpr5
.LBB30_330:
	s_branch .LBB30_20
.LBB30_331:
	s_and_b32 s0, 0xffff, s0
	s_delay_alu instid0(SALU_CYCLE_1)
	s_cmp_lt_i32 s0, 5
	s_cbranch_scc1 .LBB30_336
; %bb.332:
	s_cmp_lt_i32 s0, 8
	s_cbranch_scc1 .LBB30_337
; %bb.333:
	s_cmp_lt_i32 s0, 9
	s_cbranch_scc1 .LBB30_338
; %bb.334:
	s_cmp_gt_i32 s0, 9
	s_cbranch_scc0 .LBB30_339
; %bb.335:
	s_wait_loadcnt 0x0
	global_load_b64 v[4:5], v[2:3], off
	s_mov_b32 s15, 0
	s_wait_loadcnt 0x0
	v_trunc_f64_e32 v[4:5], v[4:5]
	s_delay_alu instid0(VALU_DEP_1) | instskip(NEXT) | instid1(VALU_DEP_1)
	v_ldexp_f64 v[6:7], v[4:5], 0xffffffe0
	v_floor_f64_e32 v[6:7], v[6:7]
	s_delay_alu instid0(VALU_DEP_1) | instskip(SKIP_1) | instid1(VALU_DEP_2)
	v_fmamk_f64 v[8:9], v[6:7], 0xc1f00000, v[4:5]
	v_cvt_i32_f64_e32 v5, v[6:7]
	v_cvt_u32_f64_e32 v4, v[8:9]
	s_branch .LBB30_340
.LBB30_336:
	s_mov_b32 s15, -1
                                        ; implicit-def: $vgpr4_vgpr5
	s_branch .LBB30_358
.LBB30_337:
	s_mov_b32 s15, -1
                                        ; implicit-def: $vgpr4_vgpr5
	s_branch .LBB30_346
.LBB30_338:
	s_mov_b32 s15, -1
                                        ; implicit-def: $vgpr4_vgpr5
	s_branch .LBB30_343
.LBB30_339:
	s_mov_b32 s15, -1
                                        ; implicit-def: $vgpr4_vgpr5
.LBB30_340:
	s_delay_alu instid0(SALU_CYCLE_1)
	s_and_not1_b32 vcc_lo, exec_lo, s15
	s_cbranch_vccnz .LBB30_342
; %bb.341:
	s_wait_loadcnt 0x0
	global_load_b32 v4, v[2:3], off
	s_wait_loadcnt 0x0
	v_trunc_f32_e32 v4, v4
	s_delay_alu instid0(VALU_DEP_1) | instskip(NEXT) | instid1(VALU_DEP_1)
	v_mul_f32_e64 v5, 0x2f800000, |v4|
	v_floor_f32_e32 v5, v5
	s_delay_alu instid0(VALU_DEP_1) | instskip(SKIP_2) | instid1(VALU_DEP_3)
	v_fma_f32 v6, 0xcf800000, v5, |v4|
	v_ashrrev_i32_e32 v4, 31, v4
	v_cvt_u32_f32_e32 v7, v5
	v_cvt_u32_f32_e32 v6, v6
	s_delay_alu instid0(VALU_DEP_2) | instskip(NEXT) | instid1(VALU_DEP_2)
	v_dual_mov_b32 v5, v4 :: v_dual_bitop2_b32 v7, v7, v4 bitop3:0x14
	v_xor_b32_e32 v6, v6, v4
	s_delay_alu instid0(VALU_DEP_1)
	v_sub_nc_u64_e32 v[4:5], v[6:7], v[4:5]
.LBB30_342:
	s_mov_b32 s15, 0
.LBB30_343:
	s_delay_alu instid0(SALU_CYCLE_1)
	s_and_not1_b32 vcc_lo, exec_lo, s15
	s_cbranch_vccnz .LBB30_345
; %bb.344:
	s_wait_loadcnt 0x0
	global_load_b32 v4, v[2:3], off
	s_wait_loadcnt 0x0
	v_cvt_f32_f16_e32 v4, v4
	s_delay_alu instid0(VALU_DEP_1) | instskip(NEXT) | instid1(VALU_DEP_1)
	v_cvt_i32_f32_e32 v4, v4
	v_ashrrev_i32_e32 v5, 31, v4
.LBB30_345:
	s_mov_b32 s15, 0
.LBB30_346:
	s_delay_alu instid0(SALU_CYCLE_1)
	s_and_not1_b32 vcc_lo, exec_lo, s15
	s_cbranch_vccnz .LBB30_357
; %bb.347:
	s_cmp_lt_i32 s0, 6
	s_cbranch_scc1 .LBB30_350
; %bb.348:
	s_cmp_gt_i32 s0, 6
	s_cbranch_scc0 .LBB30_351
; %bb.349:
	s_wait_loadcnt 0x0
	global_load_b64 v[4:5], v[2:3], off
	s_mov_b32 s15, 0
	s_wait_loadcnt 0x0
	v_trunc_f64_e32 v[4:5], v[4:5]
	s_delay_alu instid0(VALU_DEP_1) | instskip(NEXT) | instid1(VALU_DEP_1)
	v_ldexp_f64 v[6:7], v[4:5], 0xffffffe0
	v_floor_f64_e32 v[6:7], v[6:7]
	s_delay_alu instid0(VALU_DEP_1) | instskip(SKIP_1) | instid1(VALU_DEP_2)
	v_fmamk_f64 v[8:9], v[6:7], 0xc1f00000, v[4:5]
	v_cvt_i32_f64_e32 v5, v[6:7]
	v_cvt_u32_f64_e32 v4, v[8:9]
	s_branch .LBB30_352
.LBB30_350:
	s_mov_b32 s15, -1
                                        ; implicit-def: $vgpr4_vgpr5
	s_branch .LBB30_355
.LBB30_351:
	s_mov_b32 s15, -1
                                        ; implicit-def: $vgpr4_vgpr5
.LBB30_352:
	s_delay_alu instid0(SALU_CYCLE_1)
	s_and_not1_b32 vcc_lo, exec_lo, s15
	s_cbranch_vccnz .LBB30_354
; %bb.353:
	s_wait_loadcnt 0x0
	global_load_b32 v4, v[2:3], off
	s_wait_loadcnt 0x0
	v_trunc_f32_e32 v4, v4
	s_delay_alu instid0(VALU_DEP_1) | instskip(NEXT) | instid1(VALU_DEP_1)
	v_mul_f32_e64 v5, 0x2f800000, |v4|
	v_floor_f32_e32 v5, v5
	s_delay_alu instid0(VALU_DEP_1) | instskip(SKIP_2) | instid1(VALU_DEP_3)
	v_fma_f32 v6, 0xcf800000, v5, |v4|
	v_ashrrev_i32_e32 v4, 31, v4
	v_cvt_u32_f32_e32 v7, v5
	v_cvt_u32_f32_e32 v6, v6
	s_delay_alu instid0(VALU_DEP_2) | instskip(NEXT) | instid1(VALU_DEP_2)
	v_dual_mov_b32 v5, v4 :: v_dual_bitop2_b32 v7, v7, v4 bitop3:0x14
	v_xor_b32_e32 v6, v6, v4
	s_delay_alu instid0(VALU_DEP_1)
	v_sub_nc_u64_e32 v[4:5], v[6:7], v[4:5]
.LBB30_354:
	s_mov_b32 s15, 0
.LBB30_355:
	s_delay_alu instid0(SALU_CYCLE_1)
	s_and_not1_b32 vcc_lo, exec_lo, s15
	s_cbranch_vccnz .LBB30_357
; %bb.356:
	s_wait_loadcnt 0x0
	global_load_u16 v4, v[2:3], off
	s_wait_loadcnt 0x0
	v_cvt_f32_f16_e32 v4, v4
	s_delay_alu instid0(VALU_DEP_1) | instskip(NEXT) | instid1(VALU_DEP_1)
	v_cvt_i32_f32_e32 v4, v4
	v_ashrrev_i32_e32 v5, 31, v4
.LBB30_357:
	s_mov_b32 s15, 0
.LBB30_358:
	s_delay_alu instid0(SALU_CYCLE_1)
	s_and_not1_b32 vcc_lo, exec_lo, s15
	s_cbranch_vccnz .LBB30_378
; %bb.359:
	s_cmp_lt_i32 s0, 2
	s_cbranch_scc1 .LBB30_363
; %bb.360:
	s_cmp_lt_i32 s0, 3
	s_cbranch_scc1 .LBB30_364
; %bb.361:
	s_cmp_gt_i32 s0, 3
	s_cbranch_scc0 .LBB30_365
; %bb.362:
	s_wait_loadcnt 0x0
	global_load_b64 v[4:5], v[2:3], off
	s_mov_b32 s15, 0
	s_branch .LBB30_366
.LBB30_363:
	s_mov_b32 s15, -1
                                        ; implicit-def: $vgpr4_vgpr5
	s_branch .LBB30_372
.LBB30_364:
	s_mov_b32 s15, -1
                                        ; implicit-def: $vgpr4_vgpr5
	s_branch .LBB30_369
.LBB30_365:
	s_mov_b32 s15, -1
                                        ; implicit-def: $vgpr4_vgpr5
.LBB30_366:
	s_delay_alu instid0(SALU_CYCLE_1)
	s_and_not1_b32 vcc_lo, exec_lo, s15
	s_cbranch_vccnz .LBB30_368
; %bb.367:
	s_wait_loadcnt 0x0
	global_load_b32 v4, v[2:3], off
	s_wait_loadcnt 0x0
	v_ashrrev_i32_e32 v5, 31, v4
.LBB30_368:
	s_mov_b32 s15, 0
.LBB30_369:
	s_delay_alu instid0(SALU_CYCLE_1)
	s_and_not1_b32 vcc_lo, exec_lo, s15
	s_cbranch_vccnz .LBB30_371
; %bb.370:
	s_wait_loadcnt 0x0
	global_load_u16 v4, v[2:3], off
	s_wait_loadcnt 0x0
	v_bfe_i32 v4, v4, 0, 16
	s_delay_alu instid0(VALU_DEP_1)
	v_ashrrev_i32_e32 v5, 31, v4
.LBB30_371:
	s_mov_b32 s15, 0
.LBB30_372:
	s_delay_alu instid0(SALU_CYCLE_1)
	s_and_not1_b32 vcc_lo, exec_lo, s15
	s_cbranch_vccnz .LBB30_378
; %bb.373:
	s_cmp_gt_i32 s0, 0
	s_mov_b32 s0, 0
	s_cbranch_scc0 .LBB30_375
; %bb.374:
	s_wait_loadcnt 0x0
	global_load_i8 v4, v[2:3], off
	s_wait_loadcnt 0x0
	v_bfe_i32 v4, v4, 0, 16
	s_delay_alu instid0(VALU_DEP_1)
	v_ashrrev_i32_e32 v5, 31, v4
	s_branch .LBB30_376
.LBB30_375:
	s_mov_b32 s0, -1
                                        ; implicit-def: $vgpr4_vgpr5
.LBB30_376:
	s_delay_alu instid0(SALU_CYCLE_1)
	s_and_not1_b32 vcc_lo, exec_lo, s0
	s_cbranch_vccnz .LBB30_378
; %bb.377:
	global_load_u8 v2, v[2:3], off
	s_mov_b32 s0, 0
	s_wait_loadcnt 0x1
	v_mov_b32_e32 v5, s0
	s_wait_loadcnt 0x0
	v_and_b32_e32 v4, 0xffff, v2
.LBB30_378:
	s_branch .LBB30_21
.LBB30_379:
	s_mov_b32 s0, 0
.LBB30_380:
	s_mov_b32 s21, 0
                                        ; implicit-def: $vgpr16
.LBB30_381:
	s_and_b32 s15, s0, exec_lo
	s_and_b32 s17, s17, exec_lo
	;; [unrolled: 1-line block ×3, first 2 shown]
	s_or_not1_b32 s23, s21, exec_lo
.LBB30_382:
	s_wait_xcnt 0x0
	s_or_b32 exec_lo, exec_lo, s19
	s_mov_b32 s22, 0
	s_mov_b32 s21, 0
                                        ; implicit-def: $sgpr0
                                        ; implicit-def: $vgpr2_vgpr3
                                        ; implicit-def: $vgpr0_vgpr1
	s_and_saveexec_b32 s19, s23
	s_cbranch_execz .LBB30_391
; %bb.383:
	s_mov_b32 s25, -1
	s_mov_b32 s20, s18
	s_mov_b32 s22, s17
	s_mov_b32 s21, s15
	s_mov_b32 s23, exec_lo
	v_cmpx_gt_i32_e64 s16, v16
	s_cbranch_execz .LBB30_775
; %bb.384:
	s_wait_loadcnt 0x0
	v_mul_lo_u32 v0, v16, s9
	s_and_b32 s0, s13, 0xff
	s_delay_alu instid0(SALU_CYCLE_1) | instskip(NEXT) | instid1(VALU_DEP_1)
	s_cmp_lt_i32 s0, 11
	v_ashrrev_i32_e32 v1, 31, v0
	s_delay_alu instid0(VALU_DEP_1)
	v_add_nc_u64_e32 v[2:3], s[6:7], v[0:1]
	s_cbranch_scc1 .LBB30_394
; %bb.385:
	s_and_b32 s21, 0xffff, s0
	s_delay_alu instid0(SALU_CYCLE_1)
	s_cmp_gt_i32 s21, 25
	s_cbranch_scc0 .LBB30_403
; %bb.386:
	s_cmp_gt_i32 s21, 28
	s_cbranch_scc0 .LBB30_405
; %bb.387:
	;; [unrolled: 3-line block ×4, first 2 shown]
	s_cmp_eq_u32 s21, 46
	s_mov_b32 s24, 0
	s_cbranch_scc0 .LBB30_413
; %bb.390:
	global_load_b32 v0, v[2:3], off
	s_mov_b32 s22, -1
	s_mov_b32 s20, 0
	s_wait_loadcnt 0x0
	v_lshlrev_b32_e32 v0, 16, v0
	s_delay_alu instid0(VALU_DEP_1) | instskip(NEXT) | instid1(VALU_DEP_1)
	v_trunc_f32_e32 v0, v0
	v_mul_f32_e64 v1, 0x2f800000, |v0|
	s_delay_alu instid0(VALU_DEP_1) | instskip(NEXT) | instid1(VALU_DEP_1)
	v_floor_f32_e32 v1, v1
	v_fma_f32 v4, 0xcf800000, v1, |v0|
	v_ashrrev_i32_e32 v0, 31, v0
	v_cvt_u32_f32_e32 v5, v1
	s_delay_alu instid0(VALU_DEP_3) | instskip(NEXT) | instid1(VALU_DEP_2)
	v_cvt_u32_f32_e32 v4, v4
	v_dual_mov_b32 v1, v0 :: v_dual_bitop2_b32 v5, v5, v0 bitop3:0x14
	s_delay_alu instid0(VALU_DEP_2) | instskip(NEXT) | instid1(VALU_DEP_1)
	v_xor_b32_e32 v4, v4, v0
	v_sub_nc_u64_e32 v[0:1], v[4:5], v[0:1]
	s_branch .LBB30_415
.LBB30_391:
	s_or_b32 exec_lo, exec_lo, s19
	s_mov_b32 s16, 0
	s_and_saveexec_b32 s19, s18
	s_cbranch_execnz .LBB30_1247
.LBB30_392:
	s_or_b32 exec_lo, exec_lo, s19
	s_and_saveexec_b32 s18, s20
	s_delay_alu instid0(SALU_CYCLE_1)
	s_xor_b32 s18, exec_lo, s18
	s_cbranch_execz .LBB30_1248
.LBB30_393:
	s_wait_loadcnt 0x0
	global_load_u8 v0, v[2:3], off
	s_mov_b32 s19, 0
	s_or_b32 s21, s21, exec_lo
	v_mov_b32_e32 v1, s19
	s_wait_loadcnt 0x0
	v_cmp_ne_u16_e32 vcc_lo, 0, v0
	v_cndmask_b32_e64 v0, 0, 1, vcc_lo
	s_wait_xcnt 0x0
	s_or_b32 exec_lo, exec_lo, s18
	s_and_saveexec_b32 s18, s22
	s_cbranch_execz .LBB30_1294
	s_branch .LBB30_1249
.LBB30_394:
	s_mov_b32 s22, 0
	s_mov_b32 s20, s18
                                        ; implicit-def: $vgpr0_vgpr1
	s_cbranch_execnz .LBB30_477
.LBB30_395:
	s_and_not1_b32 vcc_lo, exec_lo, s22
	s_cbranch_vccnz .LBB30_525
.LBB30_396:
	s_wait_xcnt 0x0
	v_mul_lo_u32 v2, v16, s10
	s_and_b32 s0, s1, 0xff
	s_delay_alu instid0(SALU_CYCLE_1) | instskip(NEXT) | instid1(VALU_DEP_1)
	s_cmp_lt_i32 s0, 11
	v_ashrrev_i32_e32 v3, 31, v2
	s_delay_alu instid0(VALU_DEP_1)
	v_add_nc_u64_e32 v[2:3], s[2:3], v[2:3]
	s_cbranch_scc1 .LBB30_404
; %bb.397:
	s_and_b32 s21, 0xffff, s0
	s_delay_alu instid0(SALU_CYCLE_1)
	s_cmp_gt_i32 s21, 25
	s_cbranch_scc0 .LBB30_406
; %bb.398:
	s_cmp_gt_i32 s21, 28
	s_cbranch_scc0 .LBB30_408
; %bb.399:
	;; [unrolled: 3-line block ×4, first 2 shown]
	s_cmp_eq_u32 s21, 46
	s_mov_b32 s25, 0
	s_cbranch_scc0 .LBB30_528
; %bb.402:
	global_load_b32 v4, v[2:3], off
	s_mov_b32 s24, -1
	s_mov_b32 s22, 0
	s_wait_loadcnt 0x0
	v_lshlrev_b32_e32 v4, 16, v4
	s_delay_alu instid0(VALU_DEP_1) | instskip(NEXT) | instid1(VALU_DEP_1)
	v_trunc_f32_e32 v4, v4
	v_mul_f32_e64 v5, 0x2f800000, |v4|
	s_delay_alu instid0(VALU_DEP_1) | instskip(NEXT) | instid1(VALU_DEP_1)
	v_floor_f32_e32 v5, v5
	v_fma_f32 v6, 0xcf800000, v5, |v4|
	v_ashrrev_i32_e32 v4, 31, v4
	v_cvt_u32_f32_e32 v7, v5
	s_delay_alu instid0(VALU_DEP_3) | instskip(NEXT) | instid1(VALU_DEP_2)
	v_cvt_u32_f32_e32 v6, v6
	v_dual_mov_b32 v5, v4 :: v_dual_bitop2_b32 v7, v7, v4 bitop3:0x14
	s_delay_alu instid0(VALU_DEP_2) | instskip(NEXT) | instid1(VALU_DEP_1)
	v_xor_b32_e32 v6, v6, v4
	v_sub_nc_u64_e32 v[4:5], v[6:7], v[4:5]
	s_branch .LBB30_530
.LBB30_403:
	s_mov_b32 s24, -1
	s_mov_b32 s22, 0
	s_mov_b32 s20, s18
                                        ; implicit-def: $vgpr0_vgpr1
	s_branch .LBB30_443
.LBB30_404:
	s_mov_b32 s21, -1
	s_mov_b32 s24, 0
	s_mov_b32 s22, s17
                                        ; implicit-def: $vgpr4_vgpr5
	s_branch .LBB30_591
.LBB30_405:
	s_mov_b32 s24, -1
	s_mov_b32 s22, 0
	s_mov_b32 s20, s18
                                        ; implicit-def: $vgpr0_vgpr1
	s_branch .LBB30_426
.LBB30_406:
	s_mov_b32 s25, -1
	s_mov_b32 s24, 0
	s_mov_b32 s22, s17
                                        ; implicit-def: $vgpr4_vgpr5
	s_branch .LBB30_557
.LBB30_407:
	s_mov_b32 s24, -1
	s_mov_b32 s22, 0
	s_mov_b32 s20, s18
                                        ; implicit-def: $vgpr0_vgpr1
	s_branch .LBB30_421
.LBB30_408:
	s_mov_b32 s25, -1
	s_mov_b32 s24, 0
	s_mov_b32 s22, s17
                                        ; implicit-def: $vgpr4_vgpr5
	s_branch .LBB30_540
.LBB30_409:
	s_mov_b32 s24, -1
	s_mov_b32 s22, 0
	s_mov_b32 s20, s18
	s_branch .LBB30_414
.LBB30_410:
	s_mov_b32 s25, -1
	s_mov_b32 s24, 0
	s_mov_b32 s22, s17
                                        ; implicit-def: $vgpr4_vgpr5
	s_branch .LBB30_535
.LBB30_411:
	s_and_not1_saveexec_b32 s24, s24
	s_cbranch_execz .LBB30_184
.LBB30_412:
	v_add_f32_e32 v4, 0x46000000, v5
	s_and_not1_b32 s23, s23, exec_lo
	s_delay_alu instid0(VALU_DEP_1) | instskip(NEXT) | instid1(VALU_DEP_1)
	v_and_b32_e32 v4, 0xff, v4
	v_cmp_ne_u32_e32 vcc_lo, 0, v4
	s_and_b32 s25, vcc_lo, exec_lo
	s_delay_alu instid0(SALU_CYCLE_1)
	s_or_b32 s23, s23, s25
	s_or_b32 exec_lo, exec_lo, s24
	v_mov_b32_e32 v6, 0
	s_and_saveexec_b32 s24, s23
	s_cbranch_execnz .LBB30_185
	s_branch .LBB30_186
.LBB30_413:
	s_mov_b32 s20, -1
	s_mov_b32 s22, 0
.LBB30_414:
                                        ; implicit-def: $vgpr0_vgpr1
.LBB30_415:
	s_and_b32 vcc_lo, exec_lo, s24
	s_cbranch_vccz .LBB30_420
; %bb.416:
	s_cmp_eq_u32 s21, 44
	s_cbranch_scc0 .LBB30_419
; %bb.417:
	global_load_u8 v6, v[2:3], off
	s_mov_b32 s20, 0
	s_mov_b32 s22, -1
	s_wait_loadcnt 0x0
	v_cmp_ne_u32_e32 vcc_lo, 0, v6
	v_lshlrev_b32_e32 v0, 23, v6
	s_delay_alu instid0(VALU_DEP_1) | instskip(NEXT) | instid1(VALU_DEP_1)
	v_trunc_f32_e32 v0, v0
	v_mul_f32_e64 v1, 0x2f800000, |v0|
	s_delay_alu instid0(VALU_DEP_1) | instskip(NEXT) | instid1(VALU_DEP_1)
	v_floor_f32_e32 v1, v1
	v_fma_f32 v4, 0xcf800000, v1, |v0|
	v_ashrrev_i32_e32 v0, 31, v0
	v_cvt_u32_f32_e32 v5, v1
	s_delay_alu instid0(VALU_DEP_3) | instskip(NEXT) | instid1(VALU_DEP_2)
	v_cvt_u32_f32_e32 v4, v4
	v_dual_mov_b32 v1, v0 :: v_dual_bitop2_b32 v5, v5, v0 bitop3:0x14
	s_delay_alu instid0(VALU_DEP_2) | instskip(NEXT) | instid1(VALU_DEP_1)
	v_xor_b32_e32 v4, v4, v0
	v_sub_nc_u64_e32 v[0:1], v[4:5], v[0:1]
	s_delay_alu instid0(VALU_DEP_1)
	v_dual_cndmask_b32 v1, 0, v1 :: v_dual_cndmask_b32 v0, 0, v0
	s_branch .LBB30_420
.LBB30_418:
	s_mov_b32 s25, -1
	s_mov_b32 s24, 0
	s_mov_b32 s22, s17
	s_branch .LBB30_529
.LBB30_419:
	s_mov_b32 s20, -1
                                        ; implicit-def: $vgpr0_vgpr1
.LBB30_420:
	s_mov_b32 s24, 0
.LBB30_421:
	s_delay_alu instid0(SALU_CYCLE_1)
	s_and_b32 vcc_lo, exec_lo, s24
	s_cbranch_vccz .LBB30_425
; %bb.422:
	s_cmp_eq_u32 s21, 29
	s_cbranch_scc0 .LBB30_424
; %bb.423:
	global_load_b64 v[0:1], v[2:3], off
	s_mov_b32 s22, -1
	s_mov_b32 s20, 0
	s_branch .LBB30_425
.LBB30_424:
	s_mov_b32 s20, -1
                                        ; implicit-def: $vgpr0_vgpr1
.LBB30_425:
	s_mov_b32 s24, 0
.LBB30_426:
	s_delay_alu instid0(SALU_CYCLE_1)
	s_and_b32 vcc_lo, exec_lo, s24
	s_cbranch_vccz .LBB30_442
; %bb.427:
	s_cmp_lt_i32 s21, 27
	s_cbranch_scc1 .LBB30_430
; %bb.428:
	s_cmp_gt_i32 s21, 27
	s_cbranch_scc0 .LBB30_431
; %bb.429:
	s_wait_loadcnt 0x0
	global_load_b32 v0, v[2:3], off
	v_mov_b32_e32 v1, 0
	s_mov_b32 s22, 0
	s_branch .LBB30_432
.LBB30_430:
	s_mov_b32 s22, -1
                                        ; implicit-def: $vgpr0_vgpr1
	s_branch .LBB30_435
.LBB30_431:
	s_mov_b32 s22, -1
                                        ; implicit-def: $vgpr0_vgpr1
.LBB30_432:
	s_delay_alu instid0(SALU_CYCLE_1)
	s_and_not1_b32 vcc_lo, exec_lo, s22
	s_cbranch_vccnz .LBB30_434
; %bb.433:
	s_wait_loadcnt 0x0
	global_load_u16 v0, v[2:3], off
	s_mov_b32 s22, 0
	s_delay_alu instid0(SALU_CYCLE_1)
	v_mov_b32_e32 v1, s22
	s_wait_loadcnt 0x0
	v_and_b32_e32 v0, 0xffff, v0
.LBB30_434:
	s_mov_b32 s22, 0
.LBB30_435:
	s_delay_alu instid0(SALU_CYCLE_1)
	s_and_not1_b32 vcc_lo, exec_lo, s22
	s_cbranch_vccnz .LBB30_441
; %bb.436:
	global_load_u8 v4, v[2:3], off
	s_mov_b32 s24, 0
	s_mov_b32 s22, exec_lo
	s_wait_loadcnt 0x0
	v_cmpx_lt_i16_e32 0x7f, v4
	s_xor_b32 s22, exec_lo, s22
	s_cbranch_execz .LBB30_453
; %bb.437:
	v_cmp_ne_u16_e32 vcc_lo, 0x80, v4
	s_and_b32 s24, vcc_lo, exec_lo
	s_and_not1_saveexec_b32 s22, s22
	s_cbranch_execnz .LBB30_454
.LBB30_438:
	s_or_b32 exec_lo, exec_lo, s22
	v_mov_b64_e32 v[0:1], 0
	s_and_saveexec_b32 s22, s24
	s_cbranch_execz .LBB30_440
.LBB30_439:
	v_and_b32_e32 v0, 0xffff, v4
	s_delay_alu instid0(VALU_DEP_1) | instskip(SKIP_1) | instid1(VALU_DEP_2)
	v_and_b32_e32 v1, 7, v0
	v_bfe_u32 v7, v0, 3, 4
	v_clz_i32_u32_e32 v5, v1
	s_delay_alu instid0(VALU_DEP_2) | instskip(NEXT) | instid1(VALU_DEP_2)
	v_cmp_eq_u32_e32 vcc_lo, 0, v7
	v_min_u32_e32 v5, 32, v5
	s_delay_alu instid0(VALU_DEP_1) | instskip(NEXT) | instid1(VALU_DEP_1)
	v_subrev_nc_u32_e32 v6, 28, v5
	v_dual_lshlrev_b32 v0, v6, v0 :: v_dual_sub_nc_u32 v5, 29, v5
	s_delay_alu instid0(VALU_DEP_1) | instskip(NEXT) | instid1(VALU_DEP_2)
	v_and_b32_e32 v0, 7, v0
	v_dual_cndmask_b32 v5, v7, v5 :: v_dual_lshlrev_b32 v4, 24, v4
	s_delay_alu instid0(VALU_DEP_2) | instskip(NEXT) | instid1(VALU_DEP_2)
	v_cndmask_b32_e32 v0, v1, v0, vcc_lo
	v_and_b32_e32 v1, 0x80000000, v4
	s_delay_alu instid0(VALU_DEP_3) | instskip(NEXT) | instid1(VALU_DEP_3)
	v_lshl_add_u32 v4, v5, 23, 0x3b800000
	v_lshlrev_b32_e32 v0, 20, v0
	s_delay_alu instid0(VALU_DEP_1) | instskip(NEXT) | instid1(VALU_DEP_1)
	v_or3_b32 v0, v1, v4, v0
	v_trunc_f32_e32 v0, v0
	s_delay_alu instid0(VALU_DEP_1) | instskip(NEXT) | instid1(VALU_DEP_1)
	v_mul_f32_e64 v1, 0x2f800000, |v0|
	v_floor_f32_e32 v1, v1
	s_delay_alu instid0(VALU_DEP_1) | instskip(SKIP_2) | instid1(VALU_DEP_3)
	v_fma_f32 v4, 0xcf800000, v1, |v0|
	v_ashrrev_i32_e32 v0, 31, v0
	v_cvt_u32_f32_e32 v5, v1
	v_cvt_u32_f32_e32 v4, v4
	s_delay_alu instid0(VALU_DEP_2) | instskip(NEXT) | instid1(VALU_DEP_2)
	v_dual_mov_b32 v1, v0 :: v_dual_bitop2_b32 v5, v5, v0 bitop3:0x14
	v_xor_b32_e32 v4, v4, v0
	s_delay_alu instid0(VALU_DEP_1)
	v_sub_nc_u64_e32 v[0:1], v[4:5], v[0:1]
.LBB30_440:
	s_or_b32 exec_lo, exec_lo, s22
.LBB30_441:
	s_mov_b32 s22, -1
.LBB30_442:
	s_mov_b32 s24, 0
.LBB30_443:
	s_delay_alu instid0(SALU_CYCLE_1)
	s_and_b32 vcc_lo, exec_lo, s24
	s_cbranch_vccz .LBB30_476
; %bb.444:
	s_cmp_gt_i32 s21, 22
	s_cbranch_scc0 .LBB30_452
; %bb.445:
	s_cmp_lt_i32 s21, 24
	s_cbranch_scc1 .LBB30_455
; %bb.446:
	s_cmp_gt_i32 s21, 24
	s_cbranch_scc0 .LBB30_456
; %bb.447:
	global_load_u8 v4, v[2:3], off
	s_mov_b32 s24, 0
	s_mov_b32 s22, exec_lo
	s_wait_loadcnt 0x0
	v_cmpx_lt_i16_e32 0x7f, v4
	s_xor_b32 s22, exec_lo, s22
	s_cbranch_execz .LBB30_468
; %bb.448:
	v_cmp_ne_u16_e32 vcc_lo, 0x80, v4
	s_and_b32 s24, vcc_lo, exec_lo
	s_and_not1_saveexec_b32 s22, s22
	s_cbranch_execnz .LBB30_469
.LBB30_449:
	s_or_b32 exec_lo, exec_lo, s22
	v_mov_b64_e32 v[0:1], 0
	s_and_saveexec_b32 s22, s24
	s_cbranch_execz .LBB30_451
.LBB30_450:
	v_and_b32_e32 v0, 0xffff, v4
	s_delay_alu instid0(VALU_DEP_1) | instskip(SKIP_1) | instid1(VALU_DEP_2)
	v_and_b32_e32 v1, 3, v0
	v_bfe_u32 v7, v0, 2, 5
	v_clz_i32_u32_e32 v5, v1
	s_delay_alu instid0(VALU_DEP_2) | instskip(NEXT) | instid1(VALU_DEP_2)
	v_cmp_eq_u32_e32 vcc_lo, 0, v7
	v_min_u32_e32 v5, 32, v5
	s_delay_alu instid0(VALU_DEP_1) | instskip(NEXT) | instid1(VALU_DEP_1)
	v_subrev_nc_u32_e32 v6, 29, v5
	v_dual_lshlrev_b32 v0, v6, v0 :: v_dual_sub_nc_u32 v5, 30, v5
	s_delay_alu instid0(VALU_DEP_1) | instskip(NEXT) | instid1(VALU_DEP_2)
	v_and_b32_e32 v0, 3, v0
	v_dual_cndmask_b32 v5, v7, v5 :: v_dual_lshlrev_b32 v4, 24, v4
	s_delay_alu instid0(VALU_DEP_2) | instskip(NEXT) | instid1(VALU_DEP_2)
	v_cndmask_b32_e32 v0, v1, v0, vcc_lo
	v_and_b32_e32 v1, 0x80000000, v4
	s_delay_alu instid0(VALU_DEP_3) | instskip(NEXT) | instid1(VALU_DEP_3)
	v_lshl_add_u32 v4, v5, 23, 0x37800000
	v_lshlrev_b32_e32 v0, 21, v0
	s_delay_alu instid0(VALU_DEP_1) | instskip(NEXT) | instid1(VALU_DEP_1)
	v_or3_b32 v0, v1, v4, v0
	v_trunc_f32_e32 v0, v0
	s_delay_alu instid0(VALU_DEP_1) | instskip(NEXT) | instid1(VALU_DEP_1)
	v_mul_f32_e64 v1, 0x2f800000, |v0|
	v_floor_f32_e32 v1, v1
	s_delay_alu instid0(VALU_DEP_1) | instskip(SKIP_2) | instid1(VALU_DEP_3)
	v_fma_f32 v4, 0xcf800000, v1, |v0|
	v_ashrrev_i32_e32 v0, 31, v0
	v_cvt_u32_f32_e32 v5, v1
	v_cvt_u32_f32_e32 v4, v4
	s_delay_alu instid0(VALU_DEP_2) | instskip(NEXT) | instid1(VALU_DEP_2)
	v_dual_mov_b32 v1, v0 :: v_dual_bitop2_b32 v5, v5, v0 bitop3:0x14
	v_xor_b32_e32 v4, v4, v0
	s_delay_alu instid0(VALU_DEP_1)
	v_sub_nc_u64_e32 v[0:1], v[4:5], v[0:1]
.LBB30_451:
	s_or_b32 exec_lo, exec_lo, s22
	s_mov_b32 s22, 0
	s_branch .LBB30_457
.LBB30_452:
	s_mov_b32 s24, -1
                                        ; implicit-def: $vgpr0_vgpr1
	s_branch .LBB30_463
.LBB30_453:
	s_and_not1_saveexec_b32 s22, s22
	s_cbranch_execz .LBB30_438
.LBB30_454:
	v_cmp_ne_u16_e32 vcc_lo, 0, v4
	s_and_not1_b32 s24, s24, exec_lo
	s_and_b32 s25, vcc_lo, exec_lo
	s_delay_alu instid0(SALU_CYCLE_1)
	s_or_b32 s24, s24, s25
	s_or_b32 exec_lo, exec_lo, s22
	v_mov_b64_e32 v[0:1], 0
	s_and_saveexec_b32 s22, s24
	s_cbranch_execnz .LBB30_439
	s_branch .LBB30_440
.LBB30_455:
	s_mov_b32 s22, -1
                                        ; implicit-def: $vgpr0_vgpr1
	s_branch .LBB30_460
.LBB30_456:
	s_mov_b32 s22, -1
                                        ; implicit-def: $vgpr0_vgpr1
.LBB30_457:
	s_delay_alu instid0(SALU_CYCLE_1)
	s_and_b32 vcc_lo, exec_lo, s22
	s_cbranch_vccz .LBB30_459
; %bb.458:
	s_wait_loadcnt 0x0
	global_load_u8 v0, v[2:3], off
	s_wait_loadcnt 0x0
	v_lshlrev_b32_e32 v0, 24, v0
	s_delay_alu instid0(VALU_DEP_1) | instskip(NEXT) | instid1(VALU_DEP_1)
	v_and_b32_e32 v1, 0x7f000000, v0
	v_clz_i32_u32_e32 v4, v1
	v_cmp_ne_u32_e32 vcc_lo, 0, v1
	v_add_nc_u32_e32 v6, 0x1000000, v1
	s_delay_alu instid0(VALU_DEP_3) | instskip(NEXT) | instid1(VALU_DEP_1)
	v_min_u32_e32 v4, 32, v4
	v_sub_nc_u32_e64 v4, v4, 4 clamp
	s_delay_alu instid0(VALU_DEP_1) | instskip(NEXT) | instid1(VALU_DEP_1)
	v_dual_lshlrev_b32 v5, v4, v1 :: v_dual_lshlrev_b32 v4, 23, v4
	v_lshrrev_b32_e32 v5, 4, v5
	s_delay_alu instid0(VALU_DEP_1) | instskip(NEXT) | instid1(VALU_DEP_1)
	v_dual_sub_nc_u32 v4, v5, v4 :: v_dual_ashrrev_i32 v5, 8, v6
	v_add_nc_u32_e32 v4, 0x3c000000, v4
	s_delay_alu instid0(VALU_DEP_1) | instskip(NEXT) | instid1(VALU_DEP_1)
	v_and_or_b32 v4, 0x7f800000, v5, v4
	v_cndmask_b32_e32 v1, 0, v4, vcc_lo
	s_delay_alu instid0(VALU_DEP_1) | instskip(NEXT) | instid1(VALU_DEP_1)
	v_and_or_b32 v0, 0x80000000, v0, v1
	v_trunc_f32_e32 v0, v0
	s_delay_alu instid0(VALU_DEP_1) | instskip(NEXT) | instid1(VALU_DEP_1)
	v_mul_f32_e64 v1, 0x2f800000, |v0|
	v_floor_f32_e32 v1, v1
	s_delay_alu instid0(VALU_DEP_1) | instskip(SKIP_2) | instid1(VALU_DEP_3)
	v_fma_f32 v4, 0xcf800000, v1, |v0|
	v_ashrrev_i32_e32 v0, 31, v0
	v_cvt_u32_f32_e32 v5, v1
	v_cvt_u32_f32_e32 v4, v4
	s_delay_alu instid0(VALU_DEP_2) | instskip(NEXT) | instid1(VALU_DEP_2)
	v_dual_mov_b32 v1, v0 :: v_dual_bitop2_b32 v5, v5, v0 bitop3:0x14
	v_xor_b32_e32 v4, v4, v0
	s_delay_alu instid0(VALU_DEP_1)
	v_sub_nc_u64_e32 v[0:1], v[4:5], v[0:1]
.LBB30_459:
	s_mov_b32 s22, 0
.LBB30_460:
	s_delay_alu instid0(SALU_CYCLE_1)
	s_and_not1_b32 vcc_lo, exec_lo, s22
	s_cbranch_vccnz .LBB30_462
; %bb.461:
	s_wait_loadcnt 0x0
	global_load_u8 v0, v[2:3], off
	s_wait_loadcnt 0x0
	v_lshlrev_b32_e32 v1, 25, v0
	v_lshlrev_b16 v0, 8, v0
	s_delay_alu instid0(VALU_DEP_1) | instskip(SKIP_1) | instid1(VALU_DEP_2)
	v_and_or_b32 v5, 0x7f00, v0, 0.5
	v_bfe_i32 v0, v0, 0, 16
	v_add_f32_e32 v5, -0.5, v5
	v_lshrrev_b32_e32 v4, 4, v1
	v_cmp_gt_u32_e32 vcc_lo, 0x8000000, v1
	s_delay_alu instid0(VALU_DEP_2) | instskip(NEXT) | instid1(VALU_DEP_1)
	v_or_b32_e32 v4, 0x70000000, v4
	v_mul_f32_e32 v4, 0x7800000, v4
	s_delay_alu instid0(VALU_DEP_1) | instskip(NEXT) | instid1(VALU_DEP_1)
	v_cndmask_b32_e32 v1, v4, v5, vcc_lo
	v_and_or_b32 v0, 0x80000000, v0, v1
	s_delay_alu instid0(VALU_DEP_1) | instskip(NEXT) | instid1(VALU_DEP_1)
	v_trunc_f32_e32 v0, v0
	v_mul_f32_e64 v1, 0x2f800000, |v0|
	s_delay_alu instid0(VALU_DEP_1) | instskip(NEXT) | instid1(VALU_DEP_1)
	v_floor_f32_e32 v1, v1
	v_fma_f32 v4, 0xcf800000, v1, |v0|
	v_ashrrev_i32_e32 v0, 31, v0
	v_cvt_u32_f32_e32 v5, v1
	s_delay_alu instid0(VALU_DEP_3) | instskip(NEXT) | instid1(VALU_DEP_2)
	v_cvt_u32_f32_e32 v4, v4
	v_dual_mov_b32 v1, v0 :: v_dual_bitop2_b32 v5, v5, v0 bitop3:0x14
	s_delay_alu instid0(VALU_DEP_2) | instskip(NEXT) | instid1(VALU_DEP_1)
	v_xor_b32_e32 v4, v4, v0
	v_sub_nc_u64_e32 v[0:1], v[4:5], v[0:1]
.LBB30_462:
	s_mov_b32 s24, 0
	s_mov_b32 s22, -1
.LBB30_463:
	s_and_not1_b32 vcc_lo, exec_lo, s24
	s_cbranch_vccnz .LBB30_476
; %bb.464:
	s_cmp_gt_i32 s21, 14
	s_cbranch_scc0 .LBB30_467
; %bb.465:
	s_cmp_eq_u32 s21, 15
	s_cbranch_scc0 .LBB30_470
; %bb.466:
	s_wait_loadcnt 0x0
	global_load_u16 v0, v[2:3], off
	s_mov_b32 s22, -1
	s_mov_b32 s20, 0
	s_wait_loadcnt 0x0
	v_lshlrev_b32_e32 v0, 16, v0
	s_delay_alu instid0(VALU_DEP_1) | instskip(NEXT) | instid1(VALU_DEP_1)
	v_trunc_f32_e32 v0, v0
	v_mul_f32_e64 v1, 0x2f800000, |v0|
	s_delay_alu instid0(VALU_DEP_1) | instskip(NEXT) | instid1(VALU_DEP_1)
	v_floor_f32_e32 v1, v1
	v_fma_f32 v4, 0xcf800000, v1, |v0|
	v_ashrrev_i32_e32 v0, 31, v0
	v_cvt_u32_f32_e32 v5, v1
	s_delay_alu instid0(VALU_DEP_3) | instskip(NEXT) | instid1(VALU_DEP_2)
	v_cvt_u32_f32_e32 v4, v4
	v_dual_mov_b32 v1, v0 :: v_dual_bitop2_b32 v5, v5, v0 bitop3:0x14
	s_delay_alu instid0(VALU_DEP_2) | instskip(NEXT) | instid1(VALU_DEP_1)
	v_xor_b32_e32 v4, v4, v0
	v_sub_nc_u64_e32 v[0:1], v[4:5], v[0:1]
	s_branch .LBB30_471
.LBB30_467:
	s_mov_b32 s24, -1
                                        ; implicit-def: $vgpr0_vgpr1
	s_branch .LBB30_472
.LBB30_468:
	s_and_not1_saveexec_b32 s22, s22
	s_cbranch_execz .LBB30_449
.LBB30_469:
	v_cmp_ne_u16_e32 vcc_lo, 0, v4
	s_and_not1_b32 s24, s24, exec_lo
	s_and_b32 s25, vcc_lo, exec_lo
	s_delay_alu instid0(SALU_CYCLE_1)
	s_or_b32 s24, s24, s25
	s_or_b32 exec_lo, exec_lo, s22
	v_mov_b64_e32 v[0:1], 0
	s_and_saveexec_b32 s22, s24
	s_cbranch_execnz .LBB30_450
	s_branch .LBB30_451
.LBB30_470:
	s_mov_b32 s20, -1
                                        ; implicit-def: $vgpr0_vgpr1
.LBB30_471:
	s_mov_b32 s24, 0
.LBB30_472:
	s_delay_alu instid0(SALU_CYCLE_1)
	s_and_b32 vcc_lo, exec_lo, s24
	s_cbranch_vccz .LBB30_476
; %bb.473:
	s_cmp_eq_u32 s21, 11
	s_cbranch_scc0 .LBB30_475
; %bb.474:
	s_wait_loadcnt 0x0
	global_load_u8 v0, v[2:3], off
	s_mov_b32 s20, 0
	s_mov_b32 s22, -1
	v_mov_b32_e32 v1, s20
	s_wait_loadcnt 0x0
	v_cmp_ne_u16_e32 vcc_lo, 0, v0
	v_cndmask_b32_e64 v0, 0, 1, vcc_lo
	s_branch .LBB30_476
.LBB30_475:
	s_mov_b32 s20, -1
                                        ; implicit-def: $vgpr0_vgpr1
.LBB30_476:
	s_branch .LBB30_395
.LBB30_477:
	s_and_b32 s0, 0xffff, s0
	s_delay_alu instid0(SALU_CYCLE_1)
	s_cmp_lt_i32 s0, 5
	s_cbranch_scc1 .LBB30_482
; %bb.478:
	s_cmp_lt_i32 s0, 8
	s_cbranch_scc1 .LBB30_483
; %bb.479:
	;; [unrolled: 3-line block ×3, first 2 shown]
	s_cmp_gt_i32 s0, 9
	s_cbranch_scc0 .LBB30_485
; %bb.481:
	s_wait_loadcnt 0x0
	global_load_b64 v[0:1], v[2:3], off
	s_mov_b32 s21, 0
	s_wait_loadcnt 0x0
	v_trunc_f64_e32 v[0:1], v[0:1]
	s_delay_alu instid0(VALU_DEP_1) | instskip(NEXT) | instid1(VALU_DEP_1)
	v_ldexp_f64 v[4:5], v[0:1], 0xffffffe0
	v_floor_f64_e32 v[4:5], v[4:5]
	s_delay_alu instid0(VALU_DEP_1) | instskip(SKIP_1) | instid1(VALU_DEP_2)
	v_fmamk_f64 v[6:7], v[4:5], 0xc1f00000, v[0:1]
	v_cvt_i32_f64_e32 v1, v[4:5]
	v_cvt_u32_f64_e32 v0, v[6:7]
	s_branch .LBB30_486
.LBB30_482:
	s_mov_b32 s21, -1
                                        ; implicit-def: $vgpr0_vgpr1
	s_branch .LBB30_504
.LBB30_483:
	s_mov_b32 s21, -1
                                        ; implicit-def: $vgpr0_vgpr1
	s_branch .LBB30_492
.LBB30_484:
	s_mov_b32 s21, -1
                                        ; implicit-def: $vgpr0_vgpr1
	s_branch .LBB30_489
.LBB30_485:
	s_mov_b32 s21, -1
                                        ; implicit-def: $vgpr0_vgpr1
.LBB30_486:
	s_delay_alu instid0(SALU_CYCLE_1)
	s_and_not1_b32 vcc_lo, exec_lo, s21
	s_cbranch_vccnz .LBB30_488
; %bb.487:
	s_wait_loadcnt 0x0
	global_load_b32 v0, v[2:3], off
	s_wait_loadcnt 0x0
	v_trunc_f32_e32 v0, v0
	s_delay_alu instid0(VALU_DEP_1) | instskip(NEXT) | instid1(VALU_DEP_1)
	v_mul_f32_e64 v1, 0x2f800000, |v0|
	v_floor_f32_e32 v1, v1
	s_delay_alu instid0(VALU_DEP_1) | instskip(SKIP_2) | instid1(VALU_DEP_3)
	v_fma_f32 v4, 0xcf800000, v1, |v0|
	v_ashrrev_i32_e32 v0, 31, v0
	v_cvt_u32_f32_e32 v5, v1
	v_cvt_u32_f32_e32 v4, v4
	s_delay_alu instid0(VALU_DEP_2) | instskip(NEXT) | instid1(VALU_DEP_2)
	v_dual_mov_b32 v1, v0 :: v_dual_bitop2_b32 v5, v5, v0 bitop3:0x14
	v_xor_b32_e32 v4, v4, v0
	s_delay_alu instid0(VALU_DEP_1)
	v_sub_nc_u64_e32 v[0:1], v[4:5], v[0:1]
.LBB30_488:
	s_mov_b32 s21, 0
.LBB30_489:
	s_delay_alu instid0(SALU_CYCLE_1)
	s_and_not1_b32 vcc_lo, exec_lo, s21
	s_cbranch_vccnz .LBB30_491
; %bb.490:
	s_wait_loadcnt 0x0
	global_load_b32 v0, v[2:3], off
	s_wait_loadcnt 0x0
	v_cvt_f32_f16_e32 v0, v0
	s_delay_alu instid0(VALU_DEP_1) | instskip(NEXT) | instid1(VALU_DEP_1)
	v_cvt_i32_f32_e32 v0, v0
	v_ashrrev_i32_e32 v1, 31, v0
.LBB30_491:
	s_mov_b32 s21, 0
.LBB30_492:
	s_delay_alu instid0(SALU_CYCLE_1)
	s_and_not1_b32 vcc_lo, exec_lo, s21
	s_cbranch_vccnz .LBB30_503
; %bb.493:
	s_cmp_lt_i32 s0, 6
	s_cbranch_scc1 .LBB30_496
; %bb.494:
	s_cmp_gt_i32 s0, 6
	s_cbranch_scc0 .LBB30_497
; %bb.495:
	s_wait_loadcnt 0x0
	global_load_b64 v[0:1], v[2:3], off
	s_mov_b32 s21, 0
	s_wait_loadcnt 0x0
	v_trunc_f64_e32 v[0:1], v[0:1]
	s_delay_alu instid0(VALU_DEP_1) | instskip(NEXT) | instid1(VALU_DEP_1)
	v_ldexp_f64 v[4:5], v[0:1], 0xffffffe0
	v_floor_f64_e32 v[4:5], v[4:5]
	s_delay_alu instid0(VALU_DEP_1) | instskip(SKIP_1) | instid1(VALU_DEP_2)
	v_fmamk_f64 v[6:7], v[4:5], 0xc1f00000, v[0:1]
	v_cvt_i32_f64_e32 v1, v[4:5]
	v_cvt_u32_f64_e32 v0, v[6:7]
	s_branch .LBB30_498
.LBB30_496:
	s_mov_b32 s21, -1
                                        ; implicit-def: $vgpr0_vgpr1
	s_branch .LBB30_501
.LBB30_497:
	s_mov_b32 s21, -1
                                        ; implicit-def: $vgpr0_vgpr1
.LBB30_498:
	s_delay_alu instid0(SALU_CYCLE_1)
	s_and_not1_b32 vcc_lo, exec_lo, s21
	s_cbranch_vccnz .LBB30_500
; %bb.499:
	s_wait_loadcnt 0x0
	global_load_b32 v0, v[2:3], off
	s_wait_loadcnt 0x0
	v_trunc_f32_e32 v0, v0
	s_delay_alu instid0(VALU_DEP_1) | instskip(NEXT) | instid1(VALU_DEP_1)
	v_mul_f32_e64 v1, 0x2f800000, |v0|
	v_floor_f32_e32 v1, v1
	s_delay_alu instid0(VALU_DEP_1) | instskip(SKIP_2) | instid1(VALU_DEP_3)
	v_fma_f32 v4, 0xcf800000, v1, |v0|
	v_ashrrev_i32_e32 v0, 31, v0
	v_cvt_u32_f32_e32 v5, v1
	v_cvt_u32_f32_e32 v4, v4
	s_delay_alu instid0(VALU_DEP_2) | instskip(NEXT) | instid1(VALU_DEP_2)
	v_dual_mov_b32 v1, v0 :: v_dual_bitop2_b32 v5, v5, v0 bitop3:0x14
	v_xor_b32_e32 v4, v4, v0
	s_delay_alu instid0(VALU_DEP_1)
	v_sub_nc_u64_e32 v[0:1], v[4:5], v[0:1]
.LBB30_500:
	s_mov_b32 s21, 0
.LBB30_501:
	s_delay_alu instid0(SALU_CYCLE_1)
	s_and_not1_b32 vcc_lo, exec_lo, s21
	s_cbranch_vccnz .LBB30_503
; %bb.502:
	s_wait_loadcnt 0x0
	global_load_u16 v0, v[2:3], off
	s_wait_loadcnt 0x0
	v_cvt_f32_f16_e32 v0, v0
	s_delay_alu instid0(VALU_DEP_1) | instskip(NEXT) | instid1(VALU_DEP_1)
	v_cvt_i32_f32_e32 v0, v0
	v_ashrrev_i32_e32 v1, 31, v0
.LBB30_503:
	s_mov_b32 s21, 0
.LBB30_504:
	s_delay_alu instid0(SALU_CYCLE_1)
	s_and_not1_b32 vcc_lo, exec_lo, s21
	s_cbranch_vccnz .LBB30_524
; %bb.505:
	s_cmp_lt_i32 s0, 2
	s_cbranch_scc1 .LBB30_509
; %bb.506:
	s_cmp_lt_i32 s0, 3
	s_cbranch_scc1 .LBB30_510
; %bb.507:
	s_cmp_gt_i32 s0, 3
	s_cbranch_scc0 .LBB30_511
; %bb.508:
	s_wait_loadcnt 0x0
	global_load_b64 v[0:1], v[2:3], off
	s_mov_b32 s21, 0
	s_branch .LBB30_512
.LBB30_509:
	s_mov_b32 s21, -1
                                        ; implicit-def: $vgpr0_vgpr1
	s_branch .LBB30_518
.LBB30_510:
	s_mov_b32 s21, -1
                                        ; implicit-def: $vgpr0_vgpr1
	s_branch .LBB30_515
.LBB30_511:
	s_mov_b32 s21, -1
                                        ; implicit-def: $vgpr0_vgpr1
.LBB30_512:
	s_delay_alu instid0(SALU_CYCLE_1)
	s_and_not1_b32 vcc_lo, exec_lo, s21
	s_cbranch_vccnz .LBB30_514
; %bb.513:
	s_wait_loadcnt 0x0
	global_load_b32 v0, v[2:3], off
	s_wait_loadcnt 0x0
	v_ashrrev_i32_e32 v1, 31, v0
.LBB30_514:
	s_mov_b32 s21, 0
.LBB30_515:
	s_delay_alu instid0(SALU_CYCLE_1)
	s_and_not1_b32 vcc_lo, exec_lo, s21
	s_cbranch_vccnz .LBB30_517
; %bb.516:
	s_wait_loadcnt 0x0
	global_load_u16 v0, v[2:3], off
	s_wait_loadcnt 0x0
	v_bfe_i32 v0, v0, 0, 16
	s_delay_alu instid0(VALU_DEP_1)
	v_ashrrev_i32_e32 v1, 31, v0
.LBB30_517:
	s_mov_b32 s21, 0
.LBB30_518:
	s_delay_alu instid0(SALU_CYCLE_1)
	s_and_not1_b32 vcc_lo, exec_lo, s21
	s_cbranch_vccnz .LBB30_524
; %bb.519:
	s_cmp_gt_i32 s0, 0
	s_mov_b32 s0, 0
	s_cbranch_scc0 .LBB30_521
; %bb.520:
	s_wait_loadcnt 0x0
	global_load_i8 v0, v[2:3], off
	s_wait_loadcnt 0x0
	v_bfe_i32 v0, v0, 0, 16
	s_delay_alu instid0(VALU_DEP_1)
	v_ashrrev_i32_e32 v1, 31, v0
	s_branch .LBB30_522
.LBB30_521:
	s_mov_b32 s0, -1
                                        ; implicit-def: $vgpr0_vgpr1
.LBB30_522:
	s_delay_alu instid0(SALU_CYCLE_1)
	s_and_not1_b32 vcc_lo, exec_lo, s0
	s_cbranch_vccnz .LBB30_524
; %bb.523:
	s_wait_loadcnt 0x0
	global_load_u8 v0, v[2:3], off
	s_mov_b32 s0, 0
	s_delay_alu instid0(SALU_CYCLE_1)
	v_mov_b32_e32 v1, s0
	s_wait_loadcnt 0x0
	v_and_b32_e32 v0, 0xffff, v0
.LBB30_524:
	s_branch .LBB30_396
.LBB30_525:
	s_mov_b32 s24, 0
	s_mov_b32 s0, s15
	;; [unrolled: 1-line block ×3, first 2 shown]
	s_branch .LBB30_773
.LBB30_526:
	s_and_not1_saveexec_b32 s24, s24
	s_cbranch_execz .LBB30_197
.LBB30_527:
	v_add_f32_e32 v4, 0x42800000, v5
	s_and_not1_b32 s23, s23, exec_lo
	s_delay_alu instid0(VALU_DEP_1) | instskip(NEXT) | instid1(VALU_DEP_1)
	v_and_b32_e32 v4, 0xff, v4
	v_cmp_ne_u32_e32 vcc_lo, 0, v4
	s_and_b32 s25, vcc_lo, exec_lo
	s_delay_alu instid0(SALU_CYCLE_1)
	s_or_b32 s23, s23, s25
	s_or_b32 exec_lo, exec_lo, s24
	v_mov_b32_e32 v6, 0
	s_and_saveexec_b32 s24, s23
	s_cbranch_execnz .LBB30_198
	s_branch .LBB30_199
.LBB30_528:
	s_mov_b32 s22, -1
	s_mov_b32 s24, 0
.LBB30_529:
                                        ; implicit-def: $vgpr4_vgpr5
.LBB30_530:
	s_and_b32 vcc_lo, exec_lo, s25
	s_cbranch_vccz .LBB30_534
; %bb.531:
	s_cmp_eq_u32 s21, 44
	s_cbranch_scc0 .LBB30_533
; %bb.532:
	global_load_u8 v8, v[2:3], off
	s_mov_b32 s22, 0
	s_mov_b32 s24, -1
	s_wait_loadcnt 0x0
	v_cmp_ne_u32_e32 vcc_lo, 0, v8
	v_lshlrev_b32_e32 v4, 23, v8
	s_delay_alu instid0(VALU_DEP_1) | instskip(NEXT) | instid1(VALU_DEP_1)
	v_trunc_f32_e32 v4, v4
	v_mul_f32_e64 v5, 0x2f800000, |v4|
	s_delay_alu instid0(VALU_DEP_1) | instskip(NEXT) | instid1(VALU_DEP_1)
	v_floor_f32_e32 v5, v5
	v_fma_f32 v6, 0xcf800000, v5, |v4|
	v_ashrrev_i32_e32 v4, 31, v4
	v_cvt_u32_f32_e32 v7, v5
	s_delay_alu instid0(VALU_DEP_3) | instskip(NEXT) | instid1(VALU_DEP_2)
	v_cvt_u32_f32_e32 v6, v6
	v_dual_mov_b32 v5, v4 :: v_dual_bitop2_b32 v7, v7, v4 bitop3:0x14
	s_delay_alu instid0(VALU_DEP_2) | instskip(NEXT) | instid1(VALU_DEP_1)
	v_xor_b32_e32 v6, v6, v4
	v_sub_nc_u64_e32 v[4:5], v[6:7], v[4:5]
	s_delay_alu instid0(VALU_DEP_1)
	v_dual_cndmask_b32 v5, 0, v5 :: v_dual_cndmask_b32 v4, 0, v4
	s_branch .LBB30_534
.LBB30_533:
	s_mov_b32 s22, -1
                                        ; implicit-def: $vgpr4_vgpr5
.LBB30_534:
	s_mov_b32 s25, 0
.LBB30_535:
	s_delay_alu instid0(SALU_CYCLE_1)
	s_and_b32 vcc_lo, exec_lo, s25
	s_cbranch_vccz .LBB30_539
; %bb.536:
	s_cmp_eq_u32 s21, 29
	s_cbranch_scc0 .LBB30_538
; %bb.537:
	global_load_b64 v[4:5], v[2:3], off
	s_mov_b32 s24, -1
	s_mov_b32 s22, 0
	s_branch .LBB30_539
.LBB30_538:
	s_mov_b32 s22, -1
                                        ; implicit-def: $vgpr4_vgpr5
.LBB30_539:
	s_mov_b32 s25, 0
.LBB30_540:
	s_delay_alu instid0(SALU_CYCLE_1)
	s_and_b32 vcc_lo, exec_lo, s25
	s_cbranch_vccz .LBB30_556
; %bb.541:
	s_cmp_lt_i32 s21, 27
	s_cbranch_scc1 .LBB30_544
; %bb.542:
	s_cmp_gt_i32 s21, 27
	s_cbranch_scc0 .LBB30_545
; %bb.543:
	s_wait_loadcnt 0x0
	global_load_b32 v4, v[2:3], off
	v_mov_b32_e32 v5, 0
	s_mov_b32 s24, 0
	s_branch .LBB30_546
.LBB30_544:
	s_mov_b32 s24, -1
                                        ; implicit-def: $vgpr4_vgpr5
	s_branch .LBB30_549
.LBB30_545:
	s_mov_b32 s24, -1
                                        ; implicit-def: $vgpr4_vgpr5
.LBB30_546:
	s_delay_alu instid0(SALU_CYCLE_1)
	s_and_not1_b32 vcc_lo, exec_lo, s24
	s_cbranch_vccnz .LBB30_548
; %bb.547:
	s_wait_loadcnt 0x0
	global_load_u16 v4, v[2:3], off
	s_mov_b32 s24, 0
	s_delay_alu instid0(SALU_CYCLE_1)
	v_mov_b32_e32 v5, s24
	s_wait_loadcnt 0x0
	v_and_b32_e32 v4, 0xffff, v4
.LBB30_548:
	s_mov_b32 s24, 0
.LBB30_549:
	s_delay_alu instid0(SALU_CYCLE_1)
	s_and_not1_b32 vcc_lo, exec_lo, s24
	s_cbranch_vccnz .LBB30_555
; %bb.550:
	global_load_u8 v6, v[2:3], off
	s_mov_b32 s25, 0
	s_mov_b32 s24, exec_lo
	s_wait_loadcnt 0x0
	v_cmpx_lt_i16_e32 0x7f, v6
	s_xor_b32 s24, exec_lo, s24
	s_cbranch_execz .LBB30_567
; %bb.551:
	v_cmp_ne_u16_e32 vcc_lo, 0x80, v6
	s_and_b32 s25, vcc_lo, exec_lo
	s_and_not1_saveexec_b32 s24, s24
	s_cbranch_execnz .LBB30_568
.LBB30_552:
	s_or_b32 exec_lo, exec_lo, s24
	v_mov_b64_e32 v[4:5], 0
	s_and_saveexec_b32 s24, s25
	s_cbranch_execz .LBB30_554
.LBB30_553:
	v_and_b32_e32 v4, 0xffff, v6
	s_delay_alu instid0(VALU_DEP_1) | instskip(SKIP_1) | instid1(VALU_DEP_2)
	v_and_b32_e32 v5, 7, v4
	v_bfe_u32 v9, v4, 3, 4
	v_clz_i32_u32_e32 v7, v5
	s_delay_alu instid0(VALU_DEP_2) | instskip(NEXT) | instid1(VALU_DEP_2)
	v_cmp_eq_u32_e32 vcc_lo, 0, v9
	v_min_u32_e32 v7, 32, v7
	s_delay_alu instid0(VALU_DEP_1) | instskip(NEXT) | instid1(VALU_DEP_1)
	v_subrev_nc_u32_e32 v8, 28, v7
	v_dual_lshlrev_b32 v4, v8, v4 :: v_dual_sub_nc_u32 v7, 29, v7
	s_delay_alu instid0(VALU_DEP_1) | instskip(NEXT) | instid1(VALU_DEP_2)
	v_dual_lshlrev_b32 v6, 24, v6 :: v_dual_bitop2_b32 v4, 7, v4 bitop3:0x40
	v_cndmask_b32_e32 v7, v9, v7, vcc_lo
	s_delay_alu instid0(VALU_DEP_2) | instskip(NEXT) | instid1(VALU_DEP_3)
	v_cndmask_b32_e32 v4, v5, v4, vcc_lo
	v_and_b32_e32 v5, 0x80000000, v6
	s_delay_alu instid0(VALU_DEP_3) | instskip(NEXT) | instid1(VALU_DEP_3)
	v_lshl_add_u32 v6, v7, 23, 0x3b800000
	v_lshlrev_b32_e32 v4, 20, v4
	s_delay_alu instid0(VALU_DEP_1) | instskip(NEXT) | instid1(VALU_DEP_1)
	v_or3_b32 v4, v5, v6, v4
	v_trunc_f32_e32 v4, v4
	s_delay_alu instid0(VALU_DEP_1) | instskip(NEXT) | instid1(VALU_DEP_1)
	v_mul_f32_e64 v5, 0x2f800000, |v4|
	v_floor_f32_e32 v5, v5
	s_delay_alu instid0(VALU_DEP_1) | instskip(SKIP_2) | instid1(VALU_DEP_3)
	v_fma_f32 v6, 0xcf800000, v5, |v4|
	v_ashrrev_i32_e32 v4, 31, v4
	v_cvt_u32_f32_e32 v7, v5
	v_cvt_u32_f32_e32 v6, v6
	s_delay_alu instid0(VALU_DEP_2) | instskip(NEXT) | instid1(VALU_DEP_2)
	v_dual_mov_b32 v5, v4 :: v_dual_bitop2_b32 v7, v7, v4 bitop3:0x14
	v_xor_b32_e32 v6, v6, v4
	s_delay_alu instid0(VALU_DEP_1)
	v_sub_nc_u64_e32 v[4:5], v[6:7], v[4:5]
.LBB30_554:
	s_or_b32 exec_lo, exec_lo, s24
.LBB30_555:
	s_mov_b32 s24, -1
.LBB30_556:
	s_mov_b32 s25, 0
.LBB30_557:
	s_delay_alu instid0(SALU_CYCLE_1)
	s_and_b32 vcc_lo, exec_lo, s25
	s_cbranch_vccz .LBB30_590
; %bb.558:
	s_cmp_gt_i32 s21, 22
	s_cbranch_scc0 .LBB30_566
; %bb.559:
	s_cmp_lt_i32 s21, 24
	s_cbranch_scc1 .LBB30_569
; %bb.560:
	s_cmp_gt_i32 s21, 24
	s_cbranch_scc0 .LBB30_570
; %bb.561:
	global_load_u8 v6, v[2:3], off
	s_mov_b32 s25, 0
	s_mov_b32 s24, exec_lo
	s_wait_loadcnt 0x0
	v_cmpx_lt_i16_e32 0x7f, v6
	s_xor_b32 s24, exec_lo, s24
	s_cbranch_execz .LBB30_582
; %bb.562:
	v_cmp_ne_u16_e32 vcc_lo, 0x80, v6
	s_and_b32 s25, vcc_lo, exec_lo
	s_and_not1_saveexec_b32 s24, s24
	s_cbranch_execnz .LBB30_583
.LBB30_563:
	s_or_b32 exec_lo, exec_lo, s24
	v_mov_b64_e32 v[4:5], 0
	s_and_saveexec_b32 s24, s25
	s_cbranch_execz .LBB30_565
.LBB30_564:
	v_and_b32_e32 v4, 0xffff, v6
	s_delay_alu instid0(VALU_DEP_1) | instskip(SKIP_1) | instid1(VALU_DEP_2)
	v_and_b32_e32 v5, 3, v4
	v_bfe_u32 v9, v4, 2, 5
	v_clz_i32_u32_e32 v7, v5
	s_delay_alu instid0(VALU_DEP_2) | instskip(NEXT) | instid1(VALU_DEP_2)
	v_cmp_eq_u32_e32 vcc_lo, 0, v9
	v_min_u32_e32 v7, 32, v7
	s_delay_alu instid0(VALU_DEP_1) | instskip(NEXT) | instid1(VALU_DEP_1)
	v_subrev_nc_u32_e32 v8, 29, v7
	v_dual_lshlrev_b32 v4, v8, v4 :: v_dual_sub_nc_u32 v7, 30, v7
	s_delay_alu instid0(VALU_DEP_1) | instskip(NEXT) | instid1(VALU_DEP_2)
	v_dual_lshlrev_b32 v6, 24, v6 :: v_dual_bitop2_b32 v4, 3, v4 bitop3:0x40
	v_cndmask_b32_e32 v7, v9, v7, vcc_lo
	s_delay_alu instid0(VALU_DEP_2) | instskip(NEXT) | instid1(VALU_DEP_3)
	v_cndmask_b32_e32 v4, v5, v4, vcc_lo
	v_and_b32_e32 v5, 0x80000000, v6
	s_delay_alu instid0(VALU_DEP_3) | instskip(NEXT) | instid1(VALU_DEP_3)
	v_lshl_add_u32 v6, v7, 23, 0x37800000
	v_lshlrev_b32_e32 v4, 21, v4
	s_delay_alu instid0(VALU_DEP_1) | instskip(NEXT) | instid1(VALU_DEP_1)
	v_or3_b32 v4, v5, v6, v4
	v_trunc_f32_e32 v4, v4
	s_delay_alu instid0(VALU_DEP_1) | instskip(NEXT) | instid1(VALU_DEP_1)
	v_mul_f32_e64 v5, 0x2f800000, |v4|
	v_floor_f32_e32 v5, v5
	s_delay_alu instid0(VALU_DEP_1) | instskip(SKIP_2) | instid1(VALU_DEP_3)
	v_fma_f32 v6, 0xcf800000, v5, |v4|
	v_ashrrev_i32_e32 v4, 31, v4
	v_cvt_u32_f32_e32 v7, v5
	v_cvt_u32_f32_e32 v6, v6
	s_delay_alu instid0(VALU_DEP_2) | instskip(NEXT) | instid1(VALU_DEP_2)
	v_dual_mov_b32 v5, v4 :: v_dual_bitop2_b32 v7, v7, v4 bitop3:0x14
	v_xor_b32_e32 v6, v6, v4
	s_delay_alu instid0(VALU_DEP_1)
	v_sub_nc_u64_e32 v[4:5], v[6:7], v[4:5]
.LBB30_565:
	s_or_b32 exec_lo, exec_lo, s24
	s_mov_b32 s24, 0
	s_branch .LBB30_571
.LBB30_566:
	s_mov_b32 s25, -1
                                        ; implicit-def: $vgpr4_vgpr5
	s_branch .LBB30_577
.LBB30_567:
	s_and_not1_saveexec_b32 s24, s24
	s_cbranch_execz .LBB30_552
.LBB30_568:
	v_cmp_ne_u16_e32 vcc_lo, 0, v6
	s_and_not1_b32 s25, s25, exec_lo
	s_and_b32 s26, vcc_lo, exec_lo
	s_delay_alu instid0(SALU_CYCLE_1)
	s_or_b32 s25, s25, s26
	s_or_b32 exec_lo, exec_lo, s24
	v_mov_b64_e32 v[4:5], 0
	s_and_saveexec_b32 s24, s25
	s_cbranch_execnz .LBB30_553
	s_branch .LBB30_554
.LBB30_569:
	s_mov_b32 s24, -1
                                        ; implicit-def: $vgpr4_vgpr5
	s_branch .LBB30_574
.LBB30_570:
	s_mov_b32 s24, -1
                                        ; implicit-def: $vgpr4_vgpr5
.LBB30_571:
	s_delay_alu instid0(SALU_CYCLE_1)
	s_and_b32 vcc_lo, exec_lo, s24
	s_cbranch_vccz .LBB30_573
; %bb.572:
	s_wait_loadcnt 0x0
	global_load_u8 v4, v[2:3], off
	s_wait_loadcnt 0x0
	v_lshlrev_b32_e32 v4, 24, v4
	s_delay_alu instid0(VALU_DEP_1) | instskip(NEXT) | instid1(VALU_DEP_1)
	v_and_b32_e32 v5, 0x7f000000, v4
	v_clz_i32_u32_e32 v6, v5
	v_cmp_ne_u32_e32 vcc_lo, 0, v5
	v_add_nc_u32_e32 v8, 0x1000000, v5
	s_delay_alu instid0(VALU_DEP_3) | instskip(NEXT) | instid1(VALU_DEP_1)
	v_min_u32_e32 v6, 32, v6
	v_sub_nc_u32_e64 v6, v6, 4 clamp
	s_delay_alu instid0(VALU_DEP_1) | instskip(NEXT) | instid1(VALU_DEP_1)
	v_dual_lshlrev_b32 v7, v6, v5 :: v_dual_lshlrev_b32 v6, 23, v6
	v_lshrrev_b32_e32 v7, 4, v7
	s_delay_alu instid0(VALU_DEP_1) | instskip(NEXT) | instid1(VALU_DEP_1)
	v_dual_sub_nc_u32 v6, v7, v6 :: v_dual_ashrrev_i32 v7, 8, v8
	v_add_nc_u32_e32 v6, 0x3c000000, v6
	s_delay_alu instid0(VALU_DEP_1) | instskip(NEXT) | instid1(VALU_DEP_1)
	v_and_or_b32 v6, 0x7f800000, v7, v6
	v_cndmask_b32_e32 v5, 0, v6, vcc_lo
	s_delay_alu instid0(VALU_DEP_1) | instskip(NEXT) | instid1(VALU_DEP_1)
	v_and_or_b32 v4, 0x80000000, v4, v5
	v_trunc_f32_e32 v4, v4
	s_delay_alu instid0(VALU_DEP_1) | instskip(NEXT) | instid1(VALU_DEP_1)
	v_mul_f32_e64 v5, 0x2f800000, |v4|
	v_floor_f32_e32 v5, v5
	s_delay_alu instid0(VALU_DEP_1) | instskip(SKIP_2) | instid1(VALU_DEP_3)
	v_fma_f32 v6, 0xcf800000, v5, |v4|
	v_ashrrev_i32_e32 v4, 31, v4
	v_cvt_u32_f32_e32 v7, v5
	v_cvt_u32_f32_e32 v6, v6
	s_delay_alu instid0(VALU_DEP_2) | instskip(NEXT) | instid1(VALU_DEP_2)
	v_dual_mov_b32 v5, v4 :: v_dual_bitop2_b32 v7, v7, v4 bitop3:0x14
	v_xor_b32_e32 v6, v6, v4
	s_delay_alu instid0(VALU_DEP_1)
	v_sub_nc_u64_e32 v[4:5], v[6:7], v[4:5]
.LBB30_573:
	s_mov_b32 s24, 0
.LBB30_574:
	s_delay_alu instid0(SALU_CYCLE_1)
	s_and_not1_b32 vcc_lo, exec_lo, s24
	s_cbranch_vccnz .LBB30_576
; %bb.575:
	s_wait_loadcnt 0x0
	global_load_u8 v4, v[2:3], off
	s_wait_loadcnt 0x0
	v_lshlrev_b32_e32 v5, 25, v4
	v_lshlrev_b16 v4, 8, v4
	s_delay_alu instid0(VALU_DEP_1) | instskip(SKIP_1) | instid1(VALU_DEP_2)
	v_and_or_b32 v7, 0x7f00, v4, 0.5
	v_bfe_i32 v4, v4, 0, 16
	v_dual_add_f32 v7, -0.5, v7 :: v_dual_lshrrev_b32 v6, 4, v5
	v_cmp_gt_u32_e32 vcc_lo, 0x8000000, v5
	s_delay_alu instid0(VALU_DEP_2) | instskip(NEXT) | instid1(VALU_DEP_1)
	v_or_b32_e32 v6, 0x70000000, v6
	v_mul_f32_e32 v6, 0x7800000, v6
	s_delay_alu instid0(VALU_DEP_1) | instskip(NEXT) | instid1(VALU_DEP_1)
	v_cndmask_b32_e32 v5, v6, v7, vcc_lo
	v_and_or_b32 v4, 0x80000000, v4, v5
	s_delay_alu instid0(VALU_DEP_1) | instskip(NEXT) | instid1(VALU_DEP_1)
	v_trunc_f32_e32 v4, v4
	v_mul_f32_e64 v5, 0x2f800000, |v4|
	s_delay_alu instid0(VALU_DEP_1) | instskip(NEXT) | instid1(VALU_DEP_1)
	v_floor_f32_e32 v5, v5
	v_fma_f32 v6, 0xcf800000, v5, |v4|
	v_ashrrev_i32_e32 v4, 31, v4
	v_cvt_u32_f32_e32 v7, v5
	s_delay_alu instid0(VALU_DEP_3) | instskip(NEXT) | instid1(VALU_DEP_2)
	v_cvt_u32_f32_e32 v6, v6
	v_dual_mov_b32 v5, v4 :: v_dual_bitop2_b32 v7, v7, v4 bitop3:0x14
	s_delay_alu instid0(VALU_DEP_2) | instskip(NEXT) | instid1(VALU_DEP_1)
	v_xor_b32_e32 v6, v6, v4
	v_sub_nc_u64_e32 v[4:5], v[6:7], v[4:5]
.LBB30_576:
	s_mov_b32 s25, 0
	s_mov_b32 s24, -1
.LBB30_577:
	s_and_not1_b32 vcc_lo, exec_lo, s25
	s_cbranch_vccnz .LBB30_590
; %bb.578:
	s_cmp_gt_i32 s21, 14
	s_cbranch_scc0 .LBB30_581
; %bb.579:
	s_cmp_eq_u32 s21, 15
	s_cbranch_scc0 .LBB30_584
; %bb.580:
	s_wait_loadcnt 0x0
	global_load_u16 v4, v[2:3], off
	s_mov_b32 s24, -1
	s_mov_b32 s22, 0
	s_wait_loadcnt 0x0
	v_lshlrev_b32_e32 v4, 16, v4
	s_delay_alu instid0(VALU_DEP_1) | instskip(NEXT) | instid1(VALU_DEP_1)
	v_trunc_f32_e32 v4, v4
	v_mul_f32_e64 v5, 0x2f800000, |v4|
	s_delay_alu instid0(VALU_DEP_1) | instskip(NEXT) | instid1(VALU_DEP_1)
	v_floor_f32_e32 v5, v5
	v_fma_f32 v6, 0xcf800000, v5, |v4|
	v_ashrrev_i32_e32 v4, 31, v4
	v_cvt_u32_f32_e32 v7, v5
	s_delay_alu instid0(VALU_DEP_3) | instskip(NEXT) | instid1(VALU_DEP_2)
	v_cvt_u32_f32_e32 v6, v6
	v_dual_mov_b32 v5, v4 :: v_dual_bitop2_b32 v7, v7, v4 bitop3:0x14
	s_delay_alu instid0(VALU_DEP_2) | instskip(NEXT) | instid1(VALU_DEP_1)
	v_xor_b32_e32 v6, v6, v4
	v_sub_nc_u64_e32 v[4:5], v[6:7], v[4:5]
	s_branch .LBB30_585
.LBB30_581:
	s_mov_b32 s25, -1
                                        ; implicit-def: $vgpr4_vgpr5
	s_branch .LBB30_586
.LBB30_582:
	s_and_not1_saveexec_b32 s24, s24
	s_cbranch_execz .LBB30_563
.LBB30_583:
	v_cmp_ne_u16_e32 vcc_lo, 0, v6
	s_and_not1_b32 s25, s25, exec_lo
	s_and_b32 s26, vcc_lo, exec_lo
	s_delay_alu instid0(SALU_CYCLE_1)
	s_or_b32 s25, s25, s26
	s_or_b32 exec_lo, exec_lo, s24
	v_mov_b64_e32 v[4:5], 0
	s_and_saveexec_b32 s24, s25
	s_cbranch_execnz .LBB30_564
	s_branch .LBB30_565
.LBB30_584:
	s_mov_b32 s22, -1
                                        ; implicit-def: $vgpr4_vgpr5
.LBB30_585:
	s_mov_b32 s25, 0
.LBB30_586:
	s_delay_alu instid0(SALU_CYCLE_1)
	s_and_b32 vcc_lo, exec_lo, s25
	s_cbranch_vccz .LBB30_590
; %bb.587:
	s_cmp_eq_u32 s21, 11
	s_cbranch_scc0 .LBB30_589
; %bb.588:
	s_wait_loadcnt 0x0
	global_load_u8 v4, v[2:3], off
	s_mov_b32 s22, 0
	s_mov_b32 s24, -1
	v_mov_b32_e32 v5, s22
	s_wait_loadcnt 0x0
	v_cmp_ne_u16_e32 vcc_lo, 0, v4
	v_cndmask_b32_e64 v4, 0, 1, vcc_lo
	s_branch .LBB30_590
.LBB30_589:
	s_mov_b32 s22, -1
                                        ; implicit-def: $vgpr4_vgpr5
.LBB30_590:
	s_mov_b32 s21, 0
.LBB30_591:
	s_delay_alu instid0(SALU_CYCLE_1)
	s_and_b32 vcc_lo, exec_lo, s21
	s_cbranch_vccz .LBB30_640
; %bb.592:
	s_and_b32 s0, 0xffff, s0
	s_delay_alu instid0(SALU_CYCLE_1)
	s_cmp_lt_i32 s0, 5
	s_cbranch_scc1 .LBB30_597
; %bb.593:
	s_cmp_lt_i32 s0, 8
	s_cbranch_scc1 .LBB30_598
; %bb.594:
	;; [unrolled: 3-line block ×3, first 2 shown]
	s_cmp_gt_i32 s0, 9
	s_cbranch_scc0 .LBB30_600
; %bb.596:
	s_wait_loadcnt 0x0
	global_load_b64 v[4:5], v[2:3], off
	s_mov_b32 s21, 0
	s_wait_loadcnt 0x0
	v_trunc_f64_e32 v[4:5], v[4:5]
	s_delay_alu instid0(VALU_DEP_1) | instskip(NEXT) | instid1(VALU_DEP_1)
	v_ldexp_f64 v[6:7], v[4:5], 0xffffffe0
	v_floor_f64_e32 v[6:7], v[6:7]
	s_delay_alu instid0(VALU_DEP_1) | instskip(SKIP_1) | instid1(VALU_DEP_2)
	v_fmamk_f64 v[8:9], v[6:7], 0xc1f00000, v[4:5]
	v_cvt_i32_f64_e32 v5, v[6:7]
	v_cvt_u32_f64_e32 v4, v[8:9]
	s_branch .LBB30_601
.LBB30_597:
	s_mov_b32 s21, -1
                                        ; implicit-def: $vgpr4_vgpr5
	s_branch .LBB30_619
.LBB30_598:
	s_mov_b32 s21, -1
                                        ; implicit-def: $vgpr4_vgpr5
	s_branch .LBB30_607
.LBB30_599:
	s_mov_b32 s21, -1
                                        ; implicit-def: $vgpr4_vgpr5
	s_branch .LBB30_604
.LBB30_600:
	s_mov_b32 s21, -1
                                        ; implicit-def: $vgpr4_vgpr5
.LBB30_601:
	s_delay_alu instid0(SALU_CYCLE_1)
	s_and_not1_b32 vcc_lo, exec_lo, s21
	s_cbranch_vccnz .LBB30_603
; %bb.602:
	s_wait_loadcnt 0x0
	global_load_b32 v4, v[2:3], off
	s_wait_loadcnt 0x0
	v_trunc_f32_e32 v4, v4
	s_delay_alu instid0(VALU_DEP_1) | instskip(NEXT) | instid1(VALU_DEP_1)
	v_mul_f32_e64 v5, 0x2f800000, |v4|
	v_floor_f32_e32 v5, v5
	s_delay_alu instid0(VALU_DEP_1) | instskip(SKIP_2) | instid1(VALU_DEP_3)
	v_fma_f32 v6, 0xcf800000, v5, |v4|
	v_ashrrev_i32_e32 v4, 31, v4
	v_cvt_u32_f32_e32 v7, v5
	v_cvt_u32_f32_e32 v6, v6
	s_delay_alu instid0(VALU_DEP_2) | instskip(NEXT) | instid1(VALU_DEP_2)
	v_dual_mov_b32 v5, v4 :: v_dual_bitop2_b32 v7, v7, v4 bitop3:0x14
	v_xor_b32_e32 v6, v6, v4
	s_delay_alu instid0(VALU_DEP_1)
	v_sub_nc_u64_e32 v[4:5], v[6:7], v[4:5]
.LBB30_603:
	s_mov_b32 s21, 0
.LBB30_604:
	s_delay_alu instid0(SALU_CYCLE_1)
	s_and_not1_b32 vcc_lo, exec_lo, s21
	s_cbranch_vccnz .LBB30_606
; %bb.605:
	s_wait_loadcnt 0x0
	global_load_b32 v4, v[2:3], off
	s_wait_loadcnt 0x0
	v_cvt_f32_f16_e32 v4, v4
	s_delay_alu instid0(VALU_DEP_1) | instskip(NEXT) | instid1(VALU_DEP_1)
	v_cvt_i32_f32_e32 v4, v4
	v_ashrrev_i32_e32 v5, 31, v4
.LBB30_606:
	s_mov_b32 s21, 0
.LBB30_607:
	s_delay_alu instid0(SALU_CYCLE_1)
	s_and_not1_b32 vcc_lo, exec_lo, s21
	s_cbranch_vccnz .LBB30_618
; %bb.608:
	s_cmp_lt_i32 s0, 6
	s_cbranch_scc1 .LBB30_611
; %bb.609:
	s_cmp_gt_i32 s0, 6
	s_cbranch_scc0 .LBB30_612
; %bb.610:
	s_wait_loadcnt 0x0
	global_load_b64 v[4:5], v[2:3], off
	s_mov_b32 s21, 0
	s_wait_loadcnt 0x0
	v_trunc_f64_e32 v[4:5], v[4:5]
	s_delay_alu instid0(VALU_DEP_1) | instskip(NEXT) | instid1(VALU_DEP_1)
	v_ldexp_f64 v[6:7], v[4:5], 0xffffffe0
	v_floor_f64_e32 v[6:7], v[6:7]
	s_delay_alu instid0(VALU_DEP_1) | instskip(SKIP_1) | instid1(VALU_DEP_2)
	v_fmamk_f64 v[8:9], v[6:7], 0xc1f00000, v[4:5]
	v_cvt_i32_f64_e32 v5, v[6:7]
	v_cvt_u32_f64_e32 v4, v[8:9]
	s_branch .LBB30_613
.LBB30_611:
	s_mov_b32 s21, -1
                                        ; implicit-def: $vgpr4_vgpr5
	s_branch .LBB30_616
.LBB30_612:
	s_mov_b32 s21, -1
                                        ; implicit-def: $vgpr4_vgpr5
.LBB30_613:
	s_delay_alu instid0(SALU_CYCLE_1)
	s_and_not1_b32 vcc_lo, exec_lo, s21
	s_cbranch_vccnz .LBB30_615
; %bb.614:
	s_wait_loadcnt 0x0
	global_load_b32 v4, v[2:3], off
	s_wait_loadcnt 0x0
	v_trunc_f32_e32 v4, v4
	s_delay_alu instid0(VALU_DEP_1) | instskip(NEXT) | instid1(VALU_DEP_1)
	v_mul_f32_e64 v5, 0x2f800000, |v4|
	v_floor_f32_e32 v5, v5
	s_delay_alu instid0(VALU_DEP_1) | instskip(SKIP_2) | instid1(VALU_DEP_3)
	v_fma_f32 v6, 0xcf800000, v5, |v4|
	v_ashrrev_i32_e32 v4, 31, v4
	v_cvt_u32_f32_e32 v7, v5
	v_cvt_u32_f32_e32 v6, v6
	s_delay_alu instid0(VALU_DEP_2) | instskip(NEXT) | instid1(VALU_DEP_2)
	v_dual_mov_b32 v5, v4 :: v_dual_bitop2_b32 v7, v7, v4 bitop3:0x14
	v_xor_b32_e32 v6, v6, v4
	s_delay_alu instid0(VALU_DEP_1)
	v_sub_nc_u64_e32 v[4:5], v[6:7], v[4:5]
.LBB30_615:
	s_mov_b32 s21, 0
.LBB30_616:
	s_delay_alu instid0(SALU_CYCLE_1)
	s_and_not1_b32 vcc_lo, exec_lo, s21
	s_cbranch_vccnz .LBB30_618
; %bb.617:
	s_wait_loadcnt 0x0
	global_load_u16 v4, v[2:3], off
	s_wait_loadcnt 0x0
	v_cvt_f32_f16_e32 v4, v4
	s_delay_alu instid0(VALU_DEP_1) | instskip(NEXT) | instid1(VALU_DEP_1)
	v_cvt_i32_f32_e32 v4, v4
	v_ashrrev_i32_e32 v5, 31, v4
.LBB30_618:
	s_mov_b32 s21, 0
.LBB30_619:
	s_delay_alu instid0(SALU_CYCLE_1)
	s_and_not1_b32 vcc_lo, exec_lo, s21
	s_cbranch_vccnz .LBB30_639
; %bb.620:
	s_cmp_lt_i32 s0, 2
	s_cbranch_scc1 .LBB30_624
; %bb.621:
	s_cmp_lt_i32 s0, 3
	s_cbranch_scc1 .LBB30_625
; %bb.622:
	s_cmp_gt_i32 s0, 3
	s_cbranch_scc0 .LBB30_626
; %bb.623:
	s_wait_loadcnt 0x0
	global_load_b64 v[4:5], v[2:3], off
	s_mov_b32 s21, 0
	s_branch .LBB30_627
.LBB30_624:
	s_mov_b32 s21, -1
                                        ; implicit-def: $vgpr4_vgpr5
	s_branch .LBB30_633
.LBB30_625:
	s_mov_b32 s21, -1
                                        ; implicit-def: $vgpr4_vgpr5
	s_branch .LBB30_630
.LBB30_626:
	s_mov_b32 s21, -1
                                        ; implicit-def: $vgpr4_vgpr5
.LBB30_627:
	s_delay_alu instid0(SALU_CYCLE_1)
	s_and_not1_b32 vcc_lo, exec_lo, s21
	s_cbranch_vccnz .LBB30_629
; %bb.628:
	s_wait_loadcnt 0x0
	global_load_b32 v4, v[2:3], off
	s_wait_loadcnt 0x0
	v_ashrrev_i32_e32 v5, 31, v4
.LBB30_629:
	s_mov_b32 s21, 0
.LBB30_630:
	s_delay_alu instid0(SALU_CYCLE_1)
	s_and_not1_b32 vcc_lo, exec_lo, s21
	s_cbranch_vccnz .LBB30_632
; %bb.631:
	s_wait_loadcnt 0x0
	global_load_u16 v4, v[2:3], off
	s_wait_loadcnt 0x0
	v_bfe_i32 v4, v4, 0, 16
	s_delay_alu instid0(VALU_DEP_1)
	v_ashrrev_i32_e32 v5, 31, v4
.LBB30_632:
	s_mov_b32 s21, 0
.LBB30_633:
	s_delay_alu instid0(SALU_CYCLE_1)
	s_and_not1_b32 vcc_lo, exec_lo, s21
	s_cbranch_vccnz .LBB30_639
; %bb.634:
	s_cmp_gt_i32 s0, 0
	s_mov_b32 s0, 0
	s_cbranch_scc0 .LBB30_636
; %bb.635:
	s_wait_loadcnt 0x0
	global_load_i8 v4, v[2:3], off
	s_wait_loadcnt 0x0
	v_bfe_i32 v4, v4, 0, 16
	s_delay_alu instid0(VALU_DEP_1)
	v_ashrrev_i32_e32 v5, 31, v4
	s_branch .LBB30_637
.LBB30_636:
	s_mov_b32 s0, -1
                                        ; implicit-def: $vgpr4_vgpr5
.LBB30_637:
	s_delay_alu instid0(SALU_CYCLE_1)
	s_and_not1_b32 vcc_lo, exec_lo, s0
	s_cbranch_vccnz .LBB30_639
; %bb.638:
	global_load_u8 v2, v[2:3], off
	s_mov_b32 s0, 0
	s_wait_loadcnt 0x1
	v_mov_b32_e32 v5, s0
	s_wait_loadcnt 0x0
	v_and_b32_e32 v4, 0xffff, v2
.LBB30_639:
	s_mov_b32 s24, -1
.LBB30_640:
	s_delay_alu instid0(SALU_CYCLE_1)
	s_and_not1_b32 vcc_lo, exec_lo, s24
	s_cbranch_vccnz .LBB30_648
; %bb.641:
	s_wait_loadcnt 0x0
	s_delay_alu instid0(VALU_DEP_1) | instskip(SKIP_1) | instid1(VALU_DEP_1)
	v_sub_nc_u64_e32 v[2:3], 0, v[4:5]
	s_mov_b32 s21, exec_lo
	v_max_i64 v[2:3], v[4:5], v[2:3]
	v_cmpx_ne_u64_e32 0, v[0:1]
	s_cbranch_execz .LBB30_650
; %bb.642:
	v_sub_nc_u64_e32 v[4:5], 0, v[0:1]
	s_mov_b32 s24, 0
	s_delay_alu instid0(VALU_DEP_1)
	v_max_i64 v[6:7], v[0:1], v[4:5]
	v_mov_b32_e32 v0, 0
	s_branch .LBB30_644
.LBB30_643:                             ;   in Loop: Header=BB30_644 Depth=1
	s_or_b32 exec_lo, exec_lo, s0
	s_delay_alu instid0(VALU_DEP_1) | instskip(SKIP_2) | instid1(SALU_CYCLE_1)
	v_cmp_eq_u64_e32 vcc_lo, 0, v[6:7]
	v_mov_b64_e32 v[2:3], v[4:5]
	s_or_b32 s24, vcc_lo, s24
	s_and_not1_b32 exec_lo, exec_lo, s24
	s_cbranch_execz .LBB30_649
.LBB30_644:                             ; =>This Inner Loop Header: Depth=1
	s_delay_alu instid0(VALU_DEP_2) | instskip(SKIP_1) | instid1(VALU_DEP_1)
	v_mov_b64_e32 v[4:5], v[6:7]
                                        ; implicit-def: $vgpr6_vgpr7
	s_mov_b32 s0, exec_lo
	v_or_b32_e32 v1, v3, v5
	s_delay_alu instid0(VALU_DEP_1)
	v_cmpx_ne_u64_e32 0, v[0:1]
	s_xor_b32 s25, exec_lo, s0
	s_cbranch_execz .LBB30_646
; %bb.645:                              ;   in Loop: Header=BB30_644 Depth=1
	s_delay_alu instid0(VALU_DEP_3) | instskip(SKIP_3) | instid1(VALU_DEP_3)
	v_cvt_f32_u32_e32 v1, v4
	v_cvt_f32_u32_e32 v6, v5
	v_sub_nc_u64_e32 v[8:9], 0, v[4:5]
	v_dual_mov_b32 v15, v0 :: v_dual_mov_b32 v19, v0
	v_fmac_f32_e32 v1, 0x4f800000, v6
	s_delay_alu instid0(VALU_DEP_1) | instskip(SKIP_1) | instid1(TRANS32_DEP_1)
	v_rcp_f32_e32 v1, v1
	v_nop
	v_mul_f32_e32 v1, 0x5f7ffffc, v1
	s_delay_alu instid0(VALU_DEP_1) | instskip(NEXT) | instid1(VALU_DEP_1)
	v_mul_f32_e32 v6, 0x2f800000, v1
	v_trunc_f32_e32 v7, v6
	s_delay_alu instid0(VALU_DEP_1) | instskip(SKIP_1) | instid1(VALU_DEP_2)
	v_cvt_u32_f32_e32 v11, v7
	v_fmac_f32_e32 v1, 0xcf800000, v7
	v_dual_mov_b32 v7, v0 :: v_dual_mov_b32 v18, v11
	s_delay_alu instid0(VALU_DEP_2) | instskip(NEXT) | instid1(VALU_DEP_1)
	v_cvt_u32_f32_e32 v6, v1
	v_mov_b32_e32 v10, v6
	s_delay_alu instid0(VALU_DEP_1) | instskip(NEXT) | instid1(VALU_DEP_1)
	v_mul_u64_e32 v[12:13], v[8:9], v[10:11]
	v_dual_mov_b32 v14, v13 :: v_dual_mov_b32 v13, v0
	s_delay_alu instid0(VALU_DEP_1) | instskip(NEXT) | instid1(VALU_DEP_2)
	v_mul_u64_e32 v[20:21], v[6:7], v[14:15]
	v_mul_u64_e32 v[22:23], v[18:19], v[12:13]
	;; [unrolled: 1-line block ×3, first 2 shown]
	v_mul_hi_u32 v12, v6, v12
	s_delay_alu instid0(VALU_DEP_1) | instskip(NEXT) | instid1(VALU_DEP_1)
	v_add_nc_u64_e32 v[12:13], v[12:13], v[20:21]
	v_add_co_u32 v1, vcc_lo, v12, v22
	s_delay_alu instid0(VALU_DEP_2) | instskip(SKIP_1) | instid1(VALU_DEP_1)
	v_add_co_ci_u32_e32 v18, vcc_lo, v13, v23, vcc_lo
	v_add_co_ci_u32_e32 v15, vcc_lo, 0, v15, vcc_lo
	v_add_nc_u64_e32 v[12:13], v[18:19], v[14:15]
	s_delay_alu instid0(VALU_DEP_1) | instskip(NEXT) | instid1(VALU_DEP_1)
	v_add_co_u32 v6, vcc_lo, v6, v12
	v_add_co_ci_u32_e64 v10, null, v11, v13, vcc_lo
	v_dual_mov_b32 v13, v0 :: v_dual_mov_b32 v11, v0
	s_delay_alu instid0(VALU_DEP_2) | instskip(NEXT) | instid1(VALU_DEP_1)
	v_mov_b32_e32 v7, v10
	v_mul_u64_e32 v[8:9], v[8:9], v[6:7]
	s_delay_alu instid0(VALU_DEP_1) | instskip(NEXT) | instid1(VALU_DEP_2)
	v_dual_mov_b32 v7, v0 :: v_dual_mov_b32 v12, v9
	v_dual_mov_b32 v18, v8 :: v_dual_mov_b32 v9, v0
	v_mul_hi_u32 v8, v6, v8
	s_delay_alu instid0(VALU_DEP_3) | instskip(NEXT) | instid1(VALU_DEP_3)
	v_mul_u64_e32 v[14:15], v[6:7], v[12:13]
	v_mul_u64_e32 v[18:19], v[10:11], v[18:19]
	v_mul_u64_e32 v[12:13], v[10:11], v[12:13]
	s_delay_alu instid0(VALU_DEP_3) | instskip(SKIP_1) | instid1(VALU_DEP_2)
	v_add_nc_u64_e32 v[8:9], v[8:9], v[14:15]
	v_mov_b32_e32 v15, v0
	v_add_co_u32 v1, vcc_lo, v8, v18
	s_delay_alu instid0(VALU_DEP_3) | instskip(SKIP_1) | instid1(VALU_DEP_1)
	v_add_co_ci_u32_e32 v14, vcc_lo, v9, v19, vcc_lo
	v_add_co_ci_u32_e32 v13, vcc_lo, 0, v13, vcc_lo
	v_add_nc_u64_e32 v[8:9], v[14:15], v[12:13]
	v_dual_mov_b32 v12, v2 :: v_dual_mov_b32 v13, v0
	s_delay_alu instid0(VALU_DEP_2) | instskip(NEXT) | instid1(VALU_DEP_1)
	v_add_co_u32 v8, vcc_lo, v6, v8
	v_add_co_ci_u32_e64 v6, null, v10, v9, vcc_lo
	v_dual_mov_b32 v10, v3 :: v_dual_mov_b32 v9, v0
	s_delay_alu instid0(VALU_DEP_2) | instskip(NEXT) | instid1(VALU_DEP_2)
	v_mul_u64_e32 v[12:13], v[12:13], v[6:7]
	v_mul_u64_e32 v[6:7], v[10:11], v[6:7]
	s_delay_alu instid0(VALU_DEP_3) | instskip(SKIP_1) | instid1(VALU_DEP_1)
	v_mul_u64_e32 v[14:15], v[10:11], v[8:9]
	v_mul_hi_u32 v8, v2, v8
	v_add_nc_u64_e32 v[8:9], v[8:9], v[12:13]
	s_delay_alu instid0(VALU_DEP_1) | instskip(NEXT) | instid1(VALU_DEP_2)
	v_add_co_u32 v1, vcc_lo, v8, v14
	v_add_co_ci_u32_e32 v10, vcc_lo, v9, v15, vcc_lo
	v_add_co_ci_u32_e32 v7, vcc_lo, 0, v7, vcc_lo
	s_delay_alu instid0(VALU_DEP_1) | instskip(NEXT) | instid1(VALU_DEP_1)
	v_add_nc_u64_e32 v[6:7], v[10:11], v[6:7]
	v_mul_u64_e32 v[6:7], v[4:5], v[6:7]
	s_delay_alu instid0(VALU_DEP_1) | instskip(NEXT) | instid1(VALU_DEP_2)
	v_sub_nc_u32_e32 v1, v3, v7
	v_sub_co_u32 v2, vcc_lo, v2, v6
	s_delay_alu instid0(VALU_DEP_1) | instskip(NEXT) | instid1(VALU_DEP_3)
	v_sub_co_ci_u32_e64 v3, null, v3, v7, vcc_lo
	v_sub_co_ci_u32_e64 v1, null, v1, v5, vcc_lo
	s_delay_alu instid0(VALU_DEP_3) | instskip(SKIP_1) | instid1(VALU_DEP_3)
	v_sub_co_u32 v6, vcc_lo, v2, v4
	v_cmp_ge_u32_e64 s0, v2, v4
	v_subrev_co_ci_u32_e64 v7, null, 0, v1, vcc_lo
	v_sub_co_ci_u32_e64 v1, null, v1, v5, vcc_lo
	s_delay_alu instid0(VALU_DEP_3) | instskip(SKIP_2) | instid1(VALU_DEP_2)
	v_cndmask_b32_e64 v8, 0, -1, s0
	v_cmp_ge_u32_e64 s0, v6, v4
	v_cmp_ge_u32_e32 vcc_lo, v3, v5
	v_cndmask_b32_e64 v9, 0, -1, s0
	v_cmp_ge_u32_e64 s0, v7, v5
	v_cndmask_b32_e64 v11, 0, -1, vcc_lo
	v_cmp_eq_u32_e32 vcc_lo, v7, v5
	s_delay_alu instid0(VALU_DEP_3) | instskip(SKIP_1) | instid1(VALU_DEP_1)
	v_cndmask_b32_e64 v10, 0, -1, s0
	v_cmp_eq_u32_e64 s0, v3, v5
	v_dual_cndmask_b32 v9, v10, v9, vcc_lo :: v_dual_cndmask_b32 v8, v11, v8, s0
	v_sub_co_u32 v10, vcc_lo, v6, v4
	s_delay_alu instid0(VALU_DEP_1) | instskip(NEXT) | instid1(VALU_DEP_3)
	v_subrev_co_ci_u32_e64 v1, null, 0, v1, vcc_lo
	v_cmp_ne_u32_e32 vcc_lo, 0, v9
	s_delay_alu instid0(VALU_DEP_2) | instskip(SKIP_1) | instid1(VALU_DEP_2)
	v_dual_cndmask_b32 v1, v7, v1 :: v_dual_cndmask_b32 v6, v6, v10
	v_cmp_ne_u32_e32 vcc_lo, 0, v8
	v_dual_cndmask_b32 v7, v3, v1 :: v_dual_cndmask_b32 v6, v2, v6
                                        ; implicit-def: $vgpr2_vgpr3
.LBB30_646:                             ;   in Loop: Header=BB30_644 Depth=1
	s_and_not1_saveexec_b32 s0, s25
	s_cbranch_execz .LBB30_643
; %bb.647:                              ;   in Loop: Header=BB30_644 Depth=1
	v_cvt_f32_u32_e32 v1, v4
	v_dual_sub_nc_u32 v3, 0, v4 :: v_dual_mov_b32 v7, v0
	s_delay_alu instid0(VALU_DEP_2) | instskip(SKIP_1) | instid1(TRANS32_DEP_1)
	v_rcp_iflag_f32_e32 v1, v1
	v_nop
	v_mul_f32_e32 v1, 0x4f7ffffe, v1
	s_delay_alu instid0(VALU_DEP_1) | instskip(NEXT) | instid1(VALU_DEP_1)
	v_cvt_u32_f32_e32 v1, v1
	v_mul_lo_u32 v3, v3, v1
	s_delay_alu instid0(VALU_DEP_1) | instskip(NEXT) | instid1(VALU_DEP_1)
	v_mul_hi_u32 v3, v1, v3
	v_add_nc_u32_e32 v1, v1, v3
	s_delay_alu instid0(VALU_DEP_1) | instskip(NEXT) | instid1(VALU_DEP_1)
	v_mul_hi_u32 v1, v2, v1
	v_mul_lo_u32 v1, v1, v4
	s_delay_alu instid0(VALU_DEP_1) | instskip(NEXT) | instid1(VALU_DEP_1)
	v_sub_nc_u32_e32 v1, v2, v1
	v_sub_nc_u32_e32 v2, v1, v4
	v_cmp_ge_u32_e32 vcc_lo, v1, v4
	s_delay_alu instid0(VALU_DEP_2) | instskip(NEXT) | instid1(VALU_DEP_1)
	v_cndmask_b32_e32 v1, v1, v2, vcc_lo
	v_sub_nc_u32_e32 v2, v1, v4
	v_cmp_ge_u32_e32 vcc_lo, v1, v4
	s_delay_alu instid0(VALU_DEP_2)
	v_cndmask_b32_e32 v6, v1, v2, vcc_lo
	s_branch .LBB30_643
.LBB30_648:
	s_mov_b32 s24, 0
	s_mov_b32 s0, s15
	s_branch .LBB30_773
.LBB30_649:
	s_or_b32 exec_lo, exec_lo, s24
	v_mov_b64_e32 v[2:3], v[4:5]
.LBB30_650:
	s_or_b32 exec_lo, exec_lo, s21
	v_mul_lo_u32 v0, v16, s8
	s_and_b32 s21, s11, 0xff
	s_delay_alu instid0(SALU_CYCLE_1) | instskip(NEXT) | instid1(VALU_DEP_1)
	s_cmp_lt_i32 s21, 11
	v_ashrrev_i32_e32 v1, 31, v0
	s_delay_alu instid0(VALU_DEP_1)
	v_add_nc_u64_e32 v[0:1], s[4:5], v[0:1]
	s_cbranch_scc1 .LBB30_657
; %bb.651:
	s_and_b32 s24, 0xffff, s21
	s_delay_alu instid0(SALU_CYCLE_1)
	s_cmp_gt_i32 s24, 25
	s_cbranch_scc0 .LBB30_658
; %bb.652:
	s_cmp_gt_i32 s24, 28
	s_cbranch_scc0 .LBB30_659
; %bb.653:
	;; [unrolled: 3-line block ×4, first 2 shown]
	s_mov_b32 s26, 0
	s_mov_b32 s0, -1
	s_cmp_eq_u32 s24, 46
	s_mov_b32 s25, 0
	s_cbranch_scc0 .LBB30_662
; %bb.656:
	s_delay_alu instid0(VALU_DEP_4) | instskip(SKIP_2) | instid1(VALU_DEP_1)
	v_clz_i32_u32_e32 v4, v3
	s_mov_b32 s25, -1
	s_mov_b32 s0, 0
	v_min_u32_e32 v6, 32, v4
	s_delay_alu instid0(VALU_DEP_1) | instskip(NEXT) | instid1(VALU_DEP_1)
	v_lshlrev_b64_e32 v[4:5], v6, v[2:3]
	v_min_u32_e32 v4, 1, v4
	s_delay_alu instid0(VALU_DEP_1) | instskip(NEXT) | instid1(VALU_DEP_1)
	v_dual_sub_nc_u32 v5, 32, v6 :: v_dual_bitop2_b32 v4, v5, v4 bitop3:0x54
	v_cvt_f32_u32_e32 v4, v4
	s_delay_alu instid0(VALU_DEP_1) | instskip(NEXT) | instid1(VALU_DEP_1)
	v_ldexp_f32 v4, v4, v5
	v_bfe_u32 v5, v4, 16, 1
	s_delay_alu instid0(VALU_DEP_1) | instskip(NEXT) | instid1(VALU_DEP_1)
	v_add3_u32 v4, v4, v5, 0x7fff
	v_lshrrev_b32_e32 v4, 16, v4
	global_store_b32 v[0:1], v4, off
	s_branch .LBB30_662
.LBB30_657:
	s_mov_b32 s24, -1
	s_mov_b32 s25, 0
	s_mov_b32 s0, s15
	s_branch .LBB30_731
.LBB30_658:
	s_mov_b32 s26, -1
	s_mov_b32 s25, 0
	s_mov_b32 s0, s15
	s_branch .LBB30_689
.LBB30_659:
	s_mov_b32 s26, -1
	s_mov_b32 s25, 0
	s_mov_b32 s0, s15
	s_branch .LBB30_672
.LBB30_660:
	s_mov_b32 s26, -1
	s_mov_b32 s25, 0
	s_mov_b32 s0, s15
	s_branch .LBB30_668
.LBB30_661:
	s_mov_b32 s26, -1
	s_mov_b32 s25, 0
	s_mov_b32 s0, s15
.LBB30_662:
	s_and_b32 vcc_lo, exec_lo, s26
	s_cbranch_vccz .LBB30_667
; %bb.663:
	s_cmp_eq_u32 s24, 44
	s_mov_b32 s0, -1
	s_cbranch_scc0 .LBB30_667
; %bb.664:
	s_wait_xcnt 0x0
	s_delay_alu instid0(VALU_DEP_4) | instskip(SKIP_1) | instid1(VALU_DEP_1)
	v_clz_i32_u32_e32 v4, v3
	s_mov_b32 s25, exec_lo
	v_min_u32_e32 v6, 32, v4
	s_delay_alu instid0(VALU_DEP_1) | instskip(NEXT) | instid1(VALU_DEP_1)
	v_lshlrev_b64_e32 v[4:5], v6, v[2:3]
	v_min_u32_e32 v4, 1, v4
	s_delay_alu instid0(VALU_DEP_1) | instskip(NEXT) | instid1(VALU_DEP_1)
	v_dual_sub_nc_u32 v5, 32, v6 :: v_dual_bitop2_b32 v4, v5, v4 bitop3:0x54
	v_cvt_f32_u32_e32 v4, v4
	s_delay_alu instid0(VALU_DEP_1) | instskip(NEXT) | instid1(VALU_DEP_1)
	v_ldexp_f32 v6, v4, v5
	v_dual_mov_b32 v5, 0xff :: v_dual_lshrrev_b32 v4, 23, v6
	s_delay_alu instid0(VALU_DEP_1)
	v_cmpx_ne_u32_e32 0xff, v4
; %bb.665:
	v_and_b32_e32 v5, 0x400000, v6
	v_and_or_b32 v6, 0x3fffff, v6, v4
	s_delay_alu instid0(VALU_DEP_2) | instskip(NEXT) | instid1(VALU_DEP_2)
	v_cmp_ne_u32_e32 vcc_lo, 0, v5
	v_cmp_ne_u32_e64 s0, 0, v6
	s_and_b32 s0, vcc_lo, s0
	s_delay_alu instid0(SALU_CYCLE_1) | instskip(NEXT) | instid1(VALU_DEP_1)
	v_cndmask_b32_e64 v5, 0, 1, s0
	v_add_nc_u32_e32 v5, v4, v5
; %bb.666:
	s_or_b32 exec_lo, exec_lo, s25
	s_mov_b32 s25, -1
	s_mov_b32 s0, 0
	global_store_b8 v[0:1], v5, off
.LBB30_667:
	s_mov_b32 s26, 0
.LBB30_668:
	s_delay_alu instid0(SALU_CYCLE_1)
	s_and_b32 vcc_lo, exec_lo, s26
	s_cbranch_vccz .LBB30_671
; %bb.669:
	s_cmp_eq_u32 s24, 29
	s_mov_b32 s0, -1
	s_cbranch_scc0 .LBB30_671
; %bb.670:
	s_mov_b32 s25, -1
	s_mov_b32 s0, 0
	global_store_b64 v[0:1], v[2:3], off
.LBB30_671:
	s_mov_b32 s26, 0
.LBB30_672:
	s_delay_alu instid0(SALU_CYCLE_1)
	s_and_b32 vcc_lo, exec_lo, s26
	s_cbranch_vccz .LBB30_688
; %bb.673:
	s_cmp_lt_i32 s24, 27
	s_mov_b32 s25, -1
	s_cbranch_scc1 .LBB30_679
; %bb.674:
	s_cmp_gt_i32 s24, 27
	s_cbranch_scc0 .LBB30_676
; %bb.675:
	s_mov_b32 s25, 0
	global_store_b32 v[0:1], v2, off
.LBB30_676:
	s_and_not1_b32 vcc_lo, exec_lo, s25
	s_cbranch_vccnz .LBB30_678
; %bb.677:
	global_store_b16 v[0:1], v2, off
.LBB30_678:
	s_mov_b32 s25, 0
.LBB30_679:
	s_delay_alu instid0(SALU_CYCLE_1)
	s_and_not1_b32 vcc_lo, exec_lo, s25
	s_cbranch_vccnz .LBB30_687
; %bb.680:
	s_wait_xcnt 0x0
	s_delay_alu instid0(VALU_DEP_4) | instskip(SKIP_1) | instid1(VALU_DEP_1)
	v_clz_i32_u32_e32 v4, v3
	s_mov_b32 s25, exec_lo
	v_min_u32_e32 v6, 32, v4
	s_delay_alu instid0(VALU_DEP_1) | instskip(NEXT) | instid1(VALU_DEP_1)
	v_lshlrev_b64_e32 v[4:5], v6, v[2:3]
	v_min_u32_e32 v4, 1, v4
	s_delay_alu instid0(VALU_DEP_1) | instskip(SKIP_1) | instid1(VALU_DEP_2)
	v_dual_sub_nc_u32 v5, 32, v6 :: v_dual_bitop2_b32 v4, v5, v4 bitop3:0x54
	v_mov_b32_e32 v6, 0x80
	v_cvt_f32_u32_e32 v4, v4
	s_delay_alu instid0(VALU_DEP_1) | instskip(NEXT) | instid1(VALU_DEP_1)
	v_ldexp_f32 v5, v4, v5
	v_cmpx_gt_u32_e32 0x43800000, v5
	s_cbranch_execz .LBB30_686
; %bb.681:
	s_mov_b32 s26, 0
	s_mov_b32 s27, exec_lo
                                        ; implicit-def: $vgpr4
	v_cmpx_lt_u32_e32 0x3bffffff, v5
	s_xor_b32 s27, exec_lo, s27
	s_cbranch_execz .LBB30_789
; %bb.682:
	v_bfe_u32 v4, v5, 20, 1
	s_mov_b32 s26, exec_lo
	s_delay_alu instid0(VALU_DEP_1) | instskip(NEXT) | instid1(VALU_DEP_1)
	v_add3_u32 v4, v5, v4, 0x487ffff
                                        ; implicit-def: $vgpr5
	v_lshrrev_b32_e32 v4, 20, v4
	s_and_not1_saveexec_b32 s27, s27
	s_cbranch_execnz .LBB30_790
.LBB30_683:
	s_or_b32 exec_lo, exec_lo, s27
	v_mov_b32_e32 v6, 0
	s_and_saveexec_b32 s27, s26
.LBB30_684:
	v_mov_b32_e32 v6, v4
.LBB30_685:
	s_or_b32 exec_lo, exec_lo, s27
.LBB30_686:
	s_delay_alu instid0(SALU_CYCLE_1)
	s_or_b32 exec_lo, exec_lo, s25
	global_store_b8 v[0:1], v6, off
.LBB30_687:
	s_mov_b32 s25, -1
.LBB30_688:
	s_mov_b32 s26, 0
.LBB30_689:
	s_delay_alu instid0(SALU_CYCLE_1)
	s_and_b32 vcc_lo, exec_lo, s26
	s_cbranch_vccz .LBB30_730
; %bb.690:
	s_cmp_gt_i32 s24, 22
	s_mov_b32 s26, -1
	s_cbranch_scc0 .LBB30_722
; %bb.691:
	s_cmp_lt_i32 s24, 24
	s_mov_b32 s25, -1
	s_cbranch_scc1 .LBB30_711
; %bb.692:
	s_cmp_gt_i32 s24, 24
	s_cbranch_scc0 .LBB30_700
; %bb.693:
	s_wait_xcnt 0x0
	s_delay_alu instid0(VALU_DEP_4) | instskip(SKIP_1) | instid1(VALU_DEP_1)
	v_clz_i32_u32_e32 v4, v3
	s_mov_b32 s25, exec_lo
	v_min_u32_e32 v6, 32, v4
	s_delay_alu instid0(VALU_DEP_1) | instskip(NEXT) | instid1(VALU_DEP_1)
	v_lshlrev_b64_e32 v[4:5], v6, v[2:3]
	v_min_u32_e32 v4, 1, v4
	s_delay_alu instid0(VALU_DEP_1) | instskip(SKIP_1) | instid1(VALU_DEP_2)
	v_dual_sub_nc_u32 v5, 32, v6 :: v_dual_bitop2_b32 v4, v5, v4 bitop3:0x54
	v_mov_b32_e32 v6, 0x80
	v_cvt_f32_u32_e32 v4, v4
	s_delay_alu instid0(VALU_DEP_1) | instskip(NEXT) | instid1(VALU_DEP_1)
	v_ldexp_f32 v5, v4, v5
	v_cmpx_gt_u32_e32 0x47800000, v5
	s_cbranch_execz .LBB30_699
; %bb.694:
	s_mov_b32 s26, 0
	s_mov_b32 s27, exec_lo
                                        ; implicit-def: $vgpr4
	v_cmpx_lt_u32_e32 0x37ffffff, v5
	s_xor_b32 s27, exec_lo, s27
	s_cbranch_execz .LBB30_917
; %bb.695:
	v_bfe_u32 v4, v5, 21, 1
	s_mov_b32 s26, exec_lo
	s_delay_alu instid0(VALU_DEP_1) | instskip(NEXT) | instid1(VALU_DEP_1)
	v_add3_u32 v4, v5, v4, 0x88fffff
                                        ; implicit-def: $vgpr5
	v_lshrrev_b32_e32 v4, 21, v4
	s_and_not1_saveexec_b32 s27, s27
	s_cbranch_execnz .LBB30_918
.LBB30_696:
	s_or_b32 exec_lo, exec_lo, s27
	v_mov_b32_e32 v6, 0
	s_and_saveexec_b32 s27, s26
.LBB30_697:
	v_mov_b32_e32 v6, v4
.LBB30_698:
	s_or_b32 exec_lo, exec_lo, s27
.LBB30_699:
	s_delay_alu instid0(SALU_CYCLE_1)
	s_or_b32 exec_lo, exec_lo, s25
	s_mov_b32 s25, 0
	global_store_b8 v[0:1], v6, off
.LBB30_700:
	s_and_b32 vcc_lo, exec_lo, s25
	s_cbranch_vccz .LBB30_710
; %bb.701:
	s_wait_xcnt 0x0
	s_delay_alu instid0(VALU_DEP_4) | instskip(SKIP_1) | instid1(VALU_DEP_1)
	v_clz_i32_u32_e32 v4, v3
	s_mov_b32 s25, exec_lo
	v_min_u32_e32 v6, 32, v4
	s_delay_alu instid0(VALU_DEP_1) | instskip(NEXT) | instid1(VALU_DEP_1)
	v_lshlrev_b64_e32 v[4:5], v6, v[2:3]
	v_min_u32_e32 v4, 1, v4
	s_delay_alu instid0(VALU_DEP_1) | instskip(NEXT) | instid1(VALU_DEP_1)
	v_dual_sub_nc_u32 v5, 32, v6 :: v_dual_bitop2_b32 v4, v5, v4 bitop3:0x54
	v_cvt_f32_u32_e32 v4, v4
	s_delay_alu instid0(VALU_DEP_1) | instskip(NEXT) | instid1(VALU_DEP_1)
	v_ldexp_f32 v5, v4, v5
                                        ; implicit-def: $vgpr4
	v_cmpx_gt_u32_e32 0x43f00000, v5
	s_xor_b32 s25, exec_lo, s25
	s_cbranch_execz .LBB30_707
; %bb.702:
	s_mov_b32 s26, exec_lo
                                        ; implicit-def: $vgpr4
	v_cmpx_lt_u32_e32 0x3c7fffff, v5
	s_xor_b32 s26, exec_lo, s26
; %bb.703:
	v_bfe_u32 v4, v5, 20, 1
	s_delay_alu instid0(VALU_DEP_1) | instskip(NEXT) | instid1(VALU_DEP_1)
	v_add3_u32 v4, v5, v4, 0x407ffff
	v_and_b32_e32 v5, 0xff00000, v4
	v_lshrrev_b32_e32 v4, 20, v4
	s_delay_alu instid0(VALU_DEP_2) | instskip(NEXT) | instid1(VALU_DEP_2)
	v_cmp_ne_u32_e32 vcc_lo, 0x7f00000, v5
                                        ; implicit-def: $vgpr5
	v_cndmask_b32_e32 v4, 0x7e, v4, vcc_lo
; %bb.704:
	s_and_not1_saveexec_b32 s26, s26
; %bb.705:
	v_add_f32_e32 v4, 0x46800000, v5
; %bb.706:
	s_or_b32 exec_lo, exec_lo, s26
                                        ; implicit-def: $vgpr5
.LBB30_707:
	s_and_not1_saveexec_b32 s25, s25
; %bb.708:
	v_mov_b32_e32 v4, 0x7f
	v_cmp_lt_u32_e32 vcc_lo, 0x7f800000, v5
	s_delay_alu instid0(VALU_DEP_2)
	v_cndmask_b32_e32 v4, 0x7e, v4, vcc_lo
; %bb.709:
	s_or_b32 exec_lo, exec_lo, s25
	global_store_b8 v[0:1], v4, off
.LBB30_710:
	s_mov_b32 s25, 0
.LBB30_711:
	s_delay_alu instid0(SALU_CYCLE_1)
	s_and_not1_b32 vcc_lo, exec_lo, s25
	s_cbranch_vccnz .LBB30_721
; %bb.712:
	s_wait_xcnt 0x0
	s_delay_alu instid0(VALU_DEP_4) | instskip(SKIP_1) | instid1(VALU_DEP_1)
	v_clz_i32_u32_e32 v4, v3
	s_mov_b32 s25, exec_lo
	v_min_u32_e32 v6, 32, v4
	s_delay_alu instid0(VALU_DEP_1) | instskip(NEXT) | instid1(VALU_DEP_1)
	v_lshlrev_b64_e32 v[4:5], v6, v[2:3]
	v_min_u32_e32 v4, 1, v4
	s_delay_alu instid0(VALU_DEP_1) | instskip(NEXT) | instid1(VALU_DEP_1)
	v_dual_sub_nc_u32 v5, 32, v6 :: v_dual_bitop2_b32 v4, v5, v4 bitop3:0x54
	v_cvt_f32_u32_e32 v4, v4
	s_delay_alu instid0(VALU_DEP_1) | instskip(NEXT) | instid1(VALU_DEP_1)
	v_ldexp_f32 v5, v4, v5
                                        ; implicit-def: $vgpr4
	v_cmpx_gt_u32_e32 0x47800000, v5
	s_xor_b32 s25, exec_lo, s25
	s_cbranch_execz .LBB30_718
; %bb.713:
	s_mov_b32 s26, exec_lo
                                        ; implicit-def: $vgpr4
	v_cmpx_lt_u32_e32 0x387fffff, v5
	s_xor_b32 s26, exec_lo, s26
; %bb.714:
	v_bfe_u32 v4, v5, 21, 1
	s_delay_alu instid0(VALU_DEP_1) | instskip(NEXT) | instid1(VALU_DEP_1)
	v_add3_u32 v4, v5, v4, 0x80fffff
                                        ; implicit-def: $vgpr5
	v_lshrrev_b32_e32 v4, 21, v4
; %bb.715:
	s_and_not1_saveexec_b32 s26, s26
; %bb.716:
	v_add_f32_e32 v4, 0x43000000, v5
; %bb.717:
	s_or_b32 exec_lo, exec_lo, s26
                                        ; implicit-def: $vgpr5
.LBB30_718:
	s_and_not1_saveexec_b32 s25, s25
; %bb.719:
	v_mov_b32_e32 v4, 0x7f
	v_cmp_lt_u32_e32 vcc_lo, 0x7f800000, v5
	s_delay_alu instid0(VALU_DEP_2)
	v_cndmask_b32_e32 v4, 0x7c, v4, vcc_lo
; %bb.720:
	s_or_b32 exec_lo, exec_lo, s25
	global_store_b8 v[0:1], v4, off
.LBB30_721:
	s_mov_b32 s26, 0
	s_mov_b32 s25, -1
.LBB30_722:
	s_and_not1_b32 vcc_lo, exec_lo, s26
	s_cbranch_vccnz .LBB30_730
; %bb.723:
	s_cmp_gt_i32 s24, 14
	s_mov_b32 s26, -1
	s_cbranch_scc0 .LBB30_727
; %bb.724:
	s_cmp_eq_u32 s24, 15
	s_mov_b32 s0, -1
	s_cbranch_scc0 .LBB30_726
; %bb.725:
	s_wait_xcnt 0x0
	s_delay_alu instid0(VALU_DEP_4) | instskip(SKIP_2) | instid1(VALU_DEP_1)
	v_clz_i32_u32_e32 v4, v3
	s_mov_b32 s25, -1
	s_mov_b32 s0, 0
	v_min_u32_e32 v6, 32, v4
	s_delay_alu instid0(VALU_DEP_1) | instskip(NEXT) | instid1(VALU_DEP_1)
	v_lshlrev_b64_e32 v[4:5], v6, v[2:3]
	v_min_u32_e32 v4, 1, v4
	s_delay_alu instid0(VALU_DEP_1) | instskip(NEXT) | instid1(VALU_DEP_1)
	v_dual_sub_nc_u32 v5, 32, v6 :: v_dual_bitop2_b32 v4, v5, v4 bitop3:0x54
	v_cvt_f32_u32_e32 v4, v4
	s_delay_alu instid0(VALU_DEP_1) | instskip(NEXT) | instid1(VALU_DEP_1)
	v_ldexp_f32 v4, v4, v5
	v_bfe_u32 v5, v4, 16, 1
	s_delay_alu instid0(VALU_DEP_1)
	v_add3_u32 v4, v4, v5, 0x7fff
	global_store_d16_hi_b16 v[0:1], v4, off
.LBB30_726:
	s_mov_b32 s26, 0
.LBB30_727:
	s_delay_alu instid0(SALU_CYCLE_1)
	s_and_b32 vcc_lo, exec_lo, s26
	s_cbranch_vccz .LBB30_730
; %bb.728:
	s_cmp_eq_u32 s24, 11
	s_mov_b32 s0, -1
	s_cbranch_scc0 .LBB30_730
; %bb.729:
	v_cmp_ne_u64_e32 vcc_lo, 0, v[2:3]
	s_mov_b32 s25, -1
	s_mov_b32 s0, 0
	s_wait_xcnt 0x0
	v_cndmask_b32_e64 v4, 0, 1, vcc_lo
	global_store_b8 v[0:1], v4, off
.LBB30_730:
	s_mov_b32 s24, 0
.LBB30_731:
	s_delay_alu instid0(SALU_CYCLE_1)
	s_and_b32 vcc_lo, exec_lo, s24
	s_cbranch_vccz .LBB30_770
; %bb.732:
	s_and_b32 s21, 0xffff, s21
	s_mov_b32 s24, -1
	s_cmp_lt_i32 s21, 5
	s_cbranch_scc1 .LBB30_753
; %bb.733:
	s_cmp_lt_i32 s21, 8
	s_cbranch_scc1 .LBB30_743
; %bb.734:
	;; [unrolled: 3-line block ×3, first 2 shown]
	s_cmp_gt_i32 s21, 9
	s_cbranch_scc0 .LBB30_737
; %bb.736:
	s_wait_xcnt 0x0
	s_delay_alu instid0(VALU_DEP_4) | instskip(SKIP_2) | instid1(VALU_DEP_2)
	v_cvt_f64_u32_e32 v[4:5], v3
	v_cvt_f64_u32_e32 v[6:7], v2
	s_mov_b32 s24, 0
	v_ldexp_f64 v[4:5], v[4:5], 32
	s_delay_alu instid0(VALU_DEP_1) | instskip(NEXT) | instid1(VALU_DEP_1)
	v_dual_add_f64 v[4:5], v[4:5], v[6:7] :: v_dual_mov_b32 v6, 0
	v_mov_b32_e32 v7, v6
	global_store_b128 v[0:1], v[4:7], off
.LBB30_737:
	s_and_not1_b32 vcc_lo, exec_lo, s24
	s_cbranch_vccnz .LBB30_739
; %bb.738:
	s_wait_xcnt 0x0
	s_delay_alu instid0(VALU_DEP_4) | instskip(NEXT) | instid1(VALU_DEP_1)
	v_clz_i32_u32_e32 v4, v3
	v_min_u32_e32 v6, 32, v4
	s_delay_alu instid0(VALU_DEP_1) | instskip(NEXT) | instid1(VALU_DEP_1)
	v_lshlrev_b64_e32 v[4:5], v6, v[2:3]
	v_min_u32_e32 v4, 1, v4
	s_delay_alu instid0(VALU_DEP_1) | instskip(NEXT) | instid1(VALU_DEP_1)
	v_dual_sub_nc_u32 v5, 32, v6 :: v_dual_bitop2_b32 v4, v5, v4 bitop3:0x54
	v_cvt_f32_u32_e32 v4, v4
	s_delay_alu instid0(VALU_DEP_1)
	v_ldexp_f32 v4, v4, v5
	v_mov_b32_e32 v5, 0
	global_store_b64 v[0:1], v[4:5], off
.LBB30_739:
	s_mov_b32 s24, 0
.LBB30_740:
	s_delay_alu instid0(SALU_CYCLE_1)
	s_and_not1_b32 vcc_lo, exec_lo, s24
	s_cbranch_vccnz .LBB30_742
; %bb.741:
	s_wait_xcnt 0x0
	s_delay_alu instid0(VALU_DEP_4) | instskip(NEXT) | instid1(VALU_DEP_1)
	v_clz_i32_u32_e32 v4, v3
	v_min_u32_e32 v6, 32, v4
	s_delay_alu instid0(VALU_DEP_1) | instskip(NEXT) | instid1(VALU_DEP_1)
	v_lshlrev_b64_e32 v[4:5], v6, v[2:3]
	v_min_u32_e32 v4, 1, v4
	s_delay_alu instid0(VALU_DEP_1) | instskip(NEXT) | instid1(VALU_DEP_1)
	v_dual_sub_nc_u32 v5, 32, v6 :: v_dual_bitop2_b32 v4, v5, v4 bitop3:0x54
	v_cvt_f32_u32_e32 v4, v4
	s_delay_alu instid0(VALU_DEP_1) | instskip(NEXT) | instid1(VALU_DEP_1)
	v_ldexp_f32 v4, v4, v5
	v_cvt_f16_f32_e32 v4, v4
	s_delay_alu instid0(VALU_DEP_1)
	v_and_b32_e32 v4, 0xffff, v4
	global_store_b32 v[0:1], v4, off
.LBB30_742:
	s_mov_b32 s24, 0
.LBB30_743:
	s_delay_alu instid0(SALU_CYCLE_1)
	s_and_not1_b32 vcc_lo, exec_lo, s24
	s_cbranch_vccnz .LBB30_752
; %bb.744:
	s_cmp_lt_i32 s21, 6
	s_mov_b32 s24, -1
	s_cbranch_scc1 .LBB30_750
; %bb.745:
	s_cmp_gt_i32 s21, 6
	s_cbranch_scc0 .LBB30_747
; %bb.746:
	s_wait_xcnt 0x0
	s_delay_alu instid0(VALU_DEP_4) | instskip(SKIP_2) | instid1(VALU_DEP_2)
	v_cvt_f64_u32_e32 v[4:5], v3
	v_cvt_f64_u32_e32 v[6:7], v2
	s_mov_b32 s24, 0
	v_ldexp_f64 v[4:5], v[4:5], 32
	s_delay_alu instid0(VALU_DEP_1)
	v_add_f64_e32 v[4:5], v[4:5], v[6:7]
	global_store_b64 v[0:1], v[4:5], off
.LBB30_747:
	s_and_not1_b32 vcc_lo, exec_lo, s24
	s_cbranch_vccnz .LBB30_749
; %bb.748:
	s_wait_xcnt 0x0
	v_clz_i32_u32_e32 v4, v3
	s_delay_alu instid0(VALU_DEP_1) | instskip(NEXT) | instid1(VALU_DEP_1)
	v_min_u32_e32 v6, 32, v4
	v_lshlrev_b64_e32 v[4:5], v6, v[2:3]
	s_delay_alu instid0(VALU_DEP_1) | instskip(NEXT) | instid1(VALU_DEP_1)
	v_min_u32_e32 v4, 1, v4
	v_dual_sub_nc_u32 v5, 32, v6 :: v_dual_bitop2_b32 v4, v5, v4 bitop3:0x54
	s_delay_alu instid0(VALU_DEP_1) | instskip(NEXT) | instid1(VALU_DEP_1)
	v_cvt_f32_u32_e32 v4, v4
	v_ldexp_f32 v4, v4, v5
	global_store_b32 v[0:1], v4, off
.LBB30_749:
	s_mov_b32 s24, 0
.LBB30_750:
	s_delay_alu instid0(SALU_CYCLE_1)
	s_and_not1_b32 vcc_lo, exec_lo, s24
	s_cbranch_vccnz .LBB30_752
; %bb.751:
	s_wait_xcnt 0x0
	s_delay_alu instid0(VALU_DEP_4) | instskip(NEXT) | instid1(VALU_DEP_1)
	v_clz_i32_u32_e32 v4, v3
	v_min_u32_e32 v6, 32, v4
	s_delay_alu instid0(VALU_DEP_1) | instskip(NEXT) | instid1(VALU_DEP_1)
	v_lshlrev_b64_e32 v[4:5], v6, v[2:3]
	v_min_u32_e32 v4, 1, v4
	s_delay_alu instid0(VALU_DEP_1) | instskip(NEXT) | instid1(VALU_DEP_1)
	v_dual_sub_nc_u32 v5, 32, v6 :: v_dual_bitop2_b32 v4, v5, v4 bitop3:0x54
	v_cvt_f32_u32_e32 v4, v4
	s_delay_alu instid0(VALU_DEP_1) | instskip(NEXT) | instid1(VALU_DEP_1)
	v_ldexp_f32 v4, v4, v5
	v_cvt_f16_f32_e32 v4, v4
	global_store_b16 v[0:1], v4, off
.LBB30_752:
	s_mov_b32 s24, 0
.LBB30_753:
	s_delay_alu instid0(SALU_CYCLE_1)
	s_and_not1_b32 vcc_lo, exec_lo, s24
	s_cbranch_vccnz .LBB30_769
; %bb.754:
	s_cmp_lt_i32 s21, 2
	s_mov_b32 s24, -1
	s_cbranch_scc1 .LBB30_764
; %bb.755:
	s_cmp_lt_i32 s21, 3
	s_cbranch_scc1 .LBB30_761
; %bb.756:
	s_cmp_gt_i32 s21, 3
	s_cbranch_scc0 .LBB30_758
; %bb.757:
	s_mov_b32 s24, 0
	global_store_b64 v[0:1], v[2:3], off
.LBB30_758:
	s_and_not1_b32 vcc_lo, exec_lo, s24
	s_cbranch_vccnz .LBB30_760
; %bb.759:
	global_store_b32 v[0:1], v2, off
.LBB30_760:
	s_mov_b32 s24, 0
.LBB30_761:
	s_delay_alu instid0(SALU_CYCLE_1)
	s_and_not1_b32 vcc_lo, exec_lo, s24
	s_cbranch_vccnz .LBB30_763
; %bb.762:
	global_store_b16 v[0:1], v2, off
.LBB30_763:
	s_mov_b32 s24, 0
.LBB30_764:
	s_delay_alu instid0(SALU_CYCLE_1)
	s_and_not1_b32 vcc_lo, exec_lo, s24
	s_cbranch_vccnz .LBB30_769
; %bb.765:
	s_cmp_gt_i32 s21, 0
	s_mov_b32 s21, -1
	s_cbranch_scc0 .LBB30_767
; %bb.766:
	s_mov_b32 s21, 0
	global_store_b8 v[0:1], v2, off
.LBB30_767:
	s_and_not1_b32 vcc_lo, exec_lo, s21
	s_cbranch_vccnz .LBB30_769
; %bb.768:
	global_store_b8 v[0:1], v2, off
.LBB30_769:
	s_mov_b32 s25, -1
.LBB30_770:
	s_delay_alu instid0(SALU_CYCLE_1)
	s_and_not1_b32 vcc_lo, exec_lo, s25
	s_cbranch_vccnz .LBB30_772
; %bb.771:
	v_add_nc_u32_e32 v16, 0x80, v16
	s_mov_b32 s24, -1
	s_branch .LBB30_774
.LBB30_772:
	s_mov_b32 s24, 0
.LBB30_773:
                                        ; implicit-def: $vgpr16
.LBB30_774:
	s_and_not1_b32 s21, s15, exec_lo
	s_and_b32 s0, s0, exec_lo
	s_and_b32 s22, s22, exec_lo
	s_or_b32 s21, s21, s0
	s_and_not1_b32 s0, s17, exec_lo
	s_and_not1_b32 s25, s18, exec_lo
	s_and_b32 s20, s20, exec_lo
	s_or_b32 s22, s0, s22
	s_or_b32 s20, s25, s20
	s_or_not1_b32 s25, s24, exec_lo
.LBB30_775:
	s_wait_xcnt 0x0
	s_or_b32 exec_lo, exec_lo, s23
	s_mov_b32 s24, 0
	s_mov_b32 s26, 0
	;; [unrolled: 1-line block ×3, first 2 shown]
                                        ; implicit-def: $sgpr0
                                        ; implicit-def: $vgpr2_vgpr3
                                        ; implicit-def: $vgpr0_vgpr1
	s_and_saveexec_b32 s23, s25
	s_cbranch_execz .LBB30_1246
; %bb.776:
	s_mov_b32 s31, -1
	s_mov_b32 s25, s20
	s_mov_b32 s26, s22
	;; [unrolled: 1-line block ×3, first 2 shown]
	s_mov_b32 s24, exec_lo
	v_cmpx_gt_i32_e64 s16, v16
	s_cbranch_execz .LBB30_1166
; %bb.777:
	s_wait_loadcnt 0x0
	v_mul_lo_u32 v0, v16, s9
	s_and_b32 s0, s13, 0xff
	s_delay_alu instid0(SALU_CYCLE_1) | instskip(NEXT) | instid1(VALU_DEP_1)
	s_cmp_lt_i32 s0, 11
	v_ashrrev_i32_e32 v1, 31, v0
	s_delay_alu instid0(VALU_DEP_1)
	v_add_nc_u64_e32 v[2:3], s[6:7], v[0:1]
	s_cbranch_scc1 .LBB30_784
; %bb.778:
	s_and_b32 s26, 0xffff, s0
	s_delay_alu instid0(SALU_CYCLE_1)
	s_cmp_gt_i32 s26, 25
	s_cbranch_scc0 .LBB30_785
; %bb.779:
	s_cmp_gt_i32 s26, 28
	s_cbranch_scc0 .LBB30_786
; %bb.780:
	;; [unrolled: 3-line block ×4, first 2 shown]
	s_cmp_eq_u32 s26, 46
	s_mov_b32 s28, 0
	s_cbranch_scc0 .LBB30_791
; %bb.783:
	global_load_b32 v0, v[2:3], off
	s_mov_b32 s27, -1
	s_mov_b32 s25, 0
	s_wait_loadcnt 0x0
	v_lshlrev_b32_e32 v0, 16, v0
	s_delay_alu instid0(VALU_DEP_1) | instskip(NEXT) | instid1(VALU_DEP_1)
	v_trunc_f32_e32 v0, v0
	v_mul_f32_e64 v1, 0x2f800000, |v0|
	s_delay_alu instid0(VALU_DEP_1) | instskip(NEXT) | instid1(VALU_DEP_1)
	v_floor_f32_e32 v1, v1
	v_fma_f32 v4, 0xcf800000, v1, |v0|
	v_ashrrev_i32_e32 v0, 31, v0
	v_cvt_u32_f32_e32 v5, v1
	s_delay_alu instid0(VALU_DEP_3) | instskip(NEXT) | instid1(VALU_DEP_2)
	v_cvt_u32_f32_e32 v4, v4
	v_dual_mov_b32 v1, v0 :: v_dual_bitop2_b32 v5, v5, v0 bitop3:0x14
	s_delay_alu instid0(VALU_DEP_2) | instskip(NEXT) | instid1(VALU_DEP_1)
	v_xor_b32_e32 v4, v4, v0
	v_sub_nc_u64_e32 v[0:1], v[4:5], v[0:1]
	s_branch .LBB30_793
.LBB30_784:
	s_mov_b32 s26, -1
	s_mov_b32 s27, 0
	s_mov_b32 s25, s20
                                        ; implicit-def: $vgpr0_vgpr1
	s_branch .LBB30_854
.LBB30_785:
	s_mov_b32 s28, -1
	s_mov_b32 s27, 0
	s_mov_b32 s25, s20
                                        ; implicit-def: $vgpr0_vgpr1
	s_branch .LBB30_820
.LBB30_786:
	s_mov_b32 s28, -1
	s_mov_b32 s27, 0
	s_mov_b32 s25, s20
                                        ; implicit-def: $vgpr0_vgpr1
	s_branch .LBB30_803
.LBB30_787:
	s_mov_b32 s28, -1
	s_mov_b32 s27, 0
	s_mov_b32 s25, s20
                                        ; implicit-def: $vgpr0_vgpr1
	s_branch .LBB30_798
.LBB30_788:
	s_mov_b32 s28, -1
	s_mov_b32 s27, 0
	s_mov_b32 s25, s20
	s_branch .LBB30_792
.LBB30_789:
	s_and_not1_saveexec_b32 s27, s27
	s_cbranch_execz .LBB30_683
.LBB30_790:
	v_add_f32_e32 v4, 0x46000000, v5
	s_and_not1_b32 s26, s26, exec_lo
	s_delay_alu instid0(VALU_DEP_1) | instskip(NEXT) | instid1(VALU_DEP_1)
	v_and_b32_e32 v4, 0xff, v4
	v_cmp_ne_u32_e32 vcc_lo, 0, v4
	s_and_b32 s28, vcc_lo, exec_lo
	s_delay_alu instid0(SALU_CYCLE_1)
	s_or_b32 s26, s26, s28
	s_or_b32 exec_lo, exec_lo, s27
	v_mov_b32_e32 v6, 0
	s_and_saveexec_b32 s27, s26
	s_cbranch_execnz .LBB30_684
	s_branch .LBB30_685
.LBB30_791:
	s_mov_b32 s25, -1
	s_mov_b32 s27, 0
.LBB30_792:
                                        ; implicit-def: $vgpr0_vgpr1
.LBB30_793:
	s_and_b32 vcc_lo, exec_lo, s28
	s_cbranch_vccz .LBB30_797
; %bb.794:
	s_cmp_eq_u32 s26, 44
	s_cbranch_scc0 .LBB30_796
; %bb.795:
	global_load_u8 v6, v[2:3], off
	s_mov_b32 s25, 0
	s_mov_b32 s27, -1
	s_wait_loadcnt 0x0
	v_cmp_ne_u32_e32 vcc_lo, 0, v6
	v_lshlrev_b32_e32 v0, 23, v6
	s_delay_alu instid0(VALU_DEP_1) | instskip(NEXT) | instid1(VALU_DEP_1)
	v_trunc_f32_e32 v0, v0
	v_mul_f32_e64 v1, 0x2f800000, |v0|
	s_delay_alu instid0(VALU_DEP_1) | instskip(NEXT) | instid1(VALU_DEP_1)
	v_floor_f32_e32 v1, v1
	v_fma_f32 v4, 0xcf800000, v1, |v0|
	v_ashrrev_i32_e32 v0, 31, v0
	v_cvt_u32_f32_e32 v5, v1
	s_delay_alu instid0(VALU_DEP_3) | instskip(NEXT) | instid1(VALU_DEP_2)
	v_cvt_u32_f32_e32 v4, v4
	v_dual_mov_b32 v1, v0 :: v_dual_bitop2_b32 v5, v5, v0 bitop3:0x14
	s_delay_alu instid0(VALU_DEP_2) | instskip(NEXT) | instid1(VALU_DEP_1)
	v_xor_b32_e32 v4, v4, v0
	v_sub_nc_u64_e32 v[0:1], v[4:5], v[0:1]
	s_delay_alu instid0(VALU_DEP_1)
	v_dual_cndmask_b32 v1, 0, v1 :: v_dual_cndmask_b32 v0, 0, v0
	s_branch .LBB30_797
.LBB30_796:
	s_mov_b32 s25, -1
                                        ; implicit-def: $vgpr0_vgpr1
.LBB30_797:
	s_mov_b32 s28, 0
.LBB30_798:
	s_delay_alu instid0(SALU_CYCLE_1)
	s_and_b32 vcc_lo, exec_lo, s28
	s_cbranch_vccz .LBB30_802
; %bb.799:
	s_cmp_eq_u32 s26, 29
	s_cbranch_scc0 .LBB30_801
; %bb.800:
	global_load_b64 v[0:1], v[2:3], off
	s_mov_b32 s27, -1
	s_mov_b32 s25, 0
	s_branch .LBB30_802
.LBB30_801:
	s_mov_b32 s25, -1
                                        ; implicit-def: $vgpr0_vgpr1
.LBB30_802:
	s_mov_b32 s28, 0
.LBB30_803:
	s_delay_alu instid0(SALU_CYCLE_1)
	s_and_b32 vcc_lo, exec_lo, s28
	s_cbranch_vccz .LBB30_819
; %bb.804:
	s_cmp_lt_i32 s26, 27
	s_cbranch_scc1 .LBB30_807
; %bb.805:
	s_cmp_gt_i32 s26, 27
	s_cbranch_scc0 .LBB30_808
; %bb.806:
	s_wait_loadcnt 0x0
	global_load_b32 v0, v[2:3], off
	v_mov_b32_e32 v1, 0
	s_mov_b32 s27, 0
	s_branch .LBB30_809
.LBB30_807:
	s_mov_b32 s27, -1
                                        ; implicit-def: $vgpr0_vgpr1
	s_branch .LBB30_812
.LBB30_808:
	s_mov_b32 s27, -1
                                        ; implicit-def: $vgpr0_vgpr1
.LBB30_809:
	s_delay_alu instid0(SALU_CYCLE_1)
	s_and_not1_b32 vcc_lo, exec_lo, s27
	s_cbranch_vccnz .LBB30_811
; %bb.810:
	s_wait_loadcnt 0x0
	global_load_u16 v0, v[2:3], off
	s_mov_b32 s27, 0
	s_delay_alu instid0(SALU_CYCLE_1)
	v_mov_b32_e32 v1, s27
	s_wait_loadcnt 0x0
	v_and_b32_e32 v0, 0xffff, v0
.LBB30_811:
	s_mov_b32 s27, 0
.LBB30_812:
	s_delay_alu instid0(SALU_CYCLE_1)
	s_and_not1_b32 vcc_lo, exec_lo, s27
	s_cbranch_vccnz .LBB30_818
; %bb.813:
	global_load_u8 v4, v[2:3], off
	s_mov_b32 s28, 0
	s_mov_b32 s27, exec_lo
	s_wait_loadcnt 0x0
	v_cmpx_lt_i16_e32 0x7f, v4
	s_xor_b32 s27, exec_lo, s27
	s_cbranch_execz .LBB30_830
; %bb.814:
	v_cmp_ne_u16_e32 vcc_lo, 0x80, v4
	s_and_b32 s28, vcc_lo, exec_lo
	s_and_not1_saveexec_b32 s27, s27
	s_cbranch_execnz .LBB30_831
.LBB30_815:
	s_or_b32 exec_lo, exec_lo, s27
	v_mov_b64_e32 v[0:1], 0
	s_and_saveexec_b32 s27, s28
	s_cbranch_execz .LBB30_817
.LBB30_816:
	v_and_b32_e32 v0, 0xffff, v4
	s_delay_alu instid0(VALU_DEP_1) | instskip(SKIP_1) | instid1(VALU_DEP_2)
	v_and_b32_e32 v1, 7, v0
	v_bfe_u32 v7, v0, 3, 4
	v_clz_i32_u32_e32 v5, v1
	s_delay_alu instid0(VALU_DEP_2) | instskip(NEXT) | instid1(VALU_DEP_2)
	v_cmp_eq_u32_e32 vcc_lo, 0, v7
	v_min_u32_e32 v5, 32, v5
	s_delay_alu instid0(VALU_DEP_1) | instskip(NEXT) | instid1(VALU_DEP_1)
	v_subrev_nc_u32_e32 v6, 28, v5
	v_dual_lshlrev_b32 v0, v6, v0 :: v_dual_sub_nc_u32 v5, 29, v5
	s_delay_alu instid0(VALU_DEP_1) | instskip(NEXT) | instid1(VALU_DEP_2)
	v_and_b32_e32 v0, 7, v0
	v_dual_cndmask_b32 v5, v7, v5 :: v_dual_lshlrev_b32 v4, 24, v4
	s_delay_alu instid0(VALU_DEP_2) | instskip(NEXT) | instid1(VALU_DEP_2)
	v_cndmask_b32_e32 v0, v1, v0, vcc_lo
	v_and_b32_e32 v1, 0x80000000, v4
	s_delay_alu instid0(VALU_DEP_3) | instskip(NEXT) | instid1(VALU_DEP_3)
	v_lshl_add_u32 v4, v5, 23, 0x3b800000
	v_lshlrev_b32_e32 v0, 20, v0
	s_delay_alu instid0(VALU_DEP_1) | instskip(NEXT) | instid1(VALU_DEP_1)
	v_or3_b32 v0, v1, v4, v0
	v_trunc_f32_e32 v0, v0
	s_delay_alu instid0(VALU_DEP_1) | instskip(NEXT) | instid1(VALU_DEP_1)
	v_mul_f32_e64 v1, 0x2f800000, |v0|
	v_floor_f32_e32 v1, v1
	s_delay_alu instid0(VALU_DEP_1) | instskip(SKIP_2) | instid1(VALU_DEP_3)
	v_fma_f32 v4, 0xcf800000, v1, |v0|
	v_ashrrev_i32_e32 v0, 31, v0
	v_cvt_u32_f32_e32 v5, v1
	v_cvt_u32_f32_e32 v4, v4
	s_delay_alu instid0(VALU_DEP_2) | instskip(NEXT) | instid1(VALU_DEP_2)
	v_dual_mov_b32 v1, v0 :: v_dual_bitop2_b32 v5, v5, v0 bitop3:0x14
	v_xor_b32_e32 v4, v4, v0
	s_delay_alu instid0(VALU_DEP_1)
	v_sub_nc_u64_e32 v[0:1], v[4:5], v[0:1]
.LBB30_817:
	s_or_b32 exec_lo, exec_lo, s27
.LBB30_818:
	s_mov_b32 s27, -1
.LBB30_819:
	s_mov_b32 s28, 0
.LBB30_820:
	s_delay_alu instid0(SALU_CYCLE_1)
	s_and_b32 vcc_lo, exec_lo, s28
	s_cbranch_vccz .LBB30_853
; %bb.821:
	s_cmp_gt_i32 s26, 22
	s_cbranch_scc0 .LBB30_829
; %bb.822:
	s_cmp_lt_i32 s26, 24
	s_cbranch_scc1 .LBB30_832
; %bb.823:
	s_cmp_gt_i32 s26, 24
	s_cbranch_scc0 .LBB30_833
; %bb.824:
	global_load_u8 v4, v[2:3], off
	s_mov_b32 s28, 0
	s_mov_b32 s27, exec_lo
	s_wait_loadcnt 0x0
	v_cmpx_lt_i16_e32 0x7f, v4
	s_xor_b32 s27, exec_lo, s27
	s_cbranch_execz .LBB30_845
; %bb.825:
	v_cmp_ne_u16_e32 vcc_lo, 0x80, v4
	s_and_b32 s28, vcc_lo, exec_lo
	s_and_not1_saveexec_b32 s27, s27
	s_cbranch_execnz .LBB30_846
.LBB30_826:
	s_or_b32 exec_lo, exec_lo, s27
	v_mov_b64_e32 v[0:1], 0
	s_and_saveexec_b32 s27, s28
	s_cbranch_execz .LBB30_828
.LBB30_827:
	v_and_b32_e32 v0, 0xffff, v4
	s_delay_alu instid0(VALU_DEP_1) | instskip(SKIP_1) | instid1(VALU_DEP_2)
	v_and_b32_e32 v1, 3, v0
	v_bfe_u32 v7, v0, 2, 5
	v_clz_i32_u32_e32 v5, v1
	s_delay_alu instid0(VALU_DEP_2) | instskip(NEXT) | instid1(VALU_DEP_2)
	v_cmp_eq_u32_e32 vcc_lo, 0, v7
	v_min_u32_e32 v5, 32, v5
	s_delay_alu instid0(VALU_DEP_1) | instskip(NEXT) | instid1(VALU_DEP_1)
	v_subrev_nc_u32_e32 v6, 29, v5
	v_dual_lshlrev_b32 v0, v6, v0 :: v_dual_sub_nc_u32 v5, 30, v5
	s_delay_alu instid0(VALU_DEP_1) | instskip(NEXT) | instid1(VALU_DEP_2)
	v_and_b32_e32 v0, 3, v0
	v_dual_cndmask_b32 v5, v7, v5 :: v_dual_lshlrev_b32 v4, 24, v4
	s_delay_alu instid0(VALU_DEP_2) | instskip(NEXT) | instid1(VALU_DEP_2)
	v_cndmask_b32_e32 v0, v1, v0, vcc_lo
	v_and_b32_e32 v1, 0x80000000, v4
	s_delay_alu instid0(VALU_DEP_3) | instskip(NEXT) | instid1(VALU_DEP_3)
	v_lshl_add_u32 v4, v5, 23, 0x37800000
	v_lshlrev_b32_e32 v0, 21, v0
	s_delay_alu instid0(VALU_DEP_1) | instskip(NEXT) | instid1(VALU_DEP_1)
	v_or3_b32 v0, v1, v4, v0
	v_trunc_f32_e32 v0, v0
	s_delay_alu instid0(VALU_DEP_1) | instskip(NEXT) | instid1(VALU_DEP_1)
	v_mul_f32_e64 v1, 0x2f800000, |v0|
	v_floor_f32_e32 v1, v1
	s_delay_alu instid0(VALU_DEP_1) | instskip(SKIP_2) | instid1(VALU_DEP_3)
	v_fma_f32 v4, 0xcf800000, v1, |v0|
	v_ashrrev_i32_e32 v0, 31, v0
	v_cvt_u32_f32_e32 v5, v1
	v_cvt_u32_f32_e32 v4, v4
	s_delay_alu instid0(VALU_DEP_2) | instskip(NEXT) | instid1(VALU_DEP_2)
	v_dual_mov_b32 v1, v0 :: v_dual_bitop2_b32 v5, v5, v0 bitop3:0x14
	v_xor_b32_e32 v4, v4, v0
	s_delay_alu instid0(VALU_DEP_1)
	v_sub_nc_u64_e32 v[0:1], v[4:5], v[0:1]
.LBB30_828:
	s_or_b32 exec_lo, exec_lo, s27
	s_mov_b32 s27, 0
	s_branch .LBB30_834
.LBB30_829:
	s_mov_b32 s28, -1
                                        ; implicit-def: $vgpr0_vgpr1
	s_branch .LBB30_840
.LBB30_830:
	s_and_not1_saveexec_b32 s27, s27
	s_cbranch_execz .LBB30_815
.LBB30_831:
	v_cmp_ne_u16_e32 vcc_lo, 0, v4
	s_and_not1_b32 s28, s28, exec_lo
	s_and_b32 s29, vcc_lo, exec_lo
	s_delay_alu instid0(SALU_CYCLE_1)
	s_or_b32 s28, s28, s29
	s_or_b32 exec_lo, exec_lo, s27
	v_mov_b64_e32 v[0:1], 0
	s_and_saveexec_b32 s27, s28
	s_cbranch_execnz .LBB30_816
	s_branch .LBB30_817
.LBB30_832:
	s_mov_b32 s27, -1
                                        ; implicit-def: $vgpr0_vgpr1
	s_branch .LBB30_837
.LBB30_833:
	s_mov_b32 s27, -1
                                        ; implicit-def: $vgpr0_vgpr1
.LBB30_834:
	s_delay_alu instid0(SALU_CYCLE_1)
	s_and_b32 vcc_lo, exec_lo, s27
	s_cbranch_vccz .LBB30_836
; %bb.835:
	s_wait_loadcnt 0x0
	global_load_u8 v0, v[2:3], off
	s_wait_loadcnt 0x0
	v_lshlrev_b32_e32 v0, 24, v0
	s_delay_alu instid0(VALU_DEP_1) | instskip(NEXT) | instid1(VALU_DEP_1)
	v_and_b32_e32 v1, 0x7f000000, v0
	v_clz_i32_u32_e32 v4, v1
	v_cmp_ne_u32_e32 vcc_lo, 0, v1
	v_add_nc_u32_e32 v6, 0x1000000, v1
	s_delay_alu instid0(VALU_DEP_3) | instskip(NEXT) | instid1(VALU_DEP_1)
	v_min_u32_e32 v4, 32, v4
	v_sub_nc_u32_e64 v4, v4, 4 clamp
	s_delay_alu instid0(VALU_DEP_1) | instskip(NEXT) | instid1(VALU_DEP_1)
	v_dual_lshlrev_b32 v5, v4, v1 :: v_dual_lshlrev_b32 v4, 23, v4
	v_lshrrev_b32_e32 v5, 4, v5
	s_delay_alu instid0(VALU_DEP_1) | instskip(NEXT) | instid1(VALU_DEP_1)
	v_dual_sub_nc_u32 v4, v5, v4 :: v_dual_ashrrev_i32 v5, 8, v6
	v_add_nc_u32_e32 v4, 0x3c000000, v4
	s_delay_alu instid0(VALU_DEP_1) | instskip(NEXT) | instid1(VALU_DEP_1)
	v_and_or_b32 v4, 0x7f800000, v5, v4
	v_cndmask_b32_e32 v1, 0, v4, vcc_lo
	s_delay_alu instid0(VALU_DEP_1) | instskip(NEXT) | instid1(VALU_DEP_1)
	v_and_or_b32 v0, 0x80000000, v0, v1
	v_trunc_f32_e32 v0, v0
	s_delay_alu instid0(VALU_DEP_1) | instskip(NEXT) | instid1(VALU_DEP_1)
	v_mul_f32_e64 v1, 0x2f800000, |v0|
	v_floor_f32_e32 v1, v1
	s_delay_alu instid0(VALU_DEP_1) | instskip(SKIP_2) | instid1(VALU_DEP_3)
	v_fma_f32 v4, 0xcf800000, v1, |v0|
	v_ashrrev_i32_e32 v0, 31, v0
	v_cvt_u32_f32_e32 v5, v1
	v_cvt_u32_f32_e32 v4, v4
	s_delay_alu instid0(VALU_DEP_2) | instskip(NEXT) | instid1(VALU_DEP_2)
	v_dual_mov_b32 v1, v0 :: v_dual_bitop2_b32 v5, v5, v0 bitop3:0x14
	v_xor_b32_e32 v4, v4, v0
	s_delay_alu instid0(VALU_DEP_1)
	v_sub_nc_u64_e32 v[0:1], v[4:5], v[0:1]
.LBB30_836:
	s_mov_b32 s27, 0
.LBB30_837:
	s_delay_alu instid0(SALU_CYCLE_1)
	s_and_not1_b32 vcc_lo, exec_lo, s27
	s_cbranch_vccnz .LBB30_839
; %bb.838:
	s_wait_loadcnt 0x0
	global_load_u8 v0, v[2:3], off
	s_wait_loadcnt 0x0
	v_lshlrev_b32_e32 v1, 25, v0
	v_lshlrev_b16 v0, 8, v0
	s_delay_alu instid0(VALU_DEP_1) | instskip(SKIP_1) | instid1(VALU_DEP_2)
	v_and_or_b32 v5, 0x7f00, v0, 0.5
	v_bfe_i32 v0, v0, 0, 16
	v_add_f32_e32 v5, -0.5, v5
	v_lshrrev_b32_e32 v4, 4, v1
	v_cmp_gt_u32_e32 vcc_lo, 0x8000000, v1
	s_delay_alu instid0(VALU_DEP_2) | instskip(NEXT) | instid1(VALU_DEP_1)
	v_or_b32_e32 v4, 0x70000000, v4
	v_mul_f32_e32 v4, 0x7800000, v4
	s_delay_alu instid0(VALU_DEP_1) | instskip(NEXT) | instid1(VALU_DEP_1)
	v_cndmask_b32_e32 v1, v4, v5, vcc_lo
	v_and_or_b32 v0, 0x80000000, v0, v1
	s_delay_alu instid0(VALU_DEP_1) | instskip(NEXT) | instid1(VALU_DEP_1)
	v_trunc_f32_e32 v0, v0
	v_mul_f32_e64 v1, 0x2f800000, |v0|
	s_delay_alu instid0(VALU_DEP_1) | instskip(NEXT) | instid1(VALU_DEP_1)
	v_floor_f32_e32 v1, v1
	v_fma_f32 v4, 0xcf800000, v1, |v0|
	v_ashrrev_i32_e32 v0, 31, v0
	v_cvt_u32_f32_e32 v5, v1
	s_delay_alu instid0(VALU_DEP_3) | instskip(NEXT) | instid1(VALU_DEP_2)
	v_cvt_u32_f32_e32 v4, v4
	v_dual_mov_b32 v1, v0 :: v_dual_bitop2_b32 v5, v5, v0 bitop3:0x14
	s_delay_alu instid0(VALU_DEP_2) | instskip(NEXT) | instid1(VALU_DEP_1)
	v_xor_b32_e32 v4, v4, v0
	v_sub_nc_u64_e32 v[0:1], v[4:5], v[0:1]
.LBB30_839:
	s_mov_b32 s28, 0
	s_mov_b32 s27, -1
.LBB30_840:
	s_and_not1_b32 vcc_lo, exec_lo, s28
	s_cbranch_vccnz .LBB30_853
; %bb.841:
	s_cmp_gt_i32 s26, 14
	s_cbranch_scc0 .LBB30_844
; %bb.842:
	s_cmp_eq_u32 s26, 15
	s_cbranch_scc0 .LBB30_847
; %bb.843:
	s_wait_loadcnt 0x0
	global_load_u16 v0, v[2:3], off
	s_mov_b32 s27, -1
	s_mov_b32 s25, 0
	s_wait_loadcnt 0x0
	v_lshlrev_b32_e32 v0, 16, v0
	s_delay_alu instid0(VALU_DEP_1) | instskip(NEXT) | instid1(VALU_DEP_1)
	v_trunc_f32_e32 v0, v0
	v_mul_f32_e64 v1, 0x2f800000, |v0|
	s_delay_alu instid0(VALU_DEP_1) | instskip(NEXT) | instid1(VALU_DEP_1)
	v_floor_f32_e32 v1, v1
	v_fma_f32 v4, 0xcf800000, v1, |v0|
	v_ashrrev_i32_e32 v0, 31, v0
	v_cvt_u32_f32_e32 v5, v1
	s_delay_alu instid0(VALU_DEP_3) | instskip(NEXT) | instid1(VALU_DEP_2)
	v_cvt_u32_f32_e32 v4, v4
	v_dual_mov_b32 v1, v0 :: v_dual_bitop2_b32 v5, v5, v0 bitop3:0x14
	s_delay_alu instid0(VALU_DEP_2) | instskip(NEXT) | instid1(VALU_DEP_1)
	v_xor_b32_e32 v4, v4, v0
	v_sub_nc_u64_e32 v[0:1], v[4:5], v[0:1]
	s_branch .LBB30_848
.LBB30_844:
	s_mov_b32 s28, -1
                                        ; implicit-def: $vgpr0_vgpr1
	s_branch .LBB30_849
.LBB30_845:
	s_and_not1_saveexec_b32 s27, s27
	s_cbranch_execz .LBB30_826
.LBB30_846:
	v_cmp_ne_u16_e32 vcc_lo, 0, v4
	s_and_not1_b32 s28, s28, exec_lo
	s_and_b32 s29, vcc_lo, exec_lo
	s_delay_alu instid0(SALU_CYCLE_1)
	s_or_b32 s28, s28, s29
	s_or_b32 exec_lo, exec_lo, s27
	v_mov_b64_e32 v[0:1], 0
	s_and_saveexec_b32 s27, s28
	s_cbranch_execnz .LBB30_827
	s_branch .LBB30_828
.LBB30_847:
	s_mov_b32 s25, -1
                                        ; implicit-def: $vgpr0_vgpr1
.LBB30_848:
	s_mov_b32 s28, 0
.LBB30_849:
	s_delay_alu instid0(SALU_CYCLE_1)
	s_and_b32 vcc_lo, exec_lo, s28
	s_cbranch_vccz .LBB30_853
; %bb.850:
	s_cmp_eq_u32 s26, 11
	s_cbranch_scc0 .LBB30_852
; %bb.851:
	s_wait_loadcnt 0x0
	global_load_u8 v0, v[2:3], off
	s_mov_b32 s25, 0
	s_mov_b32 s27, -1
	v_mov_b32_e32 v1, s25
	s_wait_loadcnt 0x0
	v_cmp_ne_u16_e32 vcc_lo, 0, v0
	v_cndmask_b32_e64 v0, 0, 1, vcc_lo
	s_branch .LBB30_853
.LBB30_852:
	s_mov_b32 s25, -1
                                        ; implicit-def: $vgpr0_vgpr1
.LBB30_853:
	s_mov_b32 s26, 0
.LBB30_854:
	s_delay_alu instid0(SALU_CYCLE_1)
	s_and_b32 vcc_lo, exec_lo, s26
	s_cbranch_vccz .LBB30_903
; %bb.855:
	s_and_b32 s0, 0xffff, s0
	s_delay_alu instid0(SALU_CYCLE_1)
	s_cmp_lt_i32 s0, 5
	s_cbranch_scc1 .LBB30_860
; %bb.856:
	s_cmp_lt_i32 s0, 8
	s_cbranch_scc1 .LBB30_861
; %bb.857:
	;; [unrolled: 3-line block ×3, first 2 shown]
	s_cmp_gt_i32 s0, 9
	s_cbranch_scc0 .LBB30_863
; %bb.859:
	s_wait_loadcnt 0x0
	global_load_b64 v[0:1], v[2:3], off
	s_mov_b32 s26, 0
	s_wait_loadcnt 0x0
	v_trunc_f64_e32 v[0:1], v[0:1]
	s_delay_alu instid0(VALU_DEP_1) | instskip(NEXT) | instid1(VALU_DEP_1)
	v_ldexp_f64 v[4:5], v[0:1], 0xffffffe0
	v_floor_f64_e32 v[4:5], v[4:5]
	s_delay_alu instid0(VALU_DEP_1) | instskip(SKIP_1) | instid1(VALU_DEP_2)
	v_fmamk_f64 v[6:7], v[4:5], 0xc1f00000, v[0:1]
	v_cvt_i32_f64_e32 v1, v[4:5]
	v_cvt_u32_f64_e32 v0, v[6:7]
	s_branch .LBB30_864
.LBB30_860:
	s_mov_b32 s26, -1
                                        ; implicit-def: $vgpr0_vgpr1
	s_branch .LBB30_882
.LBB30_861:
	s_mov_b32 s26, -1
                                        ; implicit-def: $vgpr0_vgpr1
	s_branch .LBB30_870
.LBB30_862:
	s_mov_b32 s26, -1
                                        ; implicit-def: $vgpr0_vgpr1
	s_branch .LBB30_867
.LBB30_863:
	s_mov_b32 s26, -1
                                        ; implicit-def: $vgpr0_vgpr1
.LBB30_864:
	s_delay_alu instid0(SALU_CYCLE_1)
	s_and_not1_b32 vcc_lo, exec_lo, s26
	s_cbranch_vccnz .LBB30_866
; %bb.865:
	s_wait_loadcnt 0x0
	global_load_b32 v0, v[2:3], off
	s_wait_loadcnt 0x0
	v_trunc_f32_e32 v0, v0
	s_delay_alu instid0(VALU_DEP_1) | instskip(NEXT) | instid1(VALU_DEP_1)
	v_mul_f32_e64 v1, 0x2f800000, |v0|
	v_floor_f32_e32 v1, v1
	s_delay_alu instid0(VALU_DEP_1) | instskip(SKIP_2) | instid1(VALU_DEP_3)
	v_fma_f32 v4, 0xcf800000, v1, |v0|
	v_ashrrev_i32_e32 v0, 31, v0
	v_cvt_u32_f32_e32 v5, v1
	v_cvt_u32_f32_e32 v4, v4
	s_delay_alu instid0(VALU_DEP_2) | instskip(NEXT) | instid1(VALU_DEP_2)
	v_dual_mov_b32 v1, v0 :: v_dual_bitop2_b32 v5, v5, v0 bitop3:0x14
	v_xor_b32_e32 v4, v4, v0
	s_delay_alu instid0(VALU_DEP_1)
	v_sub_nc_u64_e32 v[0:1], v[4:5], v[0:1]
.LBB30_866:
	s_mov_b32 s26, 0
.LBB30_867:
	s_delay_alu instid0(SALU_CYCLE_1)
	s_and_not1_b32 vcc_lo, exec_lo, s26
	s_cbranch_vccnz .LBB30_869
; %bb.868:
	s_wait_loadcnt 0x0
	global_load_b32 v0, v[2:3], off
	s_wait_loadcnt 0x0
	v_cvt_f32_f16_e32 v0, v0
	s_delay_alu instid0(VALU_DEP_1) | instskip(NEXT) | instid1(VALU_DEP_1)
	v_cvt_i32_f32_e32 v0, v0
	v_ashrrev_i32_e32 v1, 31, v0
.LBB30_869:
	s_mov_b32 s26, 0
.LBB30_870:
	s_delay_alu instid0(SALU_CYCLE_1)
	s_and_not1_b32 vcc_lo, exec_lo, s26
	s_cbranch_vccnz .LBB30_881
; %bb.871:
	s_cmp_lt_i32 s0, 6
	s_cbranch_scc1 .LBB30_874
; %bb.872:
	s_cmp_gt_i32 s0, 6
	s_cbranch_scc0 .LBB30_875
; %bb.873:
	s_wait_loadcnt 0x0
	global_load_b64 v[0:1], v[2:3], off
	s_mov_b32 s26, 0
	s_wait_loadcnt 0x0
	v_trunc_f64_e32 v[0:1], v[0:1]
	s_delay_alu instid0(VALU_DEP_1) | instskip(NEXT) | instid1(VALU_DEP_1)
	v_ldexp_f64 v[4:5], v[0:1], 0xffffffe0
	v_floor_f64_e32 v[4:5], v[4:5]
	s_delay_alu instid0(VALU_DEP_1) | instskip(SKIP_1) | instid1(VALU_DEP_2)
	v_fmamk_f64 v[6:7], v[4:5], 0xc1f00000, v[0:1]
	v_cvt_i32_f64_e32 v1, v[4:5]
	v_cvt_u32_f64_e32 v0, v[6:7]
	s_branch .LBB30_876
.LBB30_874:
	s_mov_b32 s26, -1
                                        ; implicit-def: $vgpr0_vgpr1
	s_branch .LBB30_879
.LBB30_875:
	s_mov_b32 s26, -1
                                        ; implicit-def: $vgpr0_vgpr1
.LBB30_876:
	s_delay_alu instid0(SALU_CYCLE_1)
	s_and_not1_b32 vcc_lo, exec_lo, s26
	s_cbranch_vccnz .LBB30_878
; %bb.877:
	s_wait_loadcnt 0x0
	global_load_b32 v0, v[2:3], off
	s_wait_loadcnt 0x0
	v_trunc_f32_e32 v0, v0
	s_delay_alu instid0(VALU_DEP_1) | instskip(NEXT) | instid1(VALU_DEP_1)
	v_mul_f32_e64 v1, 0x2f800000, |v0|
	v_floor_f32_e32 v1, v1
	s_delay_alu instid0(VALU_DEP_1) | instskip(SKIP_2) | instid1(VALU_DEP_3)
	v_fma_f32 v4, 0xcf800000, v1, |v0|
	v_ashrrev_i32_e32 v0, 31, v0
	v_cvt_u32_f32_e32 v5, v1
	v_cvt_u32_f32_e32 v4, v4
	s_delay_alu instid0(VALU_DEP_2) | instskip(NEXT) | instid1(VALU_DEP_2)
	v_dual_mov_b32 v1, v0 :: v_dual_bitop2_b32 v5, v5, v0 bitop3:0x14
	v_xor_b32_e32 v4, v4, v0
	s_delay_alu instid0(VALU_DEP_1)
	v_sub_nc_u64_e32 v[0:1], v[4:5], v[0:1]
.LBB30_878:
	s_mov_b32 s26, 0
.LBB30_879:
	s_delay_alu instid0(SALU_CYCLE_1)
	s_and_not1_b32 vcc_lo, exec_lo, s26
	s_cbranch_vccnz .LBB30_881
; %bb.880:
	s_wait_loadcnt 0x0
	global_load_u16 v0, v[2:3], off
	s_wait_loadcnt 0x0
	v_cvt_f32_f16_e32 v0, v0
	s_delay_alu instid0(VALU_DEP_1) | instskip(NEXT) | instid1(VALU_DEP_1)
	v_cvt_i32_f32_e32 v0, v0
	v_ashrrev_i32_e32 v1, 31, v0
.LBB30_881:
	s_mov_b32 s26, 0
.LBB30_882:
	s_delay_alu instid0(SALU_CYCLE_1)
	s_and_not1_b32 vcc_lo, exec_lo, s26
	s_cbranch_vccnz .LBB30_902
; %bb.883:
	s_cmp_lt_i32 s0, 2
	s_cbranch_scc1 .LBB30_887
; %bb.884:
	s_cmp_lt_i32 s0, 3
	s_cbranch_scc1 .LBB30_888
; %bb.885:
	s_cmp_gt_i32 s0, 3
	s_cbranch_scc0 .LBB30_889
; %bb.886:
	s_wait_loadcnt 0x0
	global_load_b64 v[0:1], v[2:3], off
	s_mov_b32 s26, 0
	s_branch .LBB30_890
.LBB30_887:
	s_mov_b32 s26, -1
                                        ; implicit-def: $vgpr0_vgpr1
	s_branch .LBB30_896
.LBB30_888:
	s_mov_b32 s26, -1
                                        ; implicit-def: $vgpr0_vgpr1
	s_branch .LBB30_893
.LBB30_889:
	s_mov_b32 s26, -1
                                        ; implicit-def: $vgpr0_vgpr1
.LBB30_890:
	s_delay_alu instid0(SALU_CYCLE_1)
	s_and_not1_b32 vcc_lo, exec_lo, s26
	s_cbranch_vccnz .LBB30_892
; %bb.891:
	s_wait_loadcnt 0x0
	global_load_b32 v0, v[2:3], off
	s_wait_loadcnt 0x0
	v_ashrrev_i32_e32 v1, 31, v0
.LBB30_892:
	s_mov_b32 s26, 0
.LBB30_893:
	s_delay_alu instid0(SALU_CYCLE_1)
	s_and_not1_b32 vcc_lo, exec_lo, s26
	s_cbranch_vccnz .LBB30_895
; %bb.894:
	s_wait_loadcnt 0x0
	global_load_u16 v0, v[2:3], off
	s_wait_loadcnt 0x0
	v_bfe_i32 v0, v0, 0, 16
	s_delay_alu instid0(VALU_DEP_1)
	v_ashrrev_i32_e32 v1, 31, v0
.LBB30_895:
	s_mov_b32 s26, 0
.LBB30_896:
	s_delay_alu instid0(SALU_CYCLE_1)
	s_and_not1_b32 vcc_lo, exec_lo, s26
	s_cbranch_vccnz .LBB30_902
; %bb.897:
	s_cmp_gt_i32 s0, 0
	s_mov_b32 s0, 0
	s_cbranch_scc0 .LBB30_899
; %bb.898:
	s_wait_loadcnt 0x0
	global_load_i8 v0, v[2:3], off
	s_wait_loadcnt 0x0
	v_bfe_i32 v0, v0, 0, 16
	s_delay_alu instid0(VALU_DEP_1)
	v_ashrrev_i32_e32 v1, 31, v0
	s_branch .LBB30_900
.LBB30_899:
	s_mov_b32 s0, -1
                                        ; implicit-def: $vgpr0_vgpr1
.LBB30_900:
	s_delay_alu instid0(SALU_CYCLE_1)
	s_and_not1_b32 vcc_lo, exec_lo, s0
	s_cbranch_vccnz .LBB30_902
; %bb.901:
	s_wait_loadcnt 0x0
	global_load_u8 v0, v[2:3], off
	s_mov_b32 s0, 0
	s_delay_alu instid0(SALU_CYCLE_1)
	v_mov_b32_e32 v1, s0
	s_wait_loadcnt 0x0
	v_and_b32_e32 v0, 0xffff, v0
.LBB30_902:
	s_mov_b32 s27, -1
.LBB30_903:
	s_delay_alu instid0(SALU_CYCLE_1)
	s_and_not1_b32 vcc_lo, exec_lo, s27
	s_cbranch_vccnz .LBB30_911
; %bb.904:
	s_wait_xcnt 0x0
	v_mul_lo_u32 v2, v16, s10
	s_and_b32 s0, s1, 0xff
	s_delay_alu instid0(SALU_CYCLE_1) | instskip(NEXT) | instid1(VALU_DEP_1)
	s_cmp_lt_i32 s0, 11
	v_ashrrev_i32_e32 v3, 31, v2
	s_delay_alu instid0(VALU_DEP_1)
	v_add_nc_u64_e32 v[2:3], s[2:3], v[2:3]
	s_cbranch_scc1 .LBB30_912
; %bb.905:
	s_and_b32 s27, 0xffff, s0
	s_delay_alu instid0(SALU_CYCLE_1)
	s_cmp_gt_i32 s27, 25
	s_cbranch_scc0 .LBB30_913
; %bb.906:
	s_cmp_gt_i32 s27, 28
	s_cbranch_scc0 .LBB30_914
; %bb.907:
	;; [unrolled: 3-line block ×4, first 2 shown]
	s_cmp_eq_u32 s27, 46
	s_mov_b32 s29, 0
	s_cbranch_scc0 .LBB30_919
; %bb.910:
	global_load_b32 v4, v[2:3], off
	s_mov_b32 s28, -1
	s_mov_b32 s26, 0
	s_wait_loadcnt 0x0
	v_lshlrev_b32_e32 v4, 16, v4
	s_delay_alu instid0(VALU_DEP_1) | instskip(NEXT) | instid1(VALU_DEP_1)
	v_trunc_f32_e32 v4, v4
	v_mul_f32_e64 v5, 0x2f800000, |v4|
	s_delay_alu instid0(VALU_DEP_1) | instskip(NEXT) | instid1(VALU_DEP_1)
	v_floor_f32_e32 v5, v5
	v_fma_f32 v6, 0xcf800000, v5, |v4|
	v_ashrrev_i32_e32 v4, 31, v4
	v_cvt_u32_f32_e32 v7, v5
	s_delay_alu instid0(VALU_DEP_3) | instskip(NEXT) | instid1(VALU_DEP_2)
	v_cvt_u32_f32_e32 v6, v6
	v_dual_mov_b32 v5, v4 :: v_dual_bitop2_b32 v7, v7, v4 bitop3:0x14
	s_delay_alu instid0(VALU_DEP_2) | instskip(NEXT) | instid1(VALU_DEP_1)
	v_xor_b32_e32 v6, v6, v4
	v_sub_nc_u64_e32 v[4:5], v[6:7], v[4:5]
	s_branch .LBB30_921
.LBB30_911:
	s_mov_b32 s28, 0
	s_mov_b32 s0, s21
	;; [unrolled: 1-line block ×3, first 2 shown]
	s_branch .LBB30_1164
.LBB30_912:
	s_mov_b32 s27, -1
	s_mov_b32 s28, 0
	s_mov_b32 s26, s22
                                        ; implicit-def: $vgpr4_vgpr5
	s_branch .LBB30_982
.LBB30_913:
	s_mov_b32 s29, -1
	s_mov_b32 s28, 0
	s_mov_b32 s26, s22
                                        ; implicit-def: $vgpr4_vgpr5
	s_branch .LBB30_948
.LBB30_914:
	s_mov_b32 s29, -1
	s_mov_b32 s28, 0
	s_mov_b32 s26, s22
                                        ; implicit-def: $vgpr4_vgpr5
	s_branch .LBB30_931
.LBB30_915:
	s_mov_b32 s29, -1
	s_mov_b32 s28, 0
	s_mov_b32 s26, s22
                                        ; implicit-def: $vgpr4_vgpr5
	s_branch .LBB30_926
.LBB30_916:
	s_mov_b32 s29, -1
	s_mov_b32 s28, 0
	s_mov_b32 s26, s22
	s_branch .LBB30_920
.LBB30_917:
	s_and_not1_saveexec_b32 s27, s27
	s_cbranch_execz .LBB30_696
.LBB30_918:
	v_add_f32_e32 v4, 0x42800000, v5
	s_and_not1_b32 s26, s26, exec_lo
	s_delay_alu instid0(VALU_DEP_1) | instskip(NEXT) | instid1(VALU_DEP_1)
	v_and_b32_e32 v4, 0xff, v4
	v_cmp_ne_u32_e32 vcc_lo, 0, v4
	s_and_b32 s28, vcc_lo, exec_lo
	s_delay_alu instid0(SALU_CYCLE_1)
	s_or_b32 s26, s26, s28
	s_or_b32 exec_lo, exec_lo, s27
	v_mov_b32_e32 v6, 0
	s_and_saveexec_b32 s27, s26
	s_cbranch_execnz .LBB30_697
	s_branch .LBB30_698
.LBB30_919:
	s_mov_b32 s26, -1
	s_mov_b32 s28, 0
.LBB30_920:
                                        ; implicit-def: $vgpr4_vgpr5
.LBB30_921:
	s_and_b32 vcc_lo, exec_lo, s29
	s_cbranch_vccz .LBB30_925
; %bb.922:
	s_cmp_eq_u32 s27, 44
	s_cbranch_scc0 .LBB30_924
; %bb.923:
	global_load_u8 v8, v[2:3], off
	s_mov_b32 s26, 0
	s_mov_b32 s28, -1
	s_wait_loadcnt 0x0
	v_cmp_ne_u32_e32 vcc_lo, 0, v8
	v_lshlrev_b32_e32 v4, 23, v8
	s_delay_alu instid0(VALU_DEP_1) | instskip(NEXT) | instid1(VALU_DEP_1)
	v_trunc_f32_e32 v4, v4
	v_mul_f32_e64 v5, 0x2f800000, |v4|
	s_delay_alu instid0(VALU_DEP_1) | instskip(NEXT) | instid1(VALU_DEP_1)
	v_floor_f32_e32 v5, v5
	v_fma_f32 v6, 0xcf800000, v5, |v4|
	v_ashrrev_i32_e32 v4, 31, v4
	v_cvt_u32_f32_e32 v7, v5
	s_delay_alu instid0(VALU_DEP_3) | instskip(NEXT) | instid1(VALU_DEP_2)
	v_cvt_u32_f32_e32 v6, v6
	v_dual_mov_b32 v5, v4 :: v_dual_bitop2_b32 v7, v7, v4 bitop3:0x14
	s_delay_alu instid0(VALU_DEP_2) | instskip(NEXT) | instid1(VALU_DEP_1)
	v_xor_b32_e32 v6, v6, v4
	v_sub_nc_u64_e32 v[4:5], v[6:7], v[4:5]
	s_delay_alu instid0(VALU_DEP_1)
	v_dual_cndmask_b32 v5, 0, v5 :: v_dual_cndmask_b32 v4, 0, v4
	s_branch .LBB30_925
.LBB30_924:
	s_mov_b32 s26, -1
                                        ; implicit-def: $vgpr4_vgpr5
.LBB30_925:
	s_mov_b32 s29, 0
.LBB30_926:
	s_delay_alu instid0(SALU_CYCLE_1)
	s_and_b32 vcc_lo, exec_lo, s29
	s_cbranch_vccz .LBB30_930
; %bb.927:
	s_cmp_eq_u32 s27, 29
	s_cbranch_scc0 .LBB30_929
; %bb.928:
	global_load_b64 v[4:5], v[2:3], off
	s_mov_b32 s28, -1
	s_mov_b32 s26, 0
	s_branch .LBB30_930
.LBB30_929:
	s_mov_b32 s26, -1
                                        ; implicit-def: $vgpr4_vgpr5
.LBB30_930:
	s_mov_b32 s29, 0
.LBB30_931:
	s_delay_alu instid0(SALU_CYCLE_1)
	s_and_b32 vcc_lo, exec_lo, s29
	s_cbranch_vccz .LBB30_947
; %bb.932:
	s_cmp_lt_i32 s27, 27
	s_cbranch_scc1 .LBB30_935
; %bb.933:
	s_cmp_gt_i32 s27, 27
	s_cbranch_scc0 .LBB30_936
; %bb.934:
	s_wait_loadcnt 0x0
	global_load_b32 v4, v[2:3], off
	v_mov_b32_e32 v5, 0
	s_mov_b32 s28, 0
	s_branch .LBB30_937
.LBB30_935:
	s_mov_b32 s28, -1
                                        ; implicit-def: $vgpr4_vgpr5
	s_branch .LBB30_940
.LBB30_936:
	s_mov_b32 s28, -1
                                        ; implicit-def: $vgpr4_vgpr5
.LBB30_937:
	s_delay_alu instid0(SALU_CYCLE_1)
	s_and_not1_b32 vcc_lo, exec_lo, s28
	s_cbranch_vccnz .LBB30_939
; %bb.938:
	s_wait_loadcnt 0x0
	global_load_u16 v4, v[2:3], off
	s_mov_b32 s28, 0
	s_delay_alu instid0(SALU_CYCLE_1)
	v_mov_b32_e32 v5, s28
	s_wait_loadcnt 0x0
	v_and_b32_e32 v4, 0xffff, v4
.LBB30_939:
	s_mov_b32 s28, 0
.LBB30_940:
	s_delay_alu instid0(SALU_CYCLE_1)
	s_and_not1_b32 vcc_lo, exec_lo, s28
	s_cbranch_vccnz .LBB30_946
; %bb.941:
	global_load_u8 v6, v[2:3], off
	s_mov_b32 s29, 0
	s_mov_b32 s28, exec_lo
	s_wait_loadcnt 0x0
	v_cmpx_lt_i16_e32 0x7f, v6
	s_xor_b32 s28, exec_lo, s28
	s_cbranch_execz .LBB30_958
; %bb.942:
	v_cmp_ne_u16_e32 vcc_lo, 0x80, v6
	s_and_b32 s29, vcc_lo, exec_lo
	s_and_not1_saveexec_b32 s28, s28
	s_cbranch_execnz .LBB30_959
.LBB30_943:
	s_or_b32 exec_lo, exec_lo, s28
	v_mov_b64_e32 v[4:5], 0
	s_and_saveexec_b32 s28, s29
	s_cbranch_execz .LBB30_945
.LBB30_944:
	v_and_b32_e32 v4, 0xffff, v6
	s_delay_alu instid0(VALU_DEP_1) | instskip(SKIP_1) | instid1(VALU_DEP_2)
	v_and_b32_e32 v5, 7, v4
	v_bfe_u32 v9, v4, 3, 4
	v_clz_i32_u32_e32 v7, v5
	s_delay_alu instid0(VALU_DEP_2) | instskip(NEXT) | instid1(VALU_DEP_2)
	v_cmp_eq_u32_e32 vcc_lo, 0, v9
	v_min_u32_e32 v7, 32, v7
	s_delay_alu instid0(VALU_DEP_1) | instskip(NEXT) | instid1(VALU_DEP_1)
	v_subrev_nc_u32_e32 v8, 28, v7
	v_dual_lshlrev_b32 v4, v8, v4 :: v_dual_sub_nc_u32 v7, 29, v7
	s_delay_alu instid0(VALU_DEP_1) | instskip(NEXT) | instid1(VALU_DEP_2)
	v_dual_lshlrev_b32 v6, 24, v6 :: v_dual_bitop2_b32 v4, 7, v4 bitop3:0x40
	v_cndmask_b32_e32 v7, v9, v7, vcc_lo
	s_delay_alu instid0(VALU_DEP_2) | instskip(NEXT) | instid1(VALU_DEP_3)
	v_cndmask_b32_e32 v4, v5, v4, vcc_lo
	v_and_b32_e32 v5, 0x80000000, v6
	s_delay_alu instid0(VALU_DEP_3) | instskip(NEXT) | instid1(VALU_DEP_3)
	v_lshl_add_u32 v6, v7, 23, 0x3b800000
	v_lshlrev_b32_e32 v4, 20, v4
	s_delay_alu instid0(VALU_DEP_1) | instskip(NEXT) | instid1(VALU_DEP_1)
	v_or3_b32 v4, v5, v6, v4
	v_trunc_f32_e32 v4, v4
	s_delay_alu instid0(VALU_DEP_1) | instskip(NEXT) | instid1(VALU_DEP_1)
	v_mul_f32_e64 v5, 0x2f800000, |v4|
	v_floor_f32_e32 v5, v5
	s_delay_alu instid0(VALU_DEP_1) | instskip(SKIP_2) | instid1(VALU_DEP_3)
	v_fma_f32 v6, 0xcf800000, v5, |v4|
	v_ashrrev_i32_e32 v4, 31, v4
	v_cvt_u32_f32_e32 v7, v5
	v_cvt_u32_f32_e32 v6, v6
	s_delay_alu instid0(VALU_DEP_2) | instskip(NEXT) | instid1(VALU_DEP_2)
	v_dual_mov_b32 v5, v4 :: v_dual_bitop2_b32 v7, v7, v4 bitop3:0x14
	v_xor_b32_e32 v6, v6, v4
	s_delay_alu instid0(VALU_DEP_1)
	v_sub_nc_u64_e32 v[4:5], v[6:7], v[4:5]
.LBB30_945:
	s_or_b32 exec_lo, exec_lo, s28
.LBB30_946:
	s_mov_b32 s28, -1
.LBB30_947:
	s_mov_b32 s29, 0
.LBB30_948:
	s_delay_alu instid0(SALU_CYCLE_1)
	s_and_b32 vcc_lo, exec_lo, s29
	s_cbranch_vccz .LBB30_981
; %bb.949:
	s_cmp_gt_i32 s27, 22
	s_cbranch_scc0 .LBB30_957
; %bb.950:
	s_cmp_lt_i32 s27, 24
	s_cbranch_scc1 .LBB30_960
; %bb.951:
	s_cmp_gt_i32 s27, 24
	s_cbranch_scc0 .LBB30_961
; %bb.952:
	global_load_u8 v6, v[2:3], off
	s_mov_b32 s29, 0
	s_mov_b32 s28, exec_lo
	s_wait_loadcnt 0x0
	v_cmpx_lt_i16_e32 0x7f, v6
	s_xor_b32 s28, exec_lo, s28
	s_cbranch_execz .LBB30_973
; %bb.953:
	v_cmp_ne_u16_e32 vcc_lo, 0x80, v6
	s_and_b32 s29, vcc_lo, exec_lo
	s_and_not1_saveexec_b32 s28, s28
	s_cbranch_execnz .LBB30_974
.LBB30_954:
	s_or_b32 exec_lo, exec_lo, s28
	v_mov_b64_e32 v[4:5], 0
	s_and_saveexec_b32 s28, s29
	s_cbranch_execz .LBB30_956
.LBB30_955:
	v_and_b32_e32 v4, 0xffff, v6
	s_delay_alu instid0(VALU_DEP_1) | instskip(SKIP_1) | instid1(VALU_DEP_2)
	v_and_b32_e32 v5, 3, v4
	v_bfe_u32 v9, v4, 2, 5
	v_clz_i32_u32_e32 v7, v5
	s_delay_alu instid0(VALU_DEP_2) | instskip(NEXT) | instid1(VALU_DEP_2)
	v_cmp_eq_u32_e32 vcc_lo, 0, v9
	v_min_u32_e32 v7, 32, v7
	s_delay_alu instid0(VALU_DEP_1) | instskip(NEXT) | instid1(VALU_DEP_1)
	v_subrev_nc_u32_e32 v8, 29, v7
	v_dual_lshlrev_b32 v4, v8, v4 :: v_dual_sub_nc_u32 v7, 30, v7
	s_delay_alu instid0(VALU_DEP_1) | instskip(NEXT) | instid1(VALU_DEP_2)
	v_dual_lshlrev_b32 v6, 24, v6 :: v_dual_bitop2_b32 v4, 3, v4 bitop3:0x40
	v_cndmask_b32_e32 v7, v9, v7, vcc_lo
	s_delay_alu instid0(VALU_DEP_2) | instskip(NEXT) | instid1(VALU_DEP_3)
	v_cndmask_b32_e32 v4, v5, v4, vcc_lo
	v_and_b32_e32 v5, 0x80000000, v6
	s_delay_alu instid0(VALU_DEP_3) | instskip(NEXT) | instid1(VALU_DEP_3)
	v_lshl_add_u32 v6, v7, 23, 0x37800000
	v_lshlrev_b32_e32 v4, 21, v4
	s_delay_alu instid0(VALU_DEP_1) | instskip(NEXT) | instid1(VALU_DEP_1)
	v_or3_b32 v4, v5, v6, v4
	v_trunc_f32_e32 v4, v4
	s_delay_alu instid0(VALU_DEP_1) | instskip(NEXT) | instid1(VALU_DEP_1)
	v_mul_f32_e64 v5, 0x2f800000, |v4|
	v_floor_f32_e32 v5, v5
	s_delay_alu instid0(VALU_DEP_1) | instskip(SKIP_2) | instid1(VALU_DEP_3)
	v_fma_f32 v6, 0xcf800000, v5, |v4|
	v_ashrrev_i32_e32 v4, 31, v4
	v_cvt_u32_f32_e32 v7, v5
	v_cvt_u32_f32_e32 v6, v6
	s_delay_alu instid0(VALU_DEP_2) | instskip(NEXT) | instid1(VALU_DEP_2)
	v_dual_mov_b32 v5, v4 :: v_dual_bitop2_b32 v7, v7, v4 bitop3:0x14
	v_xor_b32_e32 v6, v6, v4
	s_delay_alu instid0(VALU_DEP_1)
	v_sub_nc_u64_e32 v[4:5], v[6:7], v[4:5]
.LBB30_956:
	s_or_b32 exec_lo, exec_lo, s28
	s_mov_b32 s28, 0
	s_branch .LBB30_962
.LBB30_957:
	s_mov_b32 s29, -1
                                        ; implicit-def: $vgpr4_vgpr5
	s_branch .LBB30_968
.LBB30_958:
	s_and_not1_saveexec_b32 s28, s28
	s_cbranch_execz .LBB30_943
.LBB30_959:
	v_cmp_ne_u16_e32 vcc_lo, 0, v6
	s_and_not1_b32 s29, s29, exec_lo
	s_and_b32 s30, vcc_lo, exec_lo
	s_delay_alu instid0(SALU_CYCLE_1)
	s_or_b32 s29, s29, s30
	s_or_b32 exec_lo, exec_lo, s28
	v_mov_b64_e32 v[4:5], 0
	s_and_saveexec_b32 s28, s29
	s_cbranch_execnz .LBB30_944
	s_branch .LBB30_945
.LBB30_960:
	s_mov_b32 s28, -1
                                        ; implicit-def: $vgpr4_vgpr5
	s_branch .LBB30_965
.LBB30_961:
	s_mov_b32 s28, -1
                                        ; implicit-def: $vgpr4_vgpr5
.LBB30_962:
	s_delay_alu instid0(SALU_CYCLE_1)
	s_and_b32 vcc_lo, exec_lo, s28
	s_cbranch_vccz .LBB30_964
; %bb.963:
	s_wait_loadcnt 0x0
	global_load_u8 v4, v[2:3], off
	s_wait_loadcnt 0x0
	v_lshlrev_b32_e32 v4, 24, v4
	s_delay_alu instid0(VALU_DEP_1) | instskip(NEXT) | instid1(VALU_DEP_1)
	v_and_b32_e32 v5, 0x7f000000, v4
	v_clz_i32_u32_e32 v6, v5
	v_cmp_ne_u32_e32 vcc_lo, 0, v5
	v_add_nc_u32_e32 v8, 0x1000000, v5
	s_delay_alu instid0(VALU_DEP_3) | instskip(NEXT) | instid1(VALU_DEP_1)
	v_min_u32_e32 v6, 32, v6
	v_sub_nc_u32_e64 v6, v6, 4 clamp
	s_delay_alu instid0(VALU_DEP_1) | instskip(NEXT) | instid1(VALU_DEP_1)
	v_dual_lshlrev_b32 v7, v6, v5 :: v_dual_lshlrev_b32 v6, 23, v6
	v_lshrrev_b32_e32 v7, 4, v7
	s_delay_alu instid0(VALU_DEP_1) | instskip(NEXT) | instid1(VALU_DEP_1)
	v_dual_sub_nc_u32 v6, v7, v6 :: v_dual_ashrrev_i32 v7, 8, v8
	v_add_nc_u32_e32 v6, 0x3c000000, v6
	s_delay_alu instid0(VALU_DEP_1) | instskip(NEXT) | instid1(VALU_DEP_1)
	v_and_or_b32 v6, 0x7f800000, v7, v6
	v_cndmask_b32_e32 v5, 0, v6, vcc_lo
	s_delay_alu instid0(VALU_DEP_1) | instskip(NEXT) | instid1(VALU_DEP_1)
	v_and_or_b32 v4, 0x80000000, v4, v5
	v_trunc_f32_e32 v4, v4
	s_delay_alu instid0(VALU_DEP_1) | instskip(NEXT) | instid1(VALU_DEP_1)
	v_mul_f32_e64 v5, 0x2f800000, |v4|
	v_floor_f32_e32 v5, v5
	s_delay_alu instid0(VALU_DEP_1) | instskip(SKIP_2) | instid1(VALU_DEP_3)
	v_fma_f32 v6, 0xcf800000, v5, |v4|
	v_ashrrev_i32_e32 v4, 31, v4
	v_cvt_u32_f32_e32 v7, v5
	v_cvt_u32_f32_e32 v6, v6
	s_delay_alu instid0(VALU_DEP_2) | instskip(NEXT) | instid1(VALU_DEP_2)
	v_dual_mov_b32 v5, v4 :: v_dual_bitop2_b32 v7, v7, v4 bitop3:0x14
	v_xor_b32_e32 v6, v6, v4
	s_delay_alu instid0(VALU_DEP_1)
	v_sub_nc_u64_e32 v[4:5], v[6:7], v[4:5]
.LBB30_964:
	s_mov_b32 s28, 0
.LBB30_965:
	s_delay_alu instid0(SALU_CYCLE_1)
	s_and_not1_b32 vcc_lo, exec_lo, s28
	s_cbranch_vccnz .LBB30_967
; %bb.966:
	s_wait_loadcnt 0x0
	global_load_u8 v4, v[2:3], off
	s_wait_loadcnt 0x0
	v_lshlrev_b32_e32 v5, 25, v4
	v_lshlrev_b16 v4, 8, v4
	s_delay_alu instid0(VALU_DEP_1) | instskip(SKIP_1) | instid1(VALU_DEP_2)
	v_and_or_b32 v7, 0x7f00, v4, 0.5
	v_bfe_i32 v4, v4, 0, 16
	v_dual_add_f32 v7, -0.5, v7 :: v_dual_lshrrev_b32 v6, 4, v5
	v_cmp_gt_u32_e32 vcc_lo, 0x8000000, v5
	s_delay_alu instid0(VALU_DEP_2) | instskip(NEXT) | instid1(VALU_DEP_1)
	v_or_b32_e32 v6, 0x70000000, v6
	v_mul_f32_e32 v6, 0x7800000, v6
	s_delay_alu instid0(VALU_DEP_1) | instskip(NEXT) | instid1(VALU_DEP_1)
	v_cndmask_b32_e32 v5, v6, v7, vcc_lo
	v_and_or_b32 v4, 0x80000000, v4, v5
	s_delay_alu instid0(VALU_DEP_1) | instskip(NEXT) | instid1(VALU_DEP_1)
	v_trunc_f32_e32 v4, v4
	v_mul_f32_e64 v5, 0x2f800000, |v4|
	s_delay_alu instid0(VALU_DEP_1) | instskip(NEXT) | instid1(VALU_DEP_1)
	v_floor_f32_e32 v5, v5
	v_fma_f32 v6, 0xcf800000, v5, |v4|
	v_ashrrev_i32_e32 v4, 31, v4
	v_cvt_u32_f32_e32 v7, v5
	s_delay_alu instid0(VALU_DEP_3) | instskip(NEXT) | instid1(VALU_DEP_2)
	v_cvt_u32_f32_e32 v6, v6
	v_dual_mov_b32 v5, v4 :: v_dual_bitop2_b32 v7, v7, v4 bitop3:0x14
	s_delay_alu instid0(VALU_DEP_2) | instskip(NEXT) | instid1(VALU_DEP_1)
	v_xor_b32_e32 v6, v6, v4
	v_sub_nc_u64_e32 v[4:5], v[6:7], v[4:5]
.LBB30_967:
	s_mov_b32 s29, 0
	s_mov_b32 s28, -1
.LBB30_968:
	s_and_not1_b32 vcc_lo, exec_lo, s29
	s_cbranch_vccnz .LBB30_981
; %bb.969:
	s_cmp_gt_i32 s27, 14
	s_cbranch_scc0 .LBB30_972
; %bb.970:
	s_cmp_eq_u32 s27, 15
	s_cbranch_scc0 .LBB30_975
; %bb.971:
	s_wait_loadcnt 0x0
	global_load_u16 v4, v[2:3], off
	s_mov_b32 s28, -1
	s_mov_b32 s26, 0
	s_wait_loadcnt 0x0
	v_lshlrev_b32_e32 v4, 16, v4
	s_delay_alu instid0(VALU_DEP_1) | instskip(NEXT) | instid1(VALU_DEP_1)
	v_trunc_f32_e32 v4, v4
	v_mul_f32_e64 v5, 0x2f800000, |v4|
	s_delay_alu instid0(VALU_DEP_1) | instskip(NEXT) | instid1(VALU_DEP_1)
	v_floor_f32_e32 v5, v5
	v_fma_f32 v6, 0xcf800000, v5, |v4|
	v_ashrrev_i32_e32 v4, 31, v4
	v_cvt_u32_f32_e32 v7, v5
	s_delay_alu instid0(VALU_DEP_3) | instskip(NEXT) | instid1(VALU_DEP_2)
	v_cvt_u32_f32_e32 v6, v6
	v_dual_mov_b32 v5, v4 :: v_dual_bitop2_b32 v7, v7, v4 bitop3:0x14
	s_delay_alu instid0(VALU_DEP_2) | instskip(NEXT) | instid1(VALU_DEP_1)
	v_xor_b32_e32 v6, v6, v4
	v_sub_nc_u64_e32 v[4:5], v[6:7], v[4:5]
	s_branch .LBB30_976
.LBB30_972:
	s_mov_b32 s29, -1
                                        ; implicit-def: $vgpr4_vgpr5
	s_branch .LBB30_977
.LBB30_973:
	s_and_not1_saveexec_b32 s28, s28
	s_cbranch_execz .LBB30_954
.LBB30_974:
	v_cmp_ne_u16_e32 vcc_lo, 0, v6
	s_and_not1_b32 s29, s29, exec_lo
	s_and_b32 s30, vcc_lo, exec_lo
	s_delay_alu instid0(SALU_CYCLE_1)
	s_or_b32 s29, s29, s30
	s_or_b32 exec_lo, exec_lo, s28
	v_mov_b64_e32 v[4:5], 0
	s_and_saveexec_b32 s28, s29
	s_cbranch_execnz .LBB30_955
	s_branch .LBB30_956
.LBB30_975:
	s_mov_b32 s26, -1
                                        ; implicit-def: $vgpr4_vgpr5
.LBB30_976:
	s_mov_b32 s29, 0
.LBB30_977:
	s_delay_alu instid0(SALU_CYCLE_1)
	s_and_b32 vcc_lo, exec_lo, s29
	s_cbranch_vccz .LBB30_981
; %bb.978:
	s_cmp_eq_u32 s27, 11
	s_cbranch_scc0 .LBB30_980
; %bb.979:
	s_wait_loadcnt 0x0
	global_load_u8 v4, v[2:3], off
	s_mov_b32 s26, 0
	s_mov_b32 s28, -1
	v_mov_b32_e32 v5, s26
	s_wait_loadcnt 0x0
	v_cmp_ne_u16_e32 vcc_lo, 0, v4
	v_cndmask_b32_e64 v4, 0, 1, vcc_lo
	s_branch .LBB30_981
.LBB30_980:
	s_mov_b32 s26, -1
                                        ; implicit-def: $vgpr4_vgpr5
.LBB30_981:
	s_mov_b32 s27, 0
.LBB30_982:
	s_delay_alu instid0(SALU_CYCLE_1)
	s_and_b32 vcc_lo, exec_lo, s27
	s_cbranch_vccz .LBB30_1031
; %bb.983:
	s_and_b32 s0, 0xffff, s0
	s_delay_alu instid0(SALU_CYCLE_1)
	s_cmp_lt_i32 s0, 5
	s_cbranch_scc1 .LBB30_988
; %bb.984:
	s_cmp_lt_i32 s0, 8
	s_cbranch_scc1 .LBB30_989
; %bb.985:
	;; [unrolled: 3-line block ×3, first 2 shown]
	s_cmp_gt_i32 s0, 9
	s_cbranch_scc0 .LBB30_991
; %bb.987:
	s_wait_loadcnt 0x0
	global_load_b64 v[4:5], v[2:3], off
	s_mov_b32 s27, 0
	s_wait_loadcnt 0x0
	v_trunc_f64_e32 v[4:5], v[4:5]
	s_delay_alu instid0(VALU_DEP_1) | instskip(NEXT) | instid1(VALU_DEP_1)
	v_ldexp_f64 v[6:7], v[4:5], 0xffffffe0
	v_floor_f64_e32 v[6:7], v[6:7]
	s_delay_alu instid0(VALU_DEP_1) | instskip(SKIP_1) | instid1(VALU_DEP_2)
	v_fmamk_f64 v[8:9], v[6:7], 0xc1f00000, v[4:5]
	v_cvt_i32_f64_e32 v5, v[6:7]
	v_cvt_u32_f64_e32 v4, v[8:9]
	s_branch .LBB30_992
.LBB30_988:
	s_mov_b32 s27, -1
                                        ; implicit-def: $vgpr4_vgpr5
	s_branch .LBB30_1010
.LBB30_989:
	s_mov_b32 s27, -1
                                        ; implicit-def: $vgpr4_vgpr5
	s_branch .LBB30_998
.LBB30_990:
	s_mov_b32 s27, -1
                                        ; implicit-def: $vgpr4_vgpr5
	s_branch .LBB30_995
.LBB30_991:
	s_mov_b32 s27, -1
                                        ; implicit-def: $vgpr4_vgpr5
.LBB30_992:
	s_delay_alu instid0(SALU_CYCLE_1)
	s_and_not1_b32 vcc_lo, exec_lo, s27
	s_cbranch_vccnz .LBB30_994
; %bb.993:
	s_wait_loadcnt 0x0
	global_load_b32 v4, v[2:3], off
	s_wait_loadcnt 0x0
	v_trunc_f32_e32 v4, v4
	s_delay_alu instid0(VALU_DEP_1) | instskip(NEXT) | instid1(VALU_DEP_1)
	v_mul_f32_e64 v5, 0x2f800000, |v4|
	v_floor_f32_e32 v5, v5
	s_delay_alu instid0(VALU_DEP_1) | instskip(SKIP_2) | instid1(VALU_DEP_3)
	v_fma_f32 v6, 0xcf800000, v5, |v4|
	v_ashrrev_i32_e32 v4, 31, v4
	v_cvt_u32_f32_e32 v7, v5
	v_cvt_u32_f32_e32 v6, v6
	s_delay_alu instid0(VALU_DEP_2) | instskip(NEXT) | instid1(VALU_DEP_2)
	v_dual_mov_b32 v5, v4 :: v_dual_bitop2_b32 v7, v7, v4 bitop3:0x14
	v_xor_b32_e32 v6, v6, v4
	s_delay_alu instid0(VALU_DEP_1)
	v_sub_nc_u64_e32 v[4:5], v[6:7], v[4:5]
.LBB30_994:
	s_mov_b32 s27, 0
.LBB30_995:
	s_delay_alu instid0(SALU_CYCLE_1)
	s_and_not1_b32 vcc_lo, exec_lo, s27
	s_cbranch_vccnz .LBB30_997
; %bb.996:
	s_wait_loadcnt 0x0
	global_load_b32 v4, v[2:3], off
	s_wait_loadcnt 0x0
	v_cvt_f32_f16_e32 v4, v4
	s_delay_alu instid0(VALU_DEP_1) | instskip(NEXT) | instid1(VALU_DEP_1)
	v_cvt_i32_f32_e32 v4, v4
	v_ashrrev_i32_e32 v5, 31, v4
.LBB30_997:
	s_mov_b32 s27, 0
.LBB30_998:
	s_delay_alu instid0(SALU_CYCLE_1)
	s_and_not1_b32 vcc_lo, exec_lo, s27
	s_cbranch_vccnz .LBB30_1009
; %bb.999:
	s_cmp_lt_i32 s0, 6
	s_cbranch_scc1 .LBB30_1002
; %bb.1000:
	s_cmp_gt_i32 s0, 6
	s_cbranch_scc0 .LBB30_1003
; %bb.1001:
	s_wait_loadcnt 0x0
	global_load_b64 v[4:5], v[2:3], off
	s_mov_b32 s27, 0
	s_wait_loadcnt 0x0
	v_trunc_f64_e32 v[4:5], v[4:5]
	s_delay_alu instid0(VALU_DEP_1) | instskip(NEXT) | instid1(VALU_DEP_1)
	v_ldexp_f64 v[6:7], v[4:5], 0xffffffe0
	v_floor_f64_e32 v[6:7], v[6:7]
	s_delay_alu instid0(VALU_DEP_1) | instskip(SKIP_1) | instid1(VALU_DEP_2)
	v_fmamk_f64 v[8:9], v[6:7], 0xc1f00000, v[4:5]
	v_cvt_i32_f64_e32 v5, v[6:7]
	v_cvt_u32_f64_e32 v4, v[8:9]
	s_branch .LBB30_1004
.LBB30_1002:
	s_mov_b32 s27, -1
                                        ; implicit-def: $vgpr4_vgpr5
	s_branch .LBB30_1007
.LBB30_1003:
	s_mov_b32 s27, -1
                                        ; implicit-def: $vgpr4_vgpr5
.LBB30_1004:
	s_delay_alu instid0(SALU_CYCLE_1)
	s_and_not1_b32 vcc_lo, exec_lo, s27
	s_cbranch_vccnz .LBB30_1006
; %bb.1005:
	s_wait_loadcnt 0x0
	global_load_b32 v4, v[2:3], off
	s_wait_loadcnt 0x0
	v_trunc_f32_e32 v4, v4
	s_delay_alu instid0(VALU_DEP_1) | instskip(NEXT) | instid1(VALU_DEP_1)
	v_mul_f32_e64 v5, 0x2f800000, |v4|
	v_floor_f32_e32 v5, v5
	s_delay_alu instid0(VALU_DEP_1) | instskip(SKIP_2) | instid1(VALU_DEP_3)
	v_fma_f32 v6, 0xcf800000, v5, |v4|
	v_ashrrev_i32_e32 v4, 31, v4
	v_cvt_u32_f32_e32 v7, v5
	v_cvt_u32_f32_e32 v6, v6
	s_delay_alu instid0(VALU_DEP_2) | instskip(NEXT) | instid1(VALU_DEP_2)
	v_dual_mov_b32 v5, v4 :: v_dual_bitop2_b32 v7, v7, v4 bitop3:0x14
	v_xor_b32_e32 v6, v6, v4
	s_delay_alu instid0(VALU_DEP_1)
	v_sub_nc_u64_e32 v[4:5], v[6:7], v[4:5]
.LBB30_1006:
	s_mov_b32 s27, 0
.LBB30_1007:
	s_delay_alu instid0(SALU_CYCLE_1)
	s_and_not1_b32 vcc_lo, exec_lo, s27
	s_cbranch_vccnz .LBB30_1009
; %bb.1008:
	s_wait_loadcnt 0x0
	global_load_u16 v4, v[2:3], off
	s_wait_loadcnt 0x0
	v_cvt_f32_f16_e32 v4, v4
	s_delay_alu instid0(VALU_DEP_1) | instskip(NEXT) | instid1(VALU_DEP_1)
	v_cvt_i32_f32_e32 v4, v4
	v_ashrrev_i32_e32 v5, 31, v4
.LBB30_1009:
	s_mov_b32 s27, 0
.LBB30_1010:
	s_delay_alu instid0(SALU_CYCLE_1)
	s_and_not1_b32 vcc_lo, exec_lo, s27
	s_cbranch_vccnz .LBB30_1030
; %bb.1011:
	s_cmp_lt_i32 s0, 2
	s_cbranch_scc1 .LBB30_1015
; %bb.1012:
	s_cmp_lt_i32 s0, 3
	s_cbranch_scc1 .LBB30_1016
; %bb.1013:
	s_cmp_gt_i32 s0, 3
	s_cbranch_scc0 .LBB30_1017
; %bb.1014:
	s_wait_loadcnt 0x0
	global_load_b64 v[4:5], v[2:3], off
	s_mov_b32 s27, 0
	s_branch .LBB30_1018
.LBB30_1015:
	s_mov_b32 s27, -1
                                        ; implicit-def: $vgpr4_vgpr5
	s_branch .LBB30_1024
.LBB30_1016:
	s_mov_b32 s27, -1
                                        ; implicit-def: $vgpr4_vgpr5
	s_branch .LBB30_1021
.LBB30_1017:
	s_mov_b32 s27, -1
                                        ; implicit-def: $vgpr4_vgpr5
.LBB30_1018:
	s_delay_alu instid0(SALU_CYCLE_1)
	s_and_not1_b32 vcc_lo, exec_lo, s27
	s_cbranch_vccnz .LBB30_1020
; %bb.1019:
	s_wait_loadcnt 0x0
	global_load_b32 v4, v[2:3], off
	s_wait_loadcnt 0x0
	v_ashrrev_i32_e32 v5, 31, v4
.LBB30_1020:
	s_mov_b32 s27, 0
.LBB30_1021:
	s_delay_alu instid0(SALU_CYCLE_1)
	s_and_not1_b32 vcc_lo, exec_lo, s27
	s_cbranch_vccnz .LBB30_1023
; %bb.1022:
	s_wait_loadcnt 0x0
	global_load_u16 v4, v[2:3], off
	s_wait_loadcnt 0x0
	v_bfe_i32 v4, v4, 0, 16
	s_delay_alu instid0(VALU_DEP_1)
	v_ashrrev_i32_e32 v5, 31, v4
.LBB30_1023:
	s_mov_b32 s27, 0
.LBB30_1024:
	s_delay_alu instid0(SALU_CYCLE_1)
	s_and_not1_b32 vcc_lo, exec_lo, s27
	s_cbranch_vccnz .LBB30_1030
; %bb.1025:
	s_cmp_gt_i32 s0, 0
	s_mov_b32 s0, 0
	s_cbranch_scc0 .LBB30_1027
; %bb.1026:
	s_wait_loadcnt 0x0
	global_load_i8 v4, v[2:3], off
	s_wait_loadcnt 0x0
	v_bfe_i32 v4, v4, 0, 16
	s_delay_alu instid0(VALU_DEP_1)
	v_ashrrev_i32_e32 v5, 31, v4
	s_branch .LBB30_1028
.LBB30_1027:
	s_mov_b32 s0, -1
                                        ; implicit-def: $vgpr4_vgpr5
.LBB30_1028:
	s_delay_alu instid0(SALU_CYCLE_1)
	s_and_not1_b32 vcc_lo, exec_lo, s0
	s_cbranch_vccnz .LBB30_1030
; %bb.1029:
	global_load_u8 v2, v[2:3], off
	s_mov_b32 s0, 0
	s_wait_loadcnt 0x1
	v_mov_b32_e32 v5, s0
	s_wait_loadcnt 0x0
	v_and_b32_e32 v4, 0xffff, v2
.LBB30_1030:
	s_mov_b32 s28, -1
.LBB30_1031:
	s_delay_alu instid0(SALU_CYCLE_1)
	s_and_not1_b32 vcc_lo, exec_lo, s28
	s_cbranch_vccnz .LBB30_1039
; %bb.1032:
	s_wait_loadcnt 0x0
	s_delay_alu instid0(VALU_DEP_1) | instskip(SKIP_1) | instid1(VALU_DEP_1)
	v_sub_nc_u64_e32 v[2:3], 0, v[4:5]
	s_mov_b32 s27, exec_lo
	v_max_i64 v[2:3], v[4:5], v[2:3]
	v_cmpx_ne_u64_e32 0, v[0:1]
	s_cbranch_execz .LBB30_1041
; %bb.1033:
	v_sub_nc_u64_e32 v[4:5], 0, v[0:1]
	s_mov_b32 s28, 0
	s_delay_alu instid0(VALU_DEP_1)
	v_max_i64 v[6:7], v[0:1], v[4:5]
	v_mov_b32_e32 v0, 0
	s_branch .LBB30_1035
.LBB30_1034:                            ;   in Loop: Header=BB30_1035 Depth=1
	s_or_b32 exec_lo, exec_lo, s0
	s_delay_alu instid0(VALU_DEP_1) | instskip(SKIP_2) | instid1(SALU_CYCLE_1)
	v_cmp_eq_u64_e32 vcc_lo, 0, v[6:7]
	v_mov_b64_e32 v[2:3], v[4:5]
	s_or_b32 s28, vcc_lo, s28
	s_and_not1_b32 exec_lo, exec_lo, s28
	s_cbranch_execz .LBB30_1040
.LBB30_1035:                            ; =>This Inner Loop Header: Depth=1
	s_delay_alu instid0(VALU_DEP_2) | instskip(SKIP_1) | instid1(VALU_DEP_1)
	v_mov_b64_e32 v[4:5], v[6:7]
                                        ; implicit-def: $vgpr6_vgpr7
	s_mov_b32 s0, exec_lo
	v_or_b32_e32 v1, v3, v5
	s_delay_alu instid0(VALU_DEP_1)
	v_cmpx_ne_u64_e32 0, v[0:1]
	s_xor_b32 s29, exec_lo, s0
	s_cbranch_execz .LBB30_1037
; %bb.1036:                             ;   in Loop: Header=BB30_1035 Depth=1
	s_delay_alu instid0(VALU_DEP_3) | instskip(SKIP_3) | instid1(VALU_DEP_3)
	v_cvt_f32_u32_e32 v1, v4
	v_cvt_f32_u32_e32 v6, v5
	v_sub_nc_u64_e32 v[8:9], 0, v[4:5]
	v_dual_mov_b32 v15, v0 :: v_dual_mov_b32 v19, v0
	v_fmac_f32_e32 v1, 0x4f800000, v6
	s_delay_alu instid0(VALU_DEP_1) | instskip(SKIP_1) | instid1(TRANS32_DEP_1)
	v_rcp_f32_e32 v1, v1
	v_nop
	v_mul_f32_e32 v1, 0x5f7ffffc, v1
	s_delay_alu instid0(VALU_DEP_1) | instskip(NEXT) | instid1(VALU_DEP_1)
	v_mul_f32_e32 v6, 0x2f800000, v1
	v_trunc_f32_e32 v7, v6
	s_delay_alu instid0(VALU_DEP_1) | instskip(SKIP_1) | instid1(VALU_DEP_2)
	v_cvt_u32_f32_e32 v11, v7
	v_fmac_f32_e32 v1, 0xcf800000, v7
	v_dual_mov_b32 v7, v0 :: v_dual_mov_b32 v18, v11
	s_delay_alu instid0(VALU_DEP_2) | instskip(NEXT) | instid1(VALU_DEP_1)
	v_cvt_u32_f32_e32 v6, v1
	v_mov_b32_e32 v10, v6
	s_delay_alu instid0(VALU_DEP_1) | instskip(NEXT) | instid1(VALU_DEP_1)
	v_mul_u64_e32 v[12:13], v[8:9], v[10:11]
	v_dual_mov_b32 v14, v13 :: v_dual_mov_b32 v13, v0
	s_delay_alu instid0(VALU_DEP_1) | instskip(NEXT) | instid1(VALU_DEP_2)
	v_mul_u64_e32 v[20:21], v[6:7], v[14:15]
	v_mul_u64_e32 v[22:23], v[18:19], v[12:13]
	;; [unrolled: 1-line block ×3, first 2 shown]
	v_mul_hi_u32 v12, v6, v12
	s_delay_alu instid0(VALU_DEP_1) | instskip(NEXT) | instid1(VALU_DEP_1)
	v_add_nc_u64_e32 v[12:13], v[12:13], v[20:21]
	v_add_co_u32 v1, vcc_lo, v12, v22
	s_delay_alu instid0(VALU_DEP_2) | instskip(SKIP_1) | instid1(VALU_DEP_1)
	v_add_co_ci_u32_e32 v18, vcc_lo, v13, v23, vcc_lo
	v_add_co_ci_u32_e32 v15, vcc_lo, 0, v15, vcc_lo
	v_add_nc_u64_e32 v[12:13], v[18:19], v[14:15]
	s_delay_alu instid0(VALU_DEP_1) | instskip(NEXT) | instid1(VALU_DEP_1)
	v_add_co_u32 v6, vcc_lo, v6, v12
	v_add_co_ci_u32_e64 v10, null, v11, v13, vcc_lo
	v_dual_mov_b32 v13, v0 :: v_dual_mov_b32 v11, v0
	s_delay_alu instid0(VALU_DEP_2) | instskip(NEXT) | instid1(VALU_DEP_1)
	v_mov_b32_e32 v7, v10
	v_mul_u64_e32 v[8:9], v[8:9], v[6:7]
	s_delay_alu instid0(VALU_DEP_1) | instskip(NEXT) | instid1(VALU_DEP_2)
	v_dual_mov_b32 v7, v0 :: v_dual_mov_b32 v12, v9
	v_dual_mov_b32 v18, v8 :: v_dual_mov_b32 v9, v0
	v_mul_hi_u32 v8, v6, v8
	s_delay_alu instid0(VALU_DEP_3) | instskip(NEXT) | instid1(VALU_DEP_3)
	v_mul_u64_e32 v[14:15], v[6:7], v[12:13]
	v_mul_u64_e32 v[18:19], v[10:11], v[18:19]
	;; [unrolled: 1-line block ×3, first 2 shown]
	s_delay_alu instid0(VALU_DEP_3) | instskip(SKIP_1) | instid1(VALU_DEP_2)
	v_add_nc_u64_e32 v[8:9], v[8:9], v[14:15]
	v_mov_b32_e32 v15, v0
	v_add_co_u32 v1, vcc_lo, v8, v18
	s_delay_alu instid0(VALU_DEP_3) | instskip(SKIP_1) | instid1(VALU_DEP_1)
	v_add_co_ci_u32_e32 v14, vcc_lo, v9, v19, vcc_lo
	v_add_co_ci_u32_e32 v13, vcc_lo, 0, v13, vcc_lo
	v_add_nc_u64_e32 v[8:9], v[14:15], v[12:13]
	v_dual_mov_b32 v12, v2 :: v_dual_mov_b32 v13, v0
	s_delay_alu instid0(VALU_DEP_2) | instskip(NEXT) | instid1(VALU_DEP_1)
	v_add_co_u32 v8, vcc_lo, v6, v8
	v_add_co_ci_u32_e64 v6, null, v10, v9, vcc_lo
	v_dual_mov_b32 v10, v3 :: v_dual_mov_b32 v9, v0
	s_delay_alu instid0(VALU_DEP_2) | instskip(NEXT) | instid1(VALU_DEP_2)
	v_mul_u64_e32 v[12:13], v[12:13], v[6:7]
	v_mul_u64_e32 v[6:7], v[10:11], v[6:7]
	s_delay_alu instid0(VALU_DEP_3) | instskip(SKIP_1) | instid1(VALU_DEP_1)
	v_mul_u64_e32 v[14:15], v[10:11], v[8:9]
	v_mul_hi_u32 v8, v2, v8
	v_add_nc_u64_e32 v[8:9], v[8:9], v[12:13]
	s_delay_alu instid0(VALU_DEP_1) | instskip(NEXT) | instid1(VALU_DEP_2)
	v_add_co_u32 v1, vcc_lo, v8, v14
	v_add_co_ci_u32_e32 v10, vcc_lo, v9, v15, vcc_lo
	v_add_co_ci_u32_e32 v7, vcc_lo, 0, v7, vcc_lo
	s_delay_alu instid0(VALU_DEP_1) | instskip(NEXT) | instid1(VALU_DEP_1)
	v_add_nc_u64_e32 v[6:7], v[10:11], v[6:7]
	v_mul_u64_e32 v[6:7], v[4:5], v[6:7]
	s_delay_alu instid0(VALU_DEP_1) | instskip(NEXT) | instid1(VALU_DEP_2)
	v_sub_nc_u32_e32 v1, v3, v7
	v_sub_co_u32 v2, vcc_lo, v2, v6
	s_delay_alu instid0(VALU_DEP_1) | instskip(NEXT) | instid1(VALU_DEP_3)
	v_sub_co_ci_u32_e64 v3, null, v3, v7, vcc_lo
	v_sub_co_ci_u32_e64 v1, null, v1, v5, vcc_lo
	s_delay_alu instid0(VALU_DEP_3) | instskip(SKIP_1) | instid1(VALU_DEP_3)
	v_sub_co_u32 v6, vcc_lo, v2, v4
	v_cmp_ge_u32_e64 s0, v2, v4
	v_subrev_co_ci_u32_e64 v7, null, 0, v1, vcc_lo
	v_sub_co_ci_u32_e64 v1, null, v1, v5, vcc_lo
	s_delay_alu instid0(VALU_DEP_3) | instskip(SKIP_2) | instid1(VALU_DEP_2)
	v_cndmask_b32_e64 v8, 0, -1, s0
	v_cmp_ge_u32_e64 s0, v6, v4
	v_cmp_ge_u32_e32 vcc_lo, v3, v5
	v_cndmask_b32_e64 v9, 0, -1, s0
	v_cmp_ge_u32_e64 s0, v7, v5
	v_cndmask_b32_e64 v11, 0, -1, vcc_lo
	v_cmp_eq_u32_e32 vcc_lo, v7, v5
	s_delay_alu instid0(VALU_DEP_3) | instskip(SKIP_1) | instid1(VALU_DEP_1)
	v_cndmask_b32_e64 v10, 0, -1, s0
	v_cmp_eq_u32_e64 s0, v3, v5
	v_dual_cndmask_b32 v9, v10, v9, vcc_lo :: v_dual_cndmask_b32 v8, v11, v8, s0
	v_sub_co_u32 v10, vcc_lo, v6, v4
	s_delay_alu instid0(VALU_DEP_1) | instskip(NEXT) | instid1(VALU_DEP_3)
	v_subrev_co_ci_u32_e64 v1, null, 0, v1, vcc_lo
	v_cmp_ne_u32_e32 vcc_lo, 0, v9
	s_delay_alu instid0(VALU_DEP_2) | instskip(SKIP_1) | instid1(VALU_DEP_2)
	v_dual_cndmask_b32 v1, v7, v1 :: v_dual_cndmask_b32 v6, v6, v10
	v_cmp_ne_u32_e32 vcc_lo, 0, v8
	v_dual_cndmask_b32 v7, v3, v1 :: v_dual_cndmask_b32 v6, v2, v6
                                        ; implicit-def: $vgpr2_vgpr3
.LBB30_1037:                            ;   in Loop: Header=BB30_1035 Depth=1
	s_and_not1_saveexec_b32 s0, s29
	s_cbranch_execz .LBB30_1034
; %bb.1038:                             ;   in Loop: Header=BB30_1035 Depth=1
	v_cvt_f32_u32_e32 v1, v4
	v_dual_sub_nc_u32 v3, 0, v4 :: v_dual_mov_b32 v7, v0
	s_delay_alu instid0(VALU_DEP_2) | instskip(SKIP_1) | instid1(TRANS32_DEP_1)
	v_rcp_iflag_f32_e32 v1, v1
	v_nop
	v_mul_f32_e32 v1, 0x4f7ffffe, v1
	s_delay_alu instid0(VALU_DEP_1) | instskip(NEXT) | instid1(VALU_DEP_1)
	v_cvt_u32_f32_e32 v1, v1
	v_mul_lo_u32 v3, v3, v1
	s_delay_alu instid0(VALU_DEP_1) | instskip(NEXT) | instid1(VALU_DEP_1)
	v_mul_hi_u32 v3, v1, v3
	v_add_nc_u32_e32 v1, v1, v3
	s_delay_alu instid0(VALU_DEP_1) | instskip(NEXT) | instid1(VALU_DEP_1)
	v_mul_hi_u32 v1, v2, v1
	v_mul_lo_u32 v1, v1, v4
	s_delay_alu instid0(VALU_DEP_1) | instskip(NEXT) | instid1(VALU_DEP_1)
	v_sub_nc_u32_e32 v1, v2, v1
	v_sub_nc_u32_e32 v2, v1, v4
	v_cmp_ge_u32_e32 vcc_lo, v1, v4
	s_delay_alu instid0(VALU_DEP_2) | instskip(NEXT) | instid1(VALU_DEP_1)
	v_cndmask_b32_e32 v1, v1, v2, vcc_lo
	v_sub_nc_u32_e32 v2, v1, v4
	v_cmp_ge_u32_e32 vcc_lo, v1, v4
	s_delay_alu instid0(VALU_DEP_2)
	v_cndmask_b32_e32 v6, v1, v2, vcc_lo
	s_branch .LBB30_1034
.LBB30_1039:
	s_mov_b32 s28, 0
	s_mov_b32 s0, s21
	s_branch .LBB30_1164
.LBB30_1040:
	s_or_b32 exec_lo, exec_lo, s28
	v_mov_b64_e32 v[2:3], v[4:5]
.LBB30_1041:
	s_or_b32 exec_lo, exec_lo, s27
	v_mul_lo_u32 v0, v16, s8
	s_and_b32 s27, s11, 0xff
	s_delay_alu instid0(SALU_CYCLE_1) | instskip(NEXT) | instid1(VALU_DEP_1)
	s_cmp_lt_i32 s27, 11
	v_ashrrev_i32_e32 v1, 31, v0
	s_delay_alu instid0(VALU_DEP_1)
	v_add_nc_u64_e32 v[0:1], s[4:5], v[0:1]
	s_cbranch_scc1 .LBB30_1048
; %bb.1042:
	s_and_b32 s28, 0xffff, s27
	s_delay_alu instid0(SALU_CYCLE_1)
	s_cmp_gt_i32 s28, 25
	s_cbranch_scc0 .LBB30_1049
; %bb.1043:
	s_cmp_gt_i32 s28, 28
	s_cbranch_scc0 .LBB30_1050
; %bb.1044:
	;; [unrolled: 3-line block ×4, first 2 shown]
	s_mov_b32 s30, 0
	s_mov_b32 s0, -1
	s_cmp_eq_u32 s28, 46
	s_mov_b32 s29, 0
	s_cbranch_scc0 .LBB30_1053
; %bb.1047:
	s_delay_alu instid0(VALU_DEP_4) | instskip(SKIP_2) | instid1(VALU_DEP_1)
	v_clz_i32_u32_e32 v4, v3
	s_mov_b32 s29, -1
	s_mov_b32 s0, 0
	v_min_u32_e32 v6, 32, v4
	s_delay_alu instid0(VALU_DEP_1) | instskip(NEXT) | instid1(VALU_DEP_1)
	v_lshlrev_b64_e32 v[4:5], v6, v[2:3]
	v_min_u32_e32 v4, 1, v4
	s_delay_alu instid0(VALU_DEP_1) | instskip(NEXT) | instid1(VALU_DEP_1)
	v_dual_sub_nc_u32 v5, 32, v6 :: v_dual_bitop2_b32 v4, v5, v4 bitop3:0x54
	v_cvt_f32_u32_e32 v4, v4
	s_delay_alu instid0(VALU_DEP_1) | instskip(NEXT) | instid1(VALU_DEP_1)
	v_ldexp_f32 v4, v4, v5
	v_bfe_u32 v5, v4, 16, 1
	s_delay_alu instid0(VALU_DEP_1) | instskip(NEXT) | instid1(VALU_DEP_1)
	v_add3_u32 v4, v4, v5, 0x7fff
	v_lshrrev_b32_e32 v4, 16, v4
	global_store_b32 v[0:1], v4, off
	s_branch .LBB30_1053
.LBB30_1048:
	s_mov_b32 s28, -1
	s_mov_b32 s29, 0
	s_mov_b32 s0, s21
	s_branch .LBB30_1122
.LBB30_1049:
	s_mov_b32 s30, -1
	s_mov_b32 s29, 0
	s_mov_b32 s0, s21
	s_branch .LBB30_1080
.LBB30_1050:
	s_mov_b32 s30, -1
	s_mov_b32 s29, 0
	s_mov_b32 s0, s21
	s_branch .LBB30_1063
.LBB30_1051:
	s_mov_b32 s30, -1
	s_mov_b32 s29, 0
	s_mov_b32 s0, s21
	s_branch .LBB30_1059
.LBB30_1052:
	s_mov_b32 s30, -1
	s_mov_b32 s29, 0
	s_mov_b32 s0, s21
.LBB30_1053:
	s_and_b32 vcc_lo, exec_lo, s30
	s_cbranch_vccz .LBB30_1058
; %bb.1054:
	s_cmp_eq_u32 s28, 44
	s_mov_b32 s0, -1
	s_cbranch_scc0 .LBB30_1058
; %bb.1055:
	s_wait_xcnt 0x0
	s_delay_alu instid0(VALU_DEP_4) | instskip(SKIP_1) | instid1(VALU_DEP_1)
	v_clz_i32_u32_e32 v4, v3
	s_mov_b32 s29, exec_lo
	v_min_u32_e32 v6, 32, v4
	s_delay_alu instid0(VALU_DEP_1) | instskip(NEXT) | instid1(VALU_DEP_1)
	v_lshlrev_b64_e32 v[4:5], v6, v[2:3]
	v_min_u32_e32 v4, 1, v4
	s_delay_alu instid0(VALU_DEP_1) | instskip(NEXT) | instid1(VALU_DEP_1)
	v_dual_sub_nc_u32 v5, 32, v6 :: v_dual_bitop2_b32 v4, v5, v4 bitop3:0x54
	v_cvt_f32_u32_e32 v4, v4
	s_delay_alu instid0(VALU_DEP_1) | instskip(NEXT) | instid1(VALU_DEP_1)
	v_ldexp_f32 v6, v4, v5
	v_dual_mov_b32 v5, 0xff :: v_dual_lshrrev_b32 v4, 23, v6
	s_delay_alu instid0(VALU_DEP_1)
	v_cmpx_ne_u32_e32 0xff, v4
; %bb.1056:
	v_and_b32_e32 v5, 0x400000, v6
	v_and_or_b32 v6, 0x3fffff, v6, v4
	s_delay_alu instid0(VALU_DEP_2) | instskip(NEXT) | instid1(VALU_DEP_2)
	v_cmp_ne_u32_e32 vcc_lo, 0, v5
	v_cmp_ne_u32_e64 s0, 0, v6
	s_and_b32 s0, vcc_lo, s0
	s_delay_alu instid0(SALU_CYCLE_1) | instskip(NEXT) | instid1(VALU_DEP_1)
	v_cndmask_b32_e64 v5, 0, 1, s0
	v_add_nc_u32_e32 v5, v4, v5
; %bb.1057:
	s_or_b32 exec_lo, exec_lo, s29
	s_mov_b32 s29, -1
	s_mov_b32 s0, 0
	global_store_b8 v[0:1], v5, off
.LBB30_1058:
	s_mov_b32 s30, 0
.LBB30_1059:
	s_delay_alu instid0(SALU_CYCLE_1)
	s_and_b32 vcc_lo, exec_lo, s30
	s_cbranch_vccz .LBB30_1062
; %bb.1060:
	s_cmp_eq_u32 s28, 29
	s_mov_b32 s0, -1
	s_cbranch_scc0 .LBB30_1062
; %bb.1061:
	s_mov_b32 s29, -1
	s_mov_b32 s0, 0
	global_store_b64 v[0:1], v[2:3], off
.LBB30_1062:
	s_mov_b32 s30, 0
.LBB30_1063:
	s_delay_alu instid0(SALU_CYCLE_1)
	s_and_b32 vcc_lo, exec_lo, s30
	s_cbranch_vccz .LBB30_1079
; %bb.1064:
	s_cmp_lt_i32 s28, 27
	s_mov_b32 s29, -1
	s_cbranch_scc1 .LBB30_1070
; %bb.1065:
	s_cmp_gt_i32 s28, 27
	s_cbranch_scc0 .LBB30_1067
; %bb.1066:
	s_mov_b32 s29, 0
	global_store_b32 v[0:1], v2, off
.LBB30_1067:
	s_and_not1_b32 vcc_lo, exec_lo, s29
	s_cbranch_vccnz .LBB30_1069
; %bb.1068:
	global_store_b16 v[0:1], v2, off
.LBB30_1069:
	s_mov_b32 s29, 0
.LBB30_1070:
	s_delay_alu instid0(SALU_CYCLE_1)
	s_and_not1_b32 vcc_lo, exec_lo, s29
	s_cbranch_vccnz .LBB30_1078
; %bb.1071:
	s_wait_xcnt 0x0
	s_delay_alu instid0(VALU_DEP_4) | instskip(SKIP_1) | instid1(VALU_DEP_1)
	v_clz_i32_u32_e32 v4, v3
	s_mov_b32 s29, exec_lo
	v_min_u32_e32 v6, 32, v4
	s_delay_alu instid0(VALU_DEP_1) | instskip(NEXT) | instid1(VALU_DEP_1)
	v_lshlrev_b64_e32 v[4:5], v6, v[2:3]
	v_min_u32_e32 v4, 1, v4
	s_delay_alu instid0(VALU_DEP_1) | instskip(SKIP_1) | instid1(VALU_DEP_2)
	v_dual_sub_nc_u32 v5, 32, v6 :: v_dual_bitop2_b32 v4, v5, v4 bitop3:0x54
	v_mov_b32_e32 v6, 0x80
	v_cvt_f32_u32_e32 v4, v4
	s_delay_alu instid0(VALU_DEP_1) | instskip(NEXT) | instid1(VALU_DEP_1)
	v_ldexp_f32 v5, v4, v5
	v_cmpx_gt_u32_e32 0x43800000, v5
	s_cbranch_execz .LBB30_1077
; %bb.1072:
	s_mov_b32 s30, 0
	s_mov_b32 s31, exec_lo
                                        ; implicit-def: $vgpr4
	v_cmpx_lt_u32_e32 0x3bffffff, v5
	s_xor_b32 s31, exec_lo, s31
	s_cbranch_execz .LBB30_1180
; %bb.1073:
	v_bfe_u32 v4, v5, 20, 1
	s_mov_b32 s30, exec_lo
	s_delay_alu instid0(VALU_DEP_1) | instskip(NEXT) | instid1(VALU_DEP_1)
	v_add3_u32 v4, v5, v4, 0x487ffff
                                        ; implicit-def: $vgpr5
	v_lshrrev_b32_e32 v4, 20, v4
	s_and_not1_saveexec_b32 s31, s31
	s_cbranch_execnz .LBB30_1181
.LBB30_1074:
	s_or_b32 exec_lo, exec_lo, s31
	v_mov_b32_e32 v6, 0
	s_and_saveexec_b32 s31, s30
.LBB30_1075:
	v_mov_b32_e32 v6, v4
.LBB30_1076:
	s_or_b32 exec_lo, exec_lo, s31
.LBB30_1077:
	s_delay_alu instid0(SALU_CYCLE_1)
	s_or_b32 exec_lo, exec_lo, s29
	global_store_b8 v[0:1], v6, off
.LBB30_1078:
	s_mov_b32 s29, -1
.LBB30_1079:
	s_mov_b32 s30, 0
.LBB30_1080:
	s_delay_alu instid0(SALU_CYCLE_1)
	s_and_b32 vcc_lo, exec_lo, s30
	s_cbranch_vccz .LBB30_1121
; %bb.1081:
	s_cmp_gt_i32 s28, 22
	s_mov_b32 s30, -1
	s_cbranch_scc0 .LBB30_1113
; %bb.1082:
	s_cmp_lt_i32 s28, 24
	s_mov_b32 s29, -1
	s_cbranch_scc1 .LBB30_1102
; %bb.1083:
	s_cmp_gt_i32 s28, 24
	s_cbranch_scc0 .LBB30_1091
; %bb.1084:
	s_wait_xcnt 0x0
	s_delay_alu instid0(VALU_DEP_4) | instskip(SKIP_1) | instid1(VALU_DEP_1)
	v_clz_i32_u32_e32 v4, v3
	s_mov_b32 s29, exec_lo
	v_min_u32_e32 v6, 32, v4
	s_delay_alu instid0(VALU_DEP_1) | instskip(NEXT) | instid1(VALU_DEP_1)
	v_lshlrev_b64_e32 v[4:5], v6, v[2:3]
	v_min_u32_e32 v4, 1, v4
	s_delay_alu instid0(VALU_DEP_1) | instskip(SKIP_1) | instid1(VALU_DEP_2)
	v_dual_sub_nc_u32 v5, 32, v6 :: v_dual_bitop2_b32 v4, v5, v4 bitop3:0x54
	v_mov_b32_e32 v6, 0x80
	v_cvt_f32_u32_e32 v4, v4
	s_delay_alu instid0(VALU_DEP_1) | instskip(NEXT) | instid1(VALU_DEP_1)
	v_ldexp_f32 v5, v4, v5
	v_cmpx_gt_u32_e32 0x47800000, v5
	s_cbranch_execz .LBB30_1090
; %bb.1085:
	s_mov_b32 s30, 0
	s_mov_b32 s31, exec_lo
                                        ; implicit-def: $vgpr4
	v_cmpx_lt_u32_e32 0x37ffffff, v5
	s_xor_b32 s31, exec_lo, s31
	s_cbranch_execz .LBB30_2203
; %bb.1086:
	v_bfe_u32 v4, v5, 21, 1
	s_mov_b32 s30, exec_lo
	s_delay_alu instid0(VALU_DEP_1) | instskip(NEXT) | instid1(VALU_DEP_1)
	v_add3_u32 v4, v5, v4, 0x88fffff
                                        ; implicit-def: $vgpr5
	v_lshrrev_b32_e32 v4, 21, v4
	s_and_not1_saveexec_b32 s31, s31
	s_cbranch_execnz .LBB30_2204
.LBB30_1087:
	s_or_b32 exec_lo, exec_lo, s31
	v_mov_b32_e32 v6, 0
	s_and_saveexec_b32 s31, s30
.LBB30_1088:
	v_mov_b32_e32 v6, v4
.LBB30_1089:
	s_or_b32 exec_lo, exec_lo, s31
.LBB30_1090:
	s_delay_alu instid0(SALU_CYCLE_1)
	s_or_b32 exec_lo, exec_lo, s29
	s_mov_b32 s29, 0
	global_store_b8 v[0:1], v6, off
.LBB30_1091:
	s_and_b32 vcc_lo, exec_lo, s29
	s_cbranch_vccz .LBB30_1101
; %bb.1092:
	s_wait_xcnt 0x0
	s_delay_alu instid0(VALU_DEP_4) | instskip(SKIP_1) | instid1(VALU_DEP_1)
	v_clz_i32_u32_e32 v4, v3
	s_mov_b32 s29, exec_lo
	v_min_u32_e32 v6, 32, v4
	s_delay_alu instid0(VALU_DEP_1) | instskip(NEXT) | instid1(VALU_DEP_1)
	v_lshlrev_b64_e32 v[4:5], v6, v[2:3]
	v_min_u32_e32 v4, 1, v4
	s_delay_alu instid0(VALU_DEP_1) | instskip(NEXT) | instid1(VALU_DEP_1)
	v_dual_sub_nc_u32 v5, 32, v6 :: v_dual_bitop2_b32 v4, v5, v4 bitop3:0x54
	v_cvt_f32_u32_e32 v4, v4
	s_delay_alu instid0(VALU_DEP_1) | instskip(NEXT) | instid1(VALU_DEP_1)
	v_ldexp_f32 v5, v4, v5
                                        ; implicit-def: $vgpr4
	v_cmpx_gt_u32_e32 0x43f00000, v5
	s_xor_b32 s29, exec_lo, s29
	s_cbranch_execz .LBB30_1098
; %bb.1093:
	s_mov_b32 s30, exec_lo
                                        ; implicit-def: $vgpr4
	v_cmpx_lt_u32_e32 0x3c7fffff, v5
	s_xor_b32 s30, exec_lo, s30
; %bb.1094:
	v_bfe_u32 v4, v5, 20, 1
	s_delay_alu instid0(VALU_DEP_1) | instskip(NEXT) | instid1(VALU_DEP_1)
	v_add3_u32 v4, v5, v4, 0x407ffff
	v_and_b32_e32 v5, 0xff00000, v4
	v_lshrrev_b32_e32 v4, 20, v4
	s_delay_alu instid0(VALU_DEP_2) | instskip(NEXT) | instid1(VALU_DEP_2)
	v_cmp_ne_u32_e32 vcc_lo, 0x7f00000, v5
                                        ; implicit-def: $vgpr5
	v_cndmask_b32_e32 v4, 0x7e, v4, vcc_lo
; %bb.1095:
	s_and_not1_saveexec_b32 s30, s30
; %bb.1096:
	v_add_f32_e32 v4, 0x46800000, v5
; %bb.1097:
	s_or_b32 exec_lo, exec_lo, s30
                                        ; implicit-def: $vgpr5
.LBB30_1098:
	s_and_not1_saveexec_b32 s29, s29
; %bb.1099:
	v_mov_b32_e32 v4, 0x7f
	v_cmp_lt_u32_e32 vcc_lo, 0x7f800000, v5
	s_delay_alu instid0(VALU_DEP_2)
	v_cndmask_b32_e32 v4, 0x7e, v4, vcc_lo
; %bb.1100:
	s_or_b32 exec_lo, exec_lo, s29
	global_store_b8 v[0:1], v4, off
.LBB30_1101:
	s_mov_b32 s29, 0
.LBB30_1102:
	s_delay_alu instid0(SALU_CYCLE_1)
	s_and_not1_b32 vcc_lo, exec_lo, s29
	s_cbranch_vccnz .LBB30_1112
; %bb.1103:
	s_wait_xcnt 0x0
	s_delay_alu instid0(VALU_DEP_4) | instskip(SKIP_1) | instid1(VALU_DEP_1)
	v_clz_i32_u32_e32 v4, v3
	s_mov_b32 s29, exec_lo
	v_min_u32_e32 v6, 32, v4
	s_delay_alu instid0(VALU_DEP_1) | instskip(NEXT) | instid1(VALU_DEP_1)
	v_lshlrev_b64_e32 v[4:5], v6, v[2:3]
	v_min_u32_e32 v4, 1, v4
	s_delay_alu instid0(VALU_DEP_1) | instskip(NEXT) | instid1(VALU_DEP_1)
	v_dual_sub_nc_u32 v5, 32, v6 :: v_dual_bitop2_b32 v4, v5, v4 bitop3:0x54
	v_cvt_f32_u32_e32 v4, v4
	s_delay_alu instid0(VALU_DEP_1) | instskip(NEXT) | instid1(VALU_DEP_1)
	v_ldexp_f32 v5, v4, v5
                                        ; implicit-def: $vgpr4
	v_cmpx_gt_u32_e32 0x47800000, v5
	s_xor_b32 s29, exec_lo, s29
	s_cbranch_execz .LBB30_1109
; %bb.1104:
	s_mov_b32 s30, exec_lo
                                        ; implicit-def: $vgpr4
	v_cmpx_lt_u32_e32 0x387fffff, v5
	s_xor_b32 s30, exec_lo, s30
; %bb.1105:
	v_bfe_u32 v4, v5, 21, 1
	s_delay_alu instid0(VALU_DEP_1) | instskip(NEXT) | instid1(VALU_DEP_1)
	v_add3_u32 v4, v5, v4, 0x80fffff
                                        ; implicit-def: $vgpr5
	v_lshrrev_b32_e32 v4, 21, v4
; %bb.1106:
	s_and_not1_saveexec_b32 s30, s30
; %bb.1107:
	v_add_f32_e32 v4, 0x43000000, v5
; %bb.1108:
	s_or_b32 exec_lo, exec_lo, s30
                                        ; implicit-def: $vgpr5
.LBB30_1109:
	s_and_not1_saveexec_b32 s29, s29
; %bb.1110:
	v_mov_b32_e32 v4, 0x7f
	v_cmp_lt_u32_e32 vcc_lo, 0x7f800000, v5
	s_delay_alu instid0(VALU_DEP_2)
	v_cndmask_b32_e32 v4, 0x7c, v4, vcc_lo
; %bb.1111:
	s_or_b32 exec_lo, exec_lo, s29
	global_store_b8 v[0:1], v4, off
.LBB30_1112:
	s_mov_b32 s30, 0
	s_mov_b32 s29, -1
.LBB30_1113:
	s_and_not1_b32 vcc_lo, exec_lo, s30
	s_cbranch_vccnz .LBB30_1121
; %bb.1114:
	s_cmp_gt_i32 s28, 14
	s_mov_b32 s30, -1
	s_cbranch_scc0 .LBB30_1118
; %bb.1115:
	s_cmp_eq_u32 s28, 15
	s_mov_b32 s0, -1
	s_cbranch_scc0 .LBB30_1117
; %bb.1116:
	s_wait_xcnt 0x0
	s_delay_alu instid0(VALU_DEP_4) | instskip(SKIP_2) | instid1(VALU_DEP_1)
	v_clz_i32_u32_e32 v4, v3
	s_mov_b32 s29, -1
	s_mov_b32 s0, 0
	v_min_u32_e32 v6, 32, v4
	s_delay_alu instid0(VALU_DEP_1) | instskip(NEXT) | instid1(VALU_DEP_1)
	v_lshlrev_b64_e32 v[4:5], v6, v[2:3]
	v_min_u32_e32 v4, 1, v4
	s_delay_alu instid0(VALU_DEP_1) | instskip(NEXT) | instid1(VALU_DEP_1)
	v_dual_sub_nc_u32 v5, 32, v6 :: v_dual_bitop2_b32 v4, v5, v4 bitop3:0x54
	v_cvt_f32_u32_e32 v4, v4
	s_delay_alu instid0(VALU_DEP_1) | instskip(NEXT) | instid1(VALU_DEP_1)
	v_ldexp_f32 v4, v4, v5
	v_bfe_u32 v5, v4, 16, 1
	s_delay_alu instid0(VALU_DEP_1)
	v_add3_u32 v4, v4, v5, 0x7fff
	global_store_d16_hi_b16 v[0:1], v4, off
.LBB30_1117:
	s_mov_b32 s30, 0
.LBB30_1118:
	s_delay_alu instid0(SALU_CYCLE_1)
	s_and_b32 vcc_lo, exec_lo, s30
	s_cbranch_vccz .LBB30_1121
; %bb.1119:
	s_cmp_eq_u32 s28, 11
	s_mov_b32 s0, -1
	s_cbranch_scc0 .LBB30_1121
; %bb.1120:
	v_cmp_ne_u64_e32 vcc_lo, 0, v[2:3]
	s_mov_b32 s29, -1
	s_mov_b32 s0, 0
	s_wait_xcnt 0x0
	v_cndmask_b32_e64 v4, 0, 1, vcc_lo
	global_store_b8 v[0:1], v4, off
.LBB30_1121:
	s_mov_b32 s28, 0
.LBB30_1122:
	s_delay_alu instid0(SALU_CYCLE_1)
	s_and_b32 vcc_lo, exec_lo, s28
	s_cbranch_vccz .LBB30_1161
; %bb.1123:
	s_and_b32 s27, 0xffff, s27
	s_mov_b32 s28, -1
	s_cmp_lt_i32 s27, 5
	s_cbranch_scc1 .LBB30_1144
; %bb.1124:
	s_cmp_lt_i32 s27, 8
	s_cbranch_scc1 .LBB30_1134
; %bb.1125:
	;; [unrolled: 3-line block ×3, first 2 shown]
	s_cmp_gt_i32 s27, 9
	s_cbranch_scc0 .LBB30_1128
; %bb.1127:
	s_wait_xcnt 0x0
	s_delay_alu instid0(VALU_DEP_4) | instskip(SKIP_2) | instid1(VALU_DEP_2)
	v_cvt_f64_u32_e32 v[4:5], v3
	v_cvt_f64_u32_e32 v[6:7], v2
	s_mov_b32 s28, 0
	v_ldexp_f64 v[4:5], v[4:5], 32
	s_delay_alu instid0(VALU_DEP_1) | instskip(NEXT) | instid1(VALU_DEP_1)
	v_dual_add_f64 v[4:5], v[4:5], v[6:7] :: v_dual_mov_b32 v6, 0
	v_mov_b32_e32 v7, v6
	global_store_b128 v[0:1], v[4:7], off
.LBB30_1128:
	s_and_not1_b32 vcc_lo, exec_lo, s28
	s_cbranch_vccnz .LBB30_1130
; %bb.1129:
	s_wait_xcnt 0x0
	s_delay_alu instid0(VALU_DEP_4) | instskip(NEXT) | instid1(VALU_DEP_1)
	v_clz_i32_u32_e32 v4, v3
	v_min_u32_e32 v6, 32, v4
	s_delay_alu instid0(VALU_DEP_1) | instskip(NEXT) | instid1(VALU_DEP_1)
	v_lshlrev_b64_e32 v[4:5], v6, v[2:3]
	v_min_u32_e32 v4, 1, v4
	s_delay_alu instid0(VALU_DEP_1) | instskip(NEXT) | instid1(VALU_DEP_1)
	v_dual_sub_nc_u32 v5, 32, v6 :: v_dual_bitop2_b32 v4, v5, v4 bitop3:0x54
	v_cvt_f32_u32_e32 v4, v4
	s_delay_alu instid0(VALU_DEP_1)
	v_ldexp_f32 v4, v4, v5
	v_mov_b32_e32 v5, 0
	global_store_b64 v[0:1], v[4:5], off
.LBB30_1130:
	s_mov_b32 s28, 0
.LBB30_1131:
	s_delay_alu instid0(SALU_CYCLE_1)
	s_and_not1_b32 vcc_lo, exec_lo, s28
	s_cbranch_vccnz .LBB30_1133
; %bb.1132:
	s_wait_xcnt 0x0
	s_delay_alu instid0(VALU_DEP_4) | instskip(NEXT) | instid1(VALU_DEP_1)
	v_clz_i32_u32_e32 v4, v3
	v_min_u32_e32 v6, 32, v4
	s_delay_alu instid0(VALU_DEP_1) | instskip(NEXT) | instid1(VALU_DEP_1)
	v_lshlrev_b64_e32 v[4:5], v6, v[2:3]
	v_min_u32_e32 v4, 1, v4
	s_delay_alu instid0(VALU_DEP_1) | instskip(NEXT) | instid1(VALU_DEP_1)
	v_dual_sub_nc_u32 v5, 32, v6 :: v_dual_bitop2_b32 v4, v5, v4 bitop3:0x54
	v_cvt_f32_u32_e32 v4, v4
	s_delay_alu instid0(VALU_DEP_1) | instskip(NEXT) | instid1(VALU_DEP_1)
	v_ldexp_f32 v4, v4, v5
	v_cvt_f16_f32_e32 v4, v4
	s_delay_alu instid0(VALU_DEP_1)
	v_and_b32_e32 v4, 0xffff, v4
	global_store_b32 v[0:1], v4, off
.LBB30_1133:
	s_mov_b32 s28, 0
.LBB30_1134:
	s_delay_alu instid0(SALU_CYCLE_1)
	s_and_not1_b32 vcc_lo, exec_lo, s28
	s_cbranch_vccnz .LBB30_1143
; %bb.1135:
	s_cmp_lt_i32 s27, 6
	s_mov_b32 s28, -1
	s_cbranch_scc1 .LBB30_1141
; %bb.1136:
	s_cmp_gt_i32 s27, 6
	s_cbranch_scc0 .LBB30_1138
; %bb.1137:
	s_wait_xcnt 0x0
	s_delay_alu instid0(VALU_DEP_4) | instskip(SKIP_2) | instid1(VALU_DEP_2)
	v_cvt_f64_u32_e32 v[4:5], v3
	v_cvt_f64_u32_e32 v[6:7], v2
	s_mov_b32 s28, 0
	v_ldexp_f64 v[4:5], v[4:5], 32
	s_delay_alu instid0(VALU_DEP_1)
	v_add_f64_e32 v[4:5], v[4:5], v[6:7]
	global_store_b64 v[0:1], v[4:5], off
.LBB30_1138:
	s_and_not1_b32 vcc_lo, exec_lo, s28
	s_cbranch_vccnz .LBB30_1140
; %bb.1139:
	s_wait_xcnt 0x0
	v_clz_i32_u32_e32 v4, v3
	s_delay_alu instid0(VALU_DEP_1) | instskip(NEXT) | instid1(VALU_DEP_1)
	v_min_u32_e32 v6, 32, v4
	v_lshlrev_b64_e32 v[4:5], v6, v[2:3]
	s_delay_alu instid0(VALU_DEP_1) | instskip(NEXT) | instid1(VALU_DEP_1)
	v_min_u32_e32 v4, 1, v4
	v_dual_sub_nc_u32 v5, 32, v6 :: v_dual_bitop2_b32 v4, v5, v4 bitop3:0x54
	s_delay_alu instid0(VALU_DEP_1) | instskip(NEXT) | instid1(VALU_DEP_1)
	v_cvt_f32_u32_e32 v4, v4
	v_ldexp_f32 v4, v4, v5
	global_store_b32 v[0:1], v4, off
.LBB30_1140:
	s_mov_b32 s28, 0
.LBB30_1141:
	s_delay_alu instid0(SALU_CYCLE_1)
	s_and_not1_b32 vcc_lo, exec_lo, s28
	s_cbranch_vccnz .LBB30_1143
; %bb.1142:
	s_wait_xcnt 0x0
	s_delay_alu instid0(VALU_DEP_4) | instskip(NEXT) | instid1(VALU_DEP_1)
	v_clz_i32_u32_e32 v4, v3
	v_min_u32_e32 v6, 32, v4
	s_delay_alu instid0(VALU_DEP_1) | instskip(NEXT) | instid1(VALU_DEP_1)
	v_lshlrev_b64_e32 v[4:5], v6, v[2:3]
	v_min_u32_e32 v4, 1, v4
	s_delay_alu instid0(VALU_DEP_1) | instskip(NEXT) | instid1(VALU_DEP_1)
	v_dual_sub_nc_u32 v5, 32, v6 :: v_dual_bitop2_b32 v4, v5, v4 bitop3:0x54
	v_cvt_f32_u32_e32 v4, v4
	s_delay_alu instid0(VALU_DEP_1) | instskip(NEXT) | instid1(VALU_DEP_1)
	v_ldexp_f32 v4, v4, v5
	v_cvt_f16_f32_e32 v4, v4
	global_store_b16 v[0:1], v4, off
.LBB30_1143:
	s_mov_b32 s28, 0
.LBB30_1144:
	s_delay_alu instid0(SALU_CYCLE_1)
	s_and_not1_b32 vcc_lo, exec_lo, s28
	s_cbranch_vccnz .LBB30_1160
; %bb.1145:
	s_cmp_lt_i32 s27, 2
	s_mov_b32 s28, -1
	s_cbranch_scc1 .LBB30_1155
; %bb.1146:
	s_cmp_lt_i32 s27, 3
	s_cbranch_scc1 .LBB30_1152
; %bb.1147:
	s_cmp_gt_i32 s27, 3
	s_cbranch_scc0 .LBB30_1149
; %bb.1148:
	s_mov_b32 s28, 0
	global_store_b64 v[0:1], v[2:3], off
.LBB30_1149:
	s_and_not1_b32 vcc_lo, exec_lo, s28
	s_cbranch_vccnz .LBB30_1151
; %bb.1150:
	global_store_b32 v[0:1], v2, off
.LBB30_1151:
	s_mov_b32 s28, 0
.LBB30_1152:
	s_delay_alu instid0(SALU_CYCLE_1)
	s_and_not1_b32 vcc_lo, exec_lo, s28
	s_cbranch_vccnz .LBB30_1154
; %bb.1153:
	global_store_b16 v[0:1], v2, off
.LBB30_1154:
	s_mov_b32 s28, 0
.LBB30_1155:
	s_delay_alu instid0(SALU_CYCLE_1)
	s_and_not1_b32 vcc_lo, exec_lo, s28
	s_cbranch_vccnz .LBB30_1160
; %bb.1156:
	s_cmp_gt_i32 s27, 0
	s_mov_b32 s27, -1
	s_cbranch_scc0 .LBB30_1158
; %bb.1157:
	s_mov_b32 s27, 0
	global_store_b8 v[0:1], v2, off
.LBB30_1158:
	s_and_not1_b32 vcc_lo, exec_lo, s27
	s_cbranch_vccnz .LBB30_1160
; %bb.1159:
	global_store_b8 v[0:1], v2, off
.LBB30_1160:
	s_mov_b32 s29, -1
.LBB30_1161:
	s_delay_alu instid0(SALU_CYCLE_1)
	s_and_not1_b32 vcc_lo, exec_lo, s29
	s_cbranch_vccnz .LBB30_1163
; %bb.1162:
	v_add_nc_u32_e32 v16, 0x80, v16
	s_mov_b32 s28, -1
	s_branch .LBB30_1165
.LBB30_1163:
	s_mov_b32 s28, 0
.LBB30_1164:
                                        ; implicit-def: $vgpr16
.LBB30_1165:
	s_and_not1_b32 s27, s21, exec_lo
	s_and_b32 s0, s0, exec_lo
	s_and_b32 s26, s26, exec_lo
	s_or_b32 s27, s27, s0
	s_and_not1_b32 s0, s22, exec_lo
	s_and_not1_b32 s29, s20, exec_lo
	s_and_b32 s25, s25, exec_lo
	s_or_b32 s26, s0, s26
	s_or_b32 s25, s29, s25
	s_or_not1_b32 s31, s28, exec_lo
.LBB30_1166:
	s_wait_xcnt 0x0
	s_or_b32 exec_lo, exec_lo, s24
	s_mov_b32 s28, 0
	s_mov_b32 s29, 0
	s_mov_b32 s30, 0
                                        ; implicit-def: $sgpr0
                                        ; implicit-def: $vgpr2_vgpr3
                                        ; implicit-def: $vgpr0_vgpr1
	s_and_saveexec_b32 s24, s31
	s_cbranch_execz .LBB30_1245
; %bb.1167:
	v_cmp_gt_i32_e32 vcc_lo, s16, v16
	s_mov_b32 s33, s25
	s_mov_b32 s31, 0
	s_mov_b32 s34, 0
                                        ; implicit-def: $sgpr0
                                        ; implicit-def: $vgpr2_vgpr3
                                        ; implicit-def: $vgpr0_vgpr1
	s_and_saveexec_b32 s16, vcc_lo
	s_cbranch_execz .LBB30_1244
; %bb.1168:
	s_wait_loadcnt 0x0
	v_mul_lo_u32 v0, v16, s9
	s_and_b32 s0, s13, 0xff
	s_delay_alu instid0(SALU_CYCLE_1) | instskip(NEXT) | instid1(VALU_DEP_1)
	s_cmp_lt_i32 s0, 11
	v_ashrrev_i32_e32 v1, 31, v0
	s_delay_alu instid0(VALU_DEP_1)
	v_add_nc_u64_e32 v[2:3], s[6:7], v[0:1]
	s_cbranch_scc1 .LBB30_1175
; %bb.1169:
	s_and_b32 s28, 0xffff, s0
	s_delay_alu instid0(SALU_CYCLE_1)
	s_cmp_gt_i32 s28, 25
	s_cbranch_scc0 .LBB30_1176
; %bb.1170:
	s_cmp_gt_i32 s28, 28
	s_cbranch_scc0 .LBB30_1177
; %bb.1171:
	s_cmp_gt_i32 s28, 43
	s_cbranch_scc0 .LBB30_1178
; %bb.1172:
	s_cmp_gt_i32 s28, 45
	s_cbranch_scc0 .LBB30_1179
; %bb.1173:
	s_cmp_eq_u32 s28, 46
	s_mov_b32 s33, 0
	s_cbranch_scc0 .LBB30_1182
; %bb.1174:
	global_load_b32 v0, v[2:3], off
	s_mov_b32 s31, -1
	s_wait_loadcnt 0x0
	v_lshlrev_b32_e32 v0, 16, v0
	s_delay_alu instid0(VALU_DEP_1) | instskip(NEXT) | instid1(VALU_DEP_1)
	v_trunc_f32_e32 v0, v0
	v_mul_f32_e64 v1, 0x2f800000, |v0|
	s_delay_alu instid0(VALU_DEP_1) | instskip(NEXT) | instid1(VALU_DEP_1)
	v_floor_f32_e32 v1, v1
	v_fma_f32 v4, 0xcf800000, v1, |v0|
	v_ashrrev_i32_e32 v0, 31, v0
	v_cvt_u32_f32_e32 v5, v1
	s_delay_alu instid0(VALU_DEP_3) | instskip(NEXT) | instid1(VALU_DEP_2)
	v_cvt_u32_f32_e32 v4, v4
	v_dual_mov_b32 v1, v0 :: v_dual_bitop2_b32 v5, v5, v0 bitop3:0x14
	s_delay_alu instid0(VALU_DEP_2) | instskip(NEXT) | instid1(VALU_DEP_1)
	v_xor_b32_e32 v4, v4, v0
	v_sub_nc_u64_e32 v[0:1], v[4:5], v[0:1]
	s_branch .LBB30_1184
.LBB30_1175:
	s_mov_b32 s28, -1
	s_mov_b32 s29, s25
                                        ; implicit-def: $vgpr0_vgpr1
	s_branch .LBB30_1243
.LBB30_1176:
	s_mov_b32 s33, -1
	s_mov_b32 s29, s25
                                        ; implicit-def: $vgpr0_vgpr1
	s_branch .LBB30_1211
.LBB30_1177:
	s_mov_b32 s33, -1
	s_mov_b32 s29, s25
                                        ; implicit-def: $vgpr0_vgpr1
	s_branch .LBB30_1194
.LBB30_1178:
	s_mov_b32 s33, -1
	s_mov_b32 s29, s25
                                        ; implicit-def: $vgpr0_vgpr1
	s_branch .LBB30_1189
.LBB30_1179:
	s_mov_b32 s33, -1
	s_mov_b32 s29, s25
	s_branch .LBB30_1183
.LBB30_1180:
	s_and_not1_saveexec_b32 s31, s31
	s_cbranch_execz .LBB30_1074
.LBB30_1181:
	v_add_f32_e32 v4, 0x46000000, v5
	s_and_not1_b32 s30, s30, exec_lo
	s_delay_alu instid0(VALU_DEP_1) | instskip(NEXT) | instid1(VALU_DEP_1)
	v_and_b32_e32 v4, 0xff, v4
	v_cmp_ne_u32_e32 vcc_lo, 0, v4
	s_and_b32 s33, vcc_lo, exec_lo
	s_delay_alu instid0(SALU_CYCLE_1)
	s_or_b32 s30, s30, s33
	s_or_b32 exec_lo, exec_lo, s31
	v_mov_b32_e32 v6, 0
	s_and_saveexec_b32 s31, s30
	s_cbranch_execnz .LBB30_1075
	s_branch .LBB30_1076
.LBB30_1182:
	s_mov_b32 s29, -1
.LBB30_1183:
                                        ; implicit-def: $vgpr0_vgpr1
.LBB30_1184:
	s_and_b32 vcc_lo, exec_lo, s33
	s_cbranch_vccz .LBB30_1188
; %bb.1185:
	s_cmp_eq_u32 s28, 44
	s_cbranch_scc0 .LBB30_1187
; %bb.1186:
	global_load_u8 v6, v[2:3], off
	s_mov_b32 s29, 0
	s_mov_b32 s31, -1
	s_wait_loadcnt 0x0
	v_cmp_ne_u32_e32 vcc_lo, 0, v6
	v_lshlrev_b32_e32 v0, 23, v6
	s_delay_alu instid0(VALU_DEP_1) | instskip(NEXT) | instid1(VALU_DEP_1)
	v_trunc_f32_e32 v0, v0
	v_mul_f32_e64 v1, 0x2f800000, |v0|
	s_delay_alu instid0(VALU_DEP_1) | instskip(NEXT) | instid1(VALU_DEP_1)
	v_floor_f32_e32 v1, v1
	v_fma_f32 v4, 0xcf800000, v1, |v0|
	v_ashrrev_i32_e32 v0, 31, v0
	v_cvt_u32_f32_e32 v5, v1
	s_delay_alu instid0(VALU_DEP_3) | instskip(NEXT) | instid1(VALU_DEP_2)
	v_cvt_u32_f32_e32 v4, v4
	v_dual_mov_b32 v1, v0 :: v_dual_bitop2_b32 v5, v5, v0 bitop3:0x14
	s_delay_alu instid0(VALU_DEP_2) | instskip(NEXT) | instid1(VALU_DEP_1)
	v_xor_b32_e32 v4, v4, v0
	v_sub_nc_u64_e32 v[0:1], v[4:5], v[0:1]
	s_delay_alu instid0(VALU_DEP_1)
	v_dual_cndmask_b32 v1, 0, v1 :: v_dual_cndmask_b32 v0, 0, v0
	s_branch .LBB30_1188
.LBB30_1187:
	s_mov_b32 s29, -1
                                        ; implicit-def: $vgpr0_vgpr1
.LBB30_1188:
	s_mov_b32 s33, 0
.LBB30_1189:
	s_delay_alu instid0(SALU_CYCLE_1)
	s_and_b32 vcc_lo, exec_lo, s33
	s_cbranch_vccz .LBB30_1193
; %bb.1190:
	s_cmp_eq_u32 s28, 29
	s_cbranch_scc0 .LBB30_1192
; %bb.1191:
	global_load_b64 v[0:1], v[2:3], off
	s_mov_b32 s29, 0
	s_mov_b32 s31, -1
	s_branch .LBB30_1193
.LBB30_1192:
	s_mov_b32 s29, -1
                                        ; implicit-def: $vgpr0_vgpr1
.LBB30_1193:
	s_mov_b32 s33, 0
.LBB30_1194:
	s_delay_alu instid0(SALU_CYCLE_1)
	s_and_b32 vcc_lo, exec_lo, s33
	s_cbranch_vccz .LBB30_1210
; %bb.1195:
	s_cmp_lt_i32 s28, 27
	s_cbranch_scc1 .LBB30_1198
; %bb.1196:
	s_cmp_gt_i32 s28, 27
	s_cbranch_scc0 .LBB30_1199
; %bb.1197:
	s_wait_loadcnt 0x0
	global_load_b32 v0, v[2:3], off
	v_mov_b32_e32 v1, 0
	s_mov_b32 s31, 0
	s_branch .LBB30_1200
.LBB30_1198:
	s_mov_b32 s31, -1
                                        ; implicit-def: $vgpr0_vgpr1
	s_branch .LBB30_1203
.LBB30_1199:
	s_mov_b32 s31, -1
                                        ; implicit-def: $vgpr0_vgpr1
.LBB30_1200:
	s_delay_alu instid0(SALU_CYCLE_1)
	s_and_not1_b32 vcc_lo, exec_lo, s31
	s_cbranch_vccnz .LBB30_1202
; %bb.1201:
	s_wait_loadcnt 0x0
	global_load_u16 v0, v[2:3], off
	s_mov_b32 s31, 0
	s_delay_alu instid0(SALU_CYCLE_1)
	v_mov_b32_e32 v1, s31
	s_wait_loadcnt 0x0
	v_and_b32_e32 v0, 0xffff, v0
.LBB30_1202:
	s_mov_b32 s31, 0
.LBB30_1203:
	s_delay_alu instid0(SALU_CYCLE_1)
	s_and_not1_b32 vcc_lo, exec_lo, s31
	s_cbranch_vccnz .LBB30_1209
; %bb.1204:
	global_load_u8 v4, v[2:3], off
	s_mov_b32 s33, 0
	s_mov_b32 s31, exec_lo
	s_wait_loadcnt 0x0
	v_cmpx_lt_i16_e32 0x7f, v4
	s_xor_b32 s31, exec_lo, s31
	s_cbranch_execz .LBB30_1221
; %bb.1205:
	v_cmp_ne_u16_e32 vcc_lo, 0x80, v4
	s_and_b32 s33, vcc_lo, exec_lo
	s_and_not1_saveexec_b32 s31, s31
	s_cbranch_execnz .LBB30_1222
.LBB30_1206:
	s_or_b32 exec_lo, exec_lo, s31
	v_mov_b64_e32 v[0:1], 0
	s_and_saveexec_b32 s31, s33
	s_cbranch_execz .LBB30_1208
.LBB30_1207:
	v_and_b32_e32 v0, 0xffff, v4
	s_delay_alu instid0(VALU_DEP_1) | instskip(SKIP_1) | instid1(VALU_DEP_2)
	v_and_b32_e32 v1, 7, v0
	v_bfe_u32 v7, v0, 3, 4
	v_clz_i32_u32_e32 v5, v1
	s_delay_alu instid0(VALU_DEP_2) | instskip(NEXT) | instid1(VALU_DEP_2)
	v_cmp_eq_u32_e32 vcc_lo, 0, v7
	v_min_u32_e32 v5, 32, v5
	s_delay_alu instid0(VALU_DEP_1) | instskip(NEXT) | instid1(VALU_DEP_1)
	v_subrev_nc_u32_e32 v6, 28, v5
	v_dual_lshlrev_b32 v0, v6, v0 :: v_dual_sub_nc_u32 v5, 29, v5
	s_delay_alu instid0(VALU_DEP_1) | instskip(NEXT) | instid1(VALU_DEP_2)
	v_and_b32_e32 v0, 7, v0
	v_dual_cndmask_b32 v5, v7, v5 :: v_dual_lshlrev_b32 v4, 24, v4
	s_delay_alu instid0(VALU_DEP_2) | instskip(NEXT) | instid1(VALU_DEP_2)
	v_cndmask_b32_e32 v0, v1, v0, vcc_lo
	v_and_b32_e32 v1, 0x80000000, v4
	s_delay_alu instid0(VALU_DEP_3) | instskip(NEXT) | instid1(VALU_DEP_3)
	v_lshl_add_u32 v4, v5, 23, 0x3b800000
	v_lshlrev_b32_e32 v0, 20, v0
	s_delay_alu instid0(VALU_DEP_1) | instskip(NEXT) | instid1(VALU_DEP_1)
	v_or3_b32 v0, v1, v4, v0
	v_trunc_f32_e32 v0, v0
	s_delay_alu instid0(VALU_DEP_1) | instskip(NEXT) | instid1(VALU_DEP_1)
	v_mul_f32_e64 v1, 0x2f800000, |v0|
	v_floor_f32_e32 v1, v1
	s_delay_alu instid0(VALU_DEP_1) | instskip(SKIP_2) | instid1(VALU_DEP_3)
	v_fma_f32 v4, 0xcf800000, v1, |v0|
	v_ashrrev_i32_e32 v0, 31, v0
	v_cvt_u32_f32_e32 v5, v1
	v_cvt_u32_f32_e32 v4, v4
	s_delay_alu instid0(VALU_DEP_2) | instskip(NEXT) | instid1(VALU_DEP_2)
	v_dual_mov_b32 v1, v0 :: v_dual_bitop2_b32 v5, v5, v0 bitop3:0x14
	v_xor_b32_e32 v4, v4, v0
	s_delay_alu instid0(VALU_DEP_1)
	v_sub_nc_u64_e32 v[0:1], v[4:5], v[0:1]
.LBB30_1208:
	s_or_b32 exec_lo, exec_lo, s31
.LBB30_1209:
	s_mov_b32 s31, -1
.LBB30_1210:
	s_mov_b32 s33, 0
.LBB30_1211:
	s_delay_alu instid0(SALU_CYCLE_1)
	s_and_b32 vcc_lo, exec_lo, s33
	s_cbranch_vccz .LBB30_1242
; %bb.1212:
	s_cmp_gt_i32 s28, 22
	s_cbranch_scc0 .LBB30_1220
; %bb.1213:
	s_cmp_lt_i32 s28, 24
	s_cbranch_scc1 .LBB30_1223
; %bb.1214:
	s_cmp_gt_i32 s28, 24
	s_cbranch_scc0 .LBB30_1224
; %bb.1215:
	global_load_u8 v4, v[2:3], off
	s_mov_b32 s31, 0
	s_mov_b32 s30, exec_lo
	s_wait_loadcnt 0x0
	v_cmpx_lt_i16_e32 0x7f, v4
	s_xor_b32 s30, exec_lo, s30
	s_cbranch_execz .LBB30_1236
; %bb.1216:
	v_cmp_ne_u16_e32 vcc_lo, 0x80, v4
	s_and_b32 s31, vcc_lo, exec_lo
	s_and_not1_saveexec_b32 s30, s30
	s_cbranch_execnz .LBB30_1237
.LBB30_1217:
	s_or_b32 exec_lo, exec_lo, s30
	v_mov_b64_e32 v[0:1], 0
	s_and_saveexec_b32 s30, s31
	s_cbranch_execz .LBB30_1219
.LBB30_1218:
	v_and_b32_e32 v0, 0xffff, v4
	s_delay_alu instid0(VALU_DEP_1) | instskip(SKIP_1) | instid1(VALU_DEP_2)
	v_and_b32_e32 v1, 3, v0
	v_bfe_u32 v7, v0, 2, 5
	v_clz_i32_u32_e32 v5, v1
	s_delay_alu instid0(VALU_DEP_2) | instskip(NEXT) | instid1(VALU_DEP_2)
	v_cmp_eq_u32_e32 vcc_lo, 0, v7
	v_min_u32_e32 v5, 32, v5
	s_delay_alu instid0(VALU_DEP_1) | instskip(NEXT) | instid1(VALU_DEP_1)
	v_subrev_nc_u32_e32 v6, 29, v5
	v_dual_lshlrev_b32 v0, v6, v0 :: v_dual_sub_nc_u32 v5, 30, v5
	s_delay_alu instid0(VALU_DEP_1) | instskip(NEXT) | instid1(VALU_DEP_2)
	v_and_b32_e32 v0, 3, v0
	v_dual_cndmask_b32 v5, v7, v5 :: v_dual_lshlrev_b32 v4, 24, v4
	s_delay_alu instid0(VALU_DEP_2) | instskip(NEXT) | instid1(VALU_DEP_2)
	v_cndmask_b32_e32 v0, v1, v0, vcc_lo
	v_and_b32_e32 v1, 0x80000000, v4
	s_delay_alu instid0(VALU_DEP_3) | instskip(NEXT) | instid1(VALU_DEP_3)
	v_lshl_add_u32 v4, v5, 23, 0x37800000
	v_lshlrev_b32_e32 v0, 21, v0
	s_delay_alu instid0(VALU_DEP_1) | instskip(NEXT) | instid1(VALU_DEP_1)
	v_or3_b32 v0, v1, v4, v0
	v_trunc_f32_e32 v0, v0
	s_delay_alu instid0(VALU_DEP_1) | instskip(NEXT) | instid1(VALU_DEP_1)
	v_mul_f32_e64 v1, 0x2f800000, |v0|
	v_floor_f32_e32 v1, v1
	s_delay_alu instid0(VALU_DEP_1) | instskip(SKIP_2) | instid1(VALU_DEP_3)
	v_fma_f32 v4, 0xcf800000, v1, |v0|
	v_ashrrev_i32_e32 v0, 31, v0
	v_cvt_u32_f32_e32 v5, v1
	v_cvt_u32_f32_e32 v4, v4
	s_delay_alu instid0(VALU_DEP_2) | instskip(NEXT) | instid1(VALU_DEP_2)
	v_dual_mov_b32 v1, v0 :: v_dual_bitop2_b32 v5, v5, v0 bitop3:0x14
	v_xor_b32_e32 v4, v4, v0
	s_delay_alu instid0(VALU_DEP_1)
	v_sub_nc_u64_e32 v[0:1], v[4:5], v[0:1]
.LBB30_1219:
	s_or_b32 exec_lo, exec_lo, s30
	s_mov_b32 s30, 0
	s_branch .LBB30_1225
.LBB30_1220:
	s_mov_b32 s30, -1
                                        ; implicit-def: $vgpr0_vgpr1
	s_branch .LBB30_1231
.LBB30_1221:
	s_and_not1_saveexec_b32 s31, s31
	s_cbranch_execz .LBB30_1206
.LBB30_1222:
	v_cmp_ne_u16_e32 vcc_lo, 0, v4
	s_and_not1_b32 s33, s33, exec_lo
	s_and_b32 s34, vcc_lo, exec_lo
	s_delay_alu instid0(SALU_CYCLE_1)
	s_or_b32 s33, s33, s34
	s_or_b32 exec_lo, exec_lo, s31
	v_mov_b64_e32 v[0:1], 0
	s_and_saveexec_b32 s31, s33
	s_cbranch_execnz .LBB30_1207
	s_branch .LBB30_1208
.LBB30_1223:
	s_mov_b32 s30, -1
                                        ; implicit-def: $vgpr0_vgpr1
	s_branch .LBB30_1228
.LBB30_1224:
	s_mov_b32 s30, -1
                                        ; implicit-def: $vgpr0_vgpr1
.LBB30_1225:
	s_delay_alu instid0(SALU_CYCLE_1)
	s_and_b32 vcc_lo, exec_lo, s30
	s_cbranch_vccz .LBB30_1227
; %bb.1226:
	s_wait_loadcnt 0x0
	global_load_u8 v0, v[2:3], off
	s_wait_loadcnt 0x0
	v_lshlrev_b32_e32 v0, 24, v0
	s_delay_alu instid0(VALU_DEP_1) | instskip(NEXT) | instid1(VALU_DEP_1)
	v_and_b32_e32 v1, 0x7f000000, v0
	v_clz_i32_u32_e32 v4, v1
	v_cmp_ne_u32_e32 vcc_lo, 0, v1
	v_add_nc_u32_e32 v6, 0x1000000, v1
	s_delay_alu instid0(VALU_DEP_3) | instskip(NEXT) | instid1(VALU_DEP_1)
	v_min_u32_e32 v4, 32, v4
	v_sub_nc_u32_e64 v4, v4, 4 clamp
	s_delay_alu instid0(VALU_DEP_1) | instskip(NEXT) | instid1(VALU_DEP_1)
	v_dual_lshlrev_b32 v5, v4, v1 :: v_dual_lshlrev_b32 v4, 23, v4
	v_lshrrev_b32_e32 v5, 4, v5
	s_delay_alu instid0(VALU_DEP_1) | instskip(NEXT) | instid1(VALU_DEP_1)
	v_dual_sub_nc_u32 v4, v5, v4 :: v_dual_ashrrev_i32 v5, 8, v6
	v_add_nc_u32_e32 v4, 0x3c000000, v4
	s_delay_alu instid0(VALU_DEP_1) | instskip(NEXT) | instid1(VALU_DEP_1)
	v_and_or_b32 v4, 0x7f800000, v5, v4
	v_cndmask_b32_e32 v1, 0, v4, vcc_lo
	s_delay_alu instid0(VALU_DEP_1) | instskip(NEXT) | instid1(VALU_DEP_1)
	v_and_or_b32 v0, 0x80000000, v0, v1
	v_trunc_f32_e32 v0, v0
	s_delay_alu instid0(VALU_DEP_1) | instskip(NEXT) | instid1(VALU_DEP_1)
	v_mul_f32_e64 v1, 0x2f800000, |v0|
	v_floor_f32_e32 v1, v1
	s_delay_alu instid0(VALU_DEP_1) | instskip(SKIP_2) | instid1(VALU_DEP_3)
	v_fma_f32 v4, 0xcf800000, v1, |v0|
	v_ashrrev_i32_e32 v0, 31, v0
	v_cvt_u32_f32_e32 v5, v1
	v_cvt_u32_f32_e32 v4, v4
	s_delay_alu instid0(VALU_DEP_2) | instskip(NEXT) | instid1(VALU_DEP_2)
	v_dual_mov_b32 v1, v0 :: v_dual_bitop2_b32 v5, v5, v0 bitop3:0x14
	v_xor_b32_e32 v4, v4, v0
	s_delay_alu instid0(VALU_DEP_1)
	v_sub_nc_u64_e32 v[0:1], v[4:5], v[0:1]
.LBB30_1227:
	s_mov_b32 s30, 0
.LBB30_1228:
	s_delay_alu instid0(SALU_CYCLE_1)
	s_and_not1_b32 vcc_lo, exec_lo, s30
	s_cbranch_vccnz .LBB30_1230
; %bb.1229:
	s_wait_loadcnt 0x0
	global_load_u8 v0, v[2:3], off
	s_wait_loadcnt 0x0
	v_lshlrev_b32_e32 v1, 25, v0
	v_lshlrev_b16 v0, 8, v0
	s_delay_alu instid0(VALU_DEP_1) | instskip(SKIP_1) | instid1(VALU_DEP_2)
	v_and_or_b32 v5, 0x7f00, v0, 0.5
	v_bfe_i32 v0, v0, 0, 16
	v_add_f32_e32 v5, -0.5, v5
	v_lshrrev_b32_e32 v4, 4, v1
	v_cmp_gt_u32_e32 vcc_lo, 0x8000000, v1
	s_delay_alu instid0(VALU_DEP_2) | instskip(NEXT) | instid1(VALU_DEP_1)
	v_or_b32_e32 v4, 0x70000000, v4
	v_mul_f32_e32 v4, 0x7800000, v4
	s_delay_alu instid0(VALU_DEP_1) | instskip(NEXT) | instid1(VALU_DEP_1)
	v_cndmask_b32_e32 v1, v4, v5, vcc_lo
	v_and_or_b32 v0, 0x80000000, v0, v1
	s_delay_alu instid0(VALU_DEP_1) | instskip(NEXT) | instid1(VALU_DEP_1)
	v_trunc_f32_e32 v0, v0
	v_mul_f32_e64 v1, 0x2f800000, |v0|
	s_delay_alu instid0(VALU_DEP_1) | instskip(NEXT) | instid1(VALU_DEP_1)
	v_floor_f32_e32 v1, v1
	v_fma_f32 v4, 0xcf800000, v1, |v0|
	v_ashrrev_i32_e32 v0, 31, v0
	v_cvt_u32_f32_e32 v5, v1
	s_delay_alu instid0(VALU_DEP_3) | instskip(NEXT) | instid1(VALU_DEP_2)
	v_cvt_u32_f32_e32 v4, v4
	v_dual_mov_b32 v1, v0 :: v_dual_bitop2_b32 v5, v5, v0 bitop3:0x14
	s_delay_alu instid0(VALU_DEP_2) | instskip(NEXT) | instid1(VALU_DEP_1)
	v_xor_b32_e32 v4, v4, v0
	v_sub_nc_u64_e32 v[0:1], v[4:5], v[0:1]
.LBB30_1230:
	s_mov_b32 s30, 0
	s_mov_b32 s31, -1
.LBB30_1231:
	s_and_not1_b32 vcc_lo, exec_lo, s30
	s_mov_b32 s30, 0
	s_cbranch_vccnz .LBB30_1242
; %bb.1232:
	s_cmp_gt_i32 s28, 14
	s_cbranch_scc0 .LBB30_1235
; %bb.1233:
	s_cmp_eq_u32 s28, 15
	s_cbranch_scc0 .LBB30_1238
; %bb.1234:
	s_wait_loadcnt 0x0
	global_load_u16 v0, v[2:3], off
	s_mov_b32 s29, 0
	s_mov_b32 s31, -1
	s_wait_loadcnt 0x0
	v_lshlrev_b32_e32 v0, 16, v0
	s_delay_alu instid0(VALU_DEP_1) | instskip(NEXT) | instid1(VALU_DEP_1)
	v_trunc_f32_e32 v0, v0
	v_mul_f32_e64 v1, 0x2f800000, |v0|
	s_delay_alu instid0(VALU_DEP_1) | instskip(NEXT) | instid1(VALU_DEP_1)
	v_floor_f32_e32 v1, v1
	v_fma_f32 v4, 0xcf800000, v1, |v0|
	v_ashrrev_i32_e32 v0, 31, v0
	v_cvt_u32_f32_e32 v5, v1
	s_delay_alu instid0(VALU_DEP_3) | instskip(NEXT) | instid1(VALU_DEP_2)
	v_cvt_u32_f32_e32 v4, v4
	v_dual_mov_b32 v1, v0 :: v_dual_bitop2_b32 v5, v5, v0 bitop3:0x14
	s_delay_alu instid0(VALU_DEP_2) | instskip(NEXT) | instid1(VALU_DEP_1)
	v_xor_b32_e32 v4, v4, v0
	v_sub_nc_u64_e32 v[0:1], v[4:5], v[0:1]
	s_branch .LBB30_1240
.LBB30_1235:
	s_mov_b32 s30, -1
	s_branch .LBB30_1239
.LBB30_1236:
	s_and_not1_saveexec_b32 s30, s30
	s_cbranch_execz .LBB30_1217
.LBB30_1237:
	v_cmp_ne_u16_e32 vcc_lo, 0, v4
	s_and_not1_b32 s31, s31, exec_lo
	s_and_b32 s33, vcc_lo, exec_lo
	s_delay_alu instid0(SALU_CYCLE_1)
	s_or_b32 s31, s31, s33
	s_or_b32 exec_lo, exec_lo, s30
	v_mov_b64_e32 v[0:1], 0
	s_and_saveexec_b32 s30, s31
	s_cbranch_execnz .LBB30_1218
	s_branch .LBB30_1219
.LBB30_1238:
	s_mov_b32 s29, -1
.LBB30_1239:
                                        ; implicit-def: $vgpr0_vgpr1
.LBB30_1240:
	s_and_b32 vcc_lo, exec_lo, s30
	s_mov_b32 s30, 0
	s_cbranch_vccz .LBB30_1242
; %bb.1241:
	s_cmp_lg_u32 s28, 11
	s_mov_b32 s30, -1
	s_cselect_b32 s28, -1, 0
	s_and_not1_b32 s29, s29, exec_lo
	s_and_b32 s28, s28, exec_lo
	s_delay_alu instid0(SALU_CYCLE_1)
	s_or_b32 s29, s29, s28
.LBB30_1242:
	s_mov_b32 s28, 0
.LBB30_1243:
	s_and_not1_b32 s33, s25, exec_lo
	s_and_b32 s29, s29, exec_lo
	s_and_b32 s34, s31, exec_lo
	;; [unrolled: 1-line block ×4, first 2 shown]
	s_or_b32 s33, s33, s29
.LBB30_1244:
	s_wait_xcnt 0x0
	s_or_b32 exec_lo, exec_lo, s16
	s_delay_alu instid0(SALU_CYCLE_1)
	s_and_not1_b32 s16, s25, exec_lo
	s_and_b32 s25, s33, exec_lo
	s_and_b32 s30, s34, exec_lo
	;; [unrolled: 1-line block ×4, first 2 shown]
	s_or_b32 s25, s16, s25
.LBB30_1245:
	s_or_b32 exec_lo, exec_lo, s24
	s_delay_alu instid0(SALU_CYCLE_1)
	s_and_not1_b32 s16, s21, exec_lo
	s_and_b32 s21, s27, exec_lo
	s_and_not1_b32 s22, s22, exec_lo
	s_and_b32 s24, s26, exec_lo
	s_or_b32 s21, s16, s21
	s_and_not1_b32 s16, s20, exec_lo
	s_and_b32 s20, s25, exec_lo
	s_or_b32 s22, s22, s24
	s_and_b32 s27, s30, exec_lo
	s_and_b32 s26, s29, exec_lo
	;; [unrolled: 1-line block ×3, first 2 shown]
	s_or_b32 s20, s16, s20
.LBB30_1246:
	s_or_b32 exec_lo, exec_lo, s23
	s_delay_alu instid0(SALU_CYCLE_1)
	s_and_not1_b32 s15, s15, exec_lo
	s_and_b32 s16, s21, exec_lo
	s_and_not1_b32 s17, s17, exec_lo
	s_and_b32 s21, s22, exec_lo
	s_or_b32 s15, s15, s16
	s_and_not1_b32 s16, s18, exec_lo
	s_and_b32 s18, s20, exec_lo
	s_or_b32 s17, s17, s21
	s_and_b32 s21, s27, exec_lo
	s_and_b32 s22, s26, exec_lo
	;; [unrolled: 1-line block ×3, first 2 shown]
	s_or_b32 s18, s16, s18
	s_or_b32 exec_lo, exec_lo, s19
	s_mov_b32 s16, 0
	s_and_saveexec_b32 s19, s18
	s_cbranch_execz .LBB30_392
.LBB30_1247:
	s_mov_b32 s16, exec_lo
	s_and_not1_b32 s20, s20, exec_lo
	s_trap 2
	s_or_b32 exec_lo, exec_lo, s19
	s_and_saveexec_b32 s18, s20
	s_delay_alu instid0(SALU_CYCLE_1)
	s_xor_b32 s18, exec_lo, s18
	s_cbranch_execnz .LBB30_393
.LBB30_1248:
	s_or_b32 exec_lo, exec_lo, s18
	s_and_saveexec_b32 s18, s22
	s_cbranch_execz .LBB30_1294
.LBB30_1249:
	s_sext_i32_i16 s19, s0
	s_delay_alu instid0(SALU_CYCLE_1)
	s_cmp_lt_i32 s19, 5
	s_cbranch_scc1 .LBB30_1254
; %bb.1250:
	s_cmp_lt_i32 s19, 8
	s_cbranch_scc1 .LBB30_1255
; %bb.1251:
	;; [unrolled: 3-line block ×3, first 2 shown]
	s_cmp_gt_i32 s19, 9
	s_cbranch_scc0 .LBB30_1257
; %bb.1253:
	s_wait_loadcnt 0x0
	global_load_b64 v[0:1], v[2:3], off
	s_mov_b32 s19, 0
	s_wait_loadcnt 0x0
	v_trunc_f64_e32 v[0:1], v[0:1]
	s_delay_alu instid0(VALU_DEP_1) | instskip(NEXT) | instid1(VALU_DEP_1)
	v_ldexp_f64 v[4:5], v[0:1], 0xffffffe0
	v_floor_f64_e32 v[4:5], v[4:5]
	s_delay_alu instid0(VALU_DEP_1) | instskip(SKIP_1) | instid1(VALU_DEP_2)
	v_fmamk_f64 v[6:7], v[4:5], 0xc1f00000, v[0:1]
	v_cvt_i32_f64_e32 v1, v[4:5]
	v_cvt_u32_f64_e32 v0, v[6:7]
	s_branch .LBB30_1258
.LBB30_1254:
                                        ; implicit-def: $vgpr0_vgpr1
	s_branch .LBB30_1275
.LBB30_1255:
                                        ; implicit-def: $vgpr0_vgpr1
	s_branch .LBB30_1264
.LBB30_1256:
	s_mov_b32 s19, -1
                                        ; implicit-def: $vgpr0_vgpr1
	s_branch .LBB30_1261
.LBB30_1257:
	s_mov_b32 s19, -1
                                        ; implicit-def: $vgpr0_vgpr1
.LBB30_1258:
	s_delay_alu instid0(SALU_CYCLE_1)
	s_and_not1_b32 vcc_lo, exec_lo, s19
	s_cbranch_vccnz .LBB30_1260
; %bb.1259:
	s_wait_loadcnt 0x0
	global_load_b32 v0, v[2:3], off
	s_wait_loadcnt 0x0
	v_trunc_f32_e32 v0, v0
	s_delay_alu instid0(VALU_DEP_1) | instskip(NEXT) | instid1(VALU_DEP_1)
	v_mul_f32_e64 v1, 0x2f800000, |v0|
	v_floor_f32_e32 v1, v1
	s_delay_alu instid0(VALU_DEP_1) | instskip(SKIP_2) | instid1(VALU_DEP_3)
	v_fma_f32 v4, 0xcf800000, v1, |v0|
	v_ashrrev_i32_e32 v0, 31, v0
	v_cvt_u32_f32_e32 v5, v1
	v_cvt_u32_f32_e32 v4, v4
	s_delay_alu instid0(VALU_DEP_2) | instskip(NEXT) | instid1(VALU_DEP_2)
	v_dual_mov_b32 v1, v0 :: v_dual_bitop2_b32 v5, v5, v0 bitop3:0x14
	v_xor_b32_e32 v4, v4, v0
	s_delay_alu instid0(VALU_DEP_1)
	v_sub_nc_u64_e32 v[0:1], v[4:5], v[0:1]
.LBB30_1260:
	s_mov_b32 s19, 0
.LBB30_1261:
	s_delay_alu instid0(SALU_CYCLE_1)
	s_and_not1_b32 vcc_lo, exec_lo, s19
	s_cbranch_vccnz .LBB30_1263
; %bb.1262:
	s_wait_loadcnt 0x0
	global_load_b32 v0, v[2:3], off
	s_wait_loadcnt 0x0
	v_cvt_f32_f16_e32 v0, v0
	s_delay_alu instid0(VALU_DEP_1) | instskip(NEXT) | instid1(VALU_DEP_1)
	v_cvt_i32_f32_e32 v0, v0
	v_ashrrev_i32_e32 v1, 31, v0
.LBB30_1263:
	s_cbranch_execnz .LBB30_1274
.LBB30_1264:
	s_sext_i32_i16 s19, s0
	s_delay_alu instid0(SALU_CYCLE_1)
	s_cmp_lt_i32 s19, 6
	s_cbranch_scc1 .LBB30_1267
; %bb.1265:
	s_cmp_gt_i32 s19, 6
	s_cbranch_scc0 .LBB30_1268
; %bb.1266:
	s_wait_loadcnt 0x0
	global_load_b64 v[0:1], v[2:3], off
	s_mov_b32 s19, 0
	s_wait_loadcnt 0x0
	v_trunc_f64_e32 v[0:1], v[0:1]
	s_delay_alu instid0(VALU_DEP_1) | instskip(NEXT) | instid1(VALU_DEP_1)
	v_ldexp_f64 v[4:5], v[0:1], 0xffffffe0
	v_floor_f64_e32 v[4:5], v[4:5]
	s_delay_alu instid0(VALU_DEP_1) | instskip(SKIP_1) | instid1(VALU_DEP_2)
	v_fmamk_f64 v[6:7], v[4:5], 0xc1f00000, v[0:1]
	v_cvt_i32_f64_e32 v1, v[4:5]
	v_cvt_u32_f64_e32 v0, v[6:7]
	s_branch .LBB30_1269
.LBB30_1267:
	s_mov_b32 s19, -1
                                        ; implicit-def: $vgpr0_vgpr1
	s_branch .LBB30_1272
.LBB30_1268:
	s_mov_b32 s19, -1
                                        ; implicit-def: $vgpr0_vgpr1
.LBB30_1269:
	s_delay_alu instid0(SALU_CYCLE_1)
	s_and_not1_b32 vcc_lo, exec_lo, s19
	s_cbranch_vccnz .LBB30_1271
; %bb.1270:
	s_wait_loadcnt 0x0
	global_load_b32 v0, v[2:3], off
	s_wait_loadcnt 0x0
	v_trunc_f32_e32 v0, v0
	s_delay_alu instid0(VALU_DEP_1) | instskip(NEXT) | instid1(VALU_DEP_1)
	v_mul_f32_e64 v1, 0x2f800000, |v0|
	v_floor_f32_e32 v1, v1
	s_delay_alu instid0(VALU_DEP_1) | instskip(SKIP_2) | instid1(VALU_DEP_3)
	v_fma_f32 v4, 0xcf800000, v1, |v0|
	v_ashrrev_i32_e32 v0, 31, v0
	v_cvt_u32_f32_e32 v5, v1
	v_cvt_u32_f32_e32 v4, v4
	s_delay_alu instid0(VALU_DEP_2) | instskip(NEXT) | instid1(VALU_DEP_2)
	v_dual_mov_b32 v1, v0 :: v_dual_bitop2_b32 v5, v5, v0 bitop3:0x14
	v_xor_b32_e32 v4, v4, v0
	s_delay_alu instid0(VALU_DEP_1)
	v_sub_nc_u64_e32 v[0:1], v[4:5], v[0:1]
.LBB30_1271:
	s_mov_b32 s19, 0
.LBB30_1272:
	s_delay_alu instid0(SALU_CYCLE_1)
	s_and_not1_b32 vcc_lo, exec_lo, s19
	s_cbranch_vccnz .LBB30_1274
; %bb.1273:
	s_wait_loadcnt 0x0
	global_load_u16 v0, v[2:3], off
	s_wait_loadcnt 0x0
	v_cvt_f32_f16_e32 v0, v0
	s_delay_alu instid0(VALU_DEP_1) | instskip(NEXT) | instid1(VALU_DEP_1)
	v_cvt_i32_f32_e32 v0, v0
	v_ashrrev_i32_e32 v1, 31, v0
.LBB30_1274:
	s_cbranch_execnz .LBB30_1293
.LBB30_1275:
	s_sext_i32_i16 s19, s0
	s_delay_alu instid0(SALU_CYCLE_1)
	s_cmp_lt_i32 s19, 2
	s_cbranch_scc1 .LBB30_1279
; %bb.1276:
	s_cmp_lt_i32 s19, 3
	s_cbranch_scc1 .LBB30_1280
; %bb.1277:
	s_cmp_gt_i32 s19, 3
	s_cbranch_scc0 .LBB30_1281
; %bb.1278:
	s_wait_loadcnt 0x0
	global_load_b64 v[0:1], v[2:3], off
	s_mov_b32 s19, 0
	s_branch .LBB30_1282
.LBB30_1279:
                                        ; implicit-def: $vgpr0_vgpr1
	s_branch .LBB30_1288
.LBB30_1280:
	s_mov_b32 s19, -1
                                        ; implicit-def: $vgpr0_vgpr1
	s_branch .LBB30_1285
.LBB30_1281:
	s_mov_b32 s19, -1
                                        ; implicit-def: $vgpr0_vgpr1
.LBB30_1282:
	s_delay_alu instid0(SALU_CYCLE_1)
	s_and_not1_b32 vcc_lo, exec_lo, s19
	s_cbranch_vccnz .LBB30_1284
; %bb.1283:
	s_wait_loadcnt 0x0
	global_load_b32 v0, v[2:3], off
	s_wait_loadcnt 0x0
	v_ashrrev_i32_e32 v1, 31, v0
.LBB30_1284:
	s_mov_b32 s19, 0
.LBB30_1285:
	s_delay_alu instid0(SALU_CYCLE_1)
	s_and_not1_b32 vcc_lo, exec_lo, s19
	s_cbranch_vccnz .LBB30_1287
; %bb.1286:
	s_wait_loadcnt 0x0
	global_load_u16 v0, v[2:3], off
	s_wait_loadcnt 0x0
	v_bfe_i32 v0, v0, 0, 16
	s_delay_alu instid0(VALU_DEP_1)
	v_ashrrev_i32_e32 v1, 31, v0
.LBB30_1287:
	s_cbranch_execnz .LBB30_1293
.LBB30_1288:
	s_sext_i32_i16 s0, s0
	s_delay_alu instid0(SALU_CYCLE_1)
	s_cmp_gt_i32 s0, 0
	s_mov_b32 s0, 0
	s_cbranch_scc0 .LBB30_1290
; %bb.1289:
	s_wait_loadcnt 0x0
	global_load_i8 v0, v[2:3], off
	s_wait_loadcnt 0x0
	v_bfe_i32 v0, v0, 0, 16
	s_delay_alu instid0(VALU_DEP_1)
	v_ashrrev_i32_e32 v1, 31, v0
	s_branch .LBB30_1291
.LBB30_1290:
	s_mov_b32 s0, -1
                                        ; implicit-def: $vgpr0_vgpr1
.LBB30_1291:
	s_delay_alu instid0(SALU_CYCLE_1)
	s_and_not1_b32 vcc_lo, exec_lo, s0
	s_cbranch_vccnz .LBB30_1293
; %bb.1292:
	s_wait_loadcnt 0x0
	global_load_u8 v0, v[2:3], off
	s_mov_b32 s0, 0
	s_delay_alu instid0(SALU_CYCLE_1)
	v_mov_b32_e32 v1, s0
	s_wait_loadcnt 0x0
	v_and_b32_e32 v0, 0xffff, v0
.LBB30_1293:
	s_or_b32 s21, s21, exec_lo
.LBB30_1294:
	s_wait_xcnt 0x0
	s_or_b32 exec_lo, exec_lo, s18
	s_mov_b32 s20, 0
	s_mov_b32 s22, 0
	;; [unrolled: 1-line block ×3, first 2 shown]
                                        ; implicit-def: $sgpr0
                                        ; implicit-def: $vgpr2_vgpr3
                                        ; implicit-def: $vgpr6_vgpr7
	s_and_saveexec_b32 s18, s21
	s_cbranch_execz .LBB30_1302
; %bb.1295:
	v_mul_lo_u32 v2, v16, s10
	s_and_b32 s0, s1, 0xff
	s_delay_alu instid0(SALU_CYCLE_1) | instskip(NEXT) | instid1(VALU_DEP_1)
	s_cmp_lt_i32 s0, 11
	v_ashrrev_i32_e32 v3, 31, v2
	s_delay_alu instid0(VALU_DEP_1)
	v_add_nc_u64_e32 v[2:3], s[2:3], v[2:3]
	s_cbranch_scc1 .LBB30_1305
; %bb.1296:
	s_and_b32 s19, 0xffff, s0
	s_mov_b32 s21, 0
	s_cmp_gt_i32 s19, 25
	s_cbranch_scc0 .LBB30_1306
; %bb.1297:
	s_cmp_gt_i32 s19, 28
	s_cbranch_scc0 .LBB30_1307
; %bb.1298:
	;; [unrolled: 3-line block ×4, first 2 shown]
	s_cmp_eq_u32 s19, 46
	s_mov_b32 s23, 0
	s_cbranch_scc0 .LBB30_1310
; %bb.1301:
	s_wait_loadcnt 0x0
	global_load_b32 v4, v[2:3], off
	s_mov_b32 s22, -1
	s_wait_loadcnt 0x0
	v_lshlrev_b32_e32 v4, 16, v4
	s_delay_alu instid0(VALU_DEP_1) | instskip(NEXT) | instid1(VALU_DEP_1)
	v_trunc_f32_e32 v4, v4
	v_mul_f32_e64 v5, 0x2f800000, |v4|
	s_delay_alu instid0(VALU_DEP_1) | instskip(NEXT) | instid1(VALU_DEP_1)
	v_floor_f32_e32 v5, v5
	v_fma_f32 v6, 0xcf800000, v5, |v4|
	v_ashrrev_i32_e32 v4, 31, v4
	v_cvt_u32_f32_e32 v7, v5
	s_delay_alu instid0(VALU_DEP_3) | instskip(NEXT) | instid1(VALU_DEP_2)
	v_cvt_u32_f32_e32 v6, v6
	v_dual_mov_b32 v5, v4 :: v_dual_bitop2_b32 v7, v7, v4 bitop3:0x14
	s_delay_alu instid0(VALU_DEP_2) | instskip(NEXT) | instid1(VALU_DEP_1)
	v_xor_b32_e32 v6, v6, v4
	v_sub_nc_u64_e32 v[6:7], v[6:7], v[4:5]
	s_branch .LBB30_1312
.LBB30_1302:
	s_or_b32 exec_lo, exec_lo, s18
	s_and_saveexec_b32 s18, s17
	s_cbranch_execnz .LBB30_1371
.LBB30_1303:
	s_or_b32 exec_lo, exec_lo, s18
	s_and_saveexec_b32 s17, s20
	s_delay_alu instid0(SALU_CYCLE_1)
	s_xor_b32 s17, exec_lo, s17
	s_cbranch_execz .LBB30_1372
.LBB30_1304:
	s_wait_loadcnt 0x0
	global_load_u8 v4, v[2:3], off
	s_mov_b32 s18, 0
	s_or_b32 s19, s19, exec_lo
	v_mov_b32_e32 v7, s18
	s_wait_loadcnt 0x0
	v_cmp_ne_u16_e32 vcc_lo, 0, v4
	v_cndmask_b32_e64 v6, 0, 1, vcc_lo
	s_wait_xcnt 0x0
	s_or_b32 exec_lo, exec_lo, s17
	s_and_saveexec_b32 s17, s22
	s_cbranch_execz .LBB30_1418
	s_branch .LBB30_1373
.LBB30_1305:
	s_mov_b32 s23, -1
	s_mov_b32 s21, 0
	s_mov_b32 s20, s17
                                        ; implicit-def: $vgpr6_vgpr7
	s_branch .LBB30_1370
.LBB30_1306:
	s_mov_b32 s20, s17
                                        ; implicit-def: $vgpr6_vgpr7
	s_cbranch_execnz .LBB30_1339
	s_branch .LBB30_1369
.LBB30_1307:
	s_mov_b32 s23, -1
	s_mov_b32 s20, s17
                                        ; implicit-def: $vgpr6_vgpr7
	s_branch .LBB30_1322
.LBB30_1308:
	s_mov_b32 s23, -1
	s_mov_b32 s20, s17
                                        ; implicit-def: $vgpr6_vgpr7
	s_branch .LBB30_1317
.LBB30_1309:
	s_mov_b32 s23, -1
	s_mov_b32 s20, s17
	s_branch .LBB30_1311
.LBB30_1310:
	s_mov_b32 s20, -1
.LBB30_1311:
                                        ; implicit-def: $vgpr6_vgpr7
.LBB30_1312:
	s_and_b32 vcc_lo, exec_lo, s23
	s_cbranch_vccz .LBB30_1316
; %bb.1313:
	s_cmp_eq_u32 s19, 44
	s_cbranch_scc0 .LBB30_1315
; %bb.1314:
	global_load_u8 v8, v[2:3], off
	s_mov_b32 s20, 0
	s_mov_b32 s22, -1
	s_wait_loadcnt 0x0
	v_cmp_ne_u32_e32 vcc_lo, 0, v8
	v_lshlrev_b32_e32 v4, 23, v8
	s_delay_alu instid0(VALU_DEP_1) | instskip(NEXT) | instid1(VALU_DEP_1)
	v_trunc_f32_e32 v4, v4
	v_mul_f32_e64 v5, 0x2f800000, |v4|
	s_delay_alu instid0(VALU_DEP_1) | instskip(NEXT) | instid1(VALU_DEP_1)
	v_floor_f32_e32 v5, v5
	v_fma_f32 v6, 0xcf800000, v5, |v4|
	v_ashrrev_i32_e32 v4, 31, v4
	v_cvt_u32_f32_e32 v7, v5
	s_delay_alu instid0(VALU_DEP_3) | instskip(NEXT) | instid1(VALU_DEP_2)
	v_cvt_u32_f32_e32 v6, v6
	v_dual_mov_b32 v5, v4 :: v_dual_bitop2_b32 v7, v7, v4 bitop3:0x14
	s_delay_alu instid0(VALU_DEP_2) | instskip(NEXT) | instid1(VALU_DEP_1)
	v_xor_b32_e32 v6, v6, v4
	v_sub_nc_u64_e32 v[4:5], v[6:7], v[4:5]
	s_delay_alu instid0(VALU_DEP_1)
	v_dual_cndmask_b32 v7, 0, v5 :: v_dual_cndmask_b32 v6, 0, v4
	s_branch .LBB30_1316
.LBB30_1315:
	s_mov_b32 s20, -1
                                        ; implicit-def: $vgpr6_vgpr7
.LBB30_1316:
	s_mov_b32 s23, 0
.LBB30_1317:
	s_delay_alu instid0(SALU_CYCLE_1)
	s_and_b32 vcc_lo, exec_lo, s23
	s_cbranch_vccz .LBB30_1321
; %bb.1318:
	s_cmp_eq_u32 s19, 29
	s_cbranch_scc0 .LBB30_1320
; %bb.1319:
	global_load_b64 v[6:7], v[2:3], off
	s_mov_b32 s20, 0
	s_mov_b32 s22, -1
	s_branch .LBB30_1321
.LBB30_1320:
	s_mov_b32 s20, -1
                                        ; implicit-def: $vgpr6_vgpr7
.LBB30_1321:
	s_mov_b32 s23, 0
.LBB30_1322:
	s_delay_alu instid0(SALU_CYCLE_1)
	s_and_b32 vcc_lo, exec_lo, s23
	s_cbranch_vccz .LBB30_1338
; %bb.1323:
	s_cmp_lt_i32 s19, 27
	s_cbranch_scc1 .LBB30_1326
; %bb.1324:
	s_cmp_gt_i32 s19, 27
	s_cbranch_scc0 .LBB30_1327
; %bb.1325:
	s_wait_loadcnt 0x0
	global_load_b32 v6, v[2:3], off
	v_mov_b32_e32 v7, 0
	s_mov_b32 s22, 0
	s_branch .LBB30_1328
.LBB30_1326:
	s_mov_b32 s22, -1
                                        ; implicit-def: $vgpr6_vgpr7
	s_branch .LBB30_1331
.LBB30_1327:
	s_mov_b32 s22, -1
                                        ; implicit-def: $vgpr6_vgpr7
.LBB30_1328:
	s_delay_alu instid0(SALU_CYCLE_1)
	s_and_not1_b32 vcc_lo, exec_lo, s22
	s_cbranch_vccnz .LBB30_1330
; %bb.1329:
	s_wait_loadcnt 0x0
	global_load_u16 v4, v[2:3], off
	s_mov_b32 s22, 0
	s_delay_alu instid0(SALU_CYCLE_1)
	v_mov_b32_e32 v7, s22
	s_wait_loadcnt 0x0
	v_and_b32_e32 v6, 0xffff, v4
.LBB30_1330:
	s_mov_b32 s22, 0
.LBB30_1331:
	s_delay_alu instid0(SALU_CYCLE_1)
	s_and_not1_b32 vcc_lo, exec_lo, s22
	s_cbranch_vccnz .LBB30_1337
; %bb.1332:
	s_wait_loadcnt 0x0
	global_load_u8 v4, v[2:3], off
	s_mov_b32 s23, 0
	s_mov_b32 s22, exec_lo
	s_wait_loadcnt 0x0
	v_cmpx_lt_i16_e32 0x7f, v4
	s_xor_b32 s22, exec_lo, s22
	s_cbranch_execz .LBB30_1348
; %bb.1333:
	v_cmp_ne_u16_e32 vcc_lo, 0x80, v4
	s_and_b32 s23, vcc_lo, exec_lo
	s_and_not1_saveexec_b32 s22, s22
	s_cbranch_execnz .LBB30_1349
.LBB30_1334:
	s_or_b32 exec_lo, exec_lo, s22
	v_mov_b64_e32 v[6:7], 0
	s_and_saveexec_b32 s22, s23
	s_cbranch_execz .LBB30_1336
.LBB30_1335:
	v_and_b32_e32 v5, 0xffff, v4
	s_delay_alu instid0(VALU_DEP_1) | instskip(SKIP_1) | instid1(VALU_DEP_2)
	v_and_b32_e32 v6, 7, v5
	v_bfe_u32 v9, v5, 3, 4
	v_clz_i32_u32_e32 v7, v6
	s_delay_alu instid0(VALU_DEP_2) | instskip(NEXT) | instid1(VALU_DEP_2)
	v_cmp_eq_u32_e32 vcc_lo, 0, v9
	v_min_u32_e32 v7, 32, v7
	s_delay_alu instid0(VALU_DEP_1) | instskip(NEXT) | instid1(VALU_DEP_1)
	v_subrev_nc_u32_e32 v8, 28, v7
	v_dual_lshlrev_b32 v5, v8, v5 :: v_dual_sub_nc_u32 v7, 29, v7
	s_delay_alu instid0(VALU_DEP_1) | instskip(NEXT) | instid1(VALU_DEP_1)
	v_dual_lshlrev_b32 v4, 24, v4 :: v_dual_bitop2_b32 v5, 7, v5 bitop3:0x40
	v_dual_cndmask_b32 v7, v9, v7, vcc_lo :: v_dual_cndmask_b32 v5, v6, v5, vcc_lo
	s_delay_alu instid0(VALU_DEP_2) | instskip(NEXT) | instid1(VALU_DEP_2)
	v_and_b32_e32 v4, 0x80000000, v4
	v_lshl_add_u32 v6, v7, 23, 0x3b800000
	s_delay_alu instid0(VALU_DEP_3) | instskip(NEXT) | instid1(VALU_DEP_1)
	v_lshlrev_b32_e32 v5, 20, v5
	v_or3_b32 v4, v4, v6, v5
	s_delay_alu instid0(VALU_DEP_1) | instskip(NEXT) | instid1(VALU_DEP_1)
	v_trunc_f32_e32 v4, v4
	v_mul_f32_e64 v5, 0x2f800000, |v4|
	s_delay_alu instid0(VALU_DEP_1) | instskip(NEXT) | instid1(VALU_DEP_1)
	v_floor_f32_e32 v5, v5
	v_fma_f32 v6, 0xcf800000, v5, |v4|
	v_ashrrev_i32_e32 v4, 31, v4
	v_cvt_u32_f32_e32 v7, v5
	s_delay_alu instid0(VALU_DEP_3) | instskip(NEXT) | instid1(VALU_DEP_2)
	v_cvt_u32_f32_e32 v6, v6
	v_dual_mov_b32 v5, v4 :: v_dual_bitop2_b32 v7, v7, v4 bitop3:0x14
	s_delay_alu instid0(VALU_DEP_2) | instskip(NEXT) | instid1(VALU_DEP_1)
	v_xor_b32_e32 v6, v6, v4
	v_sub_nc_u64_e32 v[6:7], v[6:7], v[4:5]
.LBB30_1336:
	s_or_b32 exec_lo, exec_lo, s22
.LBB30_1337:
	s_mov_b32 s22, -1
.LBB30_1338:
	s_branch .LBB30_1369
.LBB30_1339:
	s_cmp_gt_i32 s19, 22
	s_cbranch_scc0 .LBB30_1347
; %bb.1340:
	s_cmp_lt_i32 s19, 24
	s_cbranch_scc1 .LBB30_1350
; %bb.1341:
	s_cmp_gt_i32 s19, 24
	s_cbranch_scc0 .LBB30_1351
; %bb.1342:
	s_wait_loadcnt 0x0
	global_load_u8 v4, v[2:3], off
	s_mov_b32 s22, 0
	s_mov_b32 s21, exec_lo
	s_wait_loadcnt 0x0
	v_cmpx_lt_i16_e32 0x7f, v4
	s_xor_b32 s21, exec_lo, s21
	s_cbranch_execz .LBB30_1363
; %bb.1343:
	v_cmp_ne_u16_e32 vcc_lo, 0x80, v4
	s_and_b32 s22, vcc_lo, exec_lo
	s_and_not1_saveexec_b32 s21, s21
	s_cbranch_execnz .LBB30_1364
.LBB30_1344:
	s_or_b32 exec_lo, exec_lo, s21
	v_mov_b64_e32 v[6:7], 0
	s_and_saveexec_b32 s21, s22
	s_cbranch_execz .LBB30_1346
.LBB30_1345:
	v_and_b32_e32 v5, 0xffff, v4
	s_delay_alu instid0(VALU_DEP_1) | instskip(SKIP_1) | instid1(VALU_DEP_2)
	v_and_b32_e32 v6, 3, v5
	v_bfe_u32 v9, v5, 2, 5
	v_clz_i32_u32_e32 v7, v6
	s_delay_alu instid0(VALU_DEP_2) | instskip(NEXT) | instid1(VALU_DEP_2)
	v_cmp_eq_u32_e32 vcc_lo, 0, v9
	v_min_u32_e32 v7, 32, v7
	s_delay_alu instid0(VALU_DEP_1) | instskip(NEXT) | instid1(VALU_DEP_1)
	v_subrev_nc_u32_e32 v8, 29, v7
	v_dual_lshlrev_b32 v5, v8, v5 :: v_dual_sub_nc_u32 v7, 30, v7
	s_delay_alu instid0(VALU_DEP_1) | instskip(NEXT) | instid1(VALU_DEP_1)
	v_dual_lshlrev_b32 v4, 24, v4 :: v_dual_bitop2_b32 v5, 3, v5 bitop3:0x40
	v_dual_cndmask_b32 v7, v9, v7, vcc_lo :: v_dual_cndmask_b32 v5, v6, v5, vcc_lo
	s_delay_alu instid0(VALU_DEP_2) | instskip(NEXT) | instid1(VALU_DEP_2)
	v_and_b32_e32 v4, 0x80000000, v4
	v_lshl_add_u32 v6, v7, 23, 0x37800000
	s_delay_alu instid0(VALU_DEP_3) | instskip(NEXT) | instid1(VALU_DEP_1)
	v_lshlrev_b32_e32 v5, 21, v5
	v_or3_b32 v4, v4, v6, v5
	s_delay_alu instid0(VALU_DEP_1) | instskip(NEXT) | instid1(VALU_DEP_1)
	v_trunc_f32_e32 v4, v4
	v_mul_f32_e64 v5, 0x2f800000, |v4|
	s_delay_alu instid0(VALU_DEP_1) | instskip(NEXT) | instid1(VALU_DEP_1)
	v_floor_f32_e32 v5, v5
	v_fma_f32 v6, 0xcf800000, v5, |v4|
	v_ashrrev_i32_e32 v4, 31, v4
	v_cvt_u32_f32_e32 v7, v5
	s_delay_alu instid0(VALU_DEP_3) | instskip(NEXT) | instid1(VALU_DEP_2)
	v_cvt_u32_f32_e32 v6, v6
	v_dual_mov_b32 v5, v4 :: v_dual_bitop2_b32 v7, v7, v4 bitop3:0x14
	s_delay_alu instid0(VALU_DEP_2) | instskip(NEXT) | instid1(VALU_DEP_1)
	v_xor_b32_e32 v6, v6, v4
	v_sub_nc_u64_e32 v[6:7], v[6:7], v[4:5]
.LBB30_1346:
	s_or_b32 exec_lo, exec_lo, s21
	s_mov_b32 s21, 0
	s_branch .LBB30_1352
.LBB30_1347:
	s_mov_b32 s21, -1
                                        ; implicit-def: $vgpr6_vgpr7
	s_branch .LBB30_1358
.LBB30_1348:
	s_and_not1_saveexec_b32 s22, s22
	s_cbranch_execz .LBB30_1334
.LBB30_1349:
	v_cmp_ne_u16_e32 vcc_lo, 0, v4
	s_and_not1_b32 s23, s23, exec_lo
	s_and_b32 s24, vcc_lo, exec_lo
	s_delay_alu instid0(SALU_CYCLE_1)
	s_or_b32 s23, s23, s24
	s_or_b32 exec_lo, exec_lo, s22
	v_mov_b64_e32 v[6:7], 0
	s_and_saveexec_b32 s22, s23
	s_cbranch_execnz .LBB30_1335
	s_branch .LBB30_1336
.LBB30_1350:
	s_mov_b32 s21, -1
                                        ; implicit-def: $vgpr6_vgpr7
	s_branch .LBB30_1355
.LBB30_1351:
	s_mov_b32 s21, -1
                                        ; implicit-def: $vgpr6_vgpr7
.LBB30_1352:
	s_delay_alu instid0(SALU_CYCLE_1)
	s_and_b32 vcc_lo, exec_lo, s21
	s_cbranch_vccz .LBB30_1354
; %bb.1353:
	s_wait_loadcnt 0x0
	global_load_u8 v4, v[2:3], off
	s_wait_loadcnt 0x0
	v_lshlrev_b32_e32 v4, 24, v4
	s_delay_alu instid0(VALU_DEP_1) | instskip(NEXT) | instid1(VALU_DEP_1)
	v_and_b32_e32 v5, 0x7f000000, v4
	v_clz_i32_u32_e32 v6, v5
	v_cmp_ne_u32_e32 vcc_lo, 0, v5
	v_add_nc_u32_e32 v8, 0x1000000, v5
	s_delay_alu instid0(VALU_DEP_3) | instskip(NEXT) | instid1(VALU_DEP_1)
	v_min_u32_e32 v6, 32, v6
	v_sub_nc_u32_e64 v6, v6, 4 clamp
	s_delay_alu instid0(VALU_DEP_1) | instskip(NEXT) | instid1(VALU_DEP_1)
	v_dual_lshlrev_b32 v7, v6, v5 :: v_dual_lshlrev_b32 v6, 23, v6
	v_lshrrev_b32_e32 v7, 4, v7
	s_delay_alu instid0(VALU_DEP_1) | instskip(NEXT) | instid1(VALU_DEP_1)
	v_dual_sub_nc_u32 v6, v7, v6 :: v_dual_ashrrev_i32 v7, 8, v8
	v_add_nc_u32_e32 v6, 0x3c000000, v6
	s_delay_alu instid0(VALU_DEP_1) | instskip(NEXT) | instid1(VALU_DEP_1)
	v_and_or_b32 v6, 0x7f800000, v7, v6
	v_cndmask_b32_e32 v5, 0, v6, vcc_lo
	s_delay_alu instid0(VALU_DEP_1) | instskip(NEXT) | instid1(VALU_DEP_1)
	v_and_or_b32 v4, 0x80000000, v4, v5
	v_trunc_f32_e32 v4, v4
	s_delay_alu instid0(VALU_DEP_1) | instskip(NEXT) | instid1(VALU_DEP_1)
	v_mul_f32_e64 v5, 0x2f800000, |v4|
	v_floor_f32_e32 v5, v5
	s_delay_alu instid0(VALU_DEP_1) | instskip(SKIP_2) | instid1(VALU_DEP_3)
	v_fma_f32 v6, 0xcf800000, v5, |v4|
	v_ashrrev_i32_e32 v4, 31, v4
	v_cvt_u32_f32_e32 v7, v5
	v_cvt_u32_f32_e32 v6, v6
	s_delay_alu instid0(VALU_DEP_2) | instskip(NEXT) | instid1(VALU_DEP_2)
	v_dual_mov_b32 v5, v4 :: v_dual_bitop2_b32 v7, v7, v4 bitop3:0x14
	v_xor_b32_e32 v6, v6, v4
	s_delay_alu instid0(VALU_DEP_1)
	v_sub_nc_u64_e32 v[6:7], v[6:7], v[4:5]
.LBB30_1354:
	s_mov_b32 s21, 0
.LBB30_1355:
	s_delay_alu instid0(SALU_CYCLE_1)
	s_and_not1_b32 vcc_lo, exec_lo, s21
	s_cbranch_vccnz .LBB30_1357
; %bb.1356:
	s_wait_loadcnt 0x0
	global_load_u8 v4, v[2:3], off
	s_wait_loadcnt 0x0
	v_lshlrev_b32_e32 v5, 25, v4
	v_lshlrev_b16 v4, 8, v4
	s_delay_alu instid0(VALU_DEP_1) | instskip(SKIP_1) | instid1(VALU_DEP_2)
	v_and_or_b32 v7, 0x7f00, v4, 0.5
	v_bfe_i32 v4, v4, 0, 16
	v_dual_add_f32 v7, -0.5, v7 :: v_dual_lshrrev_b32 v6, 4, v5
	v_cmp_gt_u32_e32 vcc_lo, 0x8000000, v5
	s_delay_alu instid0(VALU_DEP_2) | instskip(NEXT) | instid1(VALU_DEP_1)
	v_or_b32_e32 v6, 0x70000000, v6
	v_mul_f32_e32 v6, 0x7800000, v6
	s_delay_alu instid0(VALU_DEP_1) | instskip(NEXT) | instid1(VALU_DEP_1)
	v_cndmask_b32_e32 v5, v6, v7, vcc_lo
	v_and_or_b32 v4, 0x80000000, v4, v5
	s_delay_alu instid0(VALU_DEP_1) | instskip(NEXT) | instid1(VALU_DEP_1)
	v_trunc_f32_e32 v4, v4
	v_mul_f32_e64 v5, 0x2f800000, |v4|
	s_delay_alu instid0(VALU_DEP_1) | instskip(NEXT) | instid1(VALU_DEP_1)
	v_floor_f32_e32 v5, v5
	v_fma_f32 v6, 0xcf800000, v5, |v4|
	v_ashrrev_i32_e32 v4, 31, v4
	v_cvt_u32_f32_e32 v7, v5
	s_delay_alu instid0(VALU_DEP_3) | instskip(NEXT) | instid1(VALU_DEP_2)
	v_cvt_u32_f32_e32 v6, v6
	v_dual_mov_b32 v5, v4 :: v_dual_bitop2_b32 v7, v7, v4 bitop3:0x14
	s_delay_alu instid0(VALU_DEP_2) | instskip(NEXT) | instid1(VALU_DEP_1)
	v_xor_b32_e32 v6, v6, v4
	v_sub_nc_u64_e32 v[6:7], v[6:7], v[4:5]
.LBB30_1357:
	s_mov_b32 s21, 0
	s_mov_b32 s22, -1
.LBB30_1358:
	s_and_not1_b32 vcc_lo, exec_lo, s21
	s_mov_b32 s21, 0
	s_cbranch_vccnz .LBB30_1369
; %bb.1359:
	s_cmp_gt_i32 s19, 14
	s_cbranch_scc0 .LBB30_1362
; %bb.1360:
	s_cmp_eq_u32 s19, 15
	s_cbranch_scc0 .LBB30_1365
; %bb.1361:
	s_wait_loadcnt 0x0
	global_load_u16 v4, v[2:3], off
	s_mov_b32 s20, 0
	s_mov_b32 s22, -1
	s_wait_loadcnt 0x0
	v_lshlrev_b32_e32 v4, 16, v4
	s_delay_alu instid0(VALU_DEP_1) | instskip(NEXT) | instid1(VALU_DEP_1)
	v_trunc_f32_e32 v4, v4
	v_mul_f32_e64 v5, 0x2f800000, |v4|
	s_delay_alu instid0(VALU_DEP_1) | instskip(NEXT) | instid1(VALU_DEP_1)
	v_floor_f32_e32 v5, v5
	v_fma_f32 v6, 0xcf800000, v5, |v4|
	v_ashrrev_i32_e32 v4, 31, v4
	v_cvt_u32_f32_e32 v7, v5
	s_delay_alu instid0(VALU_DEP_3) | instskip(NEXT) | instid1(VALU_DEP_2)
	v_cvt_u32_f32_e32 v6, v6
	v_dual_mov_b32 v5, v4 :: v_dual_bitop2_b32 v7, v7, v4 bitop3:0x14
	s_delay_alu instid0(VALU_DEP_2) | instskip(NEXT) | instid1(VALU_DEP_1)
	v_xor_b32_e32 v6, v6, v4
	v_sub_nc_u64_e32 v[6:7], v[6:7], v[4:5]
	s_branch .LBB30_1367
.LBB30_1362:
	s_mov_b32 s21, -1
	s_branch .LBB30_1366
.LBB30_1363:
	s_and_not1_saveexec_b32 s21, s21
	s_cbranch_execz .LBB30_1344
.LBB30_1364:
	v_cmp_ne_u16_e32 vcc_lo, 0, v4
	s_and_not1_b32 s22, s22, exec_lo
	s_and_b32 s23, vcc_lo, exec_lo
	s_delay_alu instid0(SALU_CYCLE_1)
	s_or_b32 s22, s22, s23
	s_or_b32 exec_lo, exec_lo, s21
	v_mov_b64_e32 v[6:7], 0
	s_and_saveexec_b32 s21, s22
	s_cbranch_execnz .LBB30_1345
	s_branch .LBB30_1346
.LBB30_1365:
	s_mov_b32 s20, -1
.LBB30_1366:
                                        ; implicit-def: $vgpr6_vgpr7
.LBB30_1367:
	s_and_b32 vcc_lo, exec_lo, s21
	s_mov_b32 s21, 0
	s_cbranch_vccz .LBB30_1369
; %bb.1368:
	s_cmp_lg_u32 s19, 11
	s_mov_b32 s21, -1
	s_cselect_b32 s19, -1, 0
	s_and_not1_b32 s20, s20, exec_lo
	s_and_b32 s19, s19, exec_lo
	s_delay_alu instid0(SALU_CYCLE_1)
	s_or_b32 s20, s20, s19
.LBB30_1369:
	s_mov_b32 s23, 0
.LBB30_1370:
	s_and_b32 s19, s22, exec_lo
	s_and_b32 s22, s23, exec_lo
	s_and_not1_b32 s17, s17, exec_lo
	s_and_b32 s23, s20, exec_lo
	s_and_b32 s20, s21, exec_lo
	s_or_b32 s17, s17, s23
	s_wait_xcnt 0x0
	s_or_b32 exec_lo, exec_lo, s18
	s_and_saveexec_b32 s18, s17
	s_cbranch_execz .LBB30_1303
.LBB30_1371:
	s_or_b32 s16, s16, exec_lo
	s_and_not1_b32 s20, s20, exec_lo
	s_trap 2
	s_or_b32 exec_lo, exec_lo, s18
	s_and_saveexec_b32 s17, s20
	s_delay_alu instid0(SALU_CYCLE_1)
	s_xor_b32 s17, exec_lo, s17
	s_cbranch_execnz .LBB30_1304
.LBB30_1372:
	s_or_b32 exec_lo, exec_lo, s17
	s_and_saveexec_b32 s17, s22
	s_cbranch_execz .LBB30_1418
.LBB30_1373:
	s_sext_i32_i16 s18, s0
	s_delay_alu instid0(SALU_CYCLE_1)
	s_cmp_lt_i32 s18, 5
	s_cbranch_scc1 .LBB30_1378
; %bb.1374:
	s_cmp_lt_i32 s18, 8
	s_cbranch_scc1 .LBB30_1379
; %bb.1375:
	;; [unrolled: 3-line block ×3, first 2 shown]
	s_cmp_gt_i32 s18, 9
	s_cbranch_scc0 .LBB30_1381
; %bb.1377:
	s_wait_loadcnt 0x0
	global_load_b64 v[4:5], v[2:3], off
	s_mov_b32 s18, 0
	s_wait_loadcnt 0x0
	v_trunc_f64_e32 v[4:5], v[4:5]
	s_delay_alu instid0(VALU_DEP_1) | instskip(NEXT) | instid1(VALU_DEP_1)
	v_ldexp_f64 v[6:7], v[4:5], 0xffffffe0
	v_floor_f64_e32 v[6:7], v[6:7]
	s_delay_alu instid0(VALU_DEP_1) | instskip(SKIP_1) | instid1(VALU_DEP_2)
	v_fmamk_f64 v[4:5], v[6:7], 0xc1f00000, v[4:5]
	v_cvt_i32_f64_e32 v7, v[6:7]
	v_cvt_u32_f64_e32 v6, v[4:5]
	s_branch .LBB30_1382
.LBB30_1378:
                                        ; implicit-def: $vgpr6_vgpr7
	s_branch .LBB30_1399
.LBB30_1379:
                                        ; implicit-def: $vgpr6_vgpr7
	s_branch .LBB30_1388
.LBB30_1380:
	s_mov_b32 s18, -1
                                        ; implicit-def: $vgpr6_vgpr7
	s_branch .LBB30_1385
.LBB30_1381:
	s_mov_b32 s18, -1
                                        ; implicit-def: $vgpr6_vgpr7
.LBB30_1382:
	s_delay_alu instid0(SALU_CYCLE_1)
	s_and_not1_b32 vcc_lo, exec_lo, s18
	s_cbranch_vccnz .LBB30_1384
; %bb.1383:
	s_wait_loadcnt 0x0
	global_load_b32 v4, v[2:3], off
	s_wait_loadcnt 0x0
	v_trunc_f32_e32 v4, v4
	s_delay_alu instid0(VALU_DEP_1) | instskip(NEXT) | instid1(VALU_DEP_1)
	v_mul_f32_e64 v5, 0x2f800000, |v4|
	v_floor_f32_e32 v5, v5
	s_delay_alu instid0(VALU_DEP_1) | instskip(SKIP_2) | instid1(VALU_DEP_3)
	v_fma_f32 v6, 0xcf800000, v5, |v4|
	v_ashrrev_i32_e32 v4, 31, v4
	v_cvt_u32_f32_e32 v7, v5
	v_cvt_u32_f32_e32 v6, v6
	s_delay_alu instid0(VALU_DEP_2) | instskip(NEXT) | instid1(VALU_DEP_2)
	v_dual_mov_b32 v5, v4 :: v_dual_bitop2_b32 v7, v7, v4 bitop3:0x14
	v_xor_b32_e32 v6, v6, v4
	s_delay_alu instid0(VALU_DEP_1)
	v_sub_nc_u64_e32 v[6:7], v[6:7], v[4:5]
.LBB30_1384:
	s_mov_b32 s18, 0
.LBB30_1385:
	s_delay_alu instid0(SALU_CYCLE_1)
	s_and_not1_b32 vcc_lo, exec_lo, s18
	s_cbranch_vccnz .LBB30_1387
; %bb.1386:
	s_wait_loadcnt 0x0
	global_load_b32 v4, v[2:3], off
	s_wait_loadcnt 0x0
	v_cvt_f32_f16_e32 v4, v4
	s_delay_alu instid0(VALU_DEP_1) | instskip(NEXT) | instid1(VALU_DEP_1)
	v_cvt_i32_f32_e32 v6, v4
	v_ashrrev_i32_e32 v7, 31, v6
.LBB30_1387:
	s_cbranch_execnz .LBB30_1398
.LBB30_1388:
	s_sext_i32_i16 s18, s0
	s_delay_alu instid0(SALU_CYCLE_1)
	s_cmp_lt_i32 s18, 6
	s_cbranch_scc1 .LBB30_1391
; %bb.1389:
	s_cmp_gt_i32 s18, 6
	s_cbranch_scc0 .LBB30_1392
; %bb.1390:
	s_wait_loadcnt 0x0
	global_load_b64 v[4:5], v[2:3], off
	s_mov_b32 s18, 0
	s_wait_loadcnt 0x0
	v_trunc_f64_e32 v[4:5], v[4:5]
	s_delay_alu instid0(VALU_DEP_1) | instskip(NEXT) | instid1(VALU_DEP_1)
	v_ldexp_f64 v[6:7], v[4:5], 0xffffffe0
	v_floor_f64_e32 v[6:7], v[6:7]
	s_delay_alu instid0(VALU_DEP_1) | instskip(SKIP_1) | instid1(VALU_DEP_2)
	v_fmamk_f64 v[4:5], v[6:7], 0xc1f00000, v[4:5]
	v_cvt_i32_f64_e32 v7, v[6:7]
	v_cvt_u32_f64_e32 v6, v[4:5]
	s_branch .LBB30_1393
.LBB30_1391:
	s_mov_b32 s18, -1
                                        ; implicit-def: $vgpr6_vgpr7
	s_branch .LBB30_1396
.LBB30_1392:
	s_mov_b32 s18, -1
                                        ; implicit-def: $vgpr6_vgpr7
.LBB30_1393:
	s_delay_alu instid0(SALU_CYCLE_1)
	s_and_not1_b32 vcc_lo, exec_lo, s18
	s_cbranch_vccnz .LBB30_1395
; %bb.1394:
	s_wait_loadcnt 0x0
	global_load_b32 v4, v[2:3], off
	s_wait_loadcnt 0x0
	v_trunc_f32_e32 v4, v4
	s_delay_alu instid0(VALU_DEP_1) | instskip(NEXT) | instid1(VALU_DEP_1)
	v_mul_f32_e64 v5, 0x2f800000, |v4|
	v_floor_f32_e32 v5, v5
	s_delay_alu instid0(VALU_DEP_1) | instskip(SKIP_2) | instid1(VALU_DEP_3)
	v_fma_f32 v6, 0xcf800000, v5, |v4|
	v_ashrrev_i32_e32 v4, 31, v4
	v_cvt_u32_f32_e32 v7, v5
	v_cvt_u32_f32_e32 v6, v6
	s_delay_alu instid0(VALU_DEP_2) | instskip(NEXT) | instid1(VALU_DEP_2)
	v_dual_mov_b32 v5, v4 :: v_dual_bitop2_b32 v7, v7, v4 bitop3:0x14
	v_xor_b32_e32 v6, v6, v4
	s_delay_alu instid0(VALU_DEP_1)
	v_sub_nc_u64_e32 v[6:7], v[6:7], v[4:5]
.LBB30_1395:
	s_mov_b32 s18, 0
.LBB30_1396:
	s_delay_alu instid0(SALU_CYCLE_1)
	s_and_not1_b32 vcc_lo, exec_lo, s18
	s_cbranch_vccnz .LBB30_1398
; %bb.1397:
	s_wait_loadcnt 0x0
	global_load_u16 v4, v[2:3], off
	s_wait_loadcnt 0x0
	v_cvt_f32_f16_e32 v4, v4
	s_delay_alu instid0(VALU_DEP_1) | instskip(NEXT) | instid1(VALU_DEP_1)
	v_cvt_i32_f32_e32 v6, v4
	v_ashrrev_i32_e32 v7, 31, v6
.LBB30_1398:
	s_cbranch_execnz .LBB30_1417
.LBB30_1399:
	s_sext_i32_i16 s18, s0
	s_delay_alu instid0(SALU_CYCLE_1)
	s_cmp_lt_i32 s18, 2
	s_cbranch_scc1 .LBB30_1403
; %bb.1400:
	s_cmp_lt_i32 s18, 3
	s_cbranch_scc1 .LBB30_1404
; %bb.1401:
	s_cmp_gt_i32 s18, 3
	s_cbranch_scc0 .LBB30_1405
; %bb.1402:
	s_wait_loadcnt 0x0
	global_load_b64 v[6:7], v[2:3], off
	s_mov_b32 s18, 0
	s_branch .LBB30_1406
.LBB30_1403:
                                        ; implicit-def: $vgpr6_vgpr7
	s_branch .LBB30_1412
.LBB30_1404:
	s_mov_b32 s18, -1
                                        ; implicit-def: $vgpr6_vgpr7
	s_branch .LBB30_1409
.LBB30_1405:
	s_mov_b32 s18, -1
                                        ; implicit-def: $vgpr6_vgpr7
.LBB30_1406:
	s_delay_alu instid0(SALU_CYCLE_1)
	s_and_not1_b32 vcc_lo, exec_lo, s18
	s_cbranch_vccnz .LBB30_1408
; %bb.1407:
	s_wait_loadcnt 0x0
	global_load_b32 v6, v[2:3], off
	s_wait_loadcnt 0x0
	v_ashrrev_i32_e32 v7, 31, v6
.LBB30_1408:
	s_mov_b32 s18, 0
.LBB30_1409:
	s_delay_alu instid0(SALU_CYCLE_1)
	s_and_not1_b32 vcc_lo, exec_lo, s18
	s_cbranch_vccnz .LBB30_1411
; %bb.1410:
	s_wait_loadcnt 0x0
	global_load_u16 v4, v[2:3], off
	s_wait_loadcnt 0x0
	v_bfe_i32 v6, v4, 0, 16
	s_delay_alu instid0(VALU_DEP_1)
	v_ashrrev_i32_e32 v7, 31, v6
.LBB30_1411:
	s_cbranch_execnz .LBB30_1417
.LBB30_1412:
	s_sext_i32_i16 s0, s0
	s_delay_alu instid0(SALU_CYCLE_1)
	s_cmp_gt_i32 s0, 0
	s_mov_b32 s0, 0
	s_cbranch_scc0 .LBB30_1414
; %bb.1413:
	s_wait_loadcnt 0x0
	global_load_i8 v4, v[2:3], off
	s_wait_loadcnt 0x0
	v_bfe_i32 v6, v4, 0, 16
	s_delay_alu instid0(VALU_DEP_1)
	v_ashrrev_i32_e32 v7, 31, v6
	s_branch .LBB30_1415
.LBB30_1414:
	s_mov_b32 s0, -1
                                        ; implicit-def: $vgpr6_vgpr7
.LBB30_1415:
	s_delay_alu instid0(SALU_CYCLE_1)
	s_and_not1_b32 vcc_lo, exec_lo, s0
	s_cbranch_vccnz .LBB30_1417
; %bb.1416:
	global_load_u8 v2, v[2:3], off
	s_mov_b32 s0, 0
	s_wait_loadcnt 0x1
	v_mov_b32_e32 v7, s0
	s_wait_loadcnt 0x0
	v_and_b32_e32 v6, 0xffff, v2
.LBB30_1417:
	s_or_b32 s19, s19, exec_lo
.LBB30_1418:
	s_wait_xcnt 0x0
	s_or_b32 exec_lo, exec_lo, s17
	s_mov_b32 s0, 0
	s_mov_b32 s20, 0
                                        ; implicit-def: $sgpr17
                                        ; implicit-def: $vgpr4_vgpr5
                                        ; implicit-def: $vgpr2_vgpr3
	s_and_saveexec_b32 s18, s19
	s_cbranch_execz .LBB30_1426
; %bb.1419:
	s_wait_loadcnt 0x0
	s_delay_alu instid0(VALU_DEP_1) | instskip(SKIP_1) | instid1(VALU_DEP_1)
	v_sub_nc_u64_e32 v[2:3], 0, v[6:7]
	s_mov_b32 s17, exec_lo
	v_max_i64 v[2:3], v[6:7], v[2:3]
	v_cmpx_ne_u64_e32 0, v[0:1]
	s_cbranch_execz .LBB30_1430
; %bb.1420:
	v_sub_nc_u64_e32 v[4:5], 0, v[0:1]
	s_mov_b32 s19, 0
	s_delay_alu instid0(VALU_DEP_1)
	v_max_i64 v[6:7], v[0:1], v[4:5]
	v_mov_b32_e32 v0, 0
	s_branch .LBB30_1422
.LBB30_1421:                            ;   in Loop: Header=BB30_1422 Depth=1
	s_or_b32 exec_lo, exec_lo, s0
	s_delay_alu instid0(VALU_DEP_1) | instskip(SKIP_2) | instid1(SALU_CYCLE_1)
	v_cmp_eq_u64_e32 vcc_lo, 0, v[6:7]
	v_mov_b64_e32 v[2:3], v[4:5]
	s_or_b32 s19, vcc_lo, s19
	s_and_not1_b32 exec_lo, exec_lo, s19
	s_cbranch_execz .LBB30_1429
.LBB30_1422:                            ; =>This Inner Loop Header: Depth=1
	s_delay_alu instid0(VALU_DEP_2) | instskip(SKIP_1) | instid1(VALU_DEP_1)
	v_mov_b64_e32 v[4:5], v[6:7]
                                        ; implicit-def: $vgpr6_vgpr7
	s_mov_b32 s0, exec_lo
	v_or_b32_e32 v1, v3, v5
	s_delay_alu instid0(VALU_DEP_1)
	v_cmpx_ne_u64_e32 0, v[0:1]
	s_xor_b32 s20, exec_lo, s0
	s_cbranch_execz .LBB30_1424
; %bb.1423:                             ;   in Loop: Header=BB30_1422 Depth=1
	s_delay_alu instid0(VALU_DEP_3) | instskip(SKIP_3) | instid1(VALU_DEP_3)
	v_cvt_f32_u32_e32 v1, v4
	v_cvt_f32_u32_e32 v6, v5
	v_sub_nc_u64_e32 v[8:9], 0, v[4:5]
	v_dual_mov_b32 v15, v0 :: v_dual_mov_b32 v19, v0
	v_fmac_f32_e32 v1, 0x4f800000, v6
	s_delay_alu instid0(VALU_DEP_1) | instskip(SKIP_1) | instid1(TRANS32_DEP_1)
	v_rcp_f32_e32 v1, v1
	v_nop
	v_mul_f32_e32 v1, 0x5f7ffffc, v1
	s_delay_alu instid0(VALU_DEP_1) | instskip(NEXT) | instid1(VALU_DEP_1)
	v_mul_f32_e32 v6, 0x2f800000, v1
	v_trunc_f32_e32 v7, v6
	s_delay_alu instid0(VALU_DEP_1) | instskip(SKIP_1) | instid1(VALU_DEP_2)
	v_cvt_u32_f32_e32 v11, v7
	v_fmac_f32_e32 v1, 0xcf800000, v7
	v_dual_mov_b32 v7, v0 :: v_dual_mov_b32 v18, v11
	s_delay_alu instid0(VALU_DEP_2) | instskip(NEXT) | instid1(VALU_DEP_1)
	v_cvt_u32_f32_e32 v6, v1
	v_mov_b32_e32 v10, v6
	s_delay_alu instid0(VALU_DEP_1) | instskip(NEXT) | instid1(VALU_DEP_1)
	v_mul_u64_e32 v[12:13], v[8:9], v[10:11]
	v_dual_mov_b32 v14, v13 :: v_dual_mov_b32 v13, v0
	s_delay_alu instid0(VALU_DEP_1) | instskip(NEXT) | instid1(VALU_DEP_2)
	v_mul_u64_e32 v[20:21], v[6:7], v[14:15]
	v_mul_u64_e32 v[22:23], v[18:19], v[12:13]
	;; [unrolled: 1-line block ×3, first 2 shown]
	v_mul_hi_u32 v12, v6, v12
	s_delay_alu instid0(VALU_DEP_1) | instskip(NEXT) | instid1(VALU_DEP_1)
	v_add_nc_u64_e32 v[12:13], v[12:13], v[20:21]
	v_add_co_u32 v1, vcc_lo, v12, v22
	s_delay_alu instid0(VALU_DEP_2) | instskip(SKIP_1) | instid1(VALU_DEP_1)
	v_add_co_ci_u32_e32 v18, vcc_lo, v13, v23, vcc_lo
	v_add_co_ci_u32_e32 v15, vcc_lo, 0, v15, vcc_lo
	v_add_nc_u64_e32 v[12:13], v[18:19], v[14:15]
	s_delay_alu instid0(VALU_DEP_1) | instskip(NEXT) | instid1(VALU_DEP_1)
	v_add_co_u32 v6, vcc_lo, v6, v12
	v_add_co_ci_u32_e64 v10, null, v11, v13, vcc_lo
	v_dual_mov_b32 v13, v0 :: v_dual_mov_b32 v11, v0
	s_delay_alu instid0(VALU_DEP_2) | instskip(NEXT) | instid1(VALU_DEP_1)
	v_mov_b32_e32 v7, v10
	v_mul_u64_e32 v[8:9], v[8:9], v[6:7]
	s_delay_alu instid0(VALU_DEP_1) | instskip(NEXT) | instid1(VALU_DEP_2)
	v_dual_mov_b32 v7, v0 :: v_dual_mov_b32 v12, v9
	v_dual_mov_b32 v18, v8 :: v_dual_mov_b32 v9, v0
	v_mul_hi_u32 v8, v6, v8
	s_delay_alu instid0(VALU_DEP_3) | instskip(NEXT) | instid1(VALU_DEP_3)
	v_mul_u64_e32 v[14:15], v[6:7], v[12:13]
	v_mul_u64_e32 v[18:19], v[10:11], v[18:19]
	;; [unrolled: 1-line block ×3, first 2 shown]
	s_delay_alu instid0(VALU_DEP_3) | instskip(SKIP_1) | instid1(VALU_DEP_2)
	v_add_nc_u64_e32 v[8:9], v[8:9], v[14:15]
	v_mov_b32_e32 v15, v0
	v_add_co_u32 v1, vcc_lo, v8, v18
	s_delay_alu instid0(VALU_DEP_3) | instskip(SKIP_1) | instid1(VALU_DEP_1)
	v_add_co_ci_u32_e32 v14, vcc_lo, v9, v19, vcc_lo
	v_add_co_ci_u32_e32 v13, vcc_lo, 0, v13, vcc_lo
	v_add_nc_u64_e32 v[8:9], v[14:15], v[12:13]
	v_dual_mov_b32 v12, v2 :: v_dual_mov_b32 v13, v0
	s_delay_alu instid0(VALU_DEP_2) | instskip(NEXT) | instid1(VALU_DEP_1)
	v_add_co_u32 v8, vcc_lo, v6, v8
	v_add_co_ci_u32_e64 v6, null, v10, v9, vcc_lo
	v_dual_mov_b32 v10, v3 :: v_dual_mov_b32 v9, v0
	s_delay_alu instid0(VALU_DEP_2) | instskip(NEXT) | instid1(VALU_DEP_2)
	v_mul_u64_e32 v[12:13], v[12:13], v[6:7]
	v_mul_u64_e32 v[6:7], v[10:11], v[6:7]
	s_delay_alu instid0(VALU_DEP_3) | instskip(SKIP_1) | instid1(VALU_DEP_1)
	v_mul_u64_e32 v[14:15], v[10:11], v[8:9]
	v_mul_hi_u32 v8, v2, v8
	v_add_nc_u64_e32 v[8:9], v[8:9], v[12:13]
	s_delay_alu instid0(VALU_DEP_1) | instskip(NEXT) | instid1(VALU_DEP_2)
	v_add_co_u32 v1, vcc_lo, v8, v14
	v_add_co_ci_u32_e32 v10, vcc_lo, v9, v15, vcc_lo
	v_add_co_ci_u32_e32 v7, vcc_lo, 0, v7, vcc_lo
	s_delay_alu instid0(VALU_DEP_1) | instskip(NEXT) | instid1(VALU_DEP_1)
	v_add_nc_u64_e32 v[6:7], v[10:11], v[6:7]
	v_mul_u64_e32 v[6:7], v[4:5], v[6:7]
	s_delay_alu instid0(VALU_DEP_1) | instskip(NEXT) | instid1(VALU_DEP_2)
	v_sub_nc_u32_e32 v1, v3, v7
	v_sub_co_u32 v2, vcc_lo, v2, v6
	s_delay_alu instid0(VALU_DEP_1) | instskip(NEXT) | instid1(VALU_DEP_3)
	v_sub_co_ci_u32_e64 v3, null, v3, v7, vcc_lo
	v_sub_co_ci_u32_e64 v1, null, v1, v5, vcc_lo
	s_delay_alu instid0(VALU_DEP_3) | instskip(SKIP_1) | instid1(VALU_DEP_3)
	v_sub_co_u32 v6, vcc_lo, v2, v4
	v_cmp_ge_u32_e64 s0, v2, v4
	v_subrev_co_ci_u32_e64 v7, null, 0, v1, vcc_lo
	v_sub_co_ci_u32_e64 v1, null, v1, v5, vcc_lo
	s_delay_alu instid0(VALU_DEP_3) | instskip(SKIP_2) | instid1(VALU_DEP_2)
	v_cndmask_b32_e64 v8, 0, -1, s0
	v_cmp_ge_u32_e64 s0, v6, v4
	v_cmp_ge_u32_e32 vcc_lo, v3, v5
	v_cndmask_b32_e64 v9, 0, -1, s0
	v_cmp_ge_u32_e64 s0, v7, v5
	v_cndmask_b32_e64 v11, 0, -1, vcc_lo
	v_cmp_eq_u32_e32 vcc_lo, v7, v5
	s_delay_alu instid0(VALU_DEP_3) | instskip(SKIP_1) | instid1(VALU_DEP_1)
	v_cndmask_b32_e64 v10, 0, -1, s0
	v_cmp_eq_u32_e64 s0, v3, v5
	v_dual_cndmask_b32 v9, v10, v9, vcc_lo :: v_dual_cndmask_b32 v8, v11, v8, s0
	v_sub_co_u32 v10, vcc_lo, v6, v4
	s_delay_alu instid0(VALU_DEP_1) | instskip(NEXT) | instid1(VALU_DEP_3)
	v_subrev_co_ci_u32_e64 v1, null, 0, v1, vcc_lo
	v_cmp_ne_u32_e32 vcc_lo, 0, v9
	s_delay_alu instid0(VALU_DEP_2) | instskip(SKIP_1) | instid1(VALU_DEP_2)
	v_dual_cndmask_b32 v1, v7, v1 :: v_dual_cndmask_b32 v6, v6, v10
	v_cmp_ne_u32_e32 vcc_lo, 0, v8
	v_dual_cndmask_b32 v7, v3, v1 :: v_dual_cndmask_b32 v6, v2, v6
                                        ; implicit-def: $vgpr2_vgpr3
.LBB30_1424:                            ;   in Loop: Header=BB30_1422 Depth=1
	s_and_not1_saveexec_b32 s0, s20
	s_cbranch_execz .LBB30_1421
; %bb.1425:                             ;   in Loop: Header=BB30_1422 Depth=1
	v_cvt_f32_u32_e32 v1, v4
	v_dual_sub_nc_u32 v3, 0, v4 :: v_dual_mov_b32 v7, v0
	s_delay_alu instid0(VALU_DEP_2) | instskip(SKIP_1) | instid1(TRANS32_DEP_1)
	v_rcp_iflag_f32_e32 v1, v1
	v_nop
	v_mul_f32_e32 v1, 0x4f7ffffe, v1
	s_delay_alu instid0(VALU_DEP_1) | instskip(NEXT) | instid1(VALU_DEP_1)
	v_cvt_u32_f32_e32 v1, v1
	v_mul_lo_u32 v3, v3, v1
	s_delay_alu instid0(VALU_DEP_1) | instskip(NEXT) | instid1(VALU_DEP_1)
	v_mul_hi_u32 v3, v1, v3
	v_add_nc_u32_e32 v1, v1, v3
	s_delay_alu instid0(VALU_DEP_1) | instskip(NEXT) | instid1(VALU_DEP_1)
	v_mul_hi_u32 v1, v2, v1
	v_mul_lo_u32 v1, v1, v4
	s_delay_alu instid0(VALU_DEP_1) | instskip(NEXT) | instid1(VALU_DEP_1)
	v_sub_nc_u32_e32 v1, v2, v1
	v_sub_nc_u32_e32 v2, v1, v4
	v_cmp_ge_u32_e32 vcc_lo, v1, v4
	s_delay_alu instid0(VALU_DEP_2) | instskip(NEXT) | instid1(VALU_DEP_1)
	v_cndmask_b32_e32 v1, v1, v2, vcc_lo
	v_sub_nc_u32_e32 v2, v1, v4
	v_cmp_ge_u32_e32 vcc_lo, v1, v4
	s_delay_alu instid0(VALU_DEP_2)
	v_cndmask_b32_e32 v6, v1, v2, vcc_lo
	s_branch .LBB30_1421
.LBB30_1426:
	s_or_b32 exec_lo, exec_lo, s18
	s_and_saveexec_b32 s18, s15
	s_cbranch_execnz .LBB30_1507
.LBB30_1427:
	s_or_b32 exec_lo, exec_lo, s18
	s_and_saveexec_b32 s15, s0
	s_delay_alu instid0(SALU_CYCLE_1)
	s_xor_b32 s0, exec_lo, s15
	s_cbranch_execz .LBB30_1508
.LBB30_1428:
	s_delay_alu instid0(VALU_DEP_4)
	v_cmp_ne_u64_e32 vcc_lo, 0, v[2:3]
	s_wait_loadcnt 0x0
	v_cndmask_b32_e64 v0, 0, 1, vcc_lo
	global_store_b8 v[4:5], v0, off
	s_wait_xcnt 0x0
	s_or_b32 exec_lo, exec_lo, s0
	s_and_saveexec_b32 s0, s20
	s_delay_alu instid0(SALU_CYCLE_1)
	s_xor_b32 s0, exec_lo, s0
	s_cbranch_execz .LBB30_1546
	s_branch .LBB30_1509
.LBB30_1429:
	s_or_b32 exec_lo, exec_lo, s19
	v_mov_b64_e32 v[2:3], v[4:5]
.LBB30_1430:
	s_or_b32 exec_lo, exec_lo, s17
	v_mul_lo_u32 v0, v16, s8
	s_and_b32 s17, s11, 0xff
	s_delay_alu instid0(SALU_CYCLE_1) | instskip(NEXT) | instid1(VALU_DEP_1)
	s_cmp_lt_i32 s17, 11
	v_ashrrev_i32_e32 v1, 31, v0
	s_delay_alu instid0(VALU_DEP_1)
	v_add_nc_u64_e32 v[4:5], s[4:5], v[0:1]
	s_cbranch_scc1 .LBB30_1437
; %bb.1431:
	s_and_b32 s19, 0xffff, s17
	s_mov_b32 s20, -1
	s_cmp_gt_i32 s19, 25
	s_mov_b32 s0, s15
	s_cbranch_scc0 .LBB30_1465
; %bb.1432:
	s_cmp_gt_i32 s19, 28
	s_mov_b32 s0, s15
	s_cbranch_scc0 .LBB30_1449
; %bb.1433:
	;; [unrolled: 4-line block ×4, first 2 shown]
	s_cmp_eq_u32 s19, 46
	s_mov_b32 s0, -1
	s_cbranch_scc0 .LBB30_1438
; %bb.1436:
	s_delay_alu instid0(VALU_DEP_4) | instskip(SKIP_2) | instid1(VALU_DEP_1)
	v_clz_i32_u32_e32 v0, v3
	s_mov_b32 s0, 0
	s_mov_b32 s20, 0
	v_min_u32_e32 v6, 32, v0
	s_delay_alu instid0(VALU_DEP_1) | instskip(NEXT) | instid1(VALU_DEP_1)
	v_lshlrev_b64_e32 v[0:1], v6, v[2:3]
	v_min_u32_e32 v0, 1, v0
	s_delay_alu instid0(VALU_DEP_1) | instskip(NEXT) | instid1(VALU_DEP_1)
	v_dual_sub_nc_u32 v1, 32, v6 :: v_dual_bitop2_b32 v0, v1, v0 bitop3:0x54
	v_cvt_f32_u32_e32 v0, v0
	s_delay_alu instid0(VALU_DEP_1) | instskip(NEXT) | instid1(VALU_DEP_1)
	v_ldexp_f32 v0, v0, v1
	v_bfe_u32 v1, v0, 16, 1
	s_delay_alu instid0(VALU_DEP_1) | instskip(NEXT) | instid1(VALU_DEP_1)
	v_add3_u32 v0, v0, v1, 0x7fff
	v_lshrrev_b32_e32 v0, 16, v0
	global_store_b32 v[4:5], v0, off
	s_branch .LBB30_1439
.LBB30_1437:
	s_mov_b32 s21, 0
	s_mov_b32 s20, -1
	s_mov_b32 s0, s15
	s_branch .LBB30_1506
.LBB30_1438:
	s_mov_b32 s20, 0
.LBB30_1439:
	s_delay_alu instid0(SALU_CYCLE_1)
	s_and_b32 vcc_lo, exec_lo, s20
	s_cbranch_vccz .LBB30_1444
; %bb.1440:
	s_cmp_eq_u32 s19, 44
	s_mov_b32 s0, -1
	s_cbranch_scc0 .LBB30_1444
; %bb.1441:
	s_wait_xcnt 0x0
	s_delay_alu instid0(VALU_DEP_4) | instskip(SKIP_1) | instid1(VALU_DEP_1)
	v_clz_i32_u32_e32 v0, v3
	s_mov_b32 s20, exec_lo
	v_min_u32_e32 v6, 32, v0
	s_delay_alu instid0(VALU_DEP_1) | instskip(NEXT) | instid1(VALU_DEP_1)
	v_lshlrev_b64_e32 v[0:1], v6, v[2:3]
	v_min_u32_e32 v0, 1, v0
	s_delay_alu instid0(VALU_DEP_1) | instskip(NEXT) | instid1(VALU_DEP_1)
	v_dual_sub_nc_u32 v1, 32, v6 :: v_dual_bitop2_b32 v0, v1, v0 bitop3:0x54
	v_cvt_f32_u32_e32 v0, v0
	s_delay_alu instid0(VALU_DEP_1) | instskip(NEXT) | instid1(VALU_DEP_1)
	v_ldexp_f32 v6, v0, v1
	v_dual_mov_b32 v1, 0xff :: v_dual_lshrrev_b32 v0, 23, v6
	s_delay_alu instid0(VALU_DEP_1)
	v_cmpx_ne_u32_e32 0xff, v0
; %bb.1442:
	v_and_b32_e32 v1, 0x400000, v6
	v_and_or_b32 v6, 0x3fffff, v6, v0
	s_delay_alu instid0(VALU_DEP_2) | instskip(NEXT) | instid1(VALU_DEP_2)
	v_cmp_ne_u32_e32 vcc_lo, 0, v1
	v_cmp_ne_u32_e64 s0, 0, v6
	s_and_b32 s0, vcc_lo, s0
	s_delay_alu instid0(SALU_CYCLE_1) | instskip(NEXT) | instid1(VALU_DEP_1)
	v_cndmask_b32_e64 v1, 0, 1, s0
	v_add_nc_u32_e32 v1, v0, v1
; %bb.1443:
	s_or_b32 exec_lo, exec_lo, s20
	s_mov_b32 s0, 0
	global_store_b8 v[4:5], v1, off
.LBB30_1444:
	s_mov_b32 s20, 0
.LBB30_1445:
	s_delay_alu instid0(SALU_CYCLE_1)
	s_and_b32 vcc_lo, exec_lo, s20
	s_cbranch_vccz .LBB30_1448
; %bb.1446:
	s_cmp_eq_u32 s19, 29
	s_mov_b32 s0, -1
	s_cbranch_scc0 .LBB30_1448
; %bb.1447:
	s_mov_b32 s0, 0
	global_store_b64 v[4:5], v[2:3], off
.LBB30_1448:
	s_mov_b32 s20, 0
.LBB30_1449:
	s_delay_alu instid0(SALU_CYCLE_1)
	s_and_b32 vcc_lo, exec_lo, s20
	s_cbranch_vccz .LBB30_1464
; %bb.1450:
	s_cmp_lt_i32 s19, 27
	s_mov_b32 s20, -1
	s_cbranch_scc1 .LBB30_1456
; %bb.1451:
	s_cmp_gt_i32 s19, 27
	s_cbranch_scc0 .LBB30_1453
; %bb.1452:
	s_mov_b32 s20, 0
	global_store_b32 v[4:5], v2, off
.LBB30_1453:
	s_and_not1_b32 vcc_lo, exec_lo, s20
	s_cbranch_vccnz .LBB30_1455
; %bb.1454:
	global_store_b16 v[4:5], v2, off
.LBB30_1455:
	s_mov_b32 s20, 0
.LBB30_1456:
	s_delay_alu instid0(SALU_CYCLE_1)
	s_and_not1_b32 vcc_lo, exec_lo, s20
	s_cbranch_vccnz .LBB30_1464
; %bb.1457:
	s_wait_xcnt 0x0
	s_delay_alu instid0(VALU_DEP_4) | instskip(SKIP_1) | instid1(VALU_DEP_1)
	v_clz_i32_u32_e32 v0, v3
	s_mov_b32 s20, exec_lo
	v_min_u32_e32 v6, 32, v0
	s_delay_alu instid0(VALU_DEP_1) | instskip(NEXT) | instid1(VALU_DEP_1)
	v_lshlrev_b64_e32 v[0:1], v6, v[2:3]
	v_min_u32_e32 v0, 1, v0
	s_delay_alu instid0(VALU_DEP_1) | instskip(SKIP_1) | instid1(VALU_DEP_2)
	v_dual_sub_nc_u32 v1, 32, v6 :: v_dual_bitop2_b32 v0, v1, v0 bitop3:0x54
	v_mov_b32_e32 v6, 0x80
	v_cvt_f32_u32_e32 v0, v0
	s_delay_alu instid0(VALU_DEP_1) | instskip(NEXT) | instid1(VALU_DEP_1)
	v_ldexp_f32 v1, v0, v1
	v_cmpx_gt_u32_e32 0x43800000, v1
	s_cbranch_execz .LBB30_1463
; %bb.1458:
	s_mov_b32 s21, 0
	s_mov_b32 s22, exec_lo
                                        ; implicit-def: $vgpr0
	v_cmpx_lt_u32_e32 0x3bffffff, v1
	s_xor_b32 s22, exec_lo, s22
	s_cbranch_execz .LBB30_1561
; %bb.1459:
	v_bfe_u32 v0, v1, 20, 1
	s_mov_b32 s21, exec_lo
	s_delay_alu instid0(VALU_DEP_1) | instskip(NEXT) | instid1(VALU_DEP_1)
	v_add3_u32 v0, v1, v0, 0x487ffff
                                        ; implicit-def: $vgpr1
	v_lshrrev_b32_e32 v0, 20, v0
	s_and_not1_saveexec_b32 s22, s22
	s_cbranch_execnz .LBB30_1562
.LBB30_1460:
	s_or_b32 exec_lo, exec_lo, s22
	v_mov_b32_e32 v6, 0
	s_and_saveexec_b32 s22, s21
.LBB30_1461:
	v_mov_b32_e32 v6, v0
.LBB30_1462:
	s_or_b32 exec_lo, exec_lo, s22
.LBB30_1463:
	s_delay_alu instid0(SALU_CYCLE_1)
	s_or_b32 exec_lo, exec_lo, s20
	global_store_b8 v[4:5], v6, off
.LBB30_1464:
	s_mov_b32 s20, 0
.LBB30_1465:
	s_delay_alu instid0(SALU_CYCLE_1)
	s_and_b32 vcc_lo, exec_lo, s20
	s_mov_b32 s20, 0
	s_cbranch_vccz .LBB30_1505
; %bb.1466:
	s_cmp_gt_i32 s19, 22
	s_mov_b32 s21, -1
	s_cbranch_scc0 .LBB30_1498
; %bb.1467:
	s_cmp_lt_i32 s19, 24
	s_cbranch_scc1 .LBB30_1487
; %bb.1468:
	s_cmp_gt_i32 s19, 24
	s_cbranch_scc0 .LBB30_1476
; %bb.1469:
	s_wait_xcnt 0x0
	s_delay_alu instid0(VALU_DEP_4) | instskip(SKIP_1) | instid1(VALU_DEP_1)
	v_clz_i32_u32_e32 v0, v3
	s_mov_b32 s21, exec_lo
	v_min_u32_e32 v6, 32, v0
	s_delay_alu instid0(VALU_DEP_1) | instskip(NEXT) | instid1(VALU_DEP_1)
	v_lshlrev_b64_e32 v[0:1], v6, v[2:3]
	v_min_u32_e32 v0, 1, v0
	s_delay_alu instid0(VALU_DEP_1) | instskip(SKIP_1) | instid1(VALU_DEP_2)
	v_dual_sub_nc_u32 v1, 32, v6 :: v_dual_bitop2_b32 v0, v1, v0 bitop3:0x54
	v_mov_b32_e32 v6, 0x80
	v_cvt_f32_u32_e32 v0, v0
	s_delay_alu instid0(VALU_DEP_1) | instskip(NEXT) | instid1(VALU_DEP_1)
	v_ldexp_f32 v1, v0, v1
	v_cmpx_gt_u32_e32 0x47800000, v1
	s_cbranch_execz .LBB30_1475
; %bb.1470:
	s_mov_b32 s22, 0
	s_mov_b32 s23, exec_lo
                                        ; implicit-def: $vgpr0
	v_cmpx_lt_u32_e32 0x37ffffff, v1
	s_xor_b32 s23, exec_lo, s23
	s_cbranch_execz .LBB30_1682
; %bb.1471:
	v_bfe_u32 v0, v1, 21, 1
	s_mov_b32 s22, exec_lo
	s_delay_alu instid0(VALU_DEP_1) | instskip(NEXT) | instid1(VALU_DEP_1)
	v_add3_u32 v0, v1, v0, 0x88fffff
                                        ; implicit-def: $vgpr1
	v_lshrrev_b32_e32 v0, 21, v0
	s_and_not1_saveexec_b32 s23, s23
	s_cbranch_execnz .LBB30_1683
.LBB30_1472:
	s_or_b32 exec_lo, exec_lo, s23
	v_mov_b32_e32 v6, 0
	s_and_saveexec_b32 s23, s22
.LBB30_1473:
	v_mov_b32_e32 v6, v0
.LBB30_1474:
	s_or_b32 exec_lo, exec_lo, s23
.LBB30_1475:
	s_delay_alu instid0(SALU_CYCLE_1)
	s_or_b32 exec_lo, exec_lo, s21
	s_mov_b32 s21, 0
	global_store_b8 v[4:5], v6, off
.LBB30_1476:
	s_and_b32 vcc_lo, exec_lo, s21
	s_cbranch_vccz .LBB30_1486
; %bb.1477:
	s_wait_xcnt 0x0
	s_delay_alu instid0(VALU_DEP_4) | instskip(SKIP_1) | instid1(VALU_DEP_1)
	v_clz_i32_u32_e32 v0, v3
	s_mov_b32 s21, exec_lo
	v_min_u32_e32 v6, 32, v0
	s_delay_alu instid0(VALU_DEP_1) | instskip(NEXT) | instid1(VALU_DEP_1)
	v_lshlrev_b64_e32 v[0:1], v6, v[2:3]
	v_min_u32_e32 v0, 1, v0
	s_delay_alu instid0(VALU_DEP_1) | instskip(NEXT) | instid1(VALU_DEP_1)
	v_dual_sub_nc_u32 v1, 32, v6 :: v_dual_bitop2_b32 v0, v1, v0 bitop3:0x54
	v_cvt_f32_u32_e32 v0, v0
	s_delay_alu instid0(VALU_DEP_1) | instskip(NEXT) | instid1(VALU_DEP_1)
	v_ldexp_f32 v1, v0, v1
                                        ; implicit-def: $vgpr0
	v_cmpx_gt_u32_e32 0x43f00000, v1
	s_xor_b32 s21, exec_lo, s21
	s_cbranch_execz .LBB30_1483
; %bb.1478:
	s_mov_b32 s22, exec_lo
                                        ; implicit-def: $vgpr0
	v_cmpx_lt_u32_e32 0x3c7fffff, v1
	s_xor_b32 s22, exec_lo, s22
; %bb.1479:
	v_bfe_u32 v0, v1, 20, 1
	s_delay_alu instid0(VALU_DEP_1) | instskip(NEXT) | instid1(VALU_DEP_1)
	v_add3_u32 v0, v1, v0, 0x407ffff
	v_and_b32_e32 v1, 0xff00000, v0
	v_lshrrev_b32_e32 v0, 20, v0
	s_delay_alu instid0(VALU_DEP_2) | instskip(NEXT) | instid1(VALU_DEP_2)
	v_cmp_ne_u32_e32 vcc_lo, 0x7f00000, v1
                                        ; implicit-def: $vgpr1
	v_cndmask_b32_e32 v0, 0x7e, v0, vcc_lo
; %bb.1480:
	s_and_not1_saveexec_b32 s22, s22
; %bb.1481:
	v_add_f32_e32 v0, 0x46800000, v1
; %bb.1482:
	s_or_b32 exec_lo, exec_lo, s22
                                        ; implicit-def: $vgpr1
.LBB30_1483:
	s_and_not1_saveexec_b32 s21, s21
; %bb.1484:
	v_mov_b32_e32 v0, 0x7f
	v_cmp_lt_u32_e32 vcc_lo, 0x7f800000, v1
	s_delay_alu instid0(VALU_DEP_2)
	v_cndmask_b32_e32 v0, 0x7e, v0, vcc_lo
; %bb.1485:
	s_or_b32 exec_lo, exec_lo, s21
	global_store_b8 v[4:5], v0, off
.LBB30_1486:
	s_mov_b32 s21, 0
.LBB30_1487:
	s_delay_alu instid0(SALU_CYCLE_1)
	s_and_not1_b32 vcc_lo, exec_lo, s21
	s_cbranch_vccnz .LBB30_1497
; %bb.1488:
	s_wait_xcnt 0x0
	s_delay_alu instid0(VALU_DEP_4) | instskip(SKIP_1) | instid1(VALU_DEP_1)
	v_clz_i32_u32_e32 v0, v3
	s_mov_b32 s21, exec_lo
	v_min_u32_e32 v6, 32, v0
	s_delay_alu instid0(VALU_DEP_1) | instskip(NEXT) | instid1(VALU_DEP_1)
	v_lshlrev_b64_e32 v[0:1], v6, v[2:3]
	v_min_u32_e32 v0, 1, v0
	s_delay_alu instid0(VALU_DEP_1) | instskip(NEXT) | instid1(VALU_DEP_1)
	v_dual_sub_nc_u32 v1, 32, v6 :: v_dual_bitop2_b32 v0, v1, v0 bitop3:0x54
	v_cvt_f32_u32_e32 v0, v0
	s_delay_alu instid0(VALU_DEP_1) | instskip(NEXT) | instid1(VALU_DEP_1)
	v_ldexp_f32 v1, v0, v1
                                        ; implicit-def: $vgpr0
	v_cmpx_gt_u32_e32 0x47800000, v1
	s_xor_b32 s21, exec_lo, s21
	s_cbranch_execz .LBB30_1494
; %bb.1489:
	s_mov_b32 s22, exec_lo
                                        ; implicit-def: $vgpr0
	v_cmpx_lt_u32_e32 0x387fffff, v1
	s_xor_b32 s22, exec_lo, s22
; %bb.1490:
	v_bfe_u32 v0, v1, 21, 1
	s_delay_alu instid0(VALU_DEP_1) | instskip(NEXT) | instid1(VALU_DEP_1)
	v_add3_u32 v0, v1, v0, 0x80fffff
                                        ; implicit-def: $vgpr1
	v_lshrrev_b32_e32 v0, 21, v0
; %bb.1491:
	s_and_not1_saveexec_b32 s22, s22
; %bb.1492:
	v_add_f32_e32 v0, 0x43000000, v1
; %bb.1493:
	s_or_b32 exec_lo, exec_lo, s22
                                        ; implicit-def: $vgpr1
.LBB30_1494:
	s_and_not1_saveexec_b32 s21, s21
; %bb.1495:
	v_mov_b32_e32 v0, 0x7f
	v_cmp_lt_u32_e32 vcc_lo, 0x7f800000, v1
	s_delay_alu instid0(VALU_DEP_2)
	v_cndmask_b32_e32 v0, 0x7c, v0, vcc_lo
; %bb.1496:
	s_or_b32 exec_lo, exec_lo, s21
	global_store_b8 v[4:5], v0, off
.LBB30_1497:
	s_mov_b32 s21, 0
.LBB30_1498:
	s_delay_alu instid0(SALU_CYCLE_1)
	s_and_not1_b32 vcc_lo, exec_lo, s21
	s_mov_b32 s21, 0
	s_cbranch_vccnz .LBB30_1506
; %bb.1499:
	s_cmp_gt_i32 s19, 14
	s_mov_b32 s21, -1
	s_cbranch_scc0 .LBB30_1503
; %bb.1500:
	s_cmp_eq_u32 s19, 15
	s_mov_b32 s0, -1
	s_cbranch_scc0 .LBB30_1502
; %bb.1501:
	s_wait_xcnt 0x0
	s_delay_alu instid0(VALU_DEP_4) | instskip(SKIP_1) | instid1(VALU_DEP_1)
	v_clz_i32_u32_e32 v0, v3
	s_mov_b32 s0, 0
	v_min_u32_e32 v6, 32, v0
	s_delay_alu instid0(VALU_DEP_1) | instskip(NEXT) | instid1(VALU_DEP_1)
	v_lshlrev_b64_e32 v[0:1], v6, v[2:3]
	v_min_u32_e32 v0, 1, v0
	s_delay_alu instid0(VALU_DEP_1) | instskip(NEXT) | instid1(VALU_DEP_1)
	v_dual_sub_nc_u32 v1, 32, v6 :: v_dual_bitop2_b32 v0, v1, v0 bitop3:0x54
	v_cvt_f32_u32_e32 v0, v0
	s_delay_alu instid0(VALU_DEP_1) | instskip(NEXT) | instid1(VALU_DEP_1)
	v_ldexp_f32 v0, v0, v1
	v_bfe_u32 v1, v0, 16, 1
	s_delay_alu instid0(VALU_DEP_1)
	v_add3_u32 v0, v0, v1, 0x7fff
	global_store_d16_hi_b16 v[4:5], v0, off
.LBB30_1502:
	s_mov_b32 s21, 0
.LBB30_1503:
	s_delay_alu instid0(SALU_CYCLE_1)
	s_and_b32 vcc_lo, exec_lo, s21
	s_mov_b32 s21, 0
	s_cbranch_vccz .LBB30_1506
; %bb.1504:
	s_cmp_lg_u32 s19, 11
	s_mov_b32 s21, -1
	s_cselect_b32 s19, -1, 0
	s_and_not1_b32 s0, s0, exec_lo
	s_and_b32 s19, s19, exec_lo
	s_delay_alu instid0(SALU_CYCLE_1)
	s_or_b32 s0, s0, s19
	s_branch .LBB30_1506
.LBB30_1505:
	s_mov_b32 s21, 0
.LBB30_1506:
	s_and_not1_b32 s15, s15, exec_lo
	s_and_b32 s19, s0, exec_lo
	s_and_b32 s20, s20, exec_lo
	;; [unrolled: 1-line block ×3, first 2 shown]
	s_or_b32 s15, s15, s19
	s_wait_xcnt 0x0
	s_or_b32 exec_lo, exec_lo, s18
	s_and_saveexec_b32 s18, s15
	s_cbranch_execz .LBB30_1427
.LBB30_1507:
	s_or_b32 s16, s16, exec_lo
	s_and_not1_b32 s0, s0, exec_lo
	s_trap 2
	s_or_b32 exec_lo, exec_lo, s18
	s_and_saveexec_b32 s15, s0
	s_delay_alu instid0(SALU_CYCLE_1)
	s_xor_b32 s0, exec_lo, s15
	s_cbranch_execnz .LBB30_1428
.LBB30_1508:
	s_or_b32 exec_lo, exec_lo, s0
	s_and_saveexec_b32 s0, s20
	s_delay_alu instid0(SALU_CYCLE_1)
	s_xor_b32 s0, exec_lo, s0
	s_cbranch_execz .LBB30_1546
.LBB30_1509:
	s_sext_i32_i16 s18, s17
	s_mov_b32 s15, -1
	s_cmp_lt_i32 s18, 5
	s_cbranch_scc1 .LBB30_1530
; %bb.1510:
	s_cmp_lt_i32 s18, 8
	s_cbranch_scc1 .LBB30_1520
; %bb.1511:
	;; [unrolled: 3-line block ×3, first 2 shown]
	s_cmp_gt_i32 s18, 9
	s_cbranch_scc0 .LBB30_1514
; %bb.1513:
	s_wait_loadcnt 0x0
	v_cvt_f64_u32_e32 v[0:1], v3
	v_cvt_f64_u32_e32 v[6:7], v2
	s_mov_b32 s15, 0
	v_mov_b32_e32 v8, 0
	s_delay_alu instid0(VALU_DEP_1) | instskip(NEXT) | instid1(VALU_DEP_4)
	v_mov_b32_e32 v9, v8
	v_ldexp_f64 v[0:1], v[0:1], 32
	s_delay_alu instid0(VALU_DEP_1)
	v_add_f64_e32 v[6:7], v[0:1], v[6:7]
	global_store_b128 v[4:5], v[6:9], off
.LBB30_1514:
	s_and_not1_b32 vcc_lo, exec_lo, s15
	s_cbranch_vccnz .LBB30_1516
; %bb.1515:
	s_wait_loadcnt 0x0
	v_clz_i32_u32_e32 v0, v3
	s_wait_xcnt 0x0
	s_delay_alu instid0(VALU_DEP_1) | instskip(NEXT) | instid1(VALU_DEP_1)
	v_min_u32_e32 v6, 32, v0
	v_lshlrev_b64_e32 v[0:1], v6, v[2:3]
	s_delay_alu instid0(VALU_DEP_1) | instskip(NEXT) | instid1(VALU_DEP_1)
	v_min_u32_e32 v0, 1, v0
	v_dual_sub_nc_u32 v1, 32, v6 :: v_dual_bitop2_b32 v0, v1, v0 bitop3:0x54
	s_delay_alu instid0(VALU_DEP_1) | instskip(NEXT) | instid1(VALU_DEP_1)
	v_cvt_f32_u32_e32 v0, v0
	v_ldexp_f32 v0, v0, v1
	v_mov_b32_e32 v1, 0
	global_store_b64 v[4:5], v[0:1], off
.LBB30_1516:
	s_mov_b32 s15, 0
.LBB30_1517:
	s_delay_alu instid0(SALU_CYCLE_1)
	s_and_not1_b32 vcc_lo, exec_lo, s15
	s_cbranch_vccnz .LBB30_1519
; %bb.1518:
	s_wait_loadcnt 0x0
	v_clz_i32_u32_e32 v0, v3
	s_delay_alu instid0(VALU_DEP_1) | instskip(NEXT) | instid1(VALU_DEP_1)
	v_min_u32_e32 v6, 32, v0
	v_lshlrev_b64_e32 v[0:1], v6, v[2:3]
	s_delay_alu instid0(VALU_DEP_1) | instskip(NEXT) | instid1(VALU_DEP_1)
	v_min_u32_e32 v0, 1, v0
	v_dual_sub_nc_u32 v1, 32, v6 :: v_dual_bitop2_b32 v0, v1, v0 bitop3:0x54
	s_delay_alu instid0(VALU_DEP_1) | instskip(NEXT) | instid1(VALU_DEP_1)
	v_cvt_f32_u32_e32 v0, v0
	v_ldexp_f32 v0, v0, v1
	s_delay_alu instid0(VALU_DEP_1) | instskip(NEXT) | instid1(VALU_DEP_1)
	v_cvt_f16_f32_e32 v0, v0
	v_and_b32_e32 v0, 0xffff, v0
	global_store_b32 v[4:5], v0, off
.LBB30_1519:
	s_mov_b32 s15, 0
.LBB30_1520:
	s_delay_alu instid0(SALU_CYCLE_1)
	s_and_not1_b32 vcc_lo, exec_lo, s15
	s_cbranch_vccnz .LBB30_1529
; %bb.1521:
	s_sext_i32_i16 s18, s17
	s_mov_b32 s15, -1
	s_cmp_lt_i32 s18, 6
	s_cbranch_scc1 .LBB30_1527
; %bb.1522:
	s_cmp_gt_i32 s18, 6
	s_cbranch_scc0 .LBB30_1524
; %bb.1523:
	s_wait_loadcnt 0x0
	v_cvt_f64_u32_e32 v[0:1], v3
	v_cvt_f64_u32_e32 v[6:7], v2
	s_mov_b32 s15, 0
	s_delay_alu instid0(VALU_DEP_2) | instskip(NEXT) | instid1(VALU_DEP_1)
	v_ldexp_f64 v[0:1], v[0:1], 32
	v_add_f64_e32 v[0:1], v[0:1], v[6:7]
	global_store_b64 v[4:5], v[0:1], off
.LBB30_1524:
	s_and_not1_b32 vcc_lo, exec_lo, s15
	s_cbranch_vccnz .LBB30_1526
; %bb.1525:
	s_wait_loadcnt 0x0
	v_clz_i32_u32_e32 v0, v3
	s_delay_alu instid0(VALU_DEP_1) | instskip(NEXT) | instid1(VALU_DEP_1)
	v_min_u32_e32 v6, 32, v0
	v_lshlrev_b64_e32 v[0:1], v6, v[2:3]
	s_delay_alu instid0(VALU_DEP_1) | instskip(NEXT) | instid1(VALU_DEP_1)
	v_min_u32_e32 v0, 1, v0
	v_dual_sub_nc_u32 v1, 32, v6 :: v_dual_bitop2_b32 v0, v1, v0 bitop3:0x54
	s_delay_alu instid0(VALU_DEP_1) | instskip(NEXT) | instid1(VALU_DEP_1)
	v_cvt_f32_u32_e32 v0, v0
	v_ldexp_f32 v0, v0, v1
	global_store_b32 v[4:5], v0, off
.LBB30_1526:
	s_mov_b32 s15, 0
.LBB30_1527:
	s_delay_alu instid0(SALU_CYCLE_1)
	s_and_not1_b32 vcc_lo, exec_lo, s15
	s_cbranch_vccnz .LBB30_1529
; %bb.1528:
	s_wait_loadcnt 0x0
	v_clz_i32_u32_e32 v0, v3
	s_delay_alu instid0(VALU_DEP_1) | instskip(NEXT) | instid1(VALU_DEP_1)
	v_min_u32_e32 v6, 32, v0
	v_lshlrev_b64_e32 v[0:1], v6, v[2:3]
	s_delay_alu instid0(VALU_DEP_1) | instskip(NEXT) | instid1(VALU_DEP_1)
	v_min_u32_e32 v0, 1, v0
	v_dual_sub_nc_u32 v1, 32, v6 :: v_dual_bitop2_b32 v0, v1, v0 bitop3:0x54
	s_delay_alu instid0(VALU_DEP_1) | instskip(NEXT) | instid1(VALU_DEP_1)
	v_cvt_f32_u32_e32 v0, v0
	v_ldexp_f32 v0, v0, v1
	s_delay_alu instid0(VALU_DEP_1)
	v_cvt_f16_f32_e32 v0, v0
	global_store_b16 v[4:5], v0, off
.LBB30_1529:
	s_mov_b32 s15, 0
.LBB30_1530:
	s_delay_alu instid0(SALU_CYCLE_1)
	s_and_not1_b32 vcc_lo, exec_lo, s15
	s_cbranch_vccnz .LBB30_1546
; %bb.1531:
	s_sext_i32_i16 s18, s17
	s_mov_b32 s15, -1
	s_cmp_lt_i32 s18, 2
	s_cbranch_scc1 .LBB30_1541
; %bb.1532:
	s_cmp_lt_i32 s18, 3
	s_cbranch_scc1 .LBB30_1538
; %bb.1533:
	s_cmp_gt_i32 s18, 3
	s_cbranch_scc0 .LBB30_1535
; %bb.1534:
	s_mov_b32 s15, 0
	s_wait_loadcnt 0x0
	global_store_b64 v[4:5], v[2:3], off
.LBB30_1535:
	s_and_not1_b32 vcc_lo, exec_lo, s15
	s_cbranch_vccnz .LBB30_1537
; %bb.1536:
	s_wait_loadcnt 0x0
	global_store_b32 v[4:5], v2, off
.LBB30_1537:
	s_mov_b32 s15, 0
.LBB30_1538:
	s_delay_alu instid0(SALU_CYCLE_1)
	s_and_not1_b32 vcc_lo, exec_lo, s15
	s_cbranch_vccnz .LBB30_1540
; %bb.1539:
	s_wait_loadcnt 0x0
	global_store_b16 v[4:5], v2, off
.LBB30_1540:
	s_mov_b32 s15, 0
.LBB30_1541:
	s_delay_alu instid0(SALU_CYCLE_1)
	s_and_not1_b32 vcc_lo, exec_lo, s15
	s_cbranch_vccnz .LBB30_1546
; %bb.1542:
	s_sext_i32_i16 s15, s17
	s_delay_alu instid0(SALU_CYCLE_1)
	s_cmp_gt_i32 s15, 0
	s_mov_b32 s15, -1
	s_cbranch_scc0 .LBB30_1544
; %bb.1543:
	s_mov_b32 s15, 0
	s_wait_loadcnt 0x0
	global_store_b8 v[4:5], v2, off
.LBB30_1544:
	s_and_not1_b32 vcc_lo, exec_lo, s15
	s_cbranch_vccnz .LBB30_1546
; %bb.1545:
	s_wait_loadcnt 0x0
	global_store_b8 v[4:5], v2, off
.LBB30_1546:
	s_wait_xcnt 0x0
	s_or_b32 exec_lo, exec_lo, s0
	s_delay_alu instid0(SALU_CYCLE_1)
	s_and_b32 s15, s16, exec_lo
                                        ; implicit-def: $vgpr16
.LBB30_1547:
	s_or_saveexec_b32 s14, s14
	s_mov_b32 s0, 0
                                        ; implicit-def: $sgpr16
                                        ; implicit-def: $vgpr0_vgpr1
                                        ; implicit-def: $vgpr6_vgpr7
	s_xor_b32 exec_lo, exec_lo, s14
	s_cbranch_execz .LBB30_2585
; %bb.1548:
	v_mul_lo_u32 v2, s9, v16
	s_and_b32 s13, s13, 0xff
	s_delay_alu instid0(SALU_CYCLE_1) | instskip(NEXT) | instid1(VALU_DEP_1)
	s_cmp_lt_i32 s13, 11
	v_ashrrev_i32_e32 v3, 31, v2
	s_wait_loadcnt 0x0
	s_delay_alu instid0(VALU_DEP_1)
	v_add_nc_u64_e32 v[0:1], s[6:7], v[2:3]
	s_cbranch_scc1 .LBB30_1555
; %bb.1549:
	s_and_b32 s0, 0xffff, s13
	s_mov_b32 s16, 0
	s_cmp_gt_i32 s0, 25
	s_cbranch_scc0 .LBB30_1557
; %bb.1550:
	s_cmp_gt_i32 s0, 28
	s_cbranch_scc0 .LBB30_1558
; %bb.1551:
	;; [unrolled: 3-line block ×4, first 2 shown]
	s_cmp_eq_u32 s0, 46
	s_mov_b32 s18, 0
	s_cbranch_scc0 .LBB30_1563
; %bb.1554:
	global_load_b32 v3, v[0:1], off
	s_mov_b32 s12, 0
	s_mov_b32 s17, -1
	s_wait_loadcnt 0x0
	v_lshlrev_b32_e32 v3, 16, v3
	s_delay_alu instid0(VALU_DEP_1) | instskip(NEXT) | instid1(VALU_DEP_1)
	v_trunc_f32_e32 v3, v3
	v_mul_f32_e64 v4, 0x2f800000, |v3|
	s_delay_alu instid0(VALU_DEP_1) | instskip(SKIP_1) | instid1(VALU_DEP_2)
	v_floor_f32_e32 v5, v4
	v_ashrrev_i32_e32 v4, 31, v3
	v_fma_f32 v6, 0xcf800000, v5, |v3|
	v_cvt_u32_f32_e32 v3, v5
	s_delay_alu instid0(VALU_DEP_3) | instskip(NEXT) | instid1(VALU_DEP_3)
	v_mov_b32_e32 v5, v4
	v_cvt_u32_f32_e32 v6, v6
	s_delay_alu instid0(VALU_DEP_3) | instskip(NEXT) | instid1(VALU_DEP_2)
	v_xor_b32_e32 v7, v3, v4
	v_xor_b32_e32 v6, v6, v4
	s_delay_alu instid0(VALU_DEP_1)
	v_sub_nc_u64_e32 v[6:7], v[6:7], v[4:5]
	s_branch .LBB30_1565
.LBB30_1555:
	s_mov_b32 s17, 0
	s_mov_b32 s12, s15
                                        ; implicit-def: $vgpr6_vgpr7
	s_cbranch_execnz .LBB30_1623
.LBB30_1556:
	s_and_not1_b32 vcc_lo, exec_lo, s17
	s_cbranch_vccz .LBB30_1668
	s_branch .LBB30_2583
.LBB30_1557:
	s_mov_b32 s17, 0
	s_mov_b32 s12, 0
                                        ; implicit-def: $vgpr6_vgpr7
	s_cbranch_execnz .LBB30_1590
	s_branch .LBB30_1619
.LBB30_1558:
	s_mov_b32 s17, 0
	s_mov_b32 s12, 0
                                        ; implicit-def: $vgpr6_vgpr7
	s_cbranch_execz .LBB30_1589
	s_branch .LBB30_1574
.LBB30_1559:
	s_mov_b32 s17, 0
	s_mov_b32 s12, 0
                                        ; implicit-def: $vgpr6_vgpr7
	s_cbranch_execnz .LBB30_1570
	s_branch .LBB30_1573
.LBB30_1560:
	s_mov_b32 s18, -1
	s_mov_b32 s17, 0
	s_mov_b32 s12, 0
	s_branch .LBB30_1564
.LBB30_1561:
	s_and_not1_saveexec_b32 s22, s22
	s_cbranch_execz .LBB30_1460
.LBB30_1562:
	v_add_f32_e32 v0, 0x46000000, v1
	s_and_not1_b32 s21, s21, exec_lo
	s_delay_alu instid0(VALU_DEP_1) | instskip(NEXT) | instid1(VALU_DEP_1)
	v_and_b32_e32 v0, 0xff, v0
	v_cmp_ne_u32_e32 vcc_lo, 0, v0
	s_and_b32 s23, vcc_lo, exec_lo
	s_delay_alu instid0(SALU_CYCLE_1)
	s_or_b32 s21, s21, s23
	s_or_b32 exec_lo, exec_lo, s22
	v_mov_b32_e32 v6, 0
	s_and_saveexec_b32 s22, s21
	s_cbranch_execnz .LBB30_1461
	s_branch .LBB30_1462
.LBB30_1563:
	s_mov_b32 s12, -1
	s_mov_b32 s17, 0
.LBB30_1564:
                                        ; implicit-def: $vgpr6_vgpr7
.LBB30_1565:
	s_and_b32 vcc_lo, exec_lo, s18
	s_cbranch_vccz .LBB30_1568
; %bb.1566:
	s_cmp_eq_u32 s0, 44
	s_cbranch_scc0 .LBB30_1569
; %bb.1567:
	global_load_u8 v3, v[0:1], off
	s_mov_b32 s12, 0
	s_mov_b32 s17, -1
	s_wait_loadcnt 0x0
	v_cmp_ne_u32_e32 vcc_lo, 0, v3
	v_lshlrev_b32_e32 v4, 23, v3
	s_delay_alu instid0(VALU_DEP_1) | instskip(NEXT) | instid1(VALU_DEP_1)
	v_trunc_f32_e32 v4, v4
	v_mul_f32_e64 v5, 0x2f800000, |v4|
	s_delay_alu instid0(VALU_DEP_1) | instskip(NEXT) | instid1(VALU_DEP_1)
	v_floor_f32_e32 v5, v5
	v_fma_f32 v6, 0xcf800000, v5, |v4|
	v_ashrrev_i32_e32 v4, 31, v4
	v_cvt_u32_f32_e32 v7, v5
	s_delay_alu instid0(VALU_DEP_3) | instskip(NEXT) | instid1(VALU_DEP_2)
	v_cvt_u32_f32_e32 v6, v6
	v_dual_mov_b32 v5, v4 :: v_dual_bitop2_b32 v7, v7, v4 bitop3:0x14
	s_delay_alu instid0(VALU_DEP_2) | instskip(NEXT) | instid1(VALU_DEP_1)
	v_xor_b32_e32 v6, v6, v4
	v_sub_nc_u64_e32 v[4:5], v[6:7], v[4:5]
	s_delay_alu instid0(VALU_DEP_1)
	v_dual_cndmask_b32 v7, 0, v5 :: v_dual_cndmask_b32 v6, 0, v4
.LBB30_1568:
	s_branch .LBB30_1573
.LBB30_1569:
	s_mov_b32 s12, -1
                                        ; implicit-def: $vgpr6_vgpr7
	s_branch .LBB30_1573
.LBB30_1570:
	s_cmp_eq_u32 s0, 29
	s_cbranch_scc0 .LBB30_1572
; %bb.1571:
	global_load_b64 v[6:7], v[0:1], off
	s_mov_b32 s12, 0
	s_mov_b32 s17, -1
	s_branch .LBB30_1573
.LBB30_1572:
	s_mov_b32 s12, -1
                                        ; implicit-def: $vgpr6_vgpr7
.LBB30_1573:
	s_branch .LBB30_1589
.LBB30_1574:
	s_cmp_lt_i32 s0, 27
	s_cbranch_scc1 .LBB30_1577
; %bb.1575:
	s_cmp_gt_i32 s0, 27
	s_cbranch_scc0 .LBB30_1578
; %bb.1576:
	s_wait_loadcnt 0x0
	global_load_b32 v6, v[0:1], off
	v_mov_b32_e32 v7, 0
	s_mov_b32 s17, 0
	s_branch .LBB30_1579
.LBB30_1577:
	s_mov_b32 s17, -1
                                        ; implicit-def: $vgpr6_vgpr7
	s_branch .LBB30_1582
.LBB30_1578:
	s_mov_b32 s17, -1
                                        ; implicit-def: $vgpr6_vgpr7
.LBB30_1579:
	s_delay_alu instid0(SALU_CYCLE_1)
	s_and_not1_b32 vcc_lo, exec_lo, s17
	s_cbranch_vccnz .LBB30_1581
; %bb.1580:
	global_load_u16 v3, v[0:1], off
	s_mov_b32 s17, 0
	s_wait_loadcnt 0x1
	v_mov_b32_e32 v7, s17
	s_wait_loadcnt 0x0
	v_and_b32_e32 v6, 0xffff, v3
.LBB30_1581:
	s_mov_b32 s17, 0
.LBB30_1582:
	s_delay_alu instid0(SALU_CYCLE_1)
	s_and_not1_b32 vcc_lo, exec_lo, s17
	s_cbranch_vccnz .LBB30_1588
; %bb.1583:
	global_load_u8 v3, v[0:1], off
	s_mov_b32 s18, 0
	s_mov_b32 s17, exec_lo
	s_wait_loadcnt 0x0
	v_cmpx_lt_i16_e32 0x7f, v3
	s_xor_b32 s17, exec_lo, s17
	s_cbranch_execz .LBB30_1599
; %bb.1584:
	v_cmp_ne_u16_e32 vcc_lo, 0x80, v3
	s_and_b32 s18, vcc_lo, exec_lo
	s_and_not1_saveexec_b32 s17, s17
	s_cbranch_execnz .LBB30_1600
.LBB30_1585:
	s_or_b32 exec_lo, exec_lo, s17
	v_mov_b64_e32 v[6:7], 0
	s_and_saveexec_b32 s17, s18
	s_cbranch_execz .LBB30_1587
.LBB30_1586:
	v_and_b32_e32 v4, 0xffff, v3
	s_delay_alu instid0(VALU_DEP_1) | instskip(SKIP_1) | instid1(VALU_DEP_2)
	v_and_b32_e32 v5, 7, v4
	v_bfe_u32 v8, v4, 3, 4
	v_clz_i32_u32_e32 v6, v5
	s_delay_alu instid0(VALU_DEP_2) | instskip(NEXT) | instid1(VALU_DEP_2)
	v_cmp_eq_u32_e32 vcc_lo, 0, v8
	v_min_u32_e32 v6, 32, v6
	s_delay_alu instid0(VALU_DEP_1) | instskip(NEXT) | instid1(VALU_DEP_1)
	v_subrev_nc_u32_e32 v7, 28, v6
	v_dual_lshlrev_b32 v4, v7, v4 :: v_dual_sub_nc_u32 v6, 29, v6
	s_delay_alu instid0(VALU_DEP_1) | instskip(NEXT) | instid1(VALU_DEP_1)
	v_dual_lshlrev_b32 v3, 24, v3 :: v_dual_bitop2_b32 v4, 7, v4 bitop3:0x40
	v_dual_cndmask_b32 v6, v8, v6, vcc_lo :: v_dual_cndmask_b32 v4, v5, v4, vcc_lo
	s_delay_alu instid0(VALU_DEP_2) | instskip(NEXT) | instid1(VALU_DEP_2)
	v_and_b32_e32 v3, 0x80000000, v3
	v_lshl_add_u32 v5, v6, 23, 0x3b800000
	s_delay_alu instid0(VALU_DEP_3) | instskip(NEXT) | instid1(VALU_DEP_1)
	v_lshlrev_b32_e32 v4, 20, v4
	v_or3_b32 v3, v3, v5, v4
	s_delay_alu instid0(VALU_DEP_1) | instskip(NEXT) | instid1(VALU_DEP_1)
	v_trunc_f32_e32 v3, v3
	v_mul_f32_e64 v4, 0x2f800000, |v3|
	s_delay_alu instid0(VALU_DEP_1) | instskip(SKIP_1) | instid1(VALU_DEP_2)
	v_floor_f32_e32 v5, v4
	v_ashrrev_i32_e32 v4, 31, v3
	v_fma_f32 v6, 0xcf800000, v5, |v3|
	v_cvt_u32_f32_e32 v3, v5
	s_delay_alu instid0(VALU_DEP_3) | instskip(NEXT) | instid1(VALU_DEP_3)
	v_mov_b32_e32 v5, v4
	v_cvt_u32_f32_e32 v6, v6
	s_delay_alu instid0(VALU_DEP_3) | instskip(NEXT) | instid1(VALU_DEP_2)
	v_xor_b32_e32 v7, v3, v4
	v_xor_b32_e32 v6, v6, v4
	s_delay_alu instid0(VALU_DEP_1)
	v_sub_nc_u64_e32 v[6:7], v[6:7], v[4:5]
.LBB30_1587:
	s_or_b32 exec_lo, exec_lo, s17
.LBB30_1588:
	s_mov_b32 s17, -1
.LBB30_1589:
	s_branch .LBB30_1619
.LBB30_1590:
	s_cmp_gt_i32 s0, 22
	s_cbranch_scc0 .LBB30_1598
; %bb.1591:
	s_cmp_lt_i32 s0, 24
	s_cbranch_scc1 .LBB30_1601
; %bb.1592:
	s_cmp_gt_i32 s0, 24
	s_cbranch_scc0 .LBB30_1602
; %bb.1593:
	global_load_u8 v3, v[0:1], off
	s_mov_b32 s17, 0
	s_mov_b32 s16, exec_lo
	s_wait_loadcnt 0x0
	v_cmpx_lt_i16_e32 0x7f, v3
	s_xor_b32 s16, exec_lo, s16
	s_cbranch_execz .LBB30_1613
; %bb.1594:
	v_cmp_ne_u16_e32 vcc_lo, 0x80, v3
	s_and_b32 s17, vcc_lo, exec_lo
	s_and_not1_saveexec_b32 s16, s16
	s_cbranch_execnz .LBB30_1614
.LBB30_1595:
	s_or_b32 exec_lo, exec_lo, s16
	v_mov_b64_e32 v[6:7], 0
	s_and_saveexec_b32 s16, s17
	s_cbranch_execz .LBB30_1597
.LBB30_1596:
	v_and_b32_e32 v4, 0xffff, v3
	s_delay_alu instid0(VALU_DEP_1) | instskip(SKIP_1) | instid1(VALU_DEP_2)
	v_and_b32_e32 v5, 3, v4
	v_bfe_u32 v8, v4, 2, 5
	v_clz_i32_u32_e32 v6, v5
	s_delay_alu instid0(VALU_DEP_2) | instskip(NEXT) | instid1(VALU_DEP_2)
	v_cmp_eq_u32_e32 vcc_lo, 0, v8
	v_min_u32_e32 v6, 32, v6
	s_delay_alu instid0(VALU_DEP_1) | instskip(NEXT) | instid1(VALU_DEP_1)
	v_subrev_nc_u32_e32 v7, 29, v6
	v_dual_lshlrev_b32 v4, v7, v4 :: v_dual_sub_nc_u32 v6, 30, v6
	s_delay_alu instid0(VALU_DEP_1) | instskip(NEXT) | instid1(VALU_DEP_1)
	v_dual_lshlrev_b32 v3, 24, v3 :: v_dual_bitop2_b32 v4, 3, v4 bitop3:0x40
	v_dual_cndmask_b32 v6, v8, v6, vcc_lo :: v_dual_cndmask_b32 v4, v5, v4, vcc_lo
	s_delay_alu instid0(VALU_DEP_2) | instskip(NEXT) | instid1(VALU_DEP_2)
	v_and_b32_e32 v3, 0x80000000, v3
	v_lshl_add_u32 v5, v6, 23, 0x37800000
	s_delay_alu instid0(VALU_DEP_3) | instskip(NEXT) | instid1(VALU_DEP_1)
	v_lshlrev_b32_e32 v4, 21, v4
	v_or3_b32 v3, v3, v5, v4
	s_delay_alu instid0(VALU_DEP_1) | instskip(NEXT) | instid1(VALU_DEP_1)
	v_trunc_f32_e32 v3, v3
	v_mul_f32_e64 v4, 0x2f800000, |v3|
	s_delay_alu instid0(VALU_DEP_1) | instskip(SKIP_1) | instid1(VALU_DEP_2)
	v_floor_f32_e32 v5, v4
	v_ashrrev_i32_e32 v4, 31, v3
	v_fma_f32 v6, 0xcf800000, v5, |v3|
	v_cvt_u32_f32_e32 v3, v5
	s_delay_alu instid0(VALU_DEP_3) | instskip(NEXT) | instid1(VALU_DEP_3)
	v_mov_b32_e32 v5, v4
	v_cvt_u32_f32_e32 v6, v6
	s_delay_alu instid0(VALU_DEP_3) | instskip(NEXT) | instid1(VALU_DEP_2)
	v_xor_b32_e32 v7, v3, v4
	v_xor_b32_e32 v6, v6, v4
	s_delay_alu instid0(VALU_DEP_1)
	v_sub_nc_u64_e32 v[6:7], v[6:7], v[4:5]
.LBB30_1597:
	s_or_b32 exec_lo, exec_lo, s16
	s_mov_b32 s16, 0
	s_branch .LBB30_1603
.LBB30_1598:
                                        ; implicit-def: $vgpr6_vgpr7
	s_mov_b32 s16, 0
	s_branch .LBB30_1609
.LBB30_1599:
	s_and_not1_saveexec_b32 s17, s17
	s_cbranch_execz .LBB30_1585
.LBB30_1600:
	v_cmp_ne_u16_e32 vcc_lo, 0, v3
	s_and_not1_b32 s18, s18, exec_lo
	s_and_b32 s19, vcc_lo, exec_lo
	s_delay_alu instid0(SALU_CYCLE_1)
	s_or_b32 s18, s18, s19
	s_or_b32 exec_lo, exec_lo, s17
	v_mov_b64_e32 v[6:7], 0
	s_and_saveexec_b32 s17, s18
	s_cbranch_execnz .LBB30_1586
	s_branch .LBB30_1587
.LBB30_1601:
	s_mov_b32 s16, -1
                                        ; implicit-def: $vgpr6_vgpr7
	s_branch .LBB30_1606
.LBB30_1602:
	s_mov_b32 s16, -1
                                        ; implicit-def: $vgpr6_vgpr7
.LBB30_1603:
	s_delay_alu instid0(SALU_CYCLE_1)
	s_and_b32 vcc_lo, exec_lo, s16
	s_cbranch_vccz .LBB30_1605
; %bb.1604:
	global_load_u8 v3, v[0:1], off
	s_wait_loadcnt 0x0
	v_lshlrev_b32_e32 v3, 24, v3
	s_delay_alu instid0(VALU_DEP_1) | instskip(NEXT) | instid1(VALU_DEP_1)
	v_and_b32_e32 v4, 0x7f000000, v3
	v_clz_i32_u32_e32 v5, v4
	v_cmp_ne_u32_e32 vcc_lo, 0, v4
	v_add_nc_u32_e32 v7, 0x1000000, v4
	s_delay_alu instid0(VALU_DEP_3) | instskip(NEXT) | instid1(VALU_DEP_1)
	v_min_u32_e32 v5, 32, v5
	v_sub_nc_u32_e64 v5, v5, 4 clamp
	s_delay_alu instid0(VALU_DEP_1) | instskip(NEXT) | instid1(VALU_DEP_1)
	v_dual_lshlrev_b32 v6, v5, v4 :: v_dual_lshlrev_b32 v5, 23, v5
	v_lshrrev_b32_e32 v6, 4, v6
	s_delay_alu instid0(VALU_DEP_1) | instskip(NEXT) | instid1(VALU_DEP_1)
	v_dual_sub_nc_u32 v5, v6, v5 :: v_dual_ashrrev_i32 v6, 8, v7
	v_add_nc_u32_e32 v5, 0x3c000000, v5
	s_delay_alu instid0(VALU_DEP_1) | instskip(NEXT) | instid1(VALU_DEP_1)
	v_and_or_b32 v5, 0x7f800000, v6, v5
	v_cndmask_b32_e32 v4, 0, v5, vcc_lo
	s_delay_alu instid0(VALU_DEP_1) | instskip(NEXT) | instid1(VALU_DEP_1)
	v_and_or_b32 v3, 0x80000000, v3, v4
	v_trunc_f32_e32 v3, v3
	s_delay_alu instid0(VALU_DEP_1) | instskip(NEXT) | instid1(VALU_DEP_1)
	v_mul_f32_e64 v4, 0x2f800000, |v3|
	v_floor_f32_e32 v5, v4
	v_ashrrev_i32_e32 v4, 31, v3
	s_delay_alu instid0(VALU_DEP_2) | instskip(SKIP_1) | instid1(VALU_DEP_3)
	v_fma_f32 v6, 0xcf800000, v5, |v3|
	v_cvt_u32_f32_e32 v3, v5
	v_mov_b32_e32 v5, v4
	s_delay_alu instid0(VALU_DEP_3) | instskip(NEXT) | instid1(VALU_DEP_3)
	v_cvt_u32_f32_e32 v6, v6
	v_xor_b32_e32 v7, v3, v4
	s_delay_alu instid0(VALU_DEP_2) | instskip(NEXT) | instid1(VALU_DEP_1)
	v_xor_b32_e32 v6, v6, v4
	v_sub_nc_u64_e32 v[6:7], v[6:7], v[4:5]
.LBB30_1605:
	s_mov_b32 s16, 0
.LBB30_1606:
	s_delay_alu instid0(SALU_CYCLE_1)
	s_and_not1_b32 vcc_lo, exec_lo, s16
	s_cbranch_vccnz .LBB30_1608
; %bb.1607:
	global_load_u8 v3, v[0:1], off
	s_wait_loadcnt 0x0
	v_lshlrev_b32_e32 v4, 25, v3
	v_lshlrev_b16 v3, 8, v3
	s_delay_alu instid0(VALU_DEP_1) | instskip(SKIP_1) | instid1(VALU_DEP_2)
	v_and_or_b32 v6, 0x7f00, v3, 0.5
	v_bfe_i32 v3, v3, 0, 16
	v_dual_add_f32 v6, -0.5, v6 :: v_dual_lshrrev_b32 v5, 4, v4
	v_cmp_gt_u32_e32 vcc_lo, 0x8000000, v4
	s_delay_alu instid0(VALU_DEP_2) | instskip(NEXT) | instid1(VALU_DEP_1)
	v_or_b32_e32 v5, 0x70000000, v5
	v_mul_f32_e32 v5, 0x7800000, v5
	s_delay_alu instid0(VALU_DEP_1) | instskip(NEXT) | instid1(VALU_DEP_1)
	v_cndmask_b32_e32 v4, v5, v6, vcc_lo
	v_and_or_b32 v3, 0x80000000, v3, v4
	s_delay_alu instid0(VALU_DEP_1) | instskip(NEXT) | instid1(VALU_DEP_1)
	v_trunc_f32_e32 v3, v3
	v_mul_f32_e64 v4, 0x2f800000, |v3|
	s_delay_alu instid0(VALU_DEP_1) | instskip(SKIP_1) | instid1(VALU_DEP_2)
	v_floor_f32_e32 v5, v4
	v_ashrrev_i32_e32 v4, 31, v3
	v_fma_f32 v6, 0xcf800000, v5, |v3|
	v_cvt_u32_f32_e32 v3, v5
	s_delay_alu instid0(VALU_DEP_3) | instskip(NEXT) | instid1(VALU_DEP_3)
	v_mov_b32_e32 v5, v4
	v_cvt_u32_f32_e32 v6, v6
	s_delay_alu instid0(VALU_DEP_3) | instskip(NEXT) | instid1(VALU_DEP_2)
	v_xor_b32_e32 v7, v3, v4
	v_xor_b32_e32 v6, v6, v4
	s_delay_alu instid0(VALU_DEP_1)
	v_sub_nc_u64_e32 v[6:7], v[6:7], v[4:5]
.LBB30_1608:
	s_mov_b32 s17, -1
	s_mov_b32 s16, 0
	s_cbranch_execnz .LBB30_1619
.LBB30_1609:
	s_cmp_gt_i32 s0, 14
	s_cbranch_scc0 .LBB30_1612
; %bb.1610:
	s_cmp_eq_u32 s0, 15
	s_cbranch_scc0 .LBB30_1615
; %bb.1611:
	global_load_u16 v3, v[0:1], off
	s_mov_b32 s12, 0
	s_mov_b32 s17, -1
	s_wait_loadcnt 0x0
	v_lshlrev_b32_e32 v3, 16, v3
	s_delay_alu instid0(VALU_DEP_1) | instskip(NEXT) | instid1(VALU_DEP_1)
	v_trunc_f32_e32 v3, v3
	v_mul_f32_e64 v4, 0x2f800000, |v3|
	s_delay_alu instid0(VALU_DEP_1) | instskip(SKIP_1) | instid1(VALU_DEP_2)
	v_floor_f32_e32 v5, v4
	v_ashrrev_i32_e32 v4, 31, v3
	v_fma_f32 v6, 0xcf800000, v5, |v3|
	v_cvt_u32_f32_e32 v3, v5
	s_delay_alu instid0(VALU_DEP_3) | instskip(NEXT) | instid1(VALU_DEP_3)
	v_mov_b32_e32 v5, v4
	v_cvt_u32_f32_e32 v6, v6
	s_delay_alu instid0(VALU_DEP_3) | instskip(NEXT) | instid1(VALU_DEP_2)
	v_xor_b32_e32 v7, v3, v4
	v_xor_b32_e32 v6, v6, v4
	s_delay_alu instid0(VALU_DEP_1)
	v_sub_nc_u64_e32 v[6:7], v[6:7], v[4:5]
	s_branch .LBB30_1617
.LBB30_1612:
	s_mov_b32 s16, -1
	s_branch .LBB30_1616
.LBB30_1613:
	s_and_not1_saveexec_b32 s16, s16
	s_cbranch_execz .LBB30_1595
.LBB30_1614:
	v_cmp_ne_u16_e32 vcc_lo, 0, v3
	s_and_not1_b32 s17, s17, exec_lo
	s_and_b32 s18, vcc_lo, exec_lo
	s_delay_alu instid0(SALU_CYCLE_1)
	s_or_b32 s17, s17, s18
	s_or_b32 exec_lo, exec_lo, s16
	v_mov_b64_e32 v[6:7], 0
	s_and_saveexec_b32 s16, s17
	s_cbranch_execnz .LBB30_1596
	s_branch .LBB30_1597
.LBB30_1615:
	s_mov_b32 s12, -1
.LBB30_1616:
                                        ; implicit-def: $vgpr6_vgpr7
.LBB30_1617:
	s_and_b32 vcc_lo, exec_lo, s16
	s_mov_b32 s16, 0
	s_cbranch_vccz .LBB30_1619
; %bb.1618:
	s_cmp_lg_u32 s0, 11
	s_mov_b32 s16, -1
	s_cselect_b32 s12, -1, 0
.LBB30_1619:
	s_delay_alu instid0(SALU_CYCLE_1)
	s_and_b32 vcc_lo, exec_lo, s12
	s_mov_b32 s12, s15
	s_cbranch_vccnz .LBB30_1680
; %bb.1620:
	s_and_not1_b32 vcc_lo, exec_lo, s16
	s_cbranch_vccnz .LBB30_1622
.LBB30_1621:
	global_load_u8 v3, v[0:1], off
	s_mov_b32 s0, 0
	s_mov_b32 s17, -1
	s_wait_loadcnt 0x1
	v_mov_b32_e32 v7, s0
	s_wait_loadcnt 0x0
	v_cmp_ne_u16_e32 vcc_lo, 0, v3
	v_cndmask_b32_e64 v6, 0, 1, vcc_lo
.LBB30_1622:
	s_branch .LBB30_1556
.LBB30_1623:
	s_and_b32 s0, 0xffff, s13
	s_delay_alu instid0(SALU_CYCLE_1)
	s_cmp_lt_i32 s0, 5
	s_cbranch_scc1 .LBB30_1628
; %bb.1624:
	s_cmp_lt_i32 s0, 8
	s_cbranch_scc1 .LBB30_1629
; %bb.1625:
	;; [unrolled: 3-line block ×3, first 2 shown]
	s_cmp_gt_i32 s0, 9
	s_cbranch_scc0 .LBB30_1631
; %bb.1627:
	global_load_b64 v[4:5], v[0:1], off
	s_mov_b32 s16, 0
	s_wait_loadcnt 0x0
	v_trunc_f64_e32 v[4:5], v[4:5]
	s_delay_alu instid0(VALU_DEP_1) | instskip(NEXT) | instid1(VALU_DEP_1)
	v_ldexp_f64 v[6:7], v[4:5], 0xffffffe0
	v_floor_f64_e32 v[6:7], v[6:7]
	s_delay_alu instid0(VALU_DEP_1) | instskip(SKIP_1) | instid1(VALU_DEP_2)
	v_fmamk_f64 v[4:5], v[6:7], 0xc1f00000, v[4:5]
	v_cvt_i32_f64_e32 v7, v[6:7]
	v_cvt_u32_f64_e32 v6, v[4:5]
	s_branch .LBB30_1632
.LBB30_1628:
                                        ; implicit-def: $vgpr6_vgpr7
	s_branch .LBB30_1649
.LBB30_1629:
                                        ; implicit-def: $vgpr6_vgpr7
	s_branch .LBB30_1638
.LBB30_1630:
	s_mov_b32 s16, -1
                                        ; implicit-def: $vgpr6_vgpr7
	s_branch .LBB30_1635
.LBB30_1631:
	s_mov_b32 s16, -1
                                        ; implicit-def: $vgpr6_vgpr7
.LBB30_1632:
	s_delay_alu instid0(SALU_CYCLE_1)
	s_and_not1_b32 vcc_lo, exec_lo, s16
	s_cbranch_vccnz .LBB30_1634
; %bb.1633:
	global_load_b32 v3, v[0:1], off
	s_wait_loadcnt 0x0
	v_trunc_f32_e32 v3, v3
	s_delay_alu instid0(VALU_DEP_1) | instskip(NEXT) | instid1(VALU_DEP_1)
	v_mul_f32_e64 v4, 0x2f800000, |v3|
	v_floor_f32_e32 v5, v4
	v_ashrrev_i32_e32 v4, 31, v3
	s_delay_alu instid0(VALU_DEP_2) | instskip(SKIP_1) | instid1(VALU_DEP_3)
	v_fma_f32 v6, 0xcf800000, v5, |v3|
	v_cvt_u32_f32_e32 v3, v5
	v_mov_b32_e32 v5, v4
	s_delay_alu instid0(VALU_DEP_3) | instskip(NEXT) | instid1(VALU_DEP_3)
	v_cvt_u32_f32_e32 v6, v6
	v_xor_b32_e32 v7, v3, v4
	s_delay_alu instid0(VALU_DEP_2) | instskip(NEXT) | instid1(VALU_DEP_1)
	v_xor_b32_e32 v6, v6, v4
	v_sub_nc_u64_e32 v[6:7], v[6:7], v[4:5]
.LBB30_1634:
	s_mov_b32 s16, 0
.LBB30_1635:
	s_delay_alu instid0(SALU_CYCLE_1)
	s_and_not1_b32 vcc_lo, exec_lo, s16
	s_cbranch_vccnz .LBB30_1637
; %bb.1636:
	global_load_b32 v3, v[0:1], off
	s_wait_loadcnt 0x0
	v_cvt_f32_f16_e32 v3, v3
	s_delay_alu instid0(VALU_DEP_1) | instskip(NEXT) | instid1(VALU_DEP_1)
	v_cvt_i32_f32_e32 v6, v3
	v_ashrrev_i32_e32 v7, 31, v6
.LBB30_1637:
	s_cbranch_execnz .LBB30_1648
.LBB30_1638:
	s_cmp_lt_i32 s0, 6
	s_cbranch_scc1 .LBB30_1641
; %bb.1639:
	s_cmp_gt_i32 s0, 6
	s_cbranch_scc0 .LBB30_1642
; %bb.1640:
	global_load_b64 v[4:5], v[0:1], off
	s_mov_b32 s16, 0
	s_wait_loadcnt 0x0
	v_trunc_f64_e32 v[4:5], v[4:5]
	s_delay_alu instid0(VALU_DEP_1) | instskip(NEXT) | instid1(VALU_DEP_1)
	v_ldexp_f64 v[6:7], v[4:5], 0xffffffe0
	v_floor_f64_e32 v[6:7], v[6:7]
	s_delay_alu instid0(VALU_DEP_1) | instskip(SKIP_1) | instid1(VALU_DEP_2)
	v_fmamk_f64 v[4:5], v[6:7], 0xc1f00000, v[4:5]
	v_cvt_i32_f64_e32 v7, v[6:7]
	v_cvt_u32_f64_e32 v6, v[4:5]
	s_branch .LBB30_1643
.LBB30_1641:
	s_mov_b32 s16, -1
                                        ; implicit-def: $vgpr6_vgpr7
	s_branch .LBB30_1646
.LBB30_1642:
	s_mov_b32 s16, -1
                                        ; implicit-def: $vgpr6_vgpr7
.LBB30_1643:
	s_delay_alu instid0(SALU_CYCLE_1)
	s_and_not1_b32 vcc_lo, exec_lo, s16
	s_cbranch_vccnz .LBB30_1645
; %bb.1644:
	global_load_b32 v3, v[0:1], off
	s_wait_loadcnt 0x0
	v_trunc_f32_e32 v3, v3
	s_delay_alu instid0(VALU_DEP_1) | instskip(NEXT) | instid1(VALU_DEP_1)
	v_mul_f32_e64 v4, 0x2f800000, |v3|
	v_floor_f32_e32 v5, v4
	v_ashrrev_i32_e32 v4, 31, v3
	s_delay_alu instid0(VALU_DEP_2) | instskip(SKIP_1) | instid1(VALU_DEP_3)
	v_fma_f32 v6, 0xcf800000, v5, |v3|
	v_cvt_u32_f32_e32 v3, v5
	v_mov_b32_e32 v5, v4
	s_delay_alu instid0(VALU_DEP_3) | instskip(NEXT) | instid1(VALU_DEP_3)
	v_cvt_u32_f32_e32 v6, v6
	v_xor_b32_e32 v7, v3, v4
	s_delay_alu instid0(VALU_DEP_2) | instskip(NEXT) | instid1(VALU_DEP_1)
	v_xor_b32_e32 v6, v6, v4
	v_sub_nc_u64_e32 v[6:7], v[6:7], v[4:5]
.LBB30_1645:
	s_mov_b32 s16, 0
.LBB30_1646:
	s_delay_alu instid0(SALU_CYCLE_1)
	s_and_not1_b32 vcc_lo, exec_lo, s16
	s_cbranch_vccnz .LBB30_1648
; %bb.1647:
	global_load_u16 v3, v[0:1], off
	s_wait_loadcnt 0x0
	v_cvt_f32_f16_e32 v3, v3
	s_delay_alu instid0(VALU_DEP_1) | instskip(NEXT) | instid1(VALU_DEP_1)
	v_cvt_i32_f32_e32 v6, v3
	v_ashrrev_i32_e32 v7, 31, v6
.LBB30_1648:
	s_cbranch_execnz .LBB30_1667
.LBB30_1649:
	s_cmp_lt_i32 s0, 2
	s_cbranch_scc1 .LBB30_1653
; %bb.1650:
	s_cmp_lt_i32 s0, 3
	s_cbranch_scc1 .LBB30_1654
; %bb.1651:
	s_cmp_gt_i32 s0, 3
	s_cbranch_scc0 .LBB30_1655
; %bb.1652:
	s_wait_loadcnt 0x0
	global_load_b64 v[6:7], v[0:1], off
	s_mov_b32 s16, 0
	s_branch .LBB30_1656
.LBB30_1653:
                                        ; implicit-def: $vgpr6_vgpr7
	s_branch .LBB30_1662
.LBB30_1654:
	s_mov_b32 s16, -1
                                        ; implicit-def: $vgpr6_vgpr7
	s_branch .LBB30_1659
.LBB30_1655:
	s_mov_b32 s16, -1
                                        ; implicit-def: $vgpr6_vgpr7
.LBB30_1656:
	s_delay_alu instid0(SALU_CYCLE_1)
	s_and_not1_b32 vcc_lo, exec_lo, s16
	s_cbranch_vccnz .LBB30_1658
; %bb.1657:
	s_wait_loadcnt 0x0
	global_load_b32 v6, v[0:1], off
	s_wait_loadcnt 0x0
	v_ashrrev_i32_e32 v7, 31, v6
.LBB30_1658:
	s_mov_b32 s16, 0
.LBB30_1659:
	s_delay_alu instid0(SALU_CYCLE_1)
	s_and_not1_b32 vcc_lo, exec_lo, s16
	s_cbranch_vccnz .LBB30_1661
; %bb.1660:
	global_load_u16 v3, v[0:1], off
	s_wait_loadcnt 0x0
	v_bfe_i32 v6, v3, 0, 16
	s_delay_alu instid0(VALU_DEP_1)
	v_ashrrev_i32_e32 v7, 31, v6
.LBB30_1661:
	s_cbranch_execnz .LBB30_1667
.LBB30_1662:
	s_cmp_gt_i32 s0, 0
	s_mov_b32 s0, 0
	s_cbranch_scc0 .LBB30_1664
; %bb.1663:
	global_load_i8 v3, v[0:1], off
	s_wait_loadcnt 0x0
	v_bfe_i32 v6, v3, 0, 16
	s_delay_alu instid0(VALU_DEP_1)
	v_ashrrev_i32_e32 v7, 31, v6
	s_branch .LBB30_1665
.LBB30_1664:
	s_mov_b32 s0, -1
                                        ; implicit-def: $vgpr6_vgpr7
.LBB30_1665:
	s_delay_alu instid0(SALU_CYCLE_1)
	s_and_not1_b32 vcc_lo, exec_lo, s0
	s_cbranch_vccnz .LBB30_1667
; %bb.1666:
	global_load_u8 v0, v[0:1], off
	s_mov_b32 s0, 0
	s_wait_loadcnt 0x1
	v_mov_b32_e32 v7, s0
	s_wait_loadcnt 0x0
	v_and_b32_e32 v6, 0xffff, v0
.LBB30_1667:
.LBB30_1668:
	v_mul_lo_u32 v4, s10, v16
	s_and_b32 s1, s1, 0xff
	s_delay_alu instid0(SALU_CYCLE_1) | instskip(NEXT) | instid1(VALU_DEP_1)
	s_cmp_lt_i32 s1, 11
	v_ashrrev_i32_e32 v5, 31, v4
	s_wait_xcnt 0x0
	s_delay_alu instid0(VALU_DEP_1)
	v_add_nc_u64_e32 v[0:1], s[2:3], v[4:5]
	s_cbranch_scc1 .LBB30_1675
; %bb.1669:
	s_and_b32 s0, 0xffff, s1
	s_mov_b32 s17, 0
	s_cmp_gt_i32 s0, 25
	s_cbranch_scc0 .LBB30_1677
; %bb.1670:
	s_cmp_gt_i32 s0, 28
	s_cbranch_scc0 .LBB30_1678
; %bb.1671:
	;; [unrolled: 3-line block ×4, first 2 shown]
	s_cmp_eq_u32 s0, 46
	s_mov_b32 s19, 0
	s_cbranch_scc0 .LBB30_1684
; %bb.1674:
	global_load_b32 v3, v[0:1], off
	s_mov_b32 s16, 0
	s_mov_b32 s18, -1
	s_wait_loadcnt 0x0
	v_lshlrev_b32_e32 v3, 16, v3
	s_delay_alu instid0(VALU_DEP_1) | instskip(NEXT) | instid1(VALU_DEP_1)
	v_trunc_f32_e32 v3, v3
	v_mul_f32_e64 v5, 0x2f800000, |v3|
	v_ashrrev_i32_e32 v8, 31, v3
	s_delay_alu instid0(VALU_DEP_2) | instskip(NEXT) | instid1(VALU_DEP_1)
	v_floor_f32_e32 v5, v5
	v_fma_f32 v9, 0xcf800000, v5, |v3|
	v_cvt_u32_f32_e32 v3, v5
	s_delay_alu instid0(VALU_DEP_2) | instskip(NEXT) | instid1(VALU_DEP_2)
	v_cvt_u32_f32_e32 v5, v9
	v_dual_mov_b32 v9, v8 :: v_dual_bitop2_b32 v11, v3, v8 bitop3:0x14
	s_delay_alu instid0(VALU_DEP_2) | instskip(NEXT) | instid1(VALU_DEP_1)
	v_xor_b32_e32 v10, v5, v8
	v_sub_nc_u64_e32 v[8:9], v[10:11], v[8:9]
	s_branch .LBB30_1686
.LBB30_1675:
	s_mov_b32 s18, 0
                                        ; implicit-def: $vgpr8_vgpr9
	s_cbranch_execnz .LBB30_1747
.LBB30_1676:
	s_and_not1_b32 vcc_lo, exec_lo, s18
	s_cbranch_vccnz .LBB30_2583
	s_branch .LBB30_1794
.LBB30_1677:
	s_mov_b32 s18, 0
	s_mov_b32 s16, 0
                                        ; implicit-def: $vgpr8_vgpr9
	s_cbranch_execnz .LBB30_1713
	s_branch .LBB30_1743
.LBB30_1678:
	s_mov_b32 s19, -1
	s_mov_b32 s18, 0
	s_mov_b32 s16, 0
                                        ; implicit-def: $vgpr8_vgpr9
	s_branch .LBB30_1696
.LBB30_1679:
	s_mov_b32 s19, -1
	s_mov_b32 s18, 0
	s_mov_b32 s16, 0
                                        ; implicit-def: $vgpr8_vgpr9
	s_branch .LBB30_1691
.LBB30_1680:
	s_or_b32 s12, s15, exec_lo
	s_trap 2
	s_cbranch_execz .LBB30_1621
	s_branch .LBB30_1622
.LBB30_1681:
	s_mov_b32 s19, -1
	s_mov_b32 s18, 0
	s_mov_b32 s16, 0
	s_branch .LBB30_1685
.LBB30_1682:
	s_and_not1_saveexec_b32 s23, s23
	s_cbranch_execz .LBB30_1472
.LBB30_1683:
	v_add_f32_e32 v0, 0x42800000, v1
	s_and_not1_b32 s22, s22, exec_lo
	s_delay_alu instid0(VALU_DEP_1) | instskip(NEXT) | instid1(VALU_DEP_1)
	v_and_b32_e32 v0, 0xff, v0
	v_cmp_ne_u32_e32 vcc_lo, 0, v0
	s_and_b32 s24, vcc_lo, exec_lo
	s_delay_alu instid0(SALU_CYCLE_1)
	s_or_b32 s22, s22, s24
	s_or_b32 exec_lo, exec_lo, s23
	v_mov_b32_e32 v6, 0
	s_and_saveexec_b32 s23, s22
	s_cbranch_execnz .LBB30_1473
	s_branch .LBB30_1474
.LBB30_1684:
	s_mov_b32 s16, -1
	s_mov_b32 s18, 0
.LBB30_1685:
                                        ; implicit-def: $vgpr8_vgpr9
.LBB30_1686:
	s_and_b32 vcc_lo, exec_lo, s19
	s_cbranch_vccz .LBB30_1690
; %bb.1687:
	s_cmp_eq_u32 s0, 44
	s_cbranch_scc0 .LBB30_1689
; %bb.1688:
	global_load_u8 v3, v[0:1], off
	s_mov_b32 s16, 0
	s_mov_b32 s18, -1
	s_wait_loadcnt 0x0
	v_lshlrev_b32_e32 v5, 23, v3
	v_cmp_ne_u32_e32 vcc_lo, 0, v3
	s_delay_alu instid0(VALU_DEP_2) | instskip(NEXT) | instid1(VALU_DEP_1)
	v_trunc_f32_e32 v5, v5
	v_mul_f32_e64 v8, 0x2f800000, |v5|
	s_delay_alu instid0(VALU_DEP_1) | instskip(SKIP_1) | instid1(VALU_DEP_2)
	v_floor_f32_e32 v9, v8
	v_ashrrev_i32_e32 v8, 31, v5
	v_fma_f32 v10, 0xcf800000, v9, |v5|
	v_cvt_u32_f32_e32 v5, v9
	s_delay_alu instid0(VALU_DEP_3) | instskip(NEXT) | instid1(VALU_DEP_3)
	v_mov_b32_e32 v9, v8
	v_cvt_u32_f32_e32 v10, v10
	s_delay_alu instid0(VALU_DEP_3) | instskip(NEXT) | instid1(VALU_DEP_2)
	v_xor_b32_e32 v11, v5, v8
	v_xor_b32_e32 v10, v10, v8
	s_delay_alu instid0(VALU_DEP_1) | instskip(NEXT) | instid1(VALU_DEP_1)
	v_sub_nc_u64_e32 v[8:9], v[10:11], v[8:9]
	v_dual_cndmask_b32 v9, 0, v9 :: v_dual_cndmask_b32 v8, 0, v8
	s_branch .LBB30_1690
.LBB30_1689:
	s_mov_b32 s16, -1
                                        ; implicit-def: $vgpr8_vgpr9
.LBB30_1690:
	s_mov_b32 s19, 0
.LBB30_1691:
	s_delay_alu instid0(SALU_CYCLE_1)
	s_and_b32 vcc_lo, exec_lo, s19
	s_cbranch_vccz .LBB30_1695
; %bb.1692:
	s_cmp_eq_u32 s0, 29
	s_cbranch_scc0 .LBB30_1694
; %bb.1693:
	global_load_b64 v[8:9], v[0:1], off
	s_mov_b32 s16, 0
	s_mov_b32 s18, -1
	s_branch .LBB30_1695
.LBB30_1694:
	s_mov_b32 s16, -1
                                        ; implicit-def: $vgpr8_vgpr9
.LBB30_1695:
	s_mov_b32 s19, 0
.LBB30_1696:
	s_delay_alu instid0(SALU_CYCLE_1)
	s_and_b32 vcc_lo, exec_lo, s19
	s_cbranch_vccz .LBB30_1712
; %bb.1697:
	s_cmp_lt_i32 s0, 27
	s_cbranch_scc1 .LBB30_1700
; %bb.1698:
	s_cmp_gt_i32 s0, 27
	s_cbranch_scc0 .LBB30_1701
; %bb.1699:
	s_wait_loadcnt 0x0
	global_load_b32 v8, v[0:1], off
	v_mov_b32_e32 v9, 0
	s_mov_b32 s18, 0
	s_branch .LBB30_1702
.LBB30_1700:
	s_mov_b32 s18, -1
                                        ; implicit-def: $vgpr8_vgpr9
	s_branch .LBB30_1705
.LBB30_1701:
	s_mov_b32 s18, -1
                                        ; implicit-def: $vgpr8_vgpr9
.LBB30_1702:
	s_delay_alu instid0(SALU_CYCLE_1)
	s_and_not1_b32 vcc_lo, exec_lo, s18
	s_cbranch_vccnz .LBB30_1704
; %bb.1703:
	global_load_u16 v3, v[0:1], off
	s_mov_b32 s18, 0
	s_wait_loadcnt 0x1
	v_mov_b32_e32 v9, s18
	s_wait_loadcnt 0x0
	v_and_b32_e32 v8, 0xffff, v3
.LBB30_1704:
	s_mov_b32 s18, 0
.LBB30_1705:
	s_delay_alu instid0(SALU_CYCLE_1)
	s_and_not1_b32 vcc_lo, exec_lo, s18
	s_cbranch_vccnz .LBB30_1711
; %bb.1706:
	global_load_u8 v3, v[0:1], off
	s_mov_b32 s19, 0
	s_mov_b32 s18, exec_lo
	s_wait_loadcnt 0x0
	v_cmpx_lt_i16_e32 0x7f, v3
	s_xor_b32 s18, exec_lo, s18
	s_cbranch_execz .LBB30_1722
; %bb.1707:
	v_cmp_ne_u16_e32 vcc_lo, 0x80, v3
	s_and_b32 s19, vcc_lo, exec_lo
	s_and_not1_saveexec_b32 s18, s18
	s_cbranch_execnz .LBB30_1723
.LBB30_1708:
	s_or_b32 exec_lo, exec_lo, s18
	v_mov_b64_e32 v[8:9], 0
	s_and_saveexec_b32 s18, s19
	s_cbranch_execz .LBB30_1710
.LBB30_1709:
	v_and_b32_e32 v5, 0xffff, v3
	s_delay_alu instid0(VALU_DEP_1) | instskip(SKIP_1) | instid1(VALU_DEP_2)
	v_dual_lshlrev_b32 v3, 24, v3 :: v_dual_bitop2_b32 v8, 7, v5 bitop3:0x40
	v_bfe_u32 v11, v5, 3, 4
	v_and_b32_e32 v3, 0x80000000, v3
	s_delay_alu instid0(VALU_DEP_3) | instskip(NEXT) | instid1(VALU_DEP_3)
	v_clz_i32_u32_e32 v9, v8
	v_cmp_eq_u32_e32 vcc_lo, 0, v11
	s_delay_alu instid0(VALU_DEP_2) | instskip(NEXT) | instid1(VALU_DEP_1)
	v_min_u32_e32 v9, 32, v9
	v_subrev_nc_u32_e32 v10, 28, v9
	v_sub_nc_u32_e32 v9, 29, v9
	s_delay_alu instid0(VALU_DEP_2) | instskip(NEXT) | instid1(VALU_DEP_2)
	v_lshlrev_b32_e32 v5, v10, v5
	v_cndmask_b32_e32 v9, v11, v9, vcc_lo
	s_delay_alu instid0(VALU_DEP_2) | instskip(NEXT) | instid1(VALU_DEP_1)
	v_and_b32_e32 v5, 7, v5
	v_cndmask_b32_e32 v5, v8, v5, vcc_lo
	s_delay_alu instid0(VALU_DEP_3) | instskip(NEXT) | instid1(VALU_DEP_2)
	v_lshl_add_u32 v8, v9, 23, 0x3b800000
	v_lshlrev_b32_e32 v5, 20, v5
	s_delay_alu instid0(VALU_DEP_1) | instskip(NEXT) | instid1(VALU_DEP_1)
	v_or3_b32 v3, v3, v8, v5
	v_trunc_f32_e32 v3, v3
	s_delay_alu instid0(VALU_DEP_1) | instskip(SKIP_1) | instid1(VALU_DEP_2)
	v_mul_f32_e64 v5, 0x2f800000, |v3|
	v_ashrrev_i32_e32 v8, 31, v3
	v_floor_f32_e32 v5, v5
	s_delay_alu instid0(VALU_DEP_1) | instskip(SKIP_1) | instid1(VALU_DEP_2)
	v_fma_f32 v9, 0xcf800000, v5, |v3|
	v_cvt_u32_f32_e32 v3, v5
	v_cvt_u32_f32_e32 v5, v9
	s_delay_alu instid0(VALU_DEP_2) | instskip(NEXT) | instid1(VALU_DEP_2)
	v_dual_mov_b32 v9, v8 :: v_dual_bitop2_b32 v11, v3, v8 bitop3:0x14
	v_xor_b32_e32 v10, v5, v8
	s_delay_alu instid0(VALU_DEP_1)
	v_sub_nc_u64_e32 v[8:9], v[10:11], v[8:9]
.LBB30_1710:
	s_or_b32 exec_lo, exec_lo, s18
.LBB30_1711:
	s_mov_b32 s18, -1
.LBB30_1712:
	s_branch .LBB30_1743
.LBB30_1713:
	s_cmp_gt_i32 s0, 22
	s_cbranch_scc0 .LBB30_1721
; %bb.1714:
	s_cmp_lt_i32 s0, 24
	s_cbranch_scc1 .LBB30_1724
; %bb.1715:
	s_cmp_gt_i32 s0, 24
	s_cbranch_scc0 .LBB30_1725
; %bb.1716:
	global_load_u8 v3, v[0:1], off
	s_mov_b32 s18, 0
	s_mov_b32 s17, exec_lo
	s_wait_loadcnt 0x0
	v_cmpx_lt_i16_e32 0x7f, v3
	s_xor_b32 s17, exec_lo, s17
	s_cbranch_execz .LBB30_1737
; %bb.1717:
	v_cmp_ne_u16_e32 vcc_lo, 0x80, v3
	s_and_b32 s18, vcc_lo, exec_lo
	s_and_not1_saveexec_b32 s17, s17
	s_cbranch_execnz .LBB30_1738
.LBB30_1718:
	s_or_b32 exec_lo, exec_lo, s17
	v_mov_b64_e32 v[8:9], 0
	s_and_saveexec_b32 s17, s18
	s_cbranch_execz .LBB30_1720
.LBB30_1719:
	v_and_b32_e32 v5, 0xffff, v3
	s_delay_alu instid0(VALU_DEP_1) | instskip(SKIP_1) | instid1(VALU_DEP_2)
	v_dual_lshlrev_b32 v3, 24, v3 :: v_dual_bitop2_b32 v8, 3, v5 bitop3:0x40
	v_bfe_u32 v11, v5, 2, 5
	v_and_b32_e32 v3, 0x80000000, v3
	s_delay_alu instid0(VALU_DEP_3) | instskip(NEXT) | instid1(VALU_DEP_3)
	v_clz_i32_u32_e32 v9, v8
	v_cmp_eq_u32_e32 vcc_lo, 0, v11
	s_delay_alu instid0(VALU_DEP_2) | instskip(NEXT) | instid1(VALU_DEP_1)
	v_min_u32_e32 v9, 32, v9
	v_subrev_nc_u32_e32 v10, 29, v9
	v_sub_nc_u32_e32 v9, 30, v9
	s_delay_alu instid0(VALU_DEP_2) | instskip(NEXT) | instid1(VALU_DEP_2)
	v_lshlrev_b32_e32 v5, v10, v5
	v_cndmask_b32_e32 v9, v11, v9, vcc_lo
	s_delay_alu instid0(VALU_DEP_2) | instskip(NEXT) | instid1(VALU_DEP_1)
	v_and_b32_e32 v5, 3, v5
	v_cndmask_b32_e32 v5, v8, v5, vcc_lo
	s_delay_alu instid0(VALU_DEP_3) | instskip(NEXT) | instid1(VALU_DEP_2)
	v_lshl_add_u32 v8, v9, 23, 0x37800000
	v_lshlrev_b32_e32 v5, 21, v5
	s_delay_alu instid0(VALU_DEP_1) | instskip(NEXT) | instid1(VALU_DEP_1)
	v_or3_b32 v3, v3, v8, v5
	v_trunc_f32_e32 v3, v3
	s_delay_alu instid0(VALU_DEP_1) | instskip(SKIP_1) | instid1(VALU_DEP_2)
	v_mul_f32_e64 v5, 0x2f800000, |v3|
	v_ashrrev_i32_e32 v8, 31, v3
	v_floor_f32_e32 v5, v5
	s_delay_alu instid0(VALU_DEP_1) | instskip(SKIP_1) | instid1(VALU_DEP_2)
	v_fma_f32 v9, 0xcf800000, v5, |v3|
	v_cvt_u32_f32_e32 v3, v5
	v_cvt_u32_f32_e32 v5, v9
	s_delay_alu instid0(VALU_DEP_2) | instskip(NEXT) | instid1(VALU_DEP_2)
	v_dual_mov_b32 v9, v8 :: v_dual_bitop2_b32 v11, v3, v8 bitop3:0x14
	v_xor_b32_e32 v10, v5, v8
	s_delay_alu instid0(VALU_DEP_1)
	v_sub_nc_u64_e32 v[8:9], v[10:11], v[8:9]
.LBB30_1720:
	s_or_b32 exec_lo, exec_lo, s17
	s_mov_b32 s17, 0
	s_branch .LBB30_1726
.LBB30_1721:
	s_mov_b32 s17, -1
                                        ; implicit-def: $vgpr8_vgpr9
	s_branch .LBB30_1732
.LBB30_1722:
	s_and_not1_saveexec_b32 s18, s18
	s_cbranch_execz .LBB30_1708
.LBB30_1723:
	v_cmp_ne_u16_e32 vcc_lo, 0, v3
	s_and_not1_b32 s19, s19, exec_lo
	s_and_b32 s20, vcc_lo, exec_lo
	s_delay_alu instid0(SALU_CYCLE_1)
	s_or_b32 s19, s19, s20
	s_or_b32 exec_lo, exec_lo, s18
	v_mov_b64_e32 v[8:9], 0
	s_and_saveexec_b32 s18, s19
	s_cbranch_execnz .LBB30_1709
	s_branch .LBB30_1710
.LBB30_1724:
	s_mov_b32 s17, -1
                                        ; implicit-def: $vgpr8_vgpr9
	s_branch .LBB30_1729
.LBB30_1725:
	s_mov_b32 s17, -1
                                        ; implicit-def: $vgpr8_vgpr9
.LBB30_1726:
	s_delay_alu instid0(SALU_CYCLE_1)
	s_and_b32 vcc_lo, exec_lo, s17
	s_cbranch_vccz .LBB30_1728
; %bb.1727:
	global_load_u8 v3, v[0:1], off
	s_wait_loadcnt 0x0
	v_lshlrev_b32_e32 v3, 24, v3
	s_delay_alu instid0(VALU_DEP_1) | instskip(NEXT) | instid1(VALU_DEP_1)
	v_and_b32_e32 v5, 0x7f000000, v3
	v_clz_i32_u32_e32 v8, v5
	v_cmp_ne_u32_e32 vcc_lo, 0, v5
	v_add_nc_u32_e32 v10, 0x1000000, v5
	s_delay_alu instid0(VALU_DEP_3) | instskip(NEXT) | instid1(VALU_DEP_1)
	v_min_u32_e32 v8, 32, v8
	v_sub_nc_u32_e64 v8, v8, 4 clamp
	s_delay_alu instid0(VALU_DEP_1) | instskip(NEXT) | instid1(VALU_DEP_1)
	v_dual_lshlrev_b32 v9, v8, v5 :: v_dual_lshlrev_b32 v8, 23, v8
	v_lshrrev_b32_e32 v9, 4, v9
	s_delay_alu instid0(VALU_DEP_1) | instskip(NEXT) | instid1(VALU_DEP_1)
	v_dual_sub_nc_u32 v8, v9, v8 :: v_dual_ashrrev_i32 v9, 8, v10
	v_add_nc_u32_e32 v8, 0x3c000000, v8
	s_delay_alu instid0(VALU_DEP_1) | instskip(NEXT) | instid1(VALU_DEP_1)
	v_and_or_b32 v8, 0x7f800000, v9, v8
	v_cndmask_b32_e32 v5, 0, v8, vcc_lo
	s_delay_alu instid0(VALU_DEP_1) | instskip(NEXT) | instid1(VALU_DEP_1)
	v_and_or_b32 v3, 0x80000000, v3, v5
	v_trunc_f32_e32 v3, v3
	s_delay_alu instid0(VALU_DEP_1) | instskip(SKIP_1) | instid1(VALU_DEP_2)
	v_mul_f32_e64 v5, 0x2f800000, |v3|
	v_ashrrev_i32_e32 v8, 31, v3
	v_floor_f32_e32 v5, v5
	s_delay_alu instid0(VALU_DEP_1) | instskip(SKIP_1) | instid1(VALU_DEP_2)
	v_fma_f32 v9, 0xcf800000, v5, |v3|
	v_cvt_u32_f32_e32 v3, v5
	v_cvt_u32_f32_e32 v5, v9
	s_delay_alu instid0(VALU_DEP_2) | instskip(NEXT) | instid1(VALU_DEP_2)
	v_dual_mov_b32 v9, v8 :: v_dual_bitop2_b32 v11, v3, v8 bitop3:0x14
	v_xor_b32_e32 v10, v5, v8
	s_delay_alu instid0(VALU_DEP_1)
	v_sub_nc_u64_e32 v[8:9], v[10:11], v[8:9]
.LBB30_1728:
	s_mov_b32 s17, 0
.LBB30_1729:
	s_delay_alu instid0(SALU_CYCLE_1)
	s_and_not1_b32 vcc_lo, exec_lo, s17
	s_cbranch_vccnz .LBB30_1731
; %bb.1730:
	global_load_u8 v3, v[0:1], off
	s_wait_loadcnt 0x0
	v_lshlrev_b32_e32 v5, 25, v3
	v_lshlrev_b16 v3, 8, v3
	s_delay_alu instid0(VALU_DEP_1) | instskip(SKIP_1) | instid1(VALU_DEP_2)
	v_and_or_b32 v9, 0x7f00, v3, 0.5
	v_bfe_i32 v3, v3, 0, 16
	v_add_f32_e32 v9, -0.5, v9
	v_lshrrev_b32_e32 v8, 4, v5
	v_cmp_gt_u32_e32 vcc_lo, 0x8000000, v5
	s_delay_alu instid0(VALU_DEP_2) | instskip(NEXT) | instid1(VALU_DEP_1)
	v_or_b32_e32 v8, 0x70000000, v8
	v_mul_f32_e32 v8, 0x7800000, v8
	s_delay_alu instid0(VALU_DEP_1) | instskip(NEXT) | instid1(VALU_DEP_1)
	v_cndmask_b32_e32 v5, v8, v9, vcc_lo
	v_and_or_b32 v3, 0x80000000, v3, v5
	s_delay_alu instid0(VALU_DEP_1) | instskip(NEXT) | instid1(VALU_DEP_1)
	v_trunc_f32_e32 v3, v3
	v_mul_f32_e64 v5, 0x2f800000, |v3|
	v_ashrrev_i32_e32 v8, 31, v3
	s_delay_alu instid0(VALU_DEP_2) | instskip(NEXT) | instid1(VALU_DEP_1)
	v_floor_f32_e32 v5, v5
	v_fma_f32 v9, 0xcf800000, v5, |v3|
	v_cvt_u32_f32_e32 v3, v5
	s_delay_alu instid0(VALU_DEP_2) | instskip(NEXT) | instid1(VALU_DEP_2)
	v_cvt_u32_f32_e32 v5, v9
	v_dual_mov_b32 v9, v8 :: v_dual_bitop2_b32 v11, v3, v8 bitop3:0x14
	s_delay_alu instid0(VALU_DEP_2) | instskip(NEXT) | instid1(VALU_DEP_1)
	v_xor_b32_e32 v10, v5, v8
	v_sub_nc_u64_e32 v[8:9], v[10:11], v[8:9]
.LBB30_1731:
	s_mov_b32 s17, 0
	s_mov_b32 s18, -1
.LBB30_1732:
	s_and_not1_b32 vcc_lo, exec_lo, s17
	s_mov_b32 s17, 0
	s_cbranch_vccnz .LBB30_1743
; %bb.1733:
	s_cmp_gt_i32 s0, 14
	s_cbranch_scc0 .LBB30_1736
; %bb.1734:
	s_cmp_eq_u32 s0, 15
	s_cbranch_scc0 .LBB30_1739
; %bb.1735:
	global_load_u16 v3, v[0:1], off
	s_mov_b32 s16, 0
	s_mov_b32 s18, -1
	s_wait_loadcnt 0x0
	v_lshlrev_b32_e32 v3, 16, v3
	s_delay_alu instid0(VALU_DEP_1) | instskip(NEXT) | instid1(VALU_DEP_1)
	v_trunc_f32_e32 v3, v3
	v_mul_f32_e64 v5, 0x2f800000, |v3|
	v_ashrrev_i32_e32 v8, 31, v3
	s_delay_alu instid0(VALU_DEP_2) | instskip(NEXT) | instid1(VALU_DEP_1)
	v_floor_f32_e32 v5, v5
	v_fma_f32 v9, 0xcf800000, v5, |v3|
	v_cvt_u32_f32_e32 v3, v5
	s_delay_alu instid0(VALU_DEP_2) | instskip(NEXT) | instid1(VALU_DEP_2)
	v_cvt_u32_f32_e32 v5, v9
	v_dual_mov_b32 v9, v8 :: v_dual_bitop2_b32 v11, v3, v8 bitop3:0x14
	s_delay_alu instid0(VALU_DEP_2) | instskip(NEXT) | instid1(VALU_DEP_1)
	v_xor_b32_e32 v10, v5, v8
	v_sub_nc_u64_e32 v[8:9], v[10:11], v[8:9]
	s_branch .LBB30_1741
.LBB30_1736:
	s_mov_b32 s17, -1
	s_branch .LBB30_1740
.LBB30_1737:
	s_and_not1_saveexec_b32 s17, s17
	s_cbranch_execz .LBB30_1718
.LBB30_1738:
	v_cmp_ne_u16_e32 vcc_lo, 0, v3
	s_and_not1_b32 s18, s18, exec_lo
	s_and_b32 s19, vcc_lo, exec_lo
	s_delay_alu instid0(SALU_CYCLE_1)
	s_or_b32 s18, s18, s19
	s_or_b32 exec_lo, exec_lo, s17
	v_mov_b64_e32 v[8:9], 0
	s_and_saveexec_b32 s17, s18
	s_cbranch_execnz .LBB30_1719
	s_branch .LBB30_1720
.LBB30_1739:
	s_mov_b32 s16, -1
.LBB30_1740:
                                        ; implicit-def: $vgpr8_vgpr9
.LBB30_1741:
	s_and_b32 vcc_lo, exec_lo, s17
	s_mov_b32 s17, 0
	s_cbranch_vccz .LBB30_1743
; %bb.1742:
	s_cmp_lg_u32 s0, 11
	s_mov_b32 s17, -1
	s_cselect_b32 s16, -1, 0
.LBB30_1743:
	s_delay_alu instid0(SALU_CYCLE_1)
	s_and_b32 vcc_lo, exec_lo, s16
	s_cbranch_vccnz .LBB30_1814
; %bb.1744:
	s_and_not1_b32 vcc_lo, exec_lo, s17
	s_cbranch_vccnz .LBB30_1746
.LBB30_1745:
	global_load_u8 v3, v[0:1], off
	s_mov_b32 s0, 0
	s_mov_b32 s18, -1
	s_wait_loadcnt 0x1
	v_mov_b32_e32 v9, s0
	s_wait_loadcnt 0x0
	v_cmp_ne_u16_e32 vcc_lo, 0, v3
	v_cndmask_b32_e64 v8, 0, 1, vcc_lo
.LBB30_1746:
	s_branch .LBB30_1676
.LBB30_1747:
	s_and_b32 s0, 0xffff, s1
	s_delay_alu instid0(SALU_CYCLE_1)
	s_cmp_lt_i32 s0, 5
	s_cbranch_scc1 .LBB30_1752
; %bb.1748:
	s_cmp_lt_i32 s0, 8
	s_cbranch_scc1 .LBB30_1753
; %bb.1749:
	;; [unrolled: 3-line block ×3, first 2 shown]
	s_cmp_gt_i32 s0, 9
	s_cbranch_scc0 .LBB30_1755
; %bb.1751:
	s_wait_loadcnt 0x0
	global_load_b64 v[8:9], v[0:1], off
	s_mov_b32 s16, 0
	s_wait_loadcnt 0x0
	v_trunc_f64_e32 v[8:9], v[8:9]
	s_delay_alu instid0(VALU_DEP_1) | instskip(NEXT) | instid1(VALU_DEP_1)
	v_ldexp_f64 v[10:11], v[8:9], 0xffffffe0
	v_floor_f64_e32 v[10:11], v[10:11]
	s_delay_alu instid0(VALU_DEP_1) | instskip(SKIP_1) | instid1(VALU_DEP_2)
	v_fmamk_f64 v[12:13], v[10:11], 0xc1f00000, v[8:9]
	v_cvt_i32_f64_e32 v9, v[10:11]
	v_cvt_u32_f64_e32 v8, v[12:13]
	s_branch .LBB30_1756
.LBB30_1752:
                                        ; implicit-def: $vgpr8_vgpr9
	s_branch .LBB30_1774
.LBB30_1753:
	s_mov_b32 s16, -1
                                        ; implicit-def: $vgpr8_vgpr9
	s_branch .LBB30_1762
.LBB30_1754:
	s_mov_b32 s16, -1
                                        ; implicit-def: $vgpr8_vgpr9
	s_branch .LBB30_1759
.LBB30_1755:
	s_mov_b32 s16, -1
                                        ; implicit-def: $vgpr8_vgpr9
.LBB30_1756:
	s_delay_alu instid0(SALU_CYCLE_1)
	s_and_not1_b32 vcc_lo, exec_lo, s16
	s_cbranch_vccnz .LBB30_1758
; %bb.1757:
	global_load_b32 v3, v[0:1], off
	s_wait_loadcnt 0x0
	v_trunc_f32_e32 v3, v3
	s_delay_alu instid0(VALU_DEP_1) | instskip(SKIP_1) | instid1(VALU_DEP_2)
	v_mul_f32_e64 v5, 0x2f800000, |v3|
	v_ashrrev_i32_e32 v8, 31, v3
	v_floor_f32_e32 v5, v5
	s_delay_alu instid0(VALU_DEP_1) | instskip(SKIP_1) | instid1(VALU_DEP_2)
	v_fma_f32 v9, 0xcf800000, v5, |v3|
	v_cvt_u32_f32_e32 v3, v5
	v_cvt_u32_f32_e32 v5, v9
	s_delay_alu instid0(VALU_DEP_2) | instskip(NEXT) | instid1(VALU_DEP_2)
	v_dual_mov_b32 v9, v8 :: v_dual_bitop2_b32 v11, v3, v8 bitop3:0x14
	v_xor_b32_e32 v10, v5, v8
	s_delay_alu instid0(VALU_DEP_1)
	v_sub_nc_u64_e32 v[8:9], v[10:11], v[8:9]
.LBB30_1758:
	s_mov_b32 s16, 0
.LBB30_1759:
	s_delay_alu instid0(SALU_CYCLE_1)
	s_and_not1_b32 vcc_lo, exec_lo, s16
	s_cbranch_vccnz .LBB30_1761
; %bb.1760:
	global_load_b32 v3, v[0:1], off
	s_wait_loadcnt 0x0
	v_cvt_f32_f16_e32 v3, v3
	s_delay_alu instid0(VALU_DEP_1) | instskip(NEXT) | instid1(VALU_DEP_1)
	v_cvt_i32_f32_e32 v8, v3
	v_ashrrev_i32_e32 v9, 31, v8
.LBB30_1761:
	s_mov_b32 s16, 0
.LBB30_1762:
	s_delay_alu instid0(SALU_CYCLE_1)
	s_and_not1_b32 vcc_lo, exec_lo, s16
	s_cbranch_vccnz .LBB30_1773
; %bb.1763:
	s_cmp_lt_i32 s0, 6
	s_cbranch_scc1 .LBB30_1766
; %bb.1764:
	s_cmp_gt_i32 s0, 6
	s_cbranch_scc0 .LBB30_1767
; %bb.1765:
	s_wait_loadcnt 0x0
	global_load_b64 v[8:9], v[0:1], off
	s_mov_b32 s16, 0
	s_wait_loadcnt 0x0
	v_trunc_f64_e32 v[8:9], v[8:9]
	s_delay_alu instid0(VALU_DEP_1) | instskip(NEXT) | instid1(VALU_DEP_1)
	v_ldexp_f64 v[10:11], v[8:9], 0xffffffe0
	v_floor_f64_e32 v[10:11], v[10:11]
	s_delay_alu instid0(VALU_DEP_1) | instskip(SKIP_1) | instid1(VALU_DEP_2)
	v_fmamk_f64 v[12:13], v[10:11], 0xc1f00000, v[8:9]
	v_cvt_i32_f64_e32 v9, v[10:11]
	v_cvt_u32_f64_e32 v8, v[12:13]
	s_branch .LBB30_1768
.LBB30_1766:
	s_mov_b32 s16, -1
                                        ; implicit-def: $vgpr8_vgpr9
	s_branch .LBB30_1771
.LBB30_1767:
	s_mov_b32 s16, -1
                                        ; implicit-def: $vgpr8_vgpr9
.LBB30_1768:
	s_delay_alu instid0(SALU_CYCLE_1)
	s_and_not1_b32 vcc_lo, exec_lo, s16
	s_cbranch_vccnz .LBB30_1770
; %bb.1769:
	global_load_b32 v3, v[0:1], off
	s_wait_loadcnt 0x0
	v_trunc_f32_e32 v3, v3
	s_delay_alu instid0(VALU_DEP_1) | instskip(SKIP_1) | instid1(VALU_DEP_2)
	v_mul_f32_e64 v5, 0x2f800000, |v3|
	v_ashrrev_i32_e32 v8, 31, v3
	v_floor_f32_e32 v5, v5
	s_delay_alu instid0(VALU_DEP_1) | instskip(SKIP_1) | instid1(VALU_DEP_2)
	v_fma_f32 v9, 0xcf800000, v5, |v3|
	v_cvt_u32_f32_e32 v3, v5
	v_cvt_u32_f32_e32 v5, v9
	s_delay_alu instid0(VALU_DEP_2) | instskip(NEXT) | instid1(VALU_DEP_2)
	v_dual_mov_b32 v9, v8 :: v_dual_bitop2_b32 v11, v3, v8 bitop3:0x14
	v_xor_b32_e32 v10, v5, v8
	s_delay_alu instid0(VALU_DEP_1)
	v_sub_nc_u64_e32 v[8:9], v[10:11], v[8:9]
.LBB30_1770:
	s_mov_b32 s16, 0
.LBB30_1771:
	s_delay_alu instid0(SALU_CYCLE_1)
	s_and_not1_b32 vcc_lo, exec_lo, s16
	s_cbranch_vccnz .LBB30_1773
; %bb.1772:
	global_load_u16 v3, v[0:1], off
	s_wait_loadcnt 0x0
	v_cvt_f32_f16_e32 v3, v3
	s_delay_alu instid0(VALU_DEP_1) | instskip(NEXT) | instid1(VALU_DEP_1)
	v_cvt_i32_f32_e32 v8, v3
	v_ashrrev_i32_e32 v9, 31, v8
.LBB30_1773:
	s_cbranch_execnz .LBB30_1793
.LBB30_1774:
	s_cmp_lt_i32 s0, 2
	s_cbranch_scc1 .LBB30_1778
; %bb.1775:
	s_cmp_lt_i32 s0, 3
	s_cbranch_scc1 .LBB30_1779
; %bb.1776:
	s_cmp_gt_i32 s0, 3
	s_cbranch_scc0 .LBB30_1780
; %bb.1777:
	s_wait_loadcnt 0x0
	global_load_b64 v[8:9], v[0:1], off
	s_mov_b32 s16, 0
	s_branch .LBB30_1781
.LBB30_1778:
	s_mov_b32 s16, -1
                                        ; implicit-def: $vgpr8_vgpr9
	s_branch .LBB30_1787
.LBB30_1779:
	s_mov_b32 s16, -1
                                        ; implicit-def: $vgpr8_vgpr9
	s_branch .LBB30_1784
.LBB30_1780:
	s_mov_b32 s16, -1
                                        ; implicit-def: $vgpr8_vgpr9
.LBB30_1781:
	s_delay_alu instid0(SALU_CYCLE_1)
	s_and_not1_b32 vcc_lo, exec_lo, s16
	s_cbranch_vccnz .LBB30_1783
; %bb.1782:
	s_wait_loadcnt 0x0
	global_load_b32 v8, v[0:1], off
	s_wait_loadcnt 0x0
	v_ashrrev_i32_e32 v9, 31, v8
.LBB30_1783:
	s_mov_b32 s16, 0
.LBB30_1784:
	s_delay_alu instid0(SALU_CYCLE_1)
	s_and_not1_b32 vcc_lo, exec_lo, s16
	s_cbranch_vccnz .LBB30_1786
; %bb.1785:
	global_load_u16 v3, v[0:1], off
	s_wait_loadcnt 0x0
	v_bfe_i32 v8, v3, 0, 16
	s_delay_alu instid0(VALU_DEP_1)
	v_ashrrev_i32_e32 v9, 31, v8
.LBB30_1786:
	s_mov_b32 s16, 0
.LBB30_1787:
	s_delay_alu instid0(SALU_CYCLE_1)
	s_and_not1_b32 vcc_lo, exec_lo, s16
	s_cbranch_vccnz .LBB30_1793
; %bb.1788:
	s_cmp_gt_i32 s0, 0
	s_mov_b32 s0, 0
	s_cbranch_scc0 .LBB30_1790
; %bb.1789:
	global_load_i8 v3, v[0:1], off
	s_wait_loadcnt 0x0
	v_bfe_i32 v8, v3, 0, 16
	s_delay_alu instid0(VALU_DEP_1)
	v_ashrrev_i32_e32 v9, 31, v8
	s_branch .LBB30_1791
.LBB30_1790:
	s_mov_b32 s0, -1
                                        ; implicit-def: $vgpr8_vgpr9
.LBB30_1791:
	s_delay_alu instid0(SALU_CYCLE_1)
	s_and_not1_b32 vcc_lo, exec_lo, s0
	s_cbranch_vccnz .LBB30_1793
; %bb.1792:
	global_load_u8 v0, v[0:1], off
	s_mov_b32 s0, 0
	s_wait_loadcnt 0x1
	v_mov_b32_e32 v9, s0
	s_wait_loadcnt 0x0
	v_and_b32_e32 v8, 0xffff, v0
.LBB30_1793:
.LBB30_1794:
	s_wait_loadcnt 0x0
	s_delay_alu instid0(VALU_DEP_1) | instskip(SKIP_1) | instid1(VALU_DEP_1)
	v_sub_nc_u64_e32 v[0:1], 0, v[8:9]
	s_mov_b32 s16, exec_lo
	v_max_i64 v[0:1], v[8:9], v[0:1]
	v_cmpx_ne_u64_e32 0, v[6:7]
	s_cbranch_execz .LBB30_1802
; %bb.1795:
	v_sub_nc_u64_e32 v[8:9], 0, v[6:7]
	s_mov_b32 s17, 0
	s_delay_alu instid0(VALU_DEP_1)
	v_max_i64 v[10:11], v[6:7], v[8:9]
	v_mov_b32_e32 v6, 0
	s_branch .LBB30_1797
.LBB30_1796:                            ;   in Loop: Header=BB30_1797 Depth=1
	s_or_b32 exec_lo, exec_lo, s0
	s_delay_alu instid0(VALU_DEP_1) | instskip(SKIP_2) | instid1(SALU_CYCLE_1)
	v_cmp_eq_u64_e32 vcc_lo, 0, v[10:11]
	v_mov_b64_e32 v[0:1], v[8:9]
	s_or_b32 s17, vcc_lo, s17
	s_and_not1_b32 exec_lo, exec_lo, s17
	s_cbranch_execz .LBB30_1801
.LBB30_1797:                            ; =>This Inner Loop Header: Depth=1
	s_delay_alu instid0(VALU_DEP_2) | instskip(SKIP_1) | instid1(VALU_DEP_1)
	v_mov_b64_e32 v[8:9], v[10:11]
                                        ; implicit-def: $vgpr10_vgpr11
	s_mov_b32 s0, exec_lo
	v_or_b32_e32 v7, v1, v9
	s_delay_alu instid0(VALU_DEP_1)
	v_cmpx_ne_u64_e32 0, v[6:7]
	s_xor_b32 s18, exec_lo, s0
	s_cbranch_execz .LBB30_1799
; %bb.1798:                             ;   in Loop: Header=BB30_1797 Depth=1
	s_delay_alu instid0(VALU_DEP_3) | instskip(SKIP_4) | instid1(VALU_DEP_4)
	v_cvt_f32_u32_e32 v3, v8
	v_cvt_f32_u32_e32 v5, v9
	v_sub_nc_u64_e32 v[12:13], 0, v[8:9]
	v_dual_mov_b32 v11, v6 :: v_dual_mov_b32 v21, v6
	v_mov_b32_e32 v23, v6
	v_fmac_f32_e32 v3, 0x4f800000, v5
	s_delay_alu instid0(VALU_DEP_1) | instskip(SKIP_1) | instid1(TRANS32_DEP_1)
	v_rcp_f32_e32 v3, v3
	v_nop
	v_mul_f32_e32 v3, 0x5f7ffffc, v3
	s_delay_alu instid0(VALU_DEP_1) | instskip(NEXT) | instid1(VALU_DEP_1)
	v_mul_f32_e32 v5, 0x2f800000, v3
	v_trunc_f32_e32 v5, v5
	s_delay_alu instid0(VALU_DEP_1) | instskip(SKIP_1) | instid1(VALU_DEP_2)
	v_fmac_f32_e32 v3, 0xcf800000, v5
	v_cvt_u32_f32_e32 v15, v5
	v_cvt_u32_f32_e32 v10, v3
	s_delay_alu instid0(VALU_DEP_1) | instskip(NEXT) | instid1(VALU_DEP_1)
	v_dual_mov_b32 v22, v15 :: v_dual_mov_b32 v14, v10
	v_mul_u64_e32 v[18:19], v[12:13], v[14:15]
	s_delay_alu instid0(VALU_DEP_1) | instskip(NEXT) | instid1(VALU_DEP_1)
	v_dual_mov_b32 v20, v19 :: v_dual_mov_b32 v19, v6
	v_mul_u64_e32 v[24:25], v[10:11], v[20:21]
	s_delay_alu instid0(VALU_DEP_2) | instskip(SKIP_2) | instid1(VALU_DEP_1)
	v_mul_u64_e32 v[26:27], v[22:23], v[18:19]
	v_mul_u64_e32 v[20:21], v[22:23], v[20:21]
	v_mul_hi_u32 v18, v10, v18
	v_add_nc_u64_e32 v[18:19], v[18:19], v[24:25]
	s_delay_alu instid0(VALU_DEP_1) | instskip(NEXT) | instid1(VALU_DEP_2)
	v_add_co_u32 v3, vcc_lo, v18, v26
	v_add_co_ci_u32_e32 v22, vcc_lo, v19, v27, vcc_lo
	v_add_co_ci_u32_e32 v21, vcc_lo, 0, v21, vcc_lo
	s_delay_alu instid0(VALU_DEP_1) | instskip(NEXT) | instid1(VALU_DEP_1)
	v_add_nc_u64_e32 v[18:19], v[22:23], v[20:21]
	v_add_co_u32 v10, vcc_lo, v10, v18
	s_delay_alu instid0(VALU_DEP_1) | instskip(SKIP_1) | instid1(VALU_DEP_2)
	v_add_co_ci_u32_e64 v14, null, v15, v19, vcc_lo
	v_dual_mov_b32 v19, v6 :: v_dual_mov_b32 v15, v6
	v_mov_b32_e32 v11, v14
	s_delay_alu instid0(VALU_DEP_1) | instskip(NEXT) | instid1(VALU_DEP_1)
	v_mul_u64_e32 v[12:13], v[12:13], v[10:11]
	v_dual_mov_b32 v11, v6 :: v_dual_mov_b32 v18, v13
	s_delay_alu instid0(VALU_DEP_2) | instskip(SKIP_1) | instid1(VALU_DEP_3)
	v_dual_mov_b32 v22, v12 :: v_dual_mov_b32 v13, v6
	v_mul_hi_u32 v12, v10, v12
	v_mul_u64_e32 v[20:21], v[10:11], v[18:19]
	s_delay_alu instid0(VALU_DEP_3) | instskip(SKIP_1) | instid1(VALU_DEP_3)
	v_mul_u64_e32 v[22:23], v[14:15], v[22:23]
	v_mul_u64_e32 v[18:19], v[14:15], v[18:19]
	v_add_nc_u64_e32 v[12:13], v[12:13], v[20:21]
	v_mov_b32_e32 v21, v6
	s_delay_alu instid0(VALU_DEP_2) | instskip(NEXT) | instid1(VALU_DEP_3)
	v_add_co_u32 v3, vcc_lo, v12, v22
	v_add_co_ci_u32_e32 v20, vcc_lo, v13, v23, vcc_lo
	v_add_co_ci_u32_e32 v19, vcc_lo, 0, v19, vcc_lo
	s_delay_alu instid0(VALU_DEP_1) | instskip(SKIP_1) | instid1(VALU_DEP_2)
	v_add_nc_u64_e32 v[12:13], v[20:21], v[18:19]
	v_dual_mov_b32 v18, v0 :: v_dual_mov_b32 v19, v6
	v_add_co_u32 v12, vcc_lo, v10, v12
	s_delay_alu instid0(VALU_DEP_1) | instskip(SKIP_1) | instid1(VALU_DEP_2)
	v_add_co_ci_u32_e64 v10, null, v14, v13, vcc_lo
	v_dual_mov_b32 v14, v1 :: v_dual_mov_b32 v13, v6
	v_mul_u64_e32 v[18:19], v[18:19], v[10:11]
	s_delay_alu instid0(VALU_DEP_2) | instskip(NEXT) | instid1(VALU_DEP_3)
	v_mul_u64_e32 v[10:11], v[14:15], v[10:11]
	v_mul_u64_e32 v[20:21], v[14:15], v[12:13]
	v_mul_hi_u32 v12, v0, v12
	s_delay_alu instid0(VALU_DEP_1) | instskip(NEXT) | instid1(VALU_DEP_1)
	v_add_nc_u64_e32 v[12:13], v[12:13], v[18:19]
	v_add_co_u32 v3, vcc_lo, v12, v20
	s_delay_alu instid0(VALU_DEP_2) | instskip(SKIP_1) | instid1(VALU_DEP_1)
	v_add_co_ci_u32_e32 v14, vcc_lo, v13, v21, vcc_lo
	v_add_co_ci_u32_e32 v11, vcc_lo, 0, v11, vcc_lo
	v_add_nc_u64_e32 v[10:11], v[14:15], v[10:11]
	s_delay_alu instid0(VALU_DEP_1) | instskip(NEXT) | instid1(VALU_DEP_1)
	v_mul_u64_e32 v[10:11], v[8:9], v[10:11]
	v_sub_nc_u32_e32 v3, v1, v11
	s_delay_alu instid0(VALU_DEP_2) | instskip(NEXT) | instid1(VALU_DEP_1)
	v_sub_co_u32 v0, vcc_lo, v0, v10
	v_sub_co_ci_u32_e64 v1, null, v1, v11, vcc_lo
	s_delay_alu instid0(VALU_DEP_3) | instskip(NEXT) | instid1(VALU_DEP_3)
	v_sub_co_ci_u32_e64 v3, null, v3, v9, vcc_lo
	v_sub_co_u32 v5, vcc_lo, v0, v8
	v_cmp_ge_u32_e64 s0, v0, v8
	s_delay_alu instid0(VALU_DEP_3) | instskip(SKIP_1) | instid1(VALU_DEP_3)
	v_subrev_co_ci_u32_e64 v7, null, 0, v3, vcc_lo
	v_sub_co_ci_u32_e64 v3, null, v3, v9, vcc_lo
	v_cndmask_b32_e64 v10, 0, -1, s0
	v_cmp_ge_u32_e64 s0, v5, v8
	v_cmp_ge_u32_e32 vcc_lo, v1, v9
	s_delay_alu instid0(VALU_DEP_2) | instskip(SKIP_3) | instid1(VALU_DEP_3)
	v_cndmask_b32_e64 v11, 0, -1, s0
	v_cmp_ge_u32_e64 s0, v7, v9
	v_cndmask_b32_e64 v13, 0, -1, vcc_lo
	v_cmp_eq_u32_e32 vcc_lo, v7, v9
	v_cndmask_b32_e64 v12, 0, -1, s0
	v_cmp_eq_u32_e64 s0, v1, v9
	s_delay_alu instid0(VALU_DEP_1) | instskip(SKIP_1) | instid1(VALU_DEP_1)
	v_dual_cndmask_b32 v11, v12, v11, vcc_lo :: v_dual_cndmask_b32 v10, v13, v10, s0
	v_sub_co_u32 v12, vcc_lo, v5, v8
	v_subrev_co_ci_u32_e64 v3, null, 0, v3, vcc_lo
	s_delay_alu instid0(VALU_DEP_3) | instskip(NEXT) | instid1(VALU_DEP_2)
	v_cmp_ne_u32_e32 vcc_lo, 0, v11
	v_dual_cndmask_b32 v3, v7, v3, vcc_lo :: v_dual_cndmask_b32 v5, v5, v12, vcc_lo
	v_cmp_ne_u32_e32 vcc_lo, 0, v10
	s_delay_alu instid0(VALU_DEP_2)
	v_dual_cndmask_b32 v11, v1, v3 :: v_dual_cndmask_b32 v10, v0, v5
                                        ; implicit-def: $vgpr0_vgpr1
.LBB30_1799:                            ;   in Loop: Header=BB30_1797 Depth=1
	s_and_not1_saveexec_b32 s0, s18
	s_cbranch_execz .LBB30_1796
; %bb.1800:                             ;   in Loop: Header=BB30_1797 Depth=1
	v_cvt_f32_u32_e32 v1, v8
	v_dual_sub_nc_u32 v3, 0, v8 :: v_dual_mov_b32 v11, v6
	s_delay_alu instid0(VALU_DEP_2) | instskip(SKIP_1) | instid1(TRANS32_DEP_1)
	v_rcp_iflag_f32_e32 v1, v1
	v_nop
	v_mul_f32_e32 v1, 0x4f7ffffe, v1
	s_delay_alu instid0(VALU_DEP_1) | instskip(NEXT) | instid1(VALU_DEP_1)
	v_cvt_u32_f32_e32 v1, v1
	v_mul_lo_u32 v3, v3, v1
	s_delay_alu instid0(VALU_DEP_1) | instskip(NEXT) | instid1(VALU_DEP_1)
	v_mul_hi_u32 v3, v1, v3
	v_add_nc_u32_e32 v1, v1, v3
	s_delay_alu instid0(VALU_DEP_1) | instskip(NEXT) | instid1(VALU_DEP_1)
	v_mul_hi_u32 v1, v0, v1
	v_mul_lo_u32 v1, v1, v8
	s_delay_alu instid0(VALU_DEP_1) | instskip(NEXT) | instid1(VALU_DEP_1)
	v_sub_nc_u32_e32 v0, v0, v1
	v_sub_nc_u32_e32 v1, v0, v8
	v_cmp_ge_u32_e32 vcc_lo, v0, v8
	s_delay_alu instid0(VALU_DEP_2) | instskip(NEXT) | instid1(VALU_DEP_1)
	v_cndmask_b32_e32 v0, v0, v1, vcc_lo
	v_sub_nc_u32_e32 v1, v0, v8
	v_cmp_ge_u32_e32 vcc_lo, v0, v8
	s_delay_alu instid0(VALU_DEP_2)
	v_cndmask_b32_e32 v10, v0, v1, vcc_lo
	s_branch .LBB30_1796
.LBB30_1801:
	s_or_b32 exec_lo, exec_lo, s17
	v_mov_b64_e32 v[0:1], v[8:9]
.LBB30_1802:
	s_or_b32 exec_lo, exec_lo, s16
	s_lshl_b32 s9, s9, 7
	s_cmp_lt_i32 s13, 11
	v_add_nc_u32_e32 v6, s9, v2
	s_delay_alu instid0(VALU_DEP_1) | instskip(NEXT) | instid1(VALU_DEP_1)
	v_ashrrev_i32_e32 v7, 31, v6
	v_add_nc_u64_e32 v[2:3], s[6:7], v[6:7]
	s_cbranch_scc1 .LBB30_1809
; %bb.1803:
	s_and_b32 s0, 0xffff, s13
	s_mov_b32 s17, 0
	s_cmp_gt_i32 s0, 25
	s_cbranch_scc0 .LBB30_1811
; %bb.1804:
	s_cmp_gt_i32 s0, 28
	s_cbranch_scc0 .LBB30_1812
; %bb.1805:
	;; [unrolled: 3-line block ×4, first 2 shown]
	s_cmp_eq_u32 s0, 46
	s_mov_b32 s19, 0
	s_cbranch_scc0 .LBB30_1816
; %bb.1808:
	global_load_b32 v5, v[2:3], off
	s_mov_b32 s16, 0
	s_mov_b32 s18, -1
	s_wait_loadcnt 0x0
	v_lshlrev_b32_e32 v5, 16, v5
	s_delay_alu instid0(VALU_DEP_1) | instskip(NEXT) | instid1(VALU_DEP_1)
	v_trunc_f32_e32 v5, v5
	v_mul_f32_e64 v7, 0x2f800000, |v5|
	v_ashrrev_i32_e32 v8, 31, v5
	s_delay_alu instid0(VALU_DEP_2) | instskip(NEXT) | instid1(VALU_DEP_1)
	v_floor_f32_e32 v7, v7
	v_fma_f32 v9, 0xcf800000, v7, |v5|
	v_cvt_u32_f32_e32 v5, v7
	s_delay_alu instid0(VALU_DEP_2) | instskip(NEXT) | instid1(VALU_DEP_2)
	v_cvt_u32_f32_e32 v7, v9
	v_dual_mov_b32 v9, v8 :: v_dual_bitop2_b32 v11, v5, v8 bitop3:0x14
	s_delay_alu instid0(VALU_DEP_2) | instskip(NEXT) | instid1(VALU_DEP_1)
	v_xor_b32_e32 v10, v7, v8
	v_sub_nc_u64_e32 v[8:9], v[10:11], v[8:9]
	s_branch .LBB30_1818
.LBB30_1809:
	s_mov_b32 s18, 0
                                        ; implicit-def: $vgpr8_vgpr9
	s_cbranch_execnz .LBB30_1880
.LBB30_1810:
	s_and_not1_b32 vcc_lo, exec_lo, s18
	s_cbranch_vccnz .LBB30_2583
	s_branch .LBB30_1928
.LBB30_1811:
	s_mov_b32 s19, -1
	s_mov_b32 s18, 0
	s_mov_b32 s16, 0
                                        ; implicit-def: $vgpr8_vgpr9
	s_branch .LBB30_1845
.LBB30_1812:
	s_mov_b32 s19, -1
	s_mov_b32 s18, 0
	s_mov_b32 s16, 0
                                        ; implicit-def: $vgpr8_vgpr9
	s_branch .LBB30_1828
.LBB30_1813:
	s_mov_b32 s19, -1
	s_mov_b32 s18, 0
	s_mov_b32 s16, 0
                                        ; implicit-def: $vgpr8_vgpr9
	s_branch .LBB30_1823
.LBB30_1814:
	s_or_b32 s12, s12, exec_lo
	s_trap 2
	s_cbranch_execz .LBB30_1745
	s_branch .LBB30_1746
.LBB30_1815:
	s_mov_b32 s19, -1
	s_mov_b32 s18, 0
	s_mov_b32 s16, 0
	s_branch .LBB30_1817
.LBB30_1816:
	s_mov_b32 s16, -1
	s_mov_b32 s18, 0
.LBB30_1817:
                                        ; implicit-def: $vgpr8_vgpr9
.LBB30_1818:
	s_and_b32 vcc_lo, exec_lo, s19
	s_cbranch_vccz .LBB30_1822
; %bb.1819:
	s_cmp_eq_u32 s0, 44
	s_cbranch_scc0 .LBB30_1821
; %bb.1820:
	global_load_u8 v5, v[2:3], off
	s_mov_b32 s16, 0
	s_mov_b32 s18, -1
	s_wait_loadcnt 0x0
	v_lshlrev_b32_e32 v7, 23, v5
	v_cmp_ne_u32_e32 vcc_lo, 0, v5
	s_delay_alu instid0(VALU_DEP_2) | instskip(NEXT) | instid1(VALU_DEP_1)
	v_trunc_f32_e32 v7, v7
	v_mul_f32_e64 v8, 0x2f800000, |v7|
	s_delay_alu instid0(VALU_DEP_1) | instskip(SKIP_1) | instid1(VALU_DEP_2)
	v_floor_f32_e32 v9, v8
	v_ashrrev_i32_e32 v8, 31, v7
	v_fma_f32 v10, 0xcf800000, v9, |v7|
	v_cvt_u32_f32_e32 v7, v9
	s_delay_alu instid0(VALU_DEP_3) | instskip(NEXT) | instid1(VALU_DEP_3)
	v_mov_b32_e32 v9, v8
	v_cvt_u32_f32_e32 v10, v10
	s_delay_alu instid0(VALU_DEP_3) | instskip(NEXT) | instid1(VALU_DEP_2)
	v_xor_b32_e32 v11, v7, v8
	v_xor_b32_e32 v10, v10, v8
	s_delay_alu instid0(VALU_DEP_1) | instskip(NEXT) | instid1(VALU_DEP_1)
	v_sub_nc_u64_e32 v[8:9], v[10:11], v[8:9]
	v_dual_cndmask_b32 v9, 0, v9 :: v_dual_cndmask_b32 v8, 0, v8
	s_branch .LBB30_1822
.LBB30_1821:
	s_mov_b32 s16, -1
                                        ; implicit-def: $vgpr8_vgpr9
.LBB30_1822:
	s_mov_b32 s19, 0
.LBB30_1823:
	s_delay_alu instid0(SALU_CYCLE_1)
	s_and_b32 vcc_lo, exec_lo, s19
	s_cbranch_vccz .LBB30_1827
; %bb.1824:
	s_cmp_eq_u32 s0, 29
	s_cbranch_scc0 .LBB30_1826
; %bb.1825:
	global_load_b64 v[8:9], v[2:3], off
	s_mov_b32 s16, 0
	s_mov_b32 s18, -1
	s_branch .LBB30_1827
.LBB30_1826:
	s_mov_b32 s16, -1
                                        ; implicit-def: $vgpr8_vgpr9
.LBB30_1827:
	s_mov_b32 s19, 0
.LBB30_1828:
	s_delay_alu instid0(SALU_CYCLE_1)
	s_and_b32 vcc_lo, exec_lo, s19
	s_cbranch_vccz .LBB30_1844
; %bb.1829:
	s_cmp_lt_i32 s0, 27
	s_cbranch_scc1 .LBB30_1832
; %bb.1830:
	s_cmp_gt_i32 s0, 27
	s_cbranch_scc0 .LBB30_1833
; %bb.1831:
	s_wait_loadcnt 0x0
	global_load_b32 v8, v[2:3], off
	v_mov_b32_e32 v9, 0
	s_mov_b32 s18, 0
	s_branch .LBB30_1834
.LBB30_1832:
	s_mov_b32 s18, -1
                                        ; implicit-def: $vgpr8_vgpr9
	s_branch .LBB30_1837
.LBB30_1833:
	s_mov_b32 s18, -1
                                        ; implicit-def: $vgpr8_vgpr9
.LBB30_1834:
	s_delay_alu instid0(SALU_CYCLE_1)
	s_and_not1_b32 vcc_lo, exec_lo, s18
	s_cbranch_vccnz .LBB30_1836
; %bb.1835:
	global_load_u16 v5, v[2:3], off
	s_mov_b32 s18, 0
	s_wait_loadcnt 0x1
	v_mov_b32_e32 v9, s18
	s_wait_loadcnt 0x0
	v_and_b32_e32 v8, 0xffff, v5
.LBB30_1836:
	s_mov_b32 s18, 0
.LBB30_1837:
	s_delay_alu instid0(SALU_CYCLE_1)
	s_and_not1_b32 vcc_lo, exec_lo, s18
	s_cbranch_vccnz .LBB30_1843
; %bb.1838:
	global_load_u8 v5, v[2:3], off
	s_mov_b32 s19, 0
	s_mov_b32 s18, exec_lo
	s_wait_loadcnt 0x0
	v_cmpx_lt_i16_e32 0x7f, v5
	s_xor_b32 s18, exec_lo, s18
	s_cbranch_execz .LBB30_1855
; %bb.1839:
	v_cmp_ne_u16_e32 vcc_lo, 0x80, v5
	s_and_b32 s19, vcc_lo, exec_lo
	s_and_not1_saveexec_b32 s18, s18
	s_cbranch_execnz .LBB30_1856
.LBB30_1840:
	s_or_b32 exec_lo, exec_lo, s18
	v_mov_b64_e32 v[8:9], 0
	s_and_saveexec_b32 s18, s19
	s_cbranch_execz .LBB30_1842
.LBB30_1841:
	v_and_b32_e32 v7, 0xffff, v5
	s_delay_alu instid0(VALU_DEP_1) | instskip(SKIP_1) | instid1(VALU_DEP_2)
	v_and_b32_e32 v8, 7, v7
	v_bfe_u32 v11, v7, 3, 4
	v_clz_i32_u32_e32 v9, v8
	s_delay_alu instid0(VALU_DEP_2) | instskip(NEXT) | instid1(VALU_DEP_2)
	v_cmp_eq_u32_e32 vcc_lo, 0, v11
	v_min_u32_e32 v9, 32, v9
	s_delay_alu instid0(VALU_DEP_1) | instskip(NEXT) | instid1(VALU_DEP_1)
	v_subrev_nc_u32_e32 v10, 28, v9
	v_dual_lshlrev_b32 v7, v10, v7 :: v_dual_sub_nc_u32 v9, 29, v9
	s_delay_alu instid0(VALU_DEP_1) | instskip(NEXT) | instid1(VALU_DEP_1)
	v_dual_lshlrev_b32 v5, 24, v5 :: v_dual_bitop2_b32 v7, 7, v7 bitop3:0x40
	v_dual_cndmask_b32 v7, v8, v7, vcc_lo :: v_dual_cndmask_b32 v9, v11, v9, vcc_lo
	s_delay_alu instid0(VALU_DEP_2) | instskip(NEXT) | instid1(VALU_DEP_2)
	v_and_b32_e32 v5, 0x80000000, v5
	v_lshlrev_b32_e32 v7, 20, v7
	s_delay_alu instid0(VALU_DEP_3) | instskip(NEXT) | instid1(VALU_DEP_1)
	v_lshl_add_u32 v8, v9, 23, 0x3b800000
	v_or3_b32 v5, v5, v8, v7
	s_delay_alu instid0(VALU_DEP_1) | instskip(NEXT) | instid1(VALU_DEP_1)
	v_trunc_f32_e32 v5, v5
	v_mul_f32_e64 v7, 0x2f800000, |v5|
	v_ashrrev_i32_e32 v8, 31, v5
	s_delay_alu instid0(VALU_DEP_2) | instskip(NEXT) | instid1(VALU_DEP_1)
	v_floor_f32_e32 v7, v7
	v_fma_f32 v9, 0xcf800000, v7, |v5|
	v_cvt_u32_f32_e32 v5, v7
	s_delay_alu instid0(VALU_DEP_2) | instskip(NEXT) | instid1(VALU_DEP_2)
	v_cvt_u32_f32_e32 v7, v9
	v_dual_mov_b32 v9, v8 :: v_dual_bitop2_b32 v11, v5, v8 bitop3:0x14
	s_delay_alu instid0(VALU_DEP_2) | instskip(NEXT) | instid1(VALU_DEP_1)
	v_xor_b32_e32 v10, v7, v8
	v_sub_nc_u64_e32 v[8:9], v[10:11], v[8:9]
.LBB30_1842:
	s_or_b32 exec_lo, exec_lo, s18
.LBB30_1843:
	s_mov_b32 s18, -1
.LBB30_1844:
	s_mov_b32 s19, 0
.LBB30_1845:
	s_delay_alu instid0(SALU_CYCLE_1)
	s_and_b32 vcc_lo, exec_lo, s19
	s_cbranch_vccz .LBB30_1876
; %bb.1846:
	s_cmp_gt_i32 s0, 22
	s_cbranch_scc0 .LBB30_1854
; %bb.1847:
	s_cmp_lt_i32 s0, 24
	s_cbranch_scc1 .LBB30_1857
; %bb.1848:
	s_cmp_gt_i32 s0, 24
	s_cbranch_scc0 .LBB30_1858
; %bb.1849:
	global_load_u8 v5, v[2:3], off
	s_mov_b32 s18, 0
	s_mov_b32 s17, exec_lo
	s_wait_loadcnt 0x0
	v_cmpx_lt_i16_e32 0x7f, v5
	s_xor_b32 s17, exec_lo, s17
	s_cbranch_execz .LBB30_1870
; %bb.1850:
	v_cmp_ne_u16_e32 vcc_lo, 0x80, v5
	s_and_b32 s18, vcc_lo, exec_lo
	s_and_not1_saveexec_b32 s17, s17
	s_cbranch_execnz .LBB30_1871
.LBB30_1851:
	s_or_b32 exec_lo, exec_lo, s17
	v_mov_b64_e32 v[8:9], 0
	s_and_saveexec_b32 s17, s18
	s_cbranch_execz .LBB30_1853
.LBB30_1852:
	v_and_b32_e32 v7, 0xffff, v5
	s_delay_alu instid0(VALU_DEP_1) | instskip(SKIP_1) | instid1(VALU_DEP_2)
	v_and_b32_e32 v8, 3, v7
	v_bfe_u32 v11, v7, 2, 5
	v_clz_i32_u32_e32 v9, v8
	s_delay_alu instid0(VALU_DEP_2) | instskip(NEXT) | instid1(VALU_DEP_2)
	v_cmp_eq_u32_e32 vcc_lo, 0, v11
	v_min_u32_e32 v9, 32, v9
	s_delay_alu instid0(VALU_DEP_1) | instskip(NEXT) | instid1(VALU_DEP_1)
	v_subrev_nc_u32_e32 v10, 29, v9
	v_dual_lshlrev_b32 v7, v10, v7 :: v_dual_sub_nc_u32 v9, 30, v9
	s_delay_alu instid0(VALU_DEP_1) | instskip(NEXT) | instid1(VALU_DEP_1)
	v_dual_lshlrev_b32 v5, 24, v5 :: v_dual_bitop2_b32 v7, 3, v7 bitop3:0x40
	v_dual_cndmask_b32 v7, v8, v7, vcc_lo :: v_dual_cndmask_b32 v9, v11, v9, vcc_lo
	s_delay_alu instid0(VALU_DEP_2) | instskip(NEXT) | instid1(VALU_DEP_2)
	v_and_b32_e32 v5, 0x80000000, v5
	v_lshlrev_b32_e32 v7, 21, v7
	s_delay_alu instid0(VALU_DEP_3) | instskip(NEXT) | instid1(VALU_DEP_1)
	v_lshl_add_u32 v8, v9, 23, 0x37800000
	v_or3_b32 v5, v5, v8, v7
	s_delay_alu instid0(VALU_DEP_1) | instskip(NEXT) | instid1(VALU_DEP_1)
	v_trunc_f32_e32 v5, v5
	v_mul_f32_e64 v7, 0x2f800000, |v5|
	v_ashrrev_i32_e32 v8, 31, v5
	s_delay_alu instid0(VALU_DEP_2) | instskip(NEXT) | instid1(VALU_DEP_1)
	v_floor_f32_e32 v7, v7
	v_fma_f32 v9, 0xcf800000, v7, |v5|
	v_cvt_u32_f32_e32 v5, v7
	s_delay_alu instid0(VALU_DEP_2) | instskip(NEXT) | instid1(VALU_DEP_2)
	v_cvt_u32_f32_e32 v7, v9
	v_dual_mov_b32 v9, v8 :: v_dual_bitop2_b32 v11, v5, v8 bitop3:0x14
	s_delay_alu instid0(VALU_DEP_2) | instskip(NEXT) | instid1(VALU_DEP_1)
	v_xor_b32_e32 v10, v7, v8
	v_sub_nc_u64_e32 v[8:9], v[10:11], v[8:9]
.LBB30_1853:
	s_or_b32 exec_lo, exec_lo, s17
	s_mov_b32 s17, 0
	s_branch .LBB30_1859
.LBB30_1854:
	s_mov_b32 s17, -1
                                        ; implicit-def: $vgpr8_vgpr9
	s_branch .LBB30_1865
.LBB30_1855:
	s_and_not1_saveexec_b32 s18, s18
	s_cbranch_execz .LBB30_1840
.LBB30_1856:
	v_cmp_ne_u16_e32 vcc_lo, 0, v5
	s_and_not1_b32 s19, s19, exec_lo
	s_and_b32 s20, vcc_lo, exec_lo
	s_delay_alu instid0(SALU_CYCLE_1)
	s_or_b32 s19, s19, s20
	s_or_b32 exec_lo, exec_lo, s18
	v_mov_b64_e32 v[8:9], 0
	s_and_saveexec_b32 s18, s19
	s_cbranch_execnz .LBB30_1841
	s_branch .LBB30_1842
.LBB30_1857:
	s_mov_b32 s17, -1
                                        ; implicit-def: $vgpr8_vgpr9
	s_branch .LBB30_1862
.LBB30_1858:
	s_mov_b32 s17, -1
                                        ; implicit-def: $vgpr8_vgpr9
.LBB30_1859:
	s_delay_alu instid0(SALU_CYCLE_1)
	s_and_b32 vcc_lo, exec_lo, s17
	s_cbranch_vccz .LBB30_1861
; %bb.1860:
	global_load_u8 v5, v[2:3], off
	s_wait_loadcnt 0x0
	v_lshlrev_b32_e32 v5, 24, v5
	s_delay_alu instid0(VALU_DEP_1) | instskip(NEXT) | instid1(VALU_DEP_1)
	v_and_b32_e32 v7, 0x7f000000, v5
	v_clz_i32_u32_e32 v8, v7
	v_cmp_ne_u32_e32 vcc_lo, 0, v7
	v_add_nc_u32_e32 v10, 0x1000000, v7
	s_delay_alu instid0(VALU_DEP_3) | instskip(NEXT) | instid1(VALU_DEP_1)
	v_min_u32_e32 v8, 32, v8
	v_sub_nc_u32_e64 v8, v8, 4 clamp
	s_delay_alu instid0(VALU_DEP_1) | instskip(NEXT) | instid1(VALU_DEP_1)
	v_dual_lshlrev_b32 v9, v8, v7 :: v_dual_lshlrev_b32 v8, 23, v8
	v_lshrrev_b32_e32 v9, 4, v9
	s_delay_alu instid0(VALU_DEP_1) | instskip(NEXT) | instid1(VALU_DEP_1)
	v_dual_sub_nc_u32 v8, v9, v8 :: v_dual_ashrrev_i32 v9, 8, v10
	v_add_nc_u32_e32 v8, 0x3c000000, v8
	s_delay_alu instid0(VALU_DEP_1) | instskip(NEXT) | instid1(VALU_DEP_1)
	v_and_or_b32 v8, 0x7f800000, v9, v8
	v_cndmask_b32_e32 v7, 0, v8, vcc_lo
	s_delay_alu instid0(VALU_DEP_1) | instskip(NEXT) | instid1(VALU_DEP_1)
	v_and_or_b32 v5, 0x80000000, v5, v7
	v_trunc_f32_e32 v5, v5
	s_delay_alu instid0(VALU_DEP_1) | instskip(SKIP_1) | instid1(VALU_DEP_2)
	v_mul_f32_e64 v7, 0x2f800000, |v5|
	v_ashrrev_i32_e32 v8, 31, v5
	v_floor_f32_e32 v7, v7
	s_delay_alu instid0(VALU_DEP_1) | instskip(SKIP_1) | instid1(VALU_DEP_2)
	v_fma_f32 v9, 0xcf800000, v7, |v5|
	v_cvt_u32_f32_e32 v5, v7
	v_cvt_u32_f32_e32 v7, v9
	s_delay_alu instid0(VALU_DEP_2) | instskip(NEXT) | instid1(VALU_DEP_2)
	v_dual_mov_b32 v9, v8 :: v_dual_bitop2_b32 v11, v5, v8 bitop3:0x14
	v_xor_b32_e32 v10, v7, v8
	s_delay_alu instid0(VALU_DEP_1)
	v_sub_nc_u64_e32 v[8:9], v[10:11], v[8:9]
.LBB30_1861:
	s_mov_b32 s17, 0
.LBB30_1862:
	s_delay_alu instid0(SALU_CYCLE_1)
	s_and_not1_b32 vcc_lo, exec_lo, s17
	s_cbranch_vccnz .LBB30_1864
; %bb.1863:
	global_load_u8 v5, v[2:3], off
	s_wait_loadcnt 0x0
	v_lshlrev_b32_e32 v7, 25, v5
	v_lshlrev_b16 v5, 8, v5
	s_delay_alu instid0(VALU_DEP_1) | instskip(NEXT) | instid1(VALU_DEP_3)
	v_and_or_b32 v9, 0x7f00, v5, 0.5
	v_lshrrev_b32_e32 v8, 4, v7
	v_bfe_i32 v5, v5, 0, 16
	s_delay_alu instid0(VALU_DEP_3) | instskip(NEXT) | instid1(VALU_DEP_3)
	v_add_f32_e32 v9, -0.5, v9
	v_or_b32_e32 v8, 0x70000000, v8
	s_delay_alu instid0(VALU_DEP_1) | instskip(SKIP_1) | instid1(VALU_DEP_2)
	v_mul_f32_e32 v8, 0x7800000, v8
	v_cmp_gt_u32_e32 vcc_lo, 0x8000000, v7
	v_cndmask_b32_e32 v7, v8, v9, vcc_lo
	s_delay_alu instid0(VALU_DEP_1) | instskip(NEXT) | instid1(VALU_DEP_1)
	v_and_or_b32 v5, 0x80000000, v5, v7
	v_trunc_f32_e32 v5, v5
	s_delay_alu instid0(VALU_DEP_1) | instskip(SKIP_1) | instid1(VALU_DEP_2)
	v_mul_f32_e64 v7, 0x2f800000, |v5|
	v_ashrrev_i32_e32 v8, 31, v5
	v_floor_f32_e32 v7, v7
	s_delay_alu instid0(VALU_DEP_1) | instskip(SKIP_1) | instid1(VALU_DEP_2)
	v_fma_f32 v9, 0xcf800000, v7, |v5|
	v_cvt_u32_f32_e32 v5, v7
	v_cvt_u32_f32_e32 v7, v9
	s_delay_alu instid0(VALU_DEP_2) | instskip(NEXT) | instid1(VALU_DEP_2)
	v_dual_mov_b32 v9, v8 :: v_dual_bitop2_b32 v11, v5, v8 bitop3:0x14
	v_xor_b32_e32 v10, v7, v8
	s_delay_alu instid0(VALU_DEP_1)
	v_sub_nc_u64_e32 v[8:9], v[10:11], v[8:9]
.LBB30_1864:
	s_mov_b32 s17, 0
	s_mov_b32 s18, -1
.LBB30_1865:
	s_and_not1_b32 vcc_lo, exec_lo, s17
	s_mov_b32 s17, 0
	s_cbranch_vccnz .LBB30_1876
; %bb.1866:
	s_cmp_gt_i32 s0, 14
	s_cbranch_scc0 .LBB30_1869
; %bb.1867:
	s_cmp_eq_u32 s0, 15
	s_cbranch_scc0 .LBB30_1872
; %bb.1868:
	global_load_u16 v5, v[2:3], off
	s_mov_b32 s16, 0
	s_mov_b32 s18, -1
	s_wait_loadcnt 0x0
	v_lshlrev_b32_e32 v5, 16, v5
	s_delay_alu instid0(VALU_DEP_1) | instskip(NEXT) | instid1(VALU_DEP_1)
	v_trunc_f32_e32 v5, v5
	v_mul_f32_e64 v7, 0x2f800000, |v5|
	v_ashrrev_i32_e32 v8, 31, v5
	s_delay_alu instid0(VALU_DEP_2) | instskip(NEXT) | instid1(VALU_DEP_1)
	v_floor_f32_e32 v7, v7
	v_fma_f32 v9, 0xcf800000, v7, |v5|
	v_cvt_u32_f32_e32 v5, v7
	s_delay_alu instid0(VALU_DEP_2) | instskip(NEXT) | instid1(VALU_DEP_2)
	v_cvt_u32_f32_e32 v7, v9
	v_dual_mov_b32 v9, v8 :: v_dual_bitop2_b32 v11, v5, v8 bitop3:0x14
	s_delay_alu instid0(VALU_DEP_2) | instskip(NEXT) | instid1(VALU_DEP_1)
	v_xor_b32_e32 v10, v7, v8
	v_sub_nc_u64_e32 v[8:9], v[10:11], v[8:9]
	s_branch .LBB30_1874
.LBB30_1869:
	s_mov_b32 s17, -1
	s_branch .LBB30_1873
.LBB30_1870:
	s_and_not1_saveexec_b32 s17, s17
	s_cbranch_execz .LBB30_1851
.LBB30_1871:
	v_cmp_ne_u16_e32 vcc_lo, 0, v5
	s_and_not1_b32 s18, s18, exec_lo
	s_and_b32 s19, vcc_lo, exec_lo
	s_delay_alu instid0(SALU_CYCLE_1)
	s_or_b32 s18, s18, s19
	s_or_b32 exec_lo, exec_lo, s17
	v_mov_b64_e32 v[8:9], 0
	s_and_saveexec_b32 s17, s18
	s_cbranch_execnz .LBB30_1852
	s_branch .LBB30_1853
.LBB30_1872:
	s_mov_b32 s16, -1
.LBB30_1873:
                                        ; implicit-def: $vgpr8_vgpr9
.LBB30_1874:
	s_and_b32 vcc_lo, exec_lo, s17
	s_mov_b32 s17, 0
	s_cbranch_vccz .LBB30_1876
; %bb.1875:
	s_cmp_lg_u32 s0, 11
	s_mov_b32 s17, -1
	s_cselect_b32 s16, -1, 0
.LBB30_1876:
	s_delay_alu instid0(SALU_CYCLE_1)
	s_and_b32 vcc_lo, exec_lo, s16
	s_cbranch_vccnz .LBB30_1939
; %bb.1877:
	s_and_not1_b32 vcc_lo, exec_lo, s17
	s_cbranch_vccnz .LBB30_1879
.LBB30_1878:
	global_load_u8 v5, v[2:3], off
	s_mov_b32 s0, 0
	s_mov_b32 s18, -1
	s_wait_loadcnt 0x1
	v_mov_b32_e32 v9, s0
	s_wait_loadcnt 0x0
	v_cmp_ne_u16_e32 vcc_lo, 0, v5
	v_cndmask_b32_e64 v8, 0, 1, vcc_lo
.LBB30_1879:
	s_branch .LBB30_1810
.LBB30_1880:
	s_and_b32 s0, 0xffff, s13
	s_delay_alu instid0(SALU_CYCLE_1)
	s_cmp_lt_i32 s0, 5
	s_cbranch_scc1 .LBB30_1885
; %bb.1881:
	s_cmp_lt_i32 s0, 8
	s_cbranch_scc1 .LBB30_1886
; %bb.1882:
	;; [unrolled: 3-line block ×3, first 2 shown]
	s_cmp_gt_i32 s0, 9
	s_cbranch_scc0 .LBB30_1888
; %bb.1884:
	s_wait_loadcnt 0x0
	global_load_b64 v[8:9], v[2:3], off
	s_mov_b32 s16, 0
	s_wait_loadcnt 0x0
	v_trunc_f64_e32 v[8:9], v[8:9]
	s_delay_alu instid0(VALU_DEP_1) | instskip(NEXT) | instid1(VALU_DEP_1)
	v_ldexp_f64 v[10:11], v[8:9], 0xffffffe0
	v_floor_f64_e32 v[10:11], v[10:11]
	s_delay_alu instid0(VALU_DEP_1) | instskip(SKIP_1) | instid1(VALU_DEP_2)
	v_fmamk_f64 v[12:13], v[10:11], 0xc1f00000, v[8:9]
	v_cvt_i32_f64_e32 v9, v[10:11]
	v_cvt_u32_f64_e32 v8, v[12:13]
	s_branch .LBB30_1889
.LBB30_1885:
	s_mov_b32 s16, -1
                                        ; implicit-def: $vgpr8_vgpr9
	s_branch .LBB30_1907
.LBB30_1886:
	s_mov_b32 s16, -1
                                        ; implicit-def: $vgpr8_vgpr9
	s_branch .LBB30_1895
.LBB30_1887:
	s_mov_b32 s16, -1
                                        ; implicit-def: $vgpr8_vgpr9
	s_branch .LBB30_1892
.LBB30_1888:
	s_mov_b32 s16, -1
                                        ; implicit-def: $vgpr8_vgpr9
.LBB30_1889:
	s_delay_alu instid0(SALU_CYCLE_1)
	s_and_not1_b32 vcc_lo, exec_lo, s16
	s_cbranch_vccnz .LBB30_1891
; %bb.1890:
	global_load_b32 v5, v[2:3], off
	s_wait_loadcnt 0x0
	v_trunc_f32_e32 v5, v5
	s_delay_alu instid0(VALU_DEP_1) | instskip(SKIP_1) | instid1(VALU_DEP_2)
	v_mul_f32_e64 v7, 0x2f800000, |v5|
	v_ashrrev_i32_e32 v8, 31, v5
	v_floor_f32_e32 v7, v7
	s_delay_alu instid0(VALU_DEP_1) | instskip(SKIP_1) | instid1(VALU_DEP_2)
	v_fma_f32 v9, 0xcf800000, v7, |v5|
	v_cvt_u32_f32_e32 v5, v7
	v_cvt_u32_f32_e32 v7, v9
	s_delay_alu instid0(VALU_DEP_2) | instskip(NEXT) | instid1(VALU_DEP_2)
	v_dual_mov_b32 v9, v8 :: v_dual_bitop2_b32 v11, v5, v8 bitop3:0x14
	v_xor_b32_e32 v10, v7, v8
	s_delay_alu instid0(VALU_DEP_1)
	v_sub_nc_u64_e32 v[8:9], v[10:11], v[8:9]
.LBB30_1891:
	s_mov_b32 s16, 0
.LBB30_1892:
	s_delay_alu instid0(SALU_CYCLE_1)
	s_and_not1_b32 vcc_lo, exec_lo, s16
	s_cbranch_vccnz .LBB30_1894
; %bb.1893:
	global_load_b32 v5, v[2:3], off
	s_wait_loadcnt 0x0
	v_cvt_f32_f16_e32 v5, v5
	s_delay_alu instid0(VALU_DEP_1) | instskip(NEXT) | instid1(VALU_DEP_1)
	v_cvt_i32_f32_e32 v8, v5
	v_ashrrev_i32_e32 v9, 31, v8
.LBB30_1894:
	s_mov_b32 s16, 0
.LBB30_1895:
	s_delay_alu instid0(SALU_CYCLE_1)
	s_and_not1_b32 vcc_lo, exec_lo, s16
	s_cbranch_vccnz .LBB30_1906
; %bb.1896:
	s_cmp_lt_i32 s0, 6
	s_cbranch_scc1 .LBB30_1899
; %bb.1897:
	s_cmp_gt_i32 s0, 6
	s_cbranch_scc0 .LBB30_1900
; %bb.1898:
	s_wait_loadcnt 0x0
	global_load_b64 v[8:9], v[2:3], off
	s_mov_b32 s16, 0
	s_wait_loadcnt 0x0
	v_trunc_f64_e32 v[8:9], v[8:9]
	s_delay_alu instid0(VALU_DEP_1) | instskip(NEXT) | instid1(VALU_DEP_1)
	v_ldexp_f64 v[10:11], v[8:9], 0xffffffe0
	v_floor_f64_e32 v[10:11], v[10:11]
	s_delay_alu instid0(VALU_DEP_1) | instskip(SKIP_1) | instid1(VALU_DEP_2)
	v_fmamk_f64 v[12:13], v[10:11], 0xc1f00000, v[8:9]
	v_cvt_i32_f64_e32 v9, v[10:11]
	v_cvt_u32_f64_e32 v8, v[12:13]
	s_branch .LBB30_1901
.LBB30_1899:
	s_mov_b32 s16, -1
                                        ; implicit-def: $vgpr8_vgpr9
	s_branch .LBB30_1904
.LBB30_1900:
	s_mov_b32 s16, -1
                                        ; implicit-def: $vgpr8_vgpr9
.LBB30_1901:
	s_delay_alu instid0(SALU_CYCLE_1)
	s_and_not1_b32 vcc_lo, exec_lo, s16
	s_cbranch_vccnz .LBB30_1903
; %bb.1902:
	global_load_b32 v5, v[2:3], off
	s_wait_loadcnt 0x0
	v_trunc_f32_e32 v5, v5
	s_delay_alu instid0(VALU_DEP_1) | instskip(SKIP_1) | instid1(VALU_DEP_2)
	v_mul_f32_e64 v7, 0x2f800000, |v5|
	v_ashrrev_i32_e32 v8, 31, v5
	v_floor_f32_e32 v7, v7
	s_delay_alu instid0(VALU_DEP_1) | instskip(SKIP_1) | instid1(VALU_DEP_2)
	v_fma_f32 v9, 0xcf800000, v7, |v5|
	v_cvt_u32_f32_e32 v5, v7
	v_cvt_u32_f32_e32 v7, v9
	s_delay_alu instid0(VALU_DEP_2) | instskip(NEXT) | instid1(VALU_DEP_2)
	v_dual_mov_b32 v9, v8 :: v_dual_bitop2_b32 v11, v5, v8 bitop3:0x14
	v_xor_b32_e32 v10, v7, v8
	s_delay_alu instid0(VALU_DEP_1)
	v_sub_nc_u64_e32 v[8:9], v[10:11], v[8:9]
.LBB30_1903:
	s_mov_b32 s16, 0
.LBB30_1904:
	s_delay_alu instid0(SALU_CYCLE_1)
	s_and_not1_b32 vcc_lo, exec_lo, s16
	s_cbranch_vccnz .LBB30_1906
; %bb.1905:
	global_load_u16 v5, v[2:3], off
	s_wait_loadcnt 0x0
	v_cvt_f32_f16_e32 v5, v5
	s_delay_alu instid0(VALU_DEP_1) | instskip(NEXT) | instid1(VALU_DEP_1)
	v_cvt_i32_f32_e32 v8, v5
	v_ashrrev_i32_e32 v9, 31, v8
.LBB30_1906:
	s_mov_b32 s16, 0
.LBB30_1907:
	s_delay_alu instid0(SALU_CYCLE_1)
	s_and_not1_b32 vcc_lo, exec_lo, s16
	s_cbranch_vccnz .LBB30_1927
; %bb.1908:
	s_cmp_lt_i32 s0, 2
	s_cbranch_scc1 .LBB30_1912
; %bb.1909:
	s_cmp_lt_i32 s0, 3
	s_cbranch_scc1 .LBB30_1913
; %bb.1910:
	s_cmp_gt_i32 s0, 3
	s_cbranch_scc0 .LBB30_1914
; %bb.1911:
	s_wait_loadcnt 0x0
	global_load_b64 v[8:9], v[2:3], off
	s_mov_b32 s16, 0
	s_branch .LBB30_1915
.LBB30_1912:
	s_mov_b32 s16, -1
                                        ; implicit-def: $vgpr8_vgpr9
	s_branch .LBB30_1921
.LBB30_1913:
	s_mov_b32 s16, -1
                                        ; implicit-def: $vgpr8_vgpr9
	s_branch .LBB30_1918
.LBB30_1914:
	s_mov_b32 s16, -1
                                        ; implicit-def: $vgpr8_vgpr9
.LBB30_1915:
	s_delay_alu instid0(SALU_CYCLE_1)
	s_and_not1_b32 vcc_lo, exec_lo, s16
	s_cbranch_vccnz .LBB30_1917
; %bb.1916:
	s_wait_loadcnt 0x0
	global_load_b32 v8, v[2:3], off
	s_wait_loadcnt 0x0
	v_ashrrev_i32_e32 v9, 31, v8
.LBB30_1917:
	s_mov_b32 s16, 0
.LBB30_1918:
	s_delay_alu instid0(SALU_CYCLE_1)
	s_and_not1_b32 vcc_lo, exec_lo, s16
	s_cbranch_vccnz .LBB30_1920
; %bb.1919:
	global_load_u16 v5, v[2:3], off
	s_wait_loadcnt 0x0
	v_bfe_i32 v8, v5, 0, 16
	s_delay_alu instid0(VALU_DEP_1)
	v_ashrrev_i32_e32 v9, 31, v8
.LBB30_1920:
	s_mov_b32 s16, 0
.LBB30_1921:
	s_delay_alu instid0(SALU_CYCLE_1)
	s_and_not1_b32 vcc_lo, exec_lo, s16
	s_cbranch_vccnz .LBB30_1927
; %bb.1922:
	s_cmp_gt_i32 s0, 0
	s_mov_b32 s0, 0
	s_cbranch_scc0 .LBB30_1924
; %bb.1923:
	global_load_i8 v5, v[2:3], off
	s_wait_loadcnt 0x0
	v_bfe_i32 v8, v5, 0, 16
	s_delay_alu instid0(VALU_DEP_1)
	v_ashrrev_i32_e32 v9, 31, v8
	s_branch .LBB30_1925
.LBB30_1924:
	s_mov_b32 s0, -1
                                        ; implicit-def: $vgpr8_vgpr9
.LBB30_1925:
	s_delay_alu instid0(SALU_CYCLE_1)
	s_and_not1_b32 vcc_lo, exec_lo, s0
	s_cbranch_vccnz .LBB30_1927
; %bb.1926:
	global_load_u8 v2, v[2:3], off
	s_mov_b32 s0, 0
	s_wait_loadcnt 0x1
	v_mov_b32_e32 v9, s0
	s_wait_loadcnt 0x0
	v_and_b32_e32 v8, 0xffff, v2
.LBB30_1927:
.LBB30_1928:
	s_lshl_b32 s10, s10, 7
	s_cmp_lt_i32 s1, 11
	v_add_nc_u32_e32 v4, s10, v4
	s_delay_alu instid0(VALU_DEP_1) | instskip(SKIP_1) | instid1(VALU_DEP_1)
	v_ashrrev_i32_e32 v5, 31, v4
	s_wait_xcnt 0x0
	v_add_nc_u64_e32 v[2:3], s[2:3], v[4:5]
	s_cbranch_scc1 .LBB30_1935
; %bb.1929:
	s_and_b32 s0, 0xffff, s1
	s_mov_b32 s17, 0
	s_cmp_gt_i32 s0, 25
	s_cbranch_scc0 .LBB30_1936
; %bb.1930:
	s_cmp_gt_i32 s0, 28
	s_cbranch_scc0 .LBB30_1937
; %bb.1931:
	;; [unrolled: 3-line block ×4, first 2 shown]
	s_cmp_eq_u32 s0, 46
	s_mov_b32 s19, 0
	s_cbranch_scc0 .LBB30_1941
; %bb.1934:
	global_load_b32 v5, v[2:3], off
	s_mov_b32 s16, 0
	s_mov_b32 s18, -1
	s_wait_loadcnt 0x0
	v_lshlrev_b32_e32 v5, 16, v5
	s_delay_alu instid0(VALU_DEP_1) | instskip(NEXT) | instid1(VALU_DEP_1)
	v_trunc_f32_e32 v5, v5
	v_mul_f32_e64 v7, 0x2f800000, |v5|
	v_ashrrev_i32_e32 v10, 31, v5
	s_delay_alu instid0(VALU_DEP_2) | instskip(NEXT) | instid1(VALU_DEP_1)
	v_floor_f32_e32 v7, v7
	v_fma_f32 v11, 0xcf800000, v7, |v5|
	v_cvt_u32_f32_e32 v5, v7
	s_delay_alu instid0(VALU_DEP_2) | instskip(NEXT) | instid1(VALU_DEP_2)
	v_cvt_u32_f32_e32 v7, v11
	v_dual_mov_b32 v11, v10 :: v_dual_bitop2_b32 v13, v5, v10 bitop3:0x14
	s_delay_alu instid0(VALU_DEP_2) | instskip(NEXT) | instid1(VALU_DEP_1)
	v_xor_b32_e32 v12, v7, v10
	v_sub_nc_u64_e32 v[10:11], v[12:13], v[10:11]
	s_branch .LBB30_1943
.LBB30_1935:
	s_mov_b32 s0, -1
	s_mov_b32 s18, 0
                                        ; implicit-def: $vgpr10_vgpr11
	s_branch .LBB30_2005
.LBB30_1936:
	s_mov_b32 s19, -1
	s_mov_b32 s18, 0
	s_mov_b32 s16, 0
                                        ; implicit-def: $vgpr10_vgpr11
	s_branch .LBB30_1970
.LBB30_1937:
	s_mov_b32 s19, -1
	s_mov_b32 s18, 0
	s_mov_b32 s16, 0
                                        ; implicit-def: $vgpr10_vgpr11
	s_branch .LBB30_1953
.LBB30_1938:
	s_mov_b32 s19, -1
	s_mov_b32 s18, 0
	s_mov_b32 s16, 0
                                        ; implicit-def: $vgpr10_vgpr11
	s_branch .LBB30_1948
.LBB30_1939:
	s_or_b32 s12, s12, exec_lo
	s_trap 2
	s_cbranch_execz .LBB30_1878
	s_branch .LBB30_1879
.LBB30_1940:
	s_mov_b32 s19, -1
	s_mov_b32 s18, 0
	s_mov_b32 s16, 0
	s_branch .LBB30_1942
.LBB30_1941:
	s_mov_b32 s16, -1
	s_mov_b32 s18, 0
.LBB30_1942:
                                        ; implicit-def: $vgpr10_vgpr11
.LBB30_1943:
	s_and_b32 vcc_lo, exec_lo, s19
	s_cbranch_vccz .LBB30_1947
; %bb.1944:
	s_cmp_eq_u32 s0, 44
	s_cbranch_scc0 .LBB30_1946
; %bb.1945:
	global_load_u8 v5, v[2:3], off
	s_mov_b32 s16, 0
	s_mov_b32 s18, -1
	s_wait_loadcnt 0x0
	v_lshlrev_b32_e32 v7, 23, v5
	v_cmp_ne_u32_e32 vcc_lo, 0, v5
	s_delay_alu instid0(VALU_DEP_2) | instskip(NEXT) | instid1(VALU_DEP_1)
	v_trunc_f32_e32 v7, v7
	v_mul_f32_e64 v10, 0x2f800000, |v7|
	s_delay_alu instid0(VALU_DEP_1) | instskip(SKIP_1) | instid1(VALU_DEP_2)
	v_floor_f32_e32 v11, v10
	v_ashrrev_i32_e32 v10, 31, v7
	v_fma_f32 v12, 0xcf800000, v11, |v7|
	v_cvt_u32_f32_e32 v7, v11
	s_delay_alu instid0(VALU_DEP_3) | instskip(NEXT) | instid1(VALU_DEP_3)
	v_mov_b32_e32 v11, v10
	v_cvt_u32_f32_e32 v12, v12
	s_delay_alu instid0(VALU_DEP_3) | instskip(NEXT) | instid1(VALU_DEP_2)
	v_xor_b32_e32 v13, v7, v10
	v_xor_b32_e32 v12, v12, v10
	s_delay_alu instid0(VALU_DEP_1) | instskip(NEXT) | instid1(VALU_DEP_1)
	v_sub_nc_u64_e32 v[10:11], v[12:13], v[10:11]
	v_dual_cndmask_b32 v11, 0, v11 :: v_dual_cndmask_b32 v10, 0, v10
	s_branch .LBB30_1947
.LBB30_1946:
	s_mov_b32 s16, -1
                                        ; implicit-def: $vgpr10_vgpr11
.LBB30_1947:
	s_mov_b32 s19, 0
.LBB30_1948:
	s_delay_alu instid0(SALU_CYCLE_1)
	s_and_b32 vcc_lo, exec_lo, s19
	s_cbranch_vccz .LBB30_1952
; %bb.1949:
	s_cmp_eq_u32 s0, 29
	s_cbranch_scc0 .LBB30_1951
; %bb.1950:
	global_load_b64 v[10:11], v[2:3], off
	s_mov_b32 s16, 0
	s_mov_b32 s18, -1
	s_branch .LBB30_1952
.LBB30_1951:
	s_mov_b32 s16, -1
                                        ; implicit-def: $vgpr10_vgpr11
.LBB30_1952:
	s_mov_b32 s19, 0
.LBB30_1953:
	s_delay_alu instid0(SALU_CYCLE_1)
	s_and_b32 vcc_lo, exec_lo, s19
	s_cbranch_vccz .LBB30_1969
; %bb.1954:
	s_cmp_lt_i32 s0, 27
	s_cbranch_scc1 .LBB30_1957
; %bb.1955:
	s_cmp_gt_i32 s0, 27
	s_cbranch_scc0 .LBB30_1958
; %bb.1956:
	s_wait_loadcnt 0x0
	global_load_b32 v10, v[2:3], off
	v_mov_b32_e32 v11, 0
	s_mov_b32 s18, 0
	s_branch .LBB30_1959
.LBB30_1957:
	s_mov_b32 s18, -1
                                        ; implicit-def: $vgpr10_vgpr11
	s_branch .LBB30_1962
.LBB30_1958:
	s_mov_b32 s18, -1
                                        ; implicit-def: $vgpr10_vgpr11
.LBB30_1959:
	s_delay_alu instid0(SALU_CYCLE_1)
	s_and_not1_b32 vcc_lo, exec_lo, s18
	s_cbranch_vccnz .LBB30_1961
; %bb.1960:
	global_load_u16 v5, v[2:3], off
	s_mov_b32 s18, 0
	s_wait_loadcnt 0x1
	v_mov_b32_e32 v11, s18
	s_wait_loadcnt 0x0
	v_and_b32_e32 v10, 0xffff, v5
.LBB30_1961:
	s_mov_b32 s18, 0
.LBB30_1962:
	s_delay_alu instid0(SALU_CYCLE_1)
	s_and_not1_b32 vcc_lo, exec_lo, s18
	s_cbranch_vccnz .LBB30_1968
; %bb.1963:
	global_load_u8 v5, v[2:3], off
	s_mov_b32 s19, 0
	s_mov_b32 s18, exec_lo
	s_wait_loadcnt 0x0
	v_cmpx_lt_i16_e32 0x7f, v5
	s_xor_b32 s18, exec_lo, s18
	s_cbranch_execz .LBB30_1980
; %bb.1964:
	v_cmp_ne_u16_e32 vcc_lo, 0x80, v5
	s_and_b32 s19, vcc_lo, exec_lo
	s_and_not1_saveexec_b32 s18, s18
	s_cbranch_execnz .LBB30_1981
.LBB30_1965:
	s_or_b32 exec_lo, exec_lo, s18
	v_mov_b64_e32 v[10:11], 0
	s_and_saveexec_b32 s18, s19
	s_cbranch_execz .LBB30_1967
.LBB30_1966:
	v_and_b32_e32 v7, 0xffff, v5
	s_delay_alu instid0(VALU_DEP_1) | instskip(SKIP_1) | instid1(VALU_DEP_2)
	v_dual_lshlrev_b32 v5, 24, v5 :: v_dual_bitop2_b32 v10, 7, v7 bitop3:0x40
	v_bfe_u32 v13, v7, 3, 4
	v_and_b32_e32 v5, 0x80000000, v5
	s_delay_alu instid0(VALU_DEP_3) | instskip(NEXT) | instid1(VALU_DEP_3)
	v_clz_i32_u32_e32 v11, v10
	v_cmp_eq_u32_e32 vcc_lo, 0, v13
	s_delay_alu instid0(VALU_DEP_2) | instskip(NEXT) | instid1(VALU_DEP_1)
	v_min_u32_e32 v11, 32, v11
	v_subrev_nc_u32_e32 v12, 28, v11
	v_sub_nc_u32_e32 v11, 29, v11
	s_delay_alu instid0(VALU_DEP_2) | instskip(NEXT) | instid1(VALU_DEP_2)
	v_lshlrev_b32_e32 v7, v12, v7
	v_cndmask_b32_e32 v11, v13, v11, vcc_lo
	s_delay_alu instid0(VALU_DEP_2) | instskip(NEXT) | instid1(VALU_DEP_1)
	v_and_b32_e32 v7, 7, v7
	v_cndmask_b32_e32 v7, v10, v7, vcc_lo
	s_delay_alu instid0(VALU_DEP_3) | instskip(NEXT) | instid1(VALU_DEP_2)
	v_lshl_add_u32 v10, v11, 23, 0x3b800000
	v_lshlrev_b32_e32 v7, 20, v7
	s_delay_alu instid0(VALU_DEP_1) | instskip(NEXT) | instid1(VALU_DEP_1)
	v_or3_b32 v5, v5, v10, v7
	v_trunc_f32_e32 v5, v5
	s_delay_alu instid0(VALU_DEP_1) | instskip(SKIP_1) | instid1(VALU_DEP_2)
	v_mul_f32_e64 v7, 0x2f800000, |v5|
	v_ashrrev_i32_e32 v10, 31, v5
	v_floor_f32_e32 v7, v7
	s_delay_alu instid0(VALU_DEP_1) | instskip(SKIP_1) | instid1(VALU_DEP_2)
	v_fma_f32 v11, 0xcf800000, v7, |v5|
	v_cvt_u32_f32_e32 v5, v7
	v_cvt_u32_f32_e32 v7, v11
	s_delay_alu instid0(VALU_DEP_2) | instskip(NEXT) | instid1(VALU_DEP_2)
	v_dual_mov_b32 v11, v10 :: v_dual_bitop2_b32 v13, v5, v10 bitop3:0x14
	v_xor_b32_e32 v12, v7, v10
	s_delay_alu instid0(VALU_DEP_1)
	v_sub_nc_u64_e32 v[10:11], v[12:13], v[10:11]
.LBB30_1967:
	s_or_b32 exec_lo, exec_lo, s18
.LBB30_1968:
	s_mov_b32 s18, -1
.LBB30_1969:
	s_mov_b32 s19, 0
.LBB30_1970:
	s_delay_alu instid0(SALU_CYCLE_1)
	s_and_b32 vcc_lo, exec_lo, s19
	s_cbranch_vccz .LBB30_2001
; %bb.1971:
	s_cmp_gt_i32 s0, 22
	s_cbranch_scc0 .LBB30_1979
; %bb.1972:
	s_cmp_lt_i32 s0, 24
	s_cbranch_scc1 .LBB30_1982
; %bb.1973:
	s_cmp_gt_i32 s0, 24
	s_cbranch_scc0 .LBB30_1983
; %bb.1974:
	global_load_u8 v5, v[2:3], off
	s_mov_b32 s18, 0
	s_mov_b32 s17, exec_lo
	s_wait_loadcnt 0x0
	v_cmpx_lt_i16_e32 0x7f, v5
	s_xor_b32 s17, exec_lo, s17
	s_cbranch_execz .LBB30_1995
; %bb.1975:
	v_cmp_ne_u16_e32 vcc_lo, 0x80, v5
	s_and_b32 s18, vcc_lo, exec_lo
	s_and_not1_saveexec_b32 s17, s17
	s_cbranch_execnz .LBB30_1996
.LBB30_1976:
	s_or_b32 exec_lo, exec_lo, s17
	v_mov_b64_e32 v[10:11], 0
	s_and_saveexec_b32 s17, s18
	s_cbranch_execz .LBB30_1978
.LBB30_1977:
	v_and_b32_e32 v7, 0xffff, v5
	s_delay_alu instid0(VALU_DEP_1) | instskip(SKIP_1) | instid1(VALU_DEP_2)
	v_dual_lshlrev_b32 v5, 24, v5 :: v_dual_bitop2_b32 v10, 3, v7 bitop3:0x40
	v_bfe_u32 v13, v7, 2, 5
	v_and_b32_e32 v5, 0x80000000, v5
	s_delay_alu instid0(VALU_DEP_3) | instskip(NEXT) | instid1(VALU_DEP_3)
	v_clz_i32_u32_e32 v11, v10
	v_cmp_eq_u32_e32 vcc_lo, 0, v13
	s_delay_alu instid0(VALU_DEP_2) | instskip(NEXT) | instid1(VALU_DEP_1)
	v_min_u32_e32 v11, 32, v11
	v_subrev_nc_u32_e32 v12, 29, v11
	v_sub_nc_u32_e32 v11, 30, v11
	s_delay_alu instid0(VALU_DEP_2) | instskip(NEXT) | instid1(VALU_DEP_2)
	v_lshlrev_b32_e32 v7, v12, v7
	v_cndmask_b32_e32 v11, v13, v11, vcc_lo
	s_delay_alu instid0(VALU_DEP_2) | instskip(NEXT) | instid1(VALU_DEP_1)
	v_and_b32_e32 v7, 3, v7
	v_cndmask_b32_e32 v7, v10, v7, vcc_lo
	s_delay_alu instid0(VALU_DEP_3) | instskip(NEXT) | instid1(VALU_DEP_2)
	v_lshl_add_u32 v10, v11, 23, 0x37800000
	v_lshlrev_b32_e32 v7, 21, v7
	s_delay_alu instid0(VALU_DEP_1) | instskip(NEXT) | instid1(VALU_DEP_1)
	v_or3_b32 v5, v5, v10, v7
	v_trunc_f32_e32 v5, v5
	s_delay_alu instid0(VALU_DEP_1) | instskip(SKIP_1) | instid1(VALU_DEP_2)
	v_mul_f32_e64 v7, 0x2f800000, |v5|
	v_ashrrev_i32_e32 v10, 31, v5
	v_floor_f32_e32 v7, v7
	s_delay_alu instid0(VALU_DEP_1) | instskip(SKIP_1) | instid1(VALU_DEP_2)
	v_fma_f32 v11, 0xcf800000, v7, |v5|
	v_cvt_u32_f32_e32 v5, v7
	v_cvt_u32_f32_e32 v7, v11
	s_delay_alu instid0(VALU_DEP_2) | instskip(NEXT) | instid1(VALU_DEP_2)
	v_dual_mov_b32 v11, v10 :: v_dual_bitop2_b32 v13, v5, v10 bitop3:0x14
	v_xor_b32_e32 v12, v7, v10
	s_delay_alu instid0(VALU_DEP_1)
	v_sub_nc_u64_e32 v[10:11], v[12:13], v[10:11]
.LBB30_1978:
	s_or_b32 exec_lo, exec_lo, s17
	s_mov_b32 s17, 0
	s_branch .LBB30_1984
.LBB30_1979:
	s_mov_b32 s17, -1
                                        ; implicit-def: $vgpr10_vgpr11
	s_branch .LBB30_1990
.LBB30_1980:
	s_and_not1_saveexec_b32 s18, s18
	s_cbranch_execz .LBB30_1965
.LBB30_1981:
	v_cmp_ne_u16_e32 vcc_lo, 0, v5
	s_and_not1_b32 s19, s19, exec_lo
	s_and_b32 s20, vcc_lo, exec_lo
	s_delay_alu instid0(SALU_CYCLE_1)
	s_or_b32 s19, s19, s20
	s_or_b32 exec_lo, exec_lo, s18
	v_mov_b64_e32 v[10:11], 0
	s_and_saveexec_b32 s18, s19
	s_cbranch_execnz .LBB30_1966
	s_branch .LBB30_1967
.LBB30_1982:
	s_mov_b32 s17, -1
                                        ; implicit-def: $vgpr10_vgpr11
	s_branch .LBB30_1987
.LBB30_1983:
	s_mov_b32 s17, -1
                                        ; implicit-def: $vgpr10_vgpr11
.LBB30_1984:
	s_delay_alu instid0(SALU_CYCLE_1)
	s_and_b32 vcc_lo, exec_lo, s17
	s_cbranch_vccz .LBB30_1986
; %bb.1985:
	global_load_u8 v5, v[2:3], off
	s_wait_loadcnt 0x0
	v_lshlrev_b32_e32 v5, 24, v5
	s_delay_alu instid0(VALU_DEP_1) | instskip(NEXT) | instid1(VALU_DEP_1)
	v_and_b32_e32 v7, 0x7f000000, v5
	v_clz_i32_u32_e32 v10, v7
	v_cmp_ne_u32_e32 vcc_lo, 0, v7
	v_add_nc_u32_e32 v12, 0x1000000, v7
	s_delay_alu instid0(VALU_DEP_3) | instskip(NEXT) | instid1(VALU_DEP_1)
	v_min_u32_e32 v10, 32, v10
	v_sub_nc_u32_e64 v10, v10, 4 clamp
	s_delay_alu instid0(VALU_DEP_1) | instskip(NEXT) | instid1(VALU_DEP_1)
	v_dual_lshlrev_b32 v11, v10, v7 :: v_dual_lshlrev_b32 v10, 23, v10
	v_lshrrev_b32_e32 v11, 4, v11
	s_delay_alu instid0(VALU_DEP_1) | instskip(NEXT) | instid1(VALU_DEP_1)
	v_dual_sub_nc_u32 v10, v11, v10 :: v_dual_ashrrev_i32 v11, 8, v12
	v_add_nc_u32_e32 v10, 0x3c000000, v10
	s_delay_alu instid0(VALU_DEP_1) | instskip(NEXT) | instid1(VALU_DEP_1)
	v_and_or_b32 v10, 0x7f800000, v11, v10
	v_cndmask_b32_e32 v7, 0, v10, vcc_lo
	s_delay_alu instid0(VALU_DEP_1) | instskip(NEXT) | instid1(VALU_DEP_1)
	v_and_or_b32 v5, 0x80000000, v5, v7
	v_trunc_f32_e32 v5, v5
	s_delay_alu instid0(VALU_DEP_1) | instskip(SKIP_1) | instid1(VALU_DEP_2)
	v_mul_f32_e64 v7, 0x2f800000, |v5|
	v_ashrrev_i32_e32 v10, 31, v5
	v_floor_f32_e32 v7, v7
	s_delay_alu instid0(VALU_DEP_1) | instskip(SKIP_1) | instid1(VALU_DEP_2)
	v_fma_f32 v11, 0xcf800000, v7, |v5|
	v_cvt_u32_f32_e32 v5, v7
	v_cvt_u32_f32_e32 v7, v11
	s_delay_alu instid0(VALU_DEP_2) | instskip(NEXT) | instid1(VALU_DEP_2)
	v_dual_mov_b32 v11, v10 :: v_dual_bitop2_b32 v13, v5, v10 bitop3:0x14
	v_xor_b32_e32 v12, v7, v10
	s_delay_alu instid0(VALU_DEP_1)
	v_sub_nc_u64_e32 v[10:11], v[12:13], v[10:11]
.LBB30_1986:
	s_mov_b32 s17, 0
.LBB30_1987:
	s_delay_alu instid0(SALU_CYCLE_1)
	s_and_not1_b32 vcc_lo, exec_lo, s17
	s_cbranch_vccnz .LBB30_1989
; %bb.1988:
	global_load_u8 v5, v[2:3], off
	s_wait_loadcnt 0x0
	v_lshlrev_b32_e32 v7, 25, v5
	v_lshlrev_b16 v5, 8, v5
	s_delay_alu instid0(VALU_DEP_1) | instskip(SKIP_1) | instid1(VALU_DEP_2)
	v_and_or_b32 v11, 0x7f00, v5, 0.5
	v_bfe_i32 v5, v5, 0, 16
	v_add_f32_e32 v11, -0.5, v11
	v_lshrrev_b32_e32 v10, 4, v7
	v_cmp_gt_u32_e32 vcc_lo, 0x8000000, v7
	s_delay_alu instid0(VALU_DEP_2) | instskip(NEXT) | instid1(VALU_DEP_1)
	v_or_b32_e32 v10, 0x70000000, v10
	v_mul_f32_e32 v10, 0x7800000, v10
	s_delay_alu instid0(VALU_DEP_1) | instskip(NEXT) | instid1(VALU_DEP_1)
	v_cndmask_b32_e32 v7, v10, v11, vcc_lo
	v_and_or_b32 v5, 0x80000000, v5, v7
	s_delay_alu instid0(VALU_DEP_1) | instskip(NEXT) | instid1(VALU_DEP_1)
	v_trunc_f32_e32 v5, v5
	v_mul_f32_e64 v7, 0x2f800000, |v5|
	v_ashrrev_i32_e32 v10, 31, v5
	s_delay_alu instid0(VALU_DEP_2) | instskip(NEXT) | instid1(VALU_DEP_1)
	v_floor_f32_e32 v7, v7
	v_fma_f32 v11, 0xcf800000, v7, |v5|
	v_cvt_u32_f32_e32 v5, v7
	s_delay_alu instid0(VALU_DEP_2) | instskip(NEXT) | instid1(VALU_DEP_2)
	v_cvt_u32_f32_e32 v7, v11
	v_dual_mov_b32 v11, v10 :: v_dual_bitop2_b32 v13, v5, v10 bitop3:0x14
	s_delay_alu instid0(VALU_DEP_2) | instskip(NEXT) | instid1(VALU_DEP_1)
	v_xor_b32_e32 v12, v7, v10
	v_sub_nc_u64_e32 v[10:11], v[12:13], v[10:11]
.LBB30_1989:
	s_mov_b32 s17, 0
	s_mov_b32 s18, -1
.LBB30_1990:
	s_and_not1_b32 vcc_lo, exec_lo, s17
	s_mov_b32 s17, 0
	s_cbranch_vccnz .LBB30_2001
; %bb.1991:
	s_cmp_gt_i32 s0, 14
	s_cbranch_scc0 .LBB30_1994
; %bb.1992:
	s_cmp_eq_u32 s0, 15
	s_cbranch_scc0 .LBB30_1997
; %bb.1993:
	global_load_u16 v5, v[2:3], off
	s_mov_b32 s16, 0
	s_mov_b32 s18, -1
	s_wait_loadcnt 0x0
	v_lshlrev_b32_e32 v5, 16, v5
	s_delay_alu instid0(VALU_DEP_1) | instskip(NEXT) | instid1(VALU_DEP_1)
	v_trunc_f32_e32 v5, v5
	v_mul_f32_e64 v7, 0x2f800000, |v5|
	v_ashrrev_i32_e32 v10, 31, v5
	s_delay_alu instid0(VALU_DEP_2) | instskip(NEXT) | instid1(VALU_DEP_1)
	v_floor_f32_e32 v7, v7
	v_fma_f32 v11, 0xcf800000, v7, |v5|
	v_cvt_u32_f32_e32 v5, v7
	s_delay_alu instid0(VALU_DEP_2) | instskip(NEXT) | instid1(VALU_DEP_2)
	v_cvt_u32_f32_e32 v7, v11
	v_dual_mov_b32 v11, v10 :: v_dual_bitop2_b32 v13, v5, v10 bitop3:0x14
	s_delay_alu instid0(VALU_DEP_2) | instskip(NEXT) | instid1(VALU_DEP_1)
	v_xor_b32_e32 v12, v7, v10
	v_sub_nc_u64_e32 v[10:11], v[12:13], v[10:11]
	s_branch .LBB30_1999
.LBB30_1994:
	s_mov_b32 s17, -1
	s_branch .LBB30_1998
.LBB30_1995:
	s_and_not1_saveexec_b32 s17, s17
	s_cbranch_execz .LBB30_1976
.LBB30_1996:
	v_cmp_ne_u16_e32 vcc_lo, 0, v5
	s_and_not1_b32 s18, s18, exec_lo
	s_and_b32 s19, vcc_lo, exec_lo
	s_delay_alu instid0(SALU_CYCLE_1)
	s_or_b32 s18, s18, s19
	s_or_b32 exec_lo, exec_lo, s17
	v_mov_b64_e32 v[10:11], 0
	s_and_saveexec_b32 s17, s18
	s_cbranch_execnz .LBB30_1977
	s_branch .LBB30_1978
.LBB30_1997:
	s_mov_b32 s16, -1
.LBB30_1998:
                                        ; implicit-def: $vgpr10_vgpr11
.LBB30_1999:
	s_and_b32 vcc_lo, exec_lo, s17
	s_mov_b32 s17, 0
	s_cbranch_vccz .LBB30_2001
; %bb.2000:
	s_cmp_lg_u32 s0, 11
	s_mov_b32 s17, -1
	s_cselect_b32 s16, -1, 0
.LBB30_2001:
	s_delay_alu instid0(SALU_CYCLE_1)
	s_and_b32 vcc_lo, exec_lo, s16
	s_cbranch_vccnz .LBB30_2074
; %bb.2002:
	s_and_not1_b32 vcc_lo, exec_lo, s17
	s_cbranch_vccnz .LBB30_2004
.LBB30_2003:
	global_load_u8 v5, v[2:3], off
	s_mov_b32 s0, 0
	s_mov_b32 s18, -1
	s_wait_loadcnt 0x1
	v_mov_b32_e32 v11, s0
	s_wait_loadcnt 0x0
	v_cmp_ne_u16_e32 vcc_lo, 0, v5
	v_cndmask_b32_e64 v10, 0, 1, vcc_lo
.LBB30_2004:
	s_mov_b32 s0, 0
.LBB30_2005:
	s_delay_alu instid0(SALU_CYCLE_1)
	s_and_b32 vcc_lo, exec_lo, s0
	s_cbranch_vccz .LBB30_2054
; %bb.2006:
	s_and_b32 s0, 0xffff, s1
	s_delay_alu instid0(SALU_CYCLE_1)
	s_cmp_lt_i32 s0, 5
	s_cbranch_scc1 .LBB30_2011
; %bb.2007:
	s_cmp_lt_i32 s0, 8
	s_cbranch_scc1 .LBB30_2012
; %bb.2008:
	;; [unrolled: 3-line block ×3, first 2 shown]
	s_cmp_gt_i32 s0, 9
	s_cbranch_scc0 .LBB30_2014
; %bb.2010:
	s_wait_loadcnt 0x0
	global_load_b64 v[10:11], v[2:3], off
	s_mov_b32 s16, 0
	s_wait_loadcnt 0x0
	v_trunc_f64_e32 v[10:11], v[10:11]
	s_delay_alu instid0(VALU_DEP_1) | instskip(NEXT) | instid1(VALU_DEP_1)
	v_ldexp_f64 v[12:13], v[10:11], 0xffffffe0
	v_floor_f64_e32 v[12:13], v[12:13]
	s_delay_alu instid0(VALU_DEP_1) | instskip(SKIP_1) | instid1(VALU_DEP_2)
	v_fmamk_f64 v[14:15], v[12:13], 0xc1f00000, v[10:11]
	v_cvt_i32_f64_e32 v11, v[12:13]
	v_cvt_u32_f64_e32 v10, v[14:15]
	s_branch .LBB30_2015
.LBB30_2011:
	s_mov_b32 s16, -1
                                        ; implicit-def: $vgpr10_vgpr11
	s_branch .LBB30_2033
.LBB30_2012:
	s_mov_b32 s16, -1
                                        ; implicit-def: $vgpr10_vgpr11
	s_branch .LBB30_2021
.LBB30_2013:
	s_mov_b32 s16, -1
                                        ; implicit-def: $vgpr10_vgpr11
	s_branch .LBB30_2018
.LBB30_2014:
	s_mov_b32 s16, -1
                                        ; implicit-def: $vgpr10_vgpr11
.LBB30_2015:
	s_delay_alu instid0(SALU_CYCLE_1)
	s_and_not1_b32 vcc_lo, exec_lo, s16
	s_cbranch_vccnz .LBB30_2017
; %bb.2016:
	global_load_b32 v5, v[2:3], off
	s_wait_loadcnt 0x0
	v_trunc_f32_e32 v5, v5
	s_delay_alu instid0(VALU_DEP_1) | instskip(SKIP_1) | instid1(VALU_DEP_2)
	v_mul_f32_e64 v7, 0x2f800000, |v5|
	v_ashrrev_i32_e32 v10, 31, v5
	v_floor_f32_e32 v7, v7
	s_delay_alu instid0(VALU_DEP_1) | instskip(SKIP_1) | instid1(VALU_DEP_2)
	v_fma_f32 v11, 0xcf800000, v7, |v5|
	v_cvt_u32_f32_e32 v5, v7
	v_cvt_u32_f32_e32 v7, v11
	s_delay_alu instid0(VALU_DEP_2) | instskip(NEXT) | instid1(VALU_DEP_2)
	v_dual_mov_b32 v11, v10 :: v_dual_bitop2_b32 v13, v5, v10 bitop3:0x14
	v_xor_b32_e32 v12, v7, v10
	s_delay_alu instid0(VALU_DEP_1)
	v_sub_nc_u64_e32 v[10:11], v[12:13], v[10:11]
.LBB30_2017:
	s_mov_b32 s16, 0
.LBB30_2018:
	s_delay_alu instid0(SALU_CYCLE_1)
	s_and_not1_b32 vcc_lo, exec_lo, s16
	s_cbranch_vccnz .LBB30_2020
; %bb.2019:
	global_load_b32 v5, v[2:3], off
	s_wait_loadcnt 0x0
	v_cvt_f32_f16_e32 v5, v5
	s_delay_alu instid0(VALU_DEP_1) | instskip(NEXT) | instid1(VALU_DEP_1)
	v_cvt_i32_f32_e32 v10, v5
	v_ashrrev_i32_e32 v11, 31, v10
.LBB30_2020:
	s_mov_b32 s16, 0
.LBB30_2021:
	s_delay_alu instid0(SALU_CYCLE_1)
	s_and_not1_b32 vcc_lo, exec_lo, s16
	s_cbranch_vccnz .LBB30_2032
; %bb.2022:
	s_cmp_lt_i32 s0, 6
	s_cbranch_scc1 .LBB30_2025
; %bb.2023:
	s_cmp_gt_i32 s0, 6
	s_cbranch_scc0 .LBB30_2026
; %bb.2024:
	s_wait_loadcnt 0x0
	global_load_b64 v[10:11], v[2:3], off
	s_mov_b32 s16, 0
	s_wait_loadcnt 0x0
	v_trunc_f64_e32 v[10:11], v[10:11]
	s_delay_alu instid0(VALU_DEP_1) | instskip(NEXT) | instid1(VALU_DEP_1)
	v_ldexp_f64 v[12:13], v[10:11], 0xffffffe0
	v_floor_f64_e32 v[12:13], v[12:13]
	s_delay_alu instid0(VALU_DEP_1) | instskip(SKIP_1) | instid1(VALU_DEP_2)
	v_fmamk_f64 v[14:15], v[12:13], 0xc1f00000, v[10:11]
	v_cvt_i32_f64_e32 v11, v[12:13]
	v_cvt_u32_f64_e32 v10, v[14:15]
	s_branch .LBB30_2027
.LBB30_2025:
	s_mov_b32 s16, -1
                                        ; implicit-def: $vgpr10_vgpr11
	s_branch .LBB30_2030
.LBB30_2026:
	s_mov_b32 s16, -1
                                        ; implicit-def: $vgpr10_vgpr11
.LBB30_2027:
	s_delay_alu instid0(SALU_CYCLE_1)
	s_and_not1_b32 vcc_lo, exec_lo, s16
	s_cbranch_vccnz .LBB30_2029
; %bb.2028:
	global_load_b32 v5, v[2:3], off
	s_wait_loadcnt 0x0
	v_trunc_f32_e32 v5, v5
	s_delay_alu instid0(VALU_DEP_1) | instskip(SKIP_1) | instid1(VALU_DEP_2)
	v_mul_f32_e64 v7, 0x2f800000, |v5|
	v_ashrrev_i32_e32 v10, 31, v5
	v_floor_f32_e32 v7, v7
	s_delay_alu instid0(VALU_DEP_1) | instskip(SKIP_1) | instid1(VALU_DEP_2)
	v_fma_f32 v11, 0xcf800000, v7, |v5|
	v_cvt_u32_f32_e32 v5, v7
	v_cvt_u32_f32_e32 v7, v11
	s_delay_alu instid0(VALU_DEP_2) | instskip(NEXT) | instid1(VALU_DEP_2)
	v_dual_mov_b32 v11, v10 :: v_dual_bitop2_b32 v13, v5, v10 bitop3:0x14
	v_xor_b32_e32 v12, v7, v10
	s_delay_alu instid0(VALU_DEP_1)
	v_sub_nc_u64_e32 v[10:11], v[12:13], v[10:11]
.LBB30_2029:
	s_mov_b32 s16, 0
.LBB30_2030:
	s_delay_alu instid0(SALU_CYCLE_1)
	s_and_not1_b32 vcc_lo, exec_lo, s16
	s_cbranch_vccnz .LBB30_2032
; %bb.2031:
	global_load_u16 v5, v[2:3], off
	s_wait_loadcnt 0x0
	v_cvt_f32_f16_e32 v5, v5
	s_delay_alu instid0(VALU_DEP_1) | instskip(NEXT) | instid1(VALU_DEP_1)
	v_cvt_i32_f32_e32 v10, v5
	v_ashrrev_i32_e32 v11, 31, v10
.LBB30_2032:
	s_mov_b32 s16, 0
.LBB30_2033:
	s_delay_alu instid0(SALU_CYCLE_1)
	s_and_not1_b32 vcc_lo, exec_lo, s16
	s_cbranch_vccnz .LBB30_2053
; %bb.2034:
	s_cmp_lt_i32 s0, 2
	s_cbranch_scc1 .LBB30_2038
; %bb.2035:
	s_cmp_lt_i32 s0, 3
	s_cbranch_scc1 .LBB30_2039
; %bb.2036:
	s_cmp_gt_i32 s0, 3
	s_cbranch_scc0 .LBB30_2040
; %bb.2037:
	s_wait_loadcnt 0x0
	global_load_b64 v[10:11], v[2:3], off
	s_mov_b32 s16, 0
	s_branch .LBB30_2041
.LBB30_2038:
	s_mov_b32 s16, -1
                                        ; implicit-def: $vgpr10_vgpr11
	s_branch .LBB30_2047
.LBB30_2039:
	s_mov_b32 s16, -1
                                        ; implicit-def: $vgpr10_vgpr11
	s_branch .LBB30_2044
.LBB30_2040:
	s_mov_b32 s16, -1
                                        ; implicit-def: $vgpr10_vgpr11
.LBB30_2041:
	s_delay_alu instid0(SALU_CYCLE_1)
	s_and_not1_b32 vcc_lo, exec_lo, s16
	s_cbranch_vccnz .LBB30_2043
; %bb.2042:
	s_wait_loadcnt 0x0
	global_load_b32 v10, v[2:3], off
	s_wait_loadcnt 0x0
	v_ashrrev_i32_e32 v11, 31, v10
.LBB30_2043:
	s_mov_b32 s16, 0
.LBB30_2044:
	s_delay_alu instid0(SALU_CYCLE_1)
	s_and_not1_b32 vcc_lo, exec_lo, s16
	s_cbranch_vccnz .LBB30_2046
; %bb.2045:
	global_load_u16 v5, v[2:3], off
	s_wait_loadcnt 0x0
	v_bfe_i32 v10, v5, 0, 16
	s_delay_alu instid0(VALU_DEP_1)
	v_ashrrev_i32_e32 v11, 31, v10
.LBB30_2046:
	s_mov_b32 s16, 0
.LBB30_2047:
	s_delay_alu instid0(SALU_CYCLE_1)
	s_and_not1_b32 vcc_lo, exec_lo, s16
	s_cbranch_vccnz .LBB30_2053
; %bb.2048:
	s_cmp_gt_i32 s0, 0
	s_mov_b32 s0, 0
	s_cbranch_scc0 .LBB30_2050
; %bb.2049:
	global_load_i8 v5, v[2:3], off
	s_wait_loadcnt 0x0
	v_bfe_i32 v10, v5, 0, 16
	s_delay_alu instid0(VALU_DEP_1)
	v_ashrrev_i32_e32 v11, 31, v10
	s_branch .LBB30_2051
.LBB30_2050:
	s_mov_b32 s0, -1
                                        ; implicit-def: $vgpr10_vgpr11
.LBB30_2051:
	s_delay_alu instid0(SALU_CYCLE_1)
	s_and_not1_b32 vcc_lo, exec_lo, s0
	s_cbranch_vccnz .LBB30_2053
; %bb.2052:
	global_load_u8 v2, v[2:3], off
	s_mov_b32 s0, 0
	s_wait_loadcnt 0x1
	v_mov_b32_e32 v11, s0
	s_wait_loadcnt 0x0
	v_and_b32_e32 v10, 0xffff, v2
.LBB30_2053:
	s_mov_b32 s18, -1
.LBB30_2054:
	s_delay_alu instid0(SALU_CYCLE_1)
	s_and_not1_b32 vcc_lo, exec_lo, s18
	s_cbranch_vccnz .LBB30_2583
; %bb.2055:
	s_wait_loadcnt 0x0
	s_delay_alu instid0(VALU_DEP_1) | instskip(SKIP_1) | instid1(VALU_DEP_1)
	v_sub_nc_u64_e32 v[2:3], 0, v[10:11]
	s_mov_b32 s16, exec_lo
	v_max_i64 v[2:3], v[10:11], v[2:3]
	v_cmpx_ne_u64_e32 0, v[8:9]
	s_cbranch_execz .LBB30_2063
; %bb.2056:
	v_sub_nc_u64_e32 v[10:11], 0, v[8:9]
	s_mov_b32 s17, 0
	s_delay_alu instid0(VALU_DEP_1)
	v_max_i64 v[12:13], v[8:9], v[10:11]
	v_mov_b32_e32 v8, 0
	s_branch .LBB30_2058
.LBB30_2057:                            ;   in Loop: Header=BB30_2058 Depth=1
	s_or_b32 exec_lo, exec_lo, s0
	s_delay_alu instid0(VALU_DEP_1) | instskip(SKIP_2) | instid1(SALU_CYCLE_1)
	v_cmp_eq_u64_e32 vcc_lo, 0, v[12:13]
	v_mov_b64_e32 v[2:3], v[10:11]
	s_or_b32 s17, vcc_lo, s17
	s_and_not1_b32 exec_lo, exec_lo, s17
	s_cbranch_execz .LBB30_2062
.LBB30_2058:                            ; =>This Inner Loop Header: Depth=1
	s_delay_alu instid0(VALU_DEP_2) | instskip(SKIP_1) | instid1(VALU_DEP_1)
	v_mov_b64_e32 v[10:11], v[12:13]
                                        ; implicit-def: $vgpr12_vgpr13
	s_mov_b32 s0, exec_lo
	v_or_b32_e32 v9, v3, v11
	s_delay_alu instid0(VALU_DEP_1)
	v_cmpx_ne_u64_e32 0, v[8:9]
	s_xor_b32 s18, exec_lo, s0
	s_cbranch_execz .LBB30_2060
; %bb.2059:                             ;   in Loop: Header=BB30_2058 Depth=1
	s_delay_alu instid0(VALU_DEP_3) | instskip(SKIP_4) | instid1(VALU_DEP_4)
	v_cvt_f32_u32_e32 v5, v10
	v_cvt_f32_u32_e32 v7, v11
	v_sub_nc_u64_e32 v[14:15], 0, v[10:11]
	v_dual_mov_b32 v13, v8 :: v_dual_mov_b32 v23, v8
	v_mov_b32_e32 v25, v8
	v_fmac_f32_e32 v5, 0x4f800000, v7
	s_delay_alu instid0(VALU_DEP_1) | instskip(SKIP_1) | instid1(TRANS32_DEP_1)
	v_rcp_f32_e32 v5, v5
	v_nop
	v_mul_f32_e32 v5, 0x5f7ffffc, v5
	s_delay_alu instid0(VALU_DEP_1) | instskip(NEXT) | instid1(VALU_DEP_1)
	v_mul_f32_e32 v7, 0x2f800000, v5
	v_trunc_f32_e32 v7, v7
	s_delay_alu instid0(VALU_DEP_1) | instskip(SKIP_1) | instid1(VALU_DEP_2)
	v_fmac_f32_e32 v5, 0xcf800000, v7
	v_cvt_u32_f32_e32 v19, v7
	v_cvt_u32_f32_e32 v12, v5
	s_delay_alu instid0(VALU_DEP_1) | instskip(NEXT) | instid1(VALU_DEP_1)
	v_dual_mov_b32 v24, v19 :: v_dual_mov_b32 v18, v12
	v_mul_u64_e32 v[20:21], v[14:15], v[18:19]
	s_delay_alu instid0(VALU_DEP_1) | instskip(NEXT) | instid1(VALU_DEP_1)
	v_dual_mov_b32 v22, v21 :: v_dual_mov_b32 v21, v8
	v_mul_u64_e32 v[26:27], v[12:13], v[22:23]
	s_delay_alu instid0(VALU_DEP_2) | instskip(SKIP_2) | instid1(VALU_DEP_1)
	v_mul_u64_e32 v[28:29], v[24:25], v[20:21]
	v_mul_u64_e32 v[22:23], v[24:25], v[22:23]
	v_mul_hi_u32 v20, v12, v20
	v_add_nc_u64_e32 v[20:21], v[20:21], v[26:27]
	s_delay_alu instid0(VALU_DEP_1) | instskip(NEXT) | instid1(VALU_DEP_2)
	v_add_co_u32 v5, vcc_lo, v20, v28
	v_add_co_ci_u32_e32 v24, vcc_lo, v21, v29, vcc_lo
	v_add_co_ci_u32_e32 v23, vcc_lo, 0, v23, vcc_lo
	s_delay_alu instid0(VALU_DEP_1) | instskip(NEXT) | instid1(VALU_DEP_1)
	v_add_nc_u64_e32 v[20:21], v[24:25], v[22:23]
	v_add_co_u32 v12, vcc_lo, v12, v20
	s_delay_alu instid0(VALU_DEP_1) | instskip(SKIP_1) | instid1(VALU_DEP_2)
	v_add_co_ci_u32_e64 v18, null, v19, v21, vcc_lo
	v_dual_mov_b32 v21, v8 :: v_dual_mov_b32 v19, v8
	v_mov_b32_e32 v13, v18
	s_delay_alu instid0(VALU_DEP_1) | instskip(NEXT) | instid1(VALU_DEP_1)
	v_mul_u64_e32 v[14:15], v[14:15], v[12:13]
	v_dual_mov_b32 v13, v8 :: v_dual_mov_b32 v20, v15
	s_delay_alu instid0(VALU_DEP_2) | instskip(SKIP_1) | instid1(VALU_DEP_3)
	v_dual_mov_b32 v24, v14 :: v_dual_mov_b32 v15, v8
	v_mul_hi_u32 v14, v12, v14
	v_mul_u64_e32 v[22:23], v[12:13], v[20:21]
	s_delay_alu instid0(VALU_DEP_3) | instskip(SKIP_1) | instid1(VALU_DEP_3)
	v_mul_u64_e32 v[24:25], v[18:19], v[24:25]
	v_mul_u64_e32 v[20:21], v[18:19], v[20:21]
	v_add_nc_u64_e32 v[14:15], v[14:15], v[22:23]
	v_mov_b32_e32 v23, v8
	s_delay_alu instid0(VALU_DEP_2) | instskip(NEXT) | instid1(VALU_DEP_3)
	v_add_co_u32 v5, vcc_lo, v14, v24
	v_add_co_ci_u32_e32 v22, vcc_lo, v15, v25, vcc_lo
	v_add_co_ci_u32_e32 v21, vcc_lo, 0, v21, vcc_lo
	s_delay_alu instid0(VALU_DEP_1) | instskip(SKIP_1) | instid1(VALU_DEP_2)
	v_add_nc_u64_e32 v[14:15], v[22:23], v[20:21]
	v_dual_mov_b32 v20, v2 :: v_dual_mov_b32 v21, v8
	v_add_co_u32 v14, vcc_lo, v12, v14
	s_delay_alu instid0(VALU_DEP_1) | instskip(SKIP_1) | instid1(VALU_DEP_2)
	v_add_co_ci_u32_e64 v12, null, v18, v15, vcc_lo
	v_dual_mov_b32 v18, v3 :: v_dual_mov_b32 v15, v8
	v_mul_u64_e32 v[20:21], v[20:21], v[12:13]
	s_delay_alu instid0(VALU_DEP_2) | instskip(NEXT) | instid1(VALU_DEP_3)
	v_mul_u64_e32 v[12:13], v[18:19], v[12:13]
	v_mul_u64_e32 v[22:23], v[18:19], v[14:15]
	v_mul_hi_u32 v14, v2, v14
	s_delay_alu instid0(VALU_DEP_1) | instskip(NEXT) | instid1(VALU_DEP_1)
	v_add_nc_u64_e32 v[14:15], v[14:15], v[20:21]
	v_add_co_u32 v5, vcc_lo, v14, v22
	s_delay_alu instid0(VALU_DEP_2) | instskip(SKIP_1) | instid1(VALU_DEP_1)
	v_add_co_ci_u32_e32 v18, vcc_lo, v15, v23, vcc_lo
	v_add_co_ci_u32_e32 v13, vcc_lo, 0, v13, vcc_lo
	v_add_nc_u64_e32 v[12:13], v[18:19], v[12:13]
	s_delay_alu instid0(VALU_DEP_1) | instskip(NEXT) | instid1(VALU_DEP_1)
	v_mul_u64_e32 v[12:13], v[10:11], v[12:13]
	v_sub_nc_u32_e32 v5, v3, v13
	s_delay_alu instid0(VALU_DEP_2) | instskip(NEXT) | instid1(VALU_DEP_1)
	v_sub_co_u32 v2, vcc_lo, v2, v12
	v_sub_co_ci_u32_e64 v3, null, v3, v13, vcc_lo
	s_delay_alu instid0(VALU_DEP_3) | instskip(NEXT) | instid1(VALU_DEP_3)
	v_sub_co_ci_u32_e64 v5, null, v5, v11, vcc_lo
	v_sub_co_u32 v7, vcc_lo, v2, v10
	v_cmp_ge_u32_e64 s0, v2, v10
	s_delay_alu instid0(VALU_DEP_3) | instskip(SKIP_1) | instid1(VALU_DEP_3)
	v_subrev_co_ci_u32_e64 v9, null, 0, v5, vcc_lo
	v_sub_co_ci_u32_e64 v5, null, v5, v11, vcc_lo
	v_cndmask_b32_e64 v12, 0, -1, s0
	v_cmp_ge_u32_e64 s0, v7, v10
	v_cmp_ge_u32_e32 vcc_lo, v3, v11
	s_delay_alu instid0(VALU_DEP_2) | instskip(SKIP_3) | instid1(VALU_DEP_3)
	v_cndmask_b32_e64 v13, 0, -1, s0
	v_cmp_ge_u32_e64 s0, v9, v11
	v_cndmask_b32_e64 v15, 0, -1, vcc_lo
	v_cmp_eq_u32_e32 vcc_lo, v9, v11
	v_cndmask_b32_e64 v14, 0, -1, s0
	v_cmp_eq_u32_e64 s0, v3, v11
	s_delay_alu instid0(VALU_DEP_1) | instskip(SKIP_1) | instid1(VALU_DEP_1)
	v_dual_cndmask_b32 v13, v14, v13, vcc_lo :: v_dual_cndmask_b32 v12, v15, v12, s0
	v_sub_co_u32 v14, vcc_lo, v7, v10
	v_subrev_co_ci_u32_e64 v5, null, 0, v5, vcc_lo
	s_delay_alu instid0(VALU_DEP_3) | instskip(NEXT) | instid1(VALU_DEP_2)
	v_cmp_ne_u32_e32 vcc_lo, 0, v13
	v_dual_cndmask_b32 v5, v9, v5, vcc_lo :: v_dual_cndmask_b32 v7, v7, v14, vcc_lo
	v_cmp_ne_u32_e32 vcc_lo, 0, v12
	s_delay_alu instid0(VALU_DEP_2)
	v_dual_cndmask_b32 v13, v3, v5 :: v_dual_cndmask_b32 v12, v2, v7
                                        ; implicit-def: $vgpr2_vgpr3
.LBB30_2060:                            ;   in Loop: Header=BB30_2058 Depth=1
	s_and_not1_saveexec_b32 s0, s18
	s_cbranch_execz .LBB30_2057
; %bb.2061:                             ;   in Loop: Header=BB30_2058 Depth=1
	v_cvt_f32_u32_e32 v3, v10
	v_dual_sub_nc_u32 v5, 0, v10 :: v_dual_mov_b32 v13, v8
	s_delay_alu instid0(VALU_DEP_2) | instskip(SKIP_1) | instid1(TRANS32_DEP_1)
	v_rcp_iflag_f32_e32 v3, v3
	v_nop
	v_mul_f32_e32 v3, 0x4f7ffffe, v3
	s_delay_alu instid0(VALU_DEP_1) | instskip(NEXT) | instid1(VALU_DEP_1)
	v_cvt_u32_f32_e32 v3, v3
	v_mul_lo_u32 v5, v5, v3
	s_delay_alu instid0(VALU_DEP_1) | instskip(NEXT) | instid1(VALU_DEP_1)
	v_mul_hi_u32 v5, v3, v5
	v_add_nc_u32_e32 v3, v3, v5
	s_delay_alu instid0(VALU_DEP_1) | instskip(NEXT) | instid1(VALU_DEP_1)
	v_mul_hi_u32 v3, v2, v3
	v_mul_lo_u32 v3, v3, v10
	s_delay_alu instid0(VALU_DEP_1) | instskip(NEXT) | instid1(VALU_DEP_1)
	v_sub_nc_u32_e32 v2, v2, v3
	v_sub_nc_u32_e32 v3, v2, v10
	v_cmp_ge_u32_e32 vcc_lo, v2, v10
	s_delay_alu instid0(VALU_DEP_2) | instskip(NEXT) | instid1(VALU_DEP_1)
	v_cndmask_b32_e32 v2, v2, v3, vcc_lo
	v_sub_nc_u32_e32 v3, v2, v10
	v_cmp_ge_u32_e32 vcc_lo, v2, v10
	s_delay_alu instid0(VALU_DEP_2)
	v_cndmask_b32_e32 v12, v2, v3, vcc_lo
	s_branch .LBB30_2057
.LBB30_2062:
	s_or_b32 exec_lo, exec_lo, s17
	v_mov_b64_e32 v[2:3], v[10:11]
.LBB30_2063:
	s_or_b32 exec_lo, exec_lo, s16
	v_add_nc_u32_e32 v6, s9, v6
	s_cmp_lt_i32 s13, 11
	s_delay_alu instid0(VALU_DEP_1) | instskip(NEXT) | instid1(VALU_DEP_1)
	v_ashrrev_i32_e32 v7, 31, v6
	v_add_nc_u64_e32 v[8:9], s[6:7], v[6:7]
	s_cbranch_scc1 .LBB30_2070
; %bb.2064:
	s_and_b32 s0, 0xffff, s13
	s_mov_b32 s17, 0
	s_cmp_gt_i32 s0, 25
	s_cbranch_scc0 .LBB30_2071
; %bb.2065:
	s_cmp_gt_i32 s0, 28
	s_cbranch_scc0 .LBB30_2072
; %bb.2066:
	;; [unrolled: 3-line block ×4, first 2 shown]
	s_cmp_eq_u32 s0, 46
	s_mov_b32 s19, 0
	s_cbranch_scc0 .LBB30_2076
; %bb.2069:
	global_load_b32 v5, v[8:9], off
	s_mov_b32 s16, 0
	s_mov_b32 s18, -1
	s_wait_loadcnt 0x0
	v_lshlrev_b32_e32 v5, 16, v5
	s_delay_alu instid0(VALU_DEP_1) | instskip(NEXT) | instid1(VALU_DEP_1)
	v_trunc_f32_e32 v5, v5
	v_mul_f32_e64 v7, 0x2f800000, |v5|
	v_ashrrev_i32_e32 v10, 31, v5
	s_delay_alu instid0(VALU_DEP_2) | instskip(NEXT) | instid1(VALU_DEP_1)
	v_floor_f32_e32 v7, v7
	v_fma_f32 v11, 0xcf800000, v7, |v5|
	v_cvt_u32_f32_e32 v5, v7
	s_delay_alu instid0(VALU_DEP_2) | instskip(NEXT) | instid1(VALU_DEP_2)
	v_cvt_u32_f32_e32 v7, v11
	v_dual_mov_b32 v11, v10 :: v_dual_bitop2_b32 v13, v5, v10 bitop3:0x14
	s_delay_alu instid0(VALU_DEP_2) | instskip(NEXT) | instid1(VALU_DEP_1)
	v_xor_b32_e32 v12, v7, v10
	v_sub_nc_u64_e32 v[10:11], v[12:13], v[10:11]
	s_branch .LBB30_2078
.LBB30_2070:
	s_mov_b32 s0, -1
	s_mov_b32 s18, 0
                                        ; implicit-def: $vgpr10_vgpr11
	s_branch .LBB30_2140
.LBB30_2071:
	s_mov_b32 s19, -1
	s_mov_b32 s18, 0
	s_mov_b32 s16, 0
                                        ; implicit-def: $vgpr10_vgpr11
	s_branch .LBB30_2105
.LBB30_2072:
	s_mov_b32 s19, -1
	s_mov_b32 s18, 0
	s_mov_b32 s16, 0
                                        ; implicit-def: $vgpr10_vgpr11
	s_branch .LBB30_2088
.LBB30_2073:
	s_mov_b32 s19, -1
	s_mov_b32 s18, 0
	s_mov_b32 s16, 0
                                        ; implicit-def: $vgpr10_vgpr11
	s_branch .LBB30_2083
.LBB30_2074:
	s_or_b32 s12, s12, exec_lo
	s_trap 2
	s_cbranch_execz .LBB30_2003
	s_branch .LBB30_2004
.LBB30_2075:
	s_mov_b32 s19, -1
	s_mov_b32 s18, 0
	s_mov_b32 s16, 0
	s_branch .LBB30_2077
.LBB30_2076:
	s_mov_b32 s16, -1
	s_mov_b32 s18, 0
.LBB30_2077:
                                        ; implicit-def: $vgpr10_vgpr11
.LBB30_2078:
	s_and_b32 vcc_lo, exec_lo, s19
	s_cbranch_vccz .LBB30_2082
; %bb.2079:
	s_cmp_eq_u32 s0, 44
	s_cbranch_scc0 .LBB30_2081
; %bb.2080:
	global_load_u8 v5, v[8:9], off
	s_mov_b32 s16, 0
	s_mov_b32 s18, -1
	s_wait_loadcnt 0x0
	v_lshlrev_b32_e32 v7, 23, v5
	v_cmp_ne_u32_e32 vcc_lo, 0, v5
	s_delay_alu instid0(VALU_DEP_2) | instskip(NEXT) | instid1(VALU_DEP_1)
	v_trunc_f32_e32 v7, v7
	v_mul_f32_e64 v10, 0x2f800000, |v7|
	s_delay_alu instid0(VALU_DEP_1) | instskip(SKIP_1) | instid1(VALU_DEP_2)
	v_floor_f32_e32 v11, v10
	v_ashrrev_i32_e32 v10, 31, v7
	v_fma_f32 v12, 0xcf800000, v11, |v7|
	v_cvt_u32_f32_e32 v7, v11
	s_delay_alu instid0(VALU_DEP_3) | instskip(NEXT) | instid1(VALU_DEP_3)
	v_mov_b32_e32 v11, v10
	v_cvt_u32_f32_e32 v12, v12
	s_delay_alu instid0(VALU_DEP_3) | instskip(NEXT) | instid1(VALU_DEP_2)
	v_xor_b32_e32 v13, v7, v10
	v_xor_b32_e32 v12, v12, v10
	s_delay_alu instid0(VALU_DEP_1) | instskip(NEXT) | instid1(VALU_DEP_1)
	v_sub_nc_u64_e32 v[10:11], v[12:13], v[10:11]
	v_dual_cndmask_b32 v11, 0, v11 :: v_dual_cndmask_b32 v10, 0, v10
	s_branch .LBB30_2082
.LBB30_2081:
	s_mov_b32 s16, -1
                                        ; implicit-def: $vgpr10_vgpr11
.LBB30_2082:
	s_mov_b32 s19, 0
.LBB30_2083:
	s_delay_alu instid0(SALU_CYCLE_1)
	s_and_b32 vcc_lo, exec_lo, s19
	s_cbranch_vccz .LBB30_2087
; %bb.2084:
	s_cmp_eq_u32 s0, 29
	s_cbranch_scc0 .LBB30_2086
; %bb.2085:
	global_load_b64 v[10:11], v[8:9], off
	s_mov_b32 s16, 0
	s_mov_b32 s18, -1
	s_branch .LBB30_2087
.LBB30_2086:
	s_mov_b32 s16, -1
                                        ; implicit-def: $vgpr10_vgpr11
.LBB30_2087:
	s_mov_b32 s19, 0
.LBB30_2088:
	s_delay_alu instid0(SALU_CYCLE_1)
	s_and_b32 vcc_lo, exec_lo, s19
	s_cbranch_vccz .LBB30_2104
; %bb.2089:
	s_cmp_lt_i32 s0, 27
	s_cbranch_scc1 .LBB30_2092
; %bb.2090:
	s_cmp_gt_i32 s0, 27
	s_cbranch_scc0 .LBB30_2093
; %bb.2091:
	s_wait_loadcnt 0x0
	global_load_b32 v10, v[8:9], off
	v_mov_b32_e32 v11, 0
	s_mov_b32 s18, 0
	s_branch .LBB30_2094
.LBB30_2092:
	s_mov_b32 s18, -1
                                        ; implicit-def: $vgpr10_vgpr11
	s_branch .LBB30_2097
.LBB30_2093:
	s_mov_b32 s18, -1
                                        ; implicit-def: $vgpr10_vgpr11
.LBB30_2094:
	s_delay_alu instid0(SALU_CYCLE_1)
	s_and_not1_b32 vcc_lo, exec_lo, s18
	s_cbranch_vccnz .LBB30_2096
; %bb.2095:
	global_load_u16 v5, v[8:9], off
	s_mov_b32 s18, 0
	s_wait_loadcnt 0x1
	v_mov_b32_e32 v11, s18
	s_wait_loadcnt 0x0
	v_and_b32_e32 v10, 0xffff, v5
.LBB30_2096:
	s_mov_b32 s18, 0
.LBB30_2097:
	s_delay_alu instid0(SALU_CYCLE_1)
	s_and_not1_b32 vcc_lo, exec_lo, s18
	s_cbranch_vccnz .LBB30_2103
; %bb.2098:
	global_load_u8 v5, v[8:9], off
	s_mov_b32 s19, 0
	s_mov_b32 s18, exec_lo
	s_wait_loadcnt 0x0
	v_cmpx_lt_i16_e32 0x7f, v5
	s_xor_b32 s18, exec_lo, s18
	s_cbranch_execz .LBB30_2115
; %bb.2099:
	v_cmp_ne_u16_e32 vcc_lo, 0x80, v5
	s_and_b32 s19, vcc_lo, exec_lo
	s_and_not1_saveexec_b32 s18, s18
	s_cbranch_execnz .LBB30_2116
.LBB30_2100:
	s_or_b32 exec_lo, exec_lo, s18
	v_mov_b64_e32 v[10:11], 0
	s_and_saveexec_b32 s18, s19
	s_cbranch_execz .LBB30_2102
.LBB30_2101:
	v_and_b32_e32 v7, 0xffff, v5
	s_delay_alu instid0(VALU_DEP_1) | instskip(SKIP_1) | instid1(VALU_DEP_2)
	v_dual_lshlrev_b32 v5, 24, v5 :: v_dual_bitop2_b32 v10, 7, v7 bitop3:0x40
	v_bfe_u32 v13, v7, 3, 4
	v_and_b32_e32 v5, 0x80000000, v5
	s_delay_alu instid0(VALU_DEP_3) | instskip(NEXT) | instid1(VALU_DEP_3)
	v_clz_i32_u32_e32 v11, v10
	v_cmp_eq_u32_e32 vcc_lo, 0, v13
	s_delay_alu instid0(VALU_DEP_2) | instskip(NEXT) | instid1(VALU_DEP_1)
	v_min_u32_e32 v11, 32, v11
	v_subrev_nc_u32_e32 v12, 28, v11
	v_sub_nc_u32_e32 v11, 29, v11
	s_delay_alu instid0(VALU_DEP_2) | instskip(NEXT) | instid1(VALU_DEP_2)
	v_lshlrev_b32_e32 v7, v12, v7
	v_cndmask_b32_e32 v11, v13, v11, vcc_lo
	s_delay_alu instid0(VALU_DEP_2) | instskip(NEXT) | instid1(VALU_DEP_1)
	v_and_b32_e32 v7, 7, v7
	v_cndmask_b32_e32 v7, v10, v7, vcc_lo
	s_delay_alu instid0(VALU_DEP_3) | instskip(NEXT) | instid1(VALU_DEP_2)
	v_lshl_add_u32 v10, v11, 23, 0x3b800000
	v_lshlrev_b32_e32 v7, 20, v7
	s_delay_alu instid0(VALU_DEP_1) | instskip(NEXT) | instid1(VALU_DEP_1)
	v_or3_b32 v5, v5, v10, v7
	v_trunc_f32_e32 v5, v5
	s_delay_alu instid0(VALU_DEP_1) | instskip(SKIP_1) | instid1(VALU_DEP_2)
	v_mul_f32_e64 v7, 0x2f800000, |v5|
	v_ashrrev_i32_e32 v10, 31, v5
	v_floor_f32_e32 v7, v7
	s_delay_alu instid0(VALU_DEP_1) | instskip(SKIP_1) | instid1(VALU_DEP_2)
	v_fma_f32 v11, 0xcf800000, v7, |v5|
	v_cvt_u32_f32_e32 v5, v7
	v_cvt_u32_f32_e32 v7, v11
	s_delay_alu instid0(VALU_DEP_2) | instskip(NEXT) | instid1(VALU_DEP_2)
	v_dual_mov_b32 v11, v10 :: v_dual_bitop2_b32 v13, v5, v10 bitop3:0x14
	v_xor_b32_e32 v12, v7, v10
	s_delay_alu instid0(VALU_DEP_1)
	v_sub_nc_u64_e32 v[10:11], v[12:13], v[10:11]
.LBB30_2102:
	s_or_b32 exec_lo, exec_lo, s18
.LBB30_2103:
	s_mov_b32 s18, -1
.LBB30_2104:
	s_mov_b32 s19, 0
.LBB30_2105:
	s_delay_alu instid0(SALU_CYCLE_1)
	s_and_b32 vcc_lo, exec_lo, s19
	s_cbranch_vccz .LBB30_2136
; %bb.2106:
	s_cmp_gt_i32 s0, 22
	s_cbranch_scc0 .LBB30_2114
; %bb.2107:
	s_cmp_lt_i32 s0, 24
	s_cbranch_scc1 .LBB30_2117
; %bb.2108:
	s_cmp_gt_i32 s0, 24
	s_cbranch_scc0 .LBB30_2118
; %bb.2109:
	global_load_u8 v5, v[8:9], off
	s_mov_b32 s18, 0
	s_mov_b32 s17, exec_lo
	s_wait_loadcnt 0x0
	v_cmpx_lt_i16_e32 0x7f, v5
	s_xor_b32 s17, exec_lo, s17
	s_cbranch_execz .LBB30_2130
; %bb.2110:
	v_cmp_ne_u16_e32 vcc_lo, 0x80, v5
	s_and_b32 s18, vcc_lo, exec_lo
	s_and_not1_saveexec_b32 s17, s17
	s_cbranch_execnz .LBB30_2131
.LBB30_2111:
	s_or_b32 exec_lo, exec_lo, s17
	v_mov_b64_e32 v[10:11], 0
	s_and_saveexec_b32 s17, s18
	s_cbranch_execz .LBB30_2113
.LBB30_2112:
	v_and_b32_e32 v7, 0xffff, v5
	s_delay_alu instid0(VALU_DEP_1) | instskip(SKIP_1) | instid1(VALU_DEP_2)
	v_dual_lshlrev_b32 v5, 24, v5 :: v_dual_bitop2_b32 v10, 3, v7 bitop3:0x40
	v_bfe_u32 v13, v7, 2, 5
	v_and_b32_e32 v5, 0x80000000, v5
	s_delay_alu instid0(VALU_DEP_3) | instskip(NEXT) | instid1(VALU_DEP_3)
	v_clz_i32_u32_e32 v11, v10
	v_cmp_eq_u32_e32 vcc_lo, 0, v13
	s_delay_alu instid0(VALU_DEP_2) | instskip(NEXT) | instid1(VALU_DEP_1)
	v_min_u32_e32 v11, 32, v11
	v_subrev_nc_u32_e32 v12, 29, v11
	v_sub_nc_u32_e32 v11, 30, v11
	s_delay_alu instid0(VALU_DEP_2) | instskip(NEXT) | instid1(VALU_DEP_2)
	v_lshlrev_b32_e32 v7, v12, v7
	v_cndmask_b32_e32 v11, v13, v11, vcc_lo
	s_delay_alu instid0(VALU_DEP_2) | instskip(NEXT) | instid1(VALU_DEP_1)
	v_and_b32_e32 v7, 3, v7
	v_cndmask_b32_e32 v7, v10, v7, vcc_lo
	s_delay_alu instid0(VALU_DEP_3) | instskip(NEXT) | instid1(VALU_DEP_2)
	v_lshl_add_u32 v10, v11, 23, 0x37800000
	v_lshlrev_b32_e32 v7, 21, v7
	s_delay_alu instid0(VALU_DEP_1) | instskip(NEXT) | instid1(VALU_DEP_1)
	v_or3_b32 v5, v5, v10, v7
	v_trunc_f32_e32 v5, v5
	s_delay_alu instid0(VALU_DEP_1) | instskip(SKIP_1) | instid1(VALU_DEP_2)
	v_mul_f32_e64 v7, 0x2f800000, |v5|
	v_ashrrev_i32_e32 v10, 31, v5
	v_floor_f32_e32 v7, v7
	s_delay_alu instid0(VALU_DEP_1) | instskip(SKIP_1) | instid1(VALU_DEP_2)
	v_fma_f32 v11, 0xcf800000, v7, |v5|
	v_cvt_u32_f32_e32 v5, v7
	v_cvt_u32_f32_e32 v7, v11
	s_delay_alu instid0(VALU_DEP_2) | instskip(NEXT) | instid1(VALU_DEP_2)
	v_dual_mov_b32 v11, v10 :: v_dual_bitop2_b32 v13, v5, v10 bitop3:0x14
	v_xor_b32_e32 v12, v7, v10
	s_delay_alu instid0(VALU_DEP_1)
	v_sub_nc_u64_e32 v[10:11], v[12:13], v[10:11]
.LBB30_2113:
	s_or_b32 exec_lo, exec_lo, s17
	s_mov_b32 s17, 0
	s_branch .LBB30_2119
.LBB30_2114:
	s_mov_b32 s17, -1
                                        ; implicit-def: $vgpr10_vgpr11
	s_branch .LBB30_2125
.LBB30_2115:
	s_and_not1_saveexec_b32 s18, s18
	s_cbranch_execz .LBB30_2100
.LBB30_2116:
	v_cmp_ne_u16_e32 vcc_lo, 0, v5
	s_and_not1_b32 s19, s19, exec_lo
	s_and_b32 s20, vcc_lo, exec_lo
	s_delay_alu instid0(SALU_CYCLE_1)
	s_or_b32 s19, s19, s20
	s_or_b32 exec_lo, exec_lo, s18
	v_mov_b64_e32 v[10:11], 0
	s_and_saveexec_b32 s18, s19
	s_cbranch_execnz .LBB30_2101
	s_branch .LBB30_2102
.LBB30_2117:
	s_mov_b32 s17, -1
                                        ; implicit-def: $vgpr10_vgpr11
	s_branch .LBB30_2122
.LBB30_2118:
	s_mov_b32 s17, -1
                                        ; implicit-def: $vgpr10_vgpr11
.LBB30_2119:
	s_delay_alu instid0(SALU_CYCLE_1)
	s_and_b32 vcc_lo, exec_lo, s17
	s_cbranch_vccz .LBB30_2121
; %bb.2120:
	global_load_u8 v5, v[8:9], off
	s_wait_loadcnt 0x0
	v_lshlrev_b32_e32 v5, 24, v5
	s_delay_alu instid0(VALU_DEP_1) | instskip(NEXT) | instid1(VALU_DEP_1)
	v_and_b32_e32 v7, 0x7f000000, v5
	v_clz_i32_u32_e32 v10, v7
	v_cmp_ne_u32_e32 vcc_lo, 0, v7
	v_add_nc_u32_e32 v12, 0x1000000, v7
	s_delay_alu instid0(VALU_DEP_3) | instskip(NEXT) | instid1(VALU_DEP_1)
	v_min_u32_e32 v10, 32, v10
	v_sub_nc_u32_e64 v10, v10, 4 clamp
	s_delay_alu instid0(VALU_DEP_1) | instskip(NEXT) | instid1(VALU_DEP_1)
	v_dual_lshlrev_b32 v11, v10, v7 :: v_dual_lshlrev_b32 v10, 23, v10
	v_lshrrev_b32_e32 v11, 4, v11
	s_delay_alu instid0(VALU_DEP_1) | instskip(NEXT) | instid1(VALU_DEP_1)
	v_dual_sub_nc_u32 v10, v11, v10 :: v_dual_ashrrev_i32 v11, 8, v12
	v_add_nc_u32_e32 v10, 0x3c000000, v10
	s_delay_alu instid0(VALU_DEP_1) | instskip(NEXT) | instid1(VALU_DEP_1)
	v_and_or_b32 v10, 0x7f800000, v11, v10
	v_cndmask_b32_e32 v7, 0, v10, vcc_lo
	s_delay_alu instid0(VALU_DEP_1) | instskip(NEXT) | instid1(VALU_DEP_1)
	v_and_or_b32 v5, 0x80000000, v5, v7
	v_trunc_f32_e32 v5, v5
	s_delay_alu instid0(VALU_DEP_1) | instskip(SKIP_1) | instid1(VALU_DEP_2)
	v_mul_f32_e64 v7, 0x2f800000, |v5|
	v_ashrrev_i32_e32 v10, 31, v5
	v_floor_f32_e32 v7, v7
	s_delay_alu instid0(VALU_DEP_1) | instskip(SKIP_1) | instid1(VALU_DEP_2)
	v_fma_f32 v11, 0xcf800000, v7, |v5|
	v_cvt_u32_f32_e32 v5, v7
	v_cvt_u32_f32_e32 v7, v11
	s_delay_alu instid0(VALU_DEP_2) | instskip(NEXT) | instid1(VALU_DEP_2)
	v_dual_mov_b32 v11, v10 :: v_dual_bitop2_b32 v13, v5, v10 bitop3:0x14
	v_xor_b32_e32 v12, v7, v10
	s_delay_alu instid0(VALU_DEP_1)
	v_sub_nc_u64_e32 v[10:11], v[12:13], v[10:11]
.LBB30_2121:
	s_mov_b32 s17, 0
.LBB30_2122:
	s_delay_alu instid0(SALU_CYCLE_1)
	s_and_not1_b32 vcc_lo, exec_lo, s17
	s_cbranch_vccnz .LBB30_2124
; %bb.2123:
	global_load_u8 v5, v[8:9], off
	s_wait_loadcnt 0x0
	v_lshlrev_b32_e32 v7, 25, v5
	v_lshlrev_b16 v5, 8, v5
	s_delay_alu instid0(VALU_DEP_1) | instskip(SKIP_1) | instid1(VALU_DEP_2)
	v_and_or_b32 v11, 0x7f00, v5, 0.5
	v_bfe_i32 v5, v5, 0, 16
	v_add_f32_e32 v11, -0.5, v11
	v_lshrrev_b32_e32 v10, 4, v7
	v_cmp_gt_u32_e32 vcc_lo, 0x8000000, v7
	s_delay_alu instid0(VALU_DEP_2) | instskip(NEXT) | instid1(VALU_DEP_1)
	v_or_b32_e32 v10, 0x70000000, v10
	v_mul_f32_e32 v10, 0x7800000, v10
	s_delay_alu instid0(VALU_DEP_1) | instskip(NEXT) | instid1(VALU_DEP_1)
	v_cndmask_b32_e32 v7, v10, v11, vcc_lo
	v_and_or_b32 v5, 0x80000000, v5, v7
	s_delay_alu instid0(VALU_DEP_1) | instskip(NEXT) | instid1(VALU_DEP_1)
	v_trunc_f32_e32 v5, v5
	v_mul_f32_e64 v7, 0x2f800000, |v5|
	v_ashrrev_i32_e32 v10, 31, v5
	s_delay_alu instid0(VALU_DEP_2) | instskip(NEXT) | instid1(VALU_DEP_1)
	v_floor_f32_e32 v7, v7
	v_fma_f32 v11, 0xcf800000, v7, |v5|
	v_cvt_u32_f32_e32 v5, v7
	s_delay_alu instid0(VALU_DEP_2) | instskip(NEXT) | instid1(VALU_DEP_2)
	v_cvt_u32_f32_e32 v7, v11
	v_dual_mov_b32 v11, v10 :: v_dual_bitop2_b32 v13, v5, v10 bitop3:0x14
	s_delay_alu instid0(VALU_DEP_2) | instskip(NEXT) | instid1(VALU_DEP_1)
	v_xor_b32_e32 v12, v7, v10
	v_sub_nc_u64_e32 v[10:11], v[12:13], v[10:11]
.LBB30_2124:
	s_mov_b32 s17, 0
	s_mov_b32 s18, -1
.LBB30_2125:
	s_and_not1_b32 vcc_lo, exec_lo, s17
	s_mov_b32 s17, 0
	s_cbranch_vccnz .LBB30_2136
; %bb.2126:
	s_cmp_gt_i32 s0, 14
	s_cbranch_scc0 .LBB30_2129
; %bb.2127:
	s_cmp_eq_u32 s0, 15
	s_cbranch_scc0 .LBB30_2132
; %bb.2128:
	global_load_u16 v5, v[8:9], off
	s_mov_b32 s16, 0
	s_mov_b32 s18, -1
	s_wait_loadcnt 0x0
	v_lshlrev_b32_e32 v5, 16, v5
	s_delay_alu instid0(VALU_DEP_1) | instskip(NEXT) | instid1(VALU_DEP_1)
	v_trunc_f32_e32 v5, v5
	v_mul_f32_e64 v7, 0x2f800000, |v5|
	v_ashrrev_i32_e32 v10, 31, v5
	s_delay_alu instid0(VALU_DEP_2) | instskip(NEXT) | instid1(VALU_DEP_1)
	v_floor_f32_e32 v7, v7
	v_fma_f32 v11, 0xcf800000, v7, |v5|
	v_cvt_u32_f32_e32 v5, v7
	s_delay_alu instid0(VALU_DEP_2) | instskip(NEXT) | instid1(VALU_DEP_2)
	v_cvt_u32_f32_e32 v7, v11
	v_dual_mov_b32 v11, v10 :: v_dual_bitop2_b32 v13, v5, v10 bitop3:0x14
	s_delay_alu instid0(VALU_DEP_2) | instskip(NEXT) | instid1(VALU_DEP_1)
	v_xor_b32_e32 v12, v7, v10
	v_sub_nc_u64_e32 v[10:11], v[12:13], v[10:11]
	s_branch .LBB30_2134
.LBB30_2129:
	s_mov_b32 s17, -1
	s_branch .LBB30_2133
.LBB30_2130:
	s_and_not1_saveexec_b32 s17, s17
	s_cbranch_execz .LBB30_2111
.LBB30_2131:
	v_cmp_ne_u16_e32 vcc_lo, 0, v5
	s_and_not1_b32 s18, s18, exec_lo
	s_and_b32 s19, vcc_lo, exec_lo
	s_delay_alu instid0(SALU_CYCLE_1)
	s_or_b32 s18, s18, s19
	s_or_b32 exec_lo, exec_lo, s17
	v_mov_b64_e32 v[10:11], 0
	s_and_saveexec_b32 s17, s18
	s_cbranch_execnz .LBB30_2112
	s_branch .LBB30_2113
.LBB30_2132:
	s_mov_b32 s16, -1
.LBB30_2133:
                                        ; implicit-def: $vgpr10_vgpr11
.LBB30_2134:
	s_and_b32 vcc_lo, exec_lo, s17
	s_mov_b32 s17, 0
	s_cbranch_vccz .LBB30_2136
; %bb.2135:
	s_cmp_lg_u32 s0, 11
	s_mov_b32 s17, -1
	s_cselect_b32 s16, -1, 0
.LBB30_2136:
	s_delay_alu instid0(SALU_CYCLE_1)
	s_and_b32 vcc_lo, exec_lo, s16
	s_cbranch_vccnz .LBB30_2201
; %bb.2137:
	s_and_not1_b32 vcc_lo, exec_lo, s17
	s_cbranch_vccnz .LBB30_2139
.LBB30_2138:
	global_load_u8 v5, v[8:9], off
	s_mov_b32 s0, 0
	s_mov_b32 s18, -1
	s_wait_loadcnt 0x1
	v_mov_b32_e32 v11, s0
	s_wait_loadcnt 0x0
	v_cmp_ne_u16_e32 vcc_lo, 0, v5
	v_cndmask_b32_e64 v10, 0, 1, vcc_lo
.LBB30_2139:
	s_mov_b32 s0, 0
.LBB30_2140:
	s_delay_alu instid0(SALU_CYCLE_1)
	s_and_b32 vcc_lo, exec_lo, s0
	s_cbranch_vccz .LBB30_2189
; %bb.2141:
	s_and_b32 s0, 0xffff, s13
	s_delay_alu instid0(SALU_CYCLE_1)
	s_cmp_lt_i32 s0, 5
	s_cbranch_scc1 .LBB30_2146
; %bb.2142:
	s_cmp_lt_i32 s0, 8
	s_cbranch_scc1 .LBB30_2147
; %bb.2143:
	;; [unrolled: 3-line block ×3, first 2 shown]
	s_cmp_gt_i32 s0, 9
	s_cbranch_scc0 .LBB30_2149
; %bb.2145:
	s_wait_loadcnt 0x0
	global_load_b64 v[10:11], v[8:9], off
	s_mov_b32 s16, 0
	s_wait_loadcnt 0x0
	v_trunc_f64_e32 v[10:11], v[10:11]
	s_delay_alu instid0(VALU_DEP_1) | instskip(NEXT) | instid1(VALU_DEP_1)
	v_ldexp_f64 v[12:13], v[10:11], 0xffffffe0
	v_floor_f64_e32 v[12:13], v[12:13]
	s_delay_alu instid0(VALU_DEP_1) | instskip(SKIP_1) | instid1(VALU_DEP_2)
	v_fmamk_f64 v[14:15], v[12:13], 0xc1f00000, v[10:11]
	v_cvt_i32_f64_e32 v11, v[12:13]
	v_cvt_u32_f64_e32 v10, v[14:15]
	s_branch .LBB30_2150
.LBB30_2146:
	s_mov_b32 s16, -1
                                        ; implicit-def: $vgpr10_vgpr11
	s_branch .LBB30_2168
.LBB30_2147:
	s_mov_b32 s16, -1
                                        ; implicit-def: $vgpr10_vgpr11
	s_branch .LBB30_2156
.LBB30_2148:
	s_mov_b32 s16, -1
                                        ; implicit-def: $vgpr10_vgpr11
	s_branch .LBB30_2153
.LBB30_2149:
	s_mov_b32 s16, -1
                                        ; implicit-def: $vgpr10_vgpr11
.LBB30_2150:
	s_delay_alu instid0(SALU_CYCLE_1)
	s_and_not1_b32 vcc_lo, exec_lo, s16
	s_cbranch_vccnz .LBB30_2152
; %bb.2151:
	global_load_b32 v5, v[8:9], off
	s_wait_loadcnt 0x0
	v_trunc_f32_e32 v5, v5
	s_delay_alu instid0(VALU_DEP_1) | instskip(SKIP_1) | instid1(VALU_DEP_2)
	v_mul_f32_e64 v7, 0x2f800000, |v5|
	v_ashrrev_i32_e32 v10, 31, v5
	v_floor_f32_e32 v7, v7
	s_delay_alu instid0(VALU_DEP_1) | instskip(SKIP_1) | instid1(VALU_DEP_2)
	v_fma_f32 v11, 0xcf800000, v7, |v5|
	v_cvt_u32_f32_e32 v5, v7
	v_cvt_u32_f32_e32 v7, v11
	s_delay_alu instid0(VALU_DEP_2) | instskip(NEXT) | instid1(VALU_DEP_2)
	v_dual_mov_b32 v11, v10 :: v_dual_bitop2_b32 v13, v5, v10 bitop3:0x14
	v_xor_b32_e32 v12, v7, v10
	s_delay_alu instid0(VALU_DEP_1)
	v_sub_nc_u64_e32 v[10:11], v[12:13], v[10:11]
.LBB30_2152:
	s_mov_b32 s16, 0
.LBB30_2153:
	s_delay_alu instid0(SALU_CYCLE_1)
	s_and_not1_b32 vcc_lo, exec_lo, s16
	s_cbranch_vccnz .LBB30_2155
; %bb.2154:
	global_load_b32 v5, v[8:9], off
	s_wait_loadcnt 0x0
	v_cvt_f32_f16_e32 v5, v5
	s_delay_alu instid0(VALU_DEP_1) | instskip(NEXT) | instid1(VALU_DEP_1)
	v_cvt_i32_f32_e32 v10, v5
	v_ashrrev_i32_e32 v11, 31, v10
.LBB30_2155:
	s_mov_b32 s16, 0
.LBB30_2156:
	s_delay_alu instid0(SALU_CYCLE_1)
	s_and_not1_b32 vcc_lo, exec_lo, s16
	s_cbranch_vccnz .LBB30_2167
; %bb.2157:
	s_cmp_lt_i32 s0, 6
	s_cbranch_scc1 .LBB30_2160
; %bb.2158:
	s_cmp_gt_i32 s0, 6
	s_cbranch_scc0 .LBB30_2161
; %bb.2159:
	s_wait_loadcnt 0x0
	global_load_b64 v[10:11], v[8:9], off
	s_mov_b32 s16, 0
	s_wait_loadcnt 0x0
	v_trunc_f64_e32 v[10:11], v[10:11]
	s_delay_alu instid0(VALU_DEP_1) | instskip(NEXT) | instid1(VALU_DEP_1)
	v_ldexp_f64 v[12:13], v[10:11], 0xffffffe0
	v_floor_f64_e32 v[12:13], v[12:13]
	s_delay_alu instid0(VALU_DEP_1) | instskip(SKIP_1) | instid1(VALU_DEP_2)
	v_fmamk_f64 v[14:15], v[12:13], 0xc1f00000, v[10:11]
	v_cvt_i32_f64_e32 v11, v[12:13]
	v_cvt_u32_f64_e32 v10, v[14:15]
	s_branch .LBB30_2162
.LBB30_2160:
	s_mov_b32 s16, -1
                                        ; implicit-def: $vgpr10_vgpr11
	s_branch .LBB30_2165
.LBB30_2161:
	s_mov_b32 s16, -1
                                        ; implicit-def: $vgpr10_vgpr11
.LBB30_2162:
	s_delay_alu instid0(SALU_CYCLE_1)
	s_and_not1_b32 vcc_lo, exec_lo, s16
	s_cbranch_vccnz .LBB30_2164
; %bb.2163:
	global_load_b32 v5, v[8:9], off
	s_wait_loadcnt 0x0
	v_trunc_f32_e32 v5, v5
	s_delay_alu instid0(VALU_DEP_1) | instskip(SKIP_1) | instid1(VALU_DEP_2)
	v_mul_f32_e64 v7, 0x2f800000, |v5|
	v_ashrrev_i32_e32 v10, 31, v5
	v_floor_f32_e32 v7, v7
	s_delay_alu instid0(VALU_DEP_1) | instskip(SKIP_1) | instid1(VALU_DEP_2)
	v_fma_f32 v11, 0xcf800000, v7, |v5|
	v_cvt_u32_f32_e32 v5, v7
	v_cvt_u32_f32_e32 v7, v11
	s_delay_alu instid0(VALU_DEP_2) | instskip(NEXT) | instid1(VALU_DEP_2)
	v_dual_mov_b32 v11, v10 :: v_dual_bitop2_b32 v13, v5, v10 bitop3:0x14
	v_xor_b32_e32 v12, v7, v10
	s_delay_alu instid0(VALU_DEP_1)
	v_sub_nc_u64_e32 v[10:11], v[12:13], v[10:11]
.LBB30_2164:
	s_mov_b32 s16, 0
.LBB30_2165:
	s_delay_alu instid0(SALU_CYCLE_1)
	s_and_not1_b32 vcc_lo, exec_lo, s16
	s_cbranch_vccnz .LBB30_2167
; %bb.2166:
	global_load_u16 v5, v[8:9], off
	s_wait_loadcnt 0x0
	v_cvt_f32_f16_e32 v5, v5
	s_delay_alu instid0(VALU_DEP_1) | instskip(NEXT) | instid1(VALU_DEP_1)
	v_cvt_i32_f32_e32 v10, v5
	v_ashrrev_i32_e32 v11, 31, v10
.LBB30_2167:
	s_mov_b32 s16, 0
.LBB30_2168:
	s_delay_alu instid0(SALU_CYCLE_1)
	s_and_not1_b32 vcc_lo, exec_lo, s16
	s_cbranch_vccnz .LBB30_2188
; %bb.2169:
	s_cmp_lt_i32 s0, 2
	s_cbranch_scc1 .LBB30_2173
; %bb.2170:
	s_cmp_lt_i32 s0, 3
	s_cbranch_scc1 .LBB30_2174
; %bb.2171:
	s_cmp_gt_i32 s0, 3
	s_cbranch_scc0 .LBB30_2175
; %bb.2172:
	s_wait_loadcnt 0x0
	global_load_b64 v[10:11], v[8:9], off
	s_mov_b32 s16, 0
	s_branch .LBB30_2176
.LBB30_2173:
	s_mov_b32 s16, -1
                                        ; implicit-def: $vgpr10_vgpr11
	s_branch .LBB30_2182
.LBB30_2174:
	s_mov_b32 s16, -1
                                        ; implicit-def: $vgpr10_vgpr11
	s_branch .LBB30_2179
.LBB30_2175:
	s_mov_b32 s16, -1
                                        ; implicit-def: $vgpr10_vgpr11
.LBB30_2176:
	s_delay_alu instid0(SALU_CYCLE_1)
	s_and_not1_b32 vcc_lo, exec_lo, s16
	s_cbranch_vccnz .LBB30_2178
; %bb.2177:
	s_wait_loadcnt 0x0
	global_load_b32 v10, v[8:9], off
	s_wait_loadcnt 0x0
	v_ashrrev_i32_e32 v11, 31, v10
.LBB30_2178:
	s_mov_b32 s16, 0
.LBB30_2179:
	s_delay_alu instid0(SALU_CYCLE_1)
	s_and_not1_b32 vcc_lo, exec_lo, s16
	s_cbranch_vccnz .LBB30_2181
; %bb.2180:
	global_load_u16 v5, v[8:9], off
	s_wait_loadcnt 0x0
	v_bfe_i32 v10, v5, 0, 16
	s_delay_alu instid0(VALU_DEP_1)
	v_ashrrev_i32_e32 v11, 31, v10
.LBB30_2181:
	s_mov_b32 s16, 0
.LBB30_2182:
	s_delay_alu instid0(SALU_CYCLE_1)
	s_and_not1_b32 vcc_lo, exec_lo, s16
	s_cbranch_vccnz .LBB30_2188
; %bb.2183:
	s_cmp_gt_i32 s0, 0
	s_mov_b32 s0, 0
	s_cbranch_scc0 .LBB30_2185
; %bb.2184:
	global_load_i8 v5, v[8:9], off
	s_wait_loadcnt 0x0
	v_bfe_i32 v10, v5, 0, 16
	s_delay_alu instid0(VALU_DEP_1)
	v_ashrrev_i32_e32 v11, 31, v10
	s_branch .LBB30_2186
.LBB30_2185:
	s_mov_b32 s0, -1
                                        ; implicit-def: $vgpr10_vgpr11
.LBB30_2186:
	s_delay_alu instid0(SALU_CYCLE_1)
	s_and_not1_b32 vcc_lo, exec_lo, s0
	s_cbranch_vccnz .LBB30_2188
; %bb.2187:
	global_load_u8 v5, v[8:9], off
	s_mov_b32 s0, 0
	s_wait_loadcnt 0x1
	v_mov_b32_e32 v11, s0
	s_wait_loadcnt 0x0
	v_and_b32_e32 v10, 0xffff, v5
.LBB30_2188:
	s_mov_b32 s18, -1
.LBB30_2189:
	s_delay_alu instid0(SALU_CYCLE_1)
	s_and_not1_b32 vcc_lo, exec_lo, s18
	s_cbranch_vccnz .LBB30_2583
; %bb.2190:
	s_wait_xcnt 0x0
	v_add_nc_u32_e32 v8, s10, v4
	s_cmp_lt_i32 s1, 11
	s_delay_alu instid0(VALU_DEP_1) | instskip(NEXT) | instid1(VALU_DEP_1)
	v_ashrrev_i32_e32 v9, 31, v8
	v_add_nc_u64_e32 v[4:5], s[2:3], v[8:9]
	s_cbranch_scc1 .LBB30_2197
; %bb.2191:
	s_and_b32 s0, 0xffff, s1
	s_mov_b32 s17, 0
	s_cmp_gt_i32 s0, 25
	s_cbranch_scc0 .LBB30_2198
; %bb.2192:
	s_cmp_gt_i32 s0, 28
	s_cbranch_scc0 .LBB30_2199
; %bb.2193:
	;; [unrolled: 3-line block ×4, first 2 shown]
	s_cmp_eq_u32 s0, 46
	s_mov_b32 s19, 0
	s_cbranch_scc0 .LBB30_2205
; %bb.2196:
	global_load_b32 v7, v[4:5], off
	s_mov_b32 s16, 0
	s_mov_b32 s18, -1
	s_wait_loadcnt 0x0
	v_lshlrev_b32_e32 v7, 16, v7
	s_delay_alu instid0(VALU_DEP_1) | instskip(NEXT) | instid1(VALU_DEP_1)
	v_trunc_f32_e32 v7, v7
	v_mul_f32_e64 v9, 0x2f800000, |v7|
	v_ashrrev_i32_e32 v12, 31, v7
	s_delay_alu instid0(VALU_DEP_2) | instskip(NEXT) | instid1(VALU_DEP_1)
	v_floor_f32_e32 v9, v9
	v_fma_f32 v13, 0xcf800000, v9, |v7|
	v_cvt_u32_f32_e32 v7, v9
	s_delay_alu instid0(VALU_DEP_2) | instskip(NEXT) | instid1(VALU_DEP_2)
	v_cvt_u32_f32_e32 v9, v13
	v_dual_mov_b32 v13, v12 :: v_dual_bitop2_b32 v15, v7, v12 bitop3:0x14
	s_delay_alu instid0(VALU_DEP_2) | instskip(NEXT) | instid1(VALU_DEP_1)
	v_xor_b32_e32 v14, v9, v12
	v_sub_nc_u64_e32 v[12:13], v[14:15], v[12:13]
	s_branch .LBB30_2207
.LBB30_2197:
	s_mov_b32 s0, -1
	s_mov_b32 s18, 0
                                        ; implicit-def: $vgpr12_vgpr13
	s_branch .LBB30_2269
.LBB30_2198:
	s_mov_b32 s19, -1
	s_mov_b32 s18, 0
	s_mov_b32 s16, 0
                                        ; implicit-def: $vgpr12_vgpr13
	s_branch .LBB30_2234
.LBB30_2199:
	s_mov_b32 s19, -1
	s_mov_b32 s18, 0
	s_mov_b32 s16, 0
                                        ; implicit-def: $vgpr12_vgpr13
	s_branch .LBB30_2217
.LBB30_2200:
	s_mov_b32 s19, -1
	s_mov_b32 s18, 0
	s_mov_b32 s16, 0
                                        ; implicit-def: $vgpr12_vgpr13
	s_branch .LBB30_2212
.LBB30_2201:
	s_or_b32 s12, s12, exec_lo
	s_trap 2
	s_cbranch_execz .LBB30_2138
	s_branch .LBB30_2139
.LBB30_2202:
	s_mov_b32 s19, -1
	s_mov_b32 s18, 0
	s_mov_b32 s16, 0
	s_branch .LBB30_2206
.LBB30_2203:
	s_and_not1_saveexec_b32 s31, s31
	s_cbranch_execz .LBB30_1087
.LBB30_2204:
	v_add_f32_e32 v4, 0x42800000, v5
	s_and_not1_b32 s30, s30, exec_lo
	s_delay_alu instid0(VALU_DEP_1) | instskip(NEXT) | instid1(VALU_DEP_1)
	v_and_b32_e32 v4, 0xff, v4
	v_cmp_ne_u32_e32 vcc_lo, 0, v4
	s_and_b32 s33, vcc_lo, exec_lo
	s_delay_alu instid0(SALU_CYCLE_1)
	s_or_b32 s30, s30, s33
	s_or_b32 exec_lo, exec_lo, s31
	v_mov_b32_e32 v6, 0
	s_and_saveexec_b32 s31, s30
	s_cbranch_execnz .LBB30_1088
	s_branch .LBB30_1089
.LBB30_2205:
	s_mov_b32 s16, -1
	s_mov_b32 s18, 0
.LBB30_2206:
                                        ; implicit-def: $vgpr12_vgpr13
.LBB30_2207:
	s_and_b32 vcc_lo, exec_lo, s19
	s_cbranch_vccz .LBB30_2211
; %bb.2208:
	s_cmp_eq_u32 s0, 44
	s_cbranch_scc0 .LBB30_2210
; %bb.2209:
	global_load_u8 v7, v[4:5], off
	s_mov_b32 s16, 0
	s_mov_b32 s18, -1
	s_wait_loadcnt 0x0
	v_lshlrev_b32_e32 v9, 23, v7
	v_cmp_ne_u32_e32 vcc_lo, 0, v7
	s_delay_alu instid0(VALU_DEP_2) | instskip(NEXT) | instid1(VALU_DEP_1)
	v_trunc_f32_e32 v9, v9
	v_mul_f32_e64 v12, 0x2f800000, |v9|
	s_delay_alu instid0(VALU_DEP_1) | instskip(SKIP_1) | instid1(VALU_DEP_2)
	v_floor_f32_e32 v13, v12
	v_ashrrev_i32_e32 v12, 31, v9
	v_fma_f32 v14, 0xcf800000, v13, |v9|
	v_cvt_u32_f32_e32 v9, v13
	s_delay_alu instid0(VALU_DEP_3) | instskip(NEXT) | instid1(VALU_DEP_3)
	v_mov_b32_e32 v13, v12
	v_cvt_u32_f32_e32 v14, v14
	s_delay_alu instid0(VALU_DEP_3) | instskip(NEXT) | instid1(VALU_DEP_2)
	v_xor_b32_e32 v15, v9, v12
	v_xor_b32_e32 v14, v14, v12
	s_delay_alu instid0(VALU_DEP_1) | instskip(NEXT) | instid1(VALU_DEP_1)
	v_sub_nc_u64_e32 v[12:13], v[14:15], v[12:13]
	v_dual_cndmask_b32 v13, 0, v13 :: v_dual_cndmask_b32 v12, 0, v12
	s_branch .LBB30_2211
.LBB30_2210:
	s_mov_b32 s16, -1
                                        ; implicit-def: $vgpr12_vgpr13
.LBB30_2211:
	s_mov_b32 s19, 0
.LBB30_2212:
	s_delay_alu instid0(SALU_CYCLE_1)
	s_and_b32 vcc_lo, exec_lo, s19
	s_cbranch_vccz .LBB30_2216
; %bb.2213:
	s_cmp_eq_u32 s0, 29
	s_cbranch_scc0 .LBB30_2215
; %bb.2214:
	global_load_b64 v[12:13], v[4:5], off
	s_mov_b32 s16, 0
	s_mov_b32 s18, -1
	s_branch .LBB30_2216
.LBB30_2215:
	s_mov_b32 s16, -1
                                        ; implicit-def: $vgpr12_vgpr13
.LBB30_2216:
	s_mov_b32 s19, 0
.LBB30_2217:
	s_delay_alu instid0(SALU_CYCLE_1)
	s_and_b32 vcc_lo, exec_lo, s19
	s_cbranch_vccz .LBB30_2233
; %bb.2218:
	s_cmp_lt_i32 s0, 27
	s_cbranch_scc1 .LBB30_2221
; %bb.2219:
	s_cmp_gt_i32 s0, 27
	s_cbranch_scc0 .LBB30_2222
; %bb.2220:
	s_wait_loadcnt 0x0
	global_load_b32 v12, v[4:5], off
	v_mov_b32_e32 v13, 0
	s_mov_b32 s18, 0
	s_branch .LBB30_2223
.LBB30_2221:
	s_mov_b32 s18, -1
                                        ; implicit-def: $vgpr12_vgpr13
	s_branch .LBB30_2226
.LBB30_2222:
	s_mov_b32 s18, -1
                                        ; implicit-def: $vgpr12_vgpr13
.LBB30_2223:
	s_delay_alu instid0(SALU_CYCLE_1)
	s_and_not1_b32 vcc_lo, exec_lo, s18
	s_cbranch_vccnz .LBB30_2225
; %bb.2224:
	global_load_u16 v7, v[4:5], off
	s_mov_b32 s18, 0
	s_wait_loadcnt 0x1
	v_mov_b32_e32 v13, s18
	s_wait_loadcnt 0x0
	v_and_b32_e32 v12, 0xffff, v7
.LBB30_2225:
	s_mov_b32 s18, 0
.LBB30_2226:
	s_delay_alu instid0(SALU_CYCLE_1)
	s_and_not1_b32 vcc_lo, exec_lo, s18
	s_cbranch_vccnz .LBB30_2232
; %bb.2227:
	global_load_u8 v7, v[4:5], off
	s_mov_b32 s19, 0
	s_mov_b32 s18, exec_lo
	s_wait_loadcnt 0x0
	v_cmpx_lt_i16_e32 0x7f, v7
	s_xor_b32 s18, exec_lo, s18
	s_cbranch_execz .LBB30_2244
; %bb.2228:
	v_cmp_ne_u16_e32 vcc_lo, 0x80, v7
	s_and_b32 s19, vcc_lo, exec_lo
	s_and_not1_saveexec_b32 s18, s18
	s_cbranch_execnz .LBB30_2245
.LBB30_2229:
	s_or_b32 exec_lo, exec_lo, s18
	v_mov_b64_e32 v[12:13], 0
	s_and_saveexec_b32 s18, s19
	s_cbranch_execz .LBB30_2231
.LBB30_2230:
	v_and_b32_e32 v9, 0xffff, v7
	s_delay_alu instid0(VALU_DEP_1) | instskip(SKIP_1) | instid1(VALU_DEP_2)
	v_dual_lshlrev_b32 v7, 24, v7 :: v_dual_bitop2_b32 v12, 7, v9 bitop3:0x40
	v_bfe_u32 v15, v9, 3, 4
	v_and_b32_e32 v7, 0x80000000, v7
	s_delay_alu instid0(VALU_DEP_3) | instskip(NEXT) | instid1(VALU_DEP_3)
	v_clz_i32_u32_e32 v13, v12
	v_cmp_eq_u32_e32 vcc_lo, 0, v15
	s_delay_alu instid0(VALU_DEP_2) | instskip(NEXT) | instid1(VALU_DEP_1)
	v_min_u32_e32 v13, 32, v13
	v_subrev_nc_u32_e32 v14, 28, v13
	v_sub_nc_u32_e32 v13, 29, v13
	s_delay_alu instid0(VALU_DEP_2) | instskip(NEXT) | instid1(VALU_DEP_2)
	v_lshlrev_b32_e32 v9, v14, v9
	v_cndmask_b32_e32 v13, v15, v13, vcc_lo
	s_delay_alu instid0(VALU_DEP_2) | instskip(NEXT) | instid1(VALU_DEP_1)
	v_and_b32_e32 v9, 7, v9
	v_cndmask_b32_e32 v9, v12, v9, vcc_lo
	s_delay_alu instid0(VALU_DEP_3) | instskip(NEXT) | instid1(VALU_DEP_2)
	v_lshl_add_u32 v12, v13, 23, 0x3b800000
	v_lshlrev_b32_e32 v9, 20, v9
	s_delay_alu instid0(VALU_DEP_1) | instskip(NEXT) | instid1(VALU_DEP_1)
	v_or3_b32 v7, v7, v12, v9
	v_trunc_f32_e32 v7, v7
	s_delay_alu instid0(VALU_DEP_1) | instskip(SKIP_1) | instid1(VALU_DEP_2)
	v_mul_f32_e64 v9, 0x2f800000, |v7|
	v_ashrrev_i32_e32 v12, 31, v7
	v_floor_f32_e32 v9, v9
	s_delay_alu instid0(VALU_DEP_1) | instskip(SKIP_1) | instid1(VALU_DEP_2)
	v_fma_f32 v13, 0xcf800000, v9, |v7|
	v_cvt_u32_f32_e32 v7, v9
	v_cvt_u32_f32_e32 v9, v13
	s_delay_alu instid0(VALU_DEP_2) | instskip(NEXT) | instid1(VALU_DEP_2)
	v_dual_mov_b32 v13, v12 :: v_dual_bitop2_b32 v15, v7, v12 bitop3:0x14
	v_xor_b32_e32 v14, v9, v12
	s_delay_alu instid0(VALU_DEP_1)
	v_sub_nc_u64_e32 v[12:13], v[14:15], v[12:13]
.LBB30_2231:
	s_or_b32 exec_lo, exec_lo, s18
.LBB30_2232:
	s_mov_b32 s18, -1
.LBB30_2233:
	s_mov_b32 s19, 0
.LBB30_2234:
	s_delay_alu instid0(SALU_CYCLE_1)
	s_and_b32 vcc_lo, exec_lo, s19
	s_cbranch_vccz .LBB30_2265
; %bb.2235:
	s_cmp_gt_i32 s0, 22
	s_cbranch_scc0 .LBB30_2243
; %bb.2236:
	s_cmp_lt_i32 s0, 24
	s_cbranch_scc1 .LBB30_2246
; %bb.2237:
	s_cmp_gt_i32 s0, 24
	s_cbranch_scc0 .LBB30_2247
; %bb.2238:
	global_load_u8 v7, v[4:5], off
	s_mov_b32 s18, 0
	s_mov_b32 s17, exec_lo
	s_wait_loadcnt 0x0
	v_cmpx_lt_i16_e32 0x7f, v7
	s_xor_b32 s17, exec_lo, s17
	s_cbranch_execz .LBB30_2259
; %bb.2239:
	v_cmp_ne_u16_e32 vcc_lo, 0x80, v7
	s_and_b32 s18, vcc_lo, exec_lo
	s_and_not1_saveexec_b32 s17, s17
	s_cbranch_execnz .LBB30_2260
.LBB30_2240:
	s_or_b32 exec_lo, exec_lo, s17
	v_mov_b64_e32 v[12:13], 0
	s_and_saveexec_b32 s17, s18
	s_cbranch_execz .LBB30_2242
.LBB30_2241:
	v_and_b32_e32 v9, 0xffff, v7
	s_delay_alu instid0(VALU_DEP_1) | instskip(SKIP_1) | instid1(VALU_DEP_2)
	v_dual_lshlrev_b32 v7, 24, v7 :: v_dual_bitop2_b32 v12, 3, v9 bitop3:0x40
	v_bfe_u32 v15, v9, 2, 5
	v_and_b32_e32 v7, 0x80000000, v7
	s_delay_alu instid0(VALU_DEP_3) | instskip(NEXT) | instid1(VALU_DEP_3)
	v_clz_i32_u32_e32 v13, v12
	v_cmp_eq_u32_e32 vcc_lo, 0, v15
	s_delay_alu instid0(VALU_DEP_2) | instskip(NEXT) | instid1(VALU_DEP_1)
	v_min_u32_e32 v13, 32, v13
	v_subrev_nc_u32_e32 v14, 29, v13
	v_sub_nc_u32_e32 v13, 30, v13
	s_delay_alu instid0(VALU_DEP_2) | instskip(NEXT) | instid1(VALU_DEP_2)
	v_lshlrev_b32_e32 v9, v14, v9
	v_cndmask_b32_e32 v13, v15, v13, vcc_lo
	s_delay_alu instid0(VALU_DEP_2) | instskip(NEXT) | instid1(VALU_DEP_1)
	v_and_b32_e32 v9, 3, v9
	v_cndmask_b32_e32 v9, v12, v9, vcc_lo
	s_delay_alu instid0(VALU_DEP_3) | instskip(NEXT) | instid1(VALU_DEP_2)
	v_lshl_add_u32 v12, v13, 23, 0x37800000
	v_lshlrev_b32_e32 v9, 21, v9
	s_delay_alu instid0(VALU_DEP_1) | instskip(NEXT) | instid1(VALU_DEP_1)
	v_or3_b32 v7, v7, v12, v9
	v_trunc_f32_e32 v7, v7
	s_delay_alu instid0(VALU_DEP_1) | instskip(SKIP_1) | instid1(VALU_DEP_2)
	v_mul_f32_e64 v9, 0x2f800000, |v7|
	v_ashrrev_i32_e32 v12, 31, v7
	v_floor_f32_e32 v9, v9
	s_delay_alu instid0(VALU_DEP_1) | instskip(SKIP_1) | instid1(VALU_DEP_2)
	v_fma_f32 v13, 0xcf800000, v9, |v7|
	v_cvt_u32_f32_e32 v7, v9
	v_cvt_u32_f32_e32 v9, v13
	s_delay_alu instid0(VALU_DEP_2) | instskip(NEXT) | instid1(VALU_DEP_2)
	v_dual_mov_b32 v13, v12 :: v_dual_bitop2_b32 v15, v7, v12 bitop3:0x14
	v_xor_b32_e32 v14, v9, v12
	s_delay_alu instid0(VALU_DEP_1)
	v_sub_nc_u64_e32 v[12:13], v[14:15], v[12:13]
.LBB30_2242:
	s_or_b32 exec_lo, exec_lo, s17
	s_mov_b32 s17, 0
	s_branch .LBB30_2248
.LBB30_2243:
	s_mov_b32 s17, -1
                                        ; implicit-def: $vgpr12_vgpr13
	s_branch .LBB30_2254
.LBB30_2244:
	s_and_not1_saveexec_b32 s18, s18
	s_cbranch_execz .LBB30_2229
.LBB30_2245:
	v_cmp_ne_u16_e32 vcc_lo, 0, v7
	s_and_not1_b32 s19, s19, exec_lo
	s_and_b32 s20, vcc_lo, exec_lo
	s_delay_alu instid0(SALU_CYCLE_1)
	s_or_b32 s19, s19, s20
	s_or_b32 exec_lo, exec_lo, s18
	v_mov_b64_e32 v[12:13], 0
	s_and_saveexec_b32 s18, s19
	s_cbranch_execnz .LBB30_2230
	s_branch .LBB30_2231
.LBB30_2246:
	s_mov_b32 s17, -1
                                        ; implicit-def: $vgpr12_vgpr13
	s_branch .LBB30_2251
.LBB30_2247:
	s_mov_b32 s17, -1
                                        ; implicit-def: $vgpr12_vgpr13
.LBB30_2248:
	s_delay_alu instid0(SALU_CYCLE_1)
	s_and_b32 vcc_lo, exec_lo, s17
	s_cbranch_vccz .LBB30_2250
; %bb.2249:
	global_load_u8 v7, v[4:5], off
	s_wait_loadcnt 0x0
	v_lshlrev_b32_e32 v7, 24, v7
	s_delay_alu instid0(VALU_DEP_1) | instskip(NEXT) | instid1(VALU_DEP_1)
	v_and_b32_e32 v9, 0x7f000000, v7
	v_clz_i32_u32_e32 v12, v9
	v_cmp_ne_u32_e32 vcc_lo, 0, v9
	v_add_nc_u32_e32 v14, 0x1000000, v9
	s_delay_alu instid0(VALU_DEP_3) | instskip(NEXT) | instid1(VALU_DEP_1)
	v_min_u32_e32 v12, 32, v12
	v_sub_nc_u32_e64 v12, v12, 4 clamp
	s_delay_alu instid0(VALU_DEP_1) | instskip(NEXT) | instid1(VALU_DEP_1)
	v_dual_lshlrev_b32 v13, v12, v9 :: v_dual_lshlrev_b32 v12, 23, v12
	v_lshrrev_b32_e32 v13, 4, v13
	s_delay_alu instid0(VALU_DEP_1) | instskip(NEXT) | instid1(VALU_DEP_1)
	v_dual_sub_nc_u32 v12, v13, v12 :: v_dual_ashrrev_i32 v13, 8, v14
	v_add_nc_u32_e32 v12, 0x3c000000, v12
	s_delay_alu instid0(VALU_DEP_1) | instskip(NEXT) | instid1(VALU_DEP_1)
	v_and_or_b32 v12, 0x7f800000, v13, v12
	v_cndmask_b32_e32 v9, 0, v12, vcc_lo
	s_delay_alu instid0(VALU_DEP_1) | instskip(NEXT) | instid1(VALU_DEP_1)
	v_and_or_b32 v7, 0x80000000, v7, v9
	v_trunc_f32_e32 v7, v7
	s_delay_alu instid0(VALU_DEP_1) | instskip(SKIP_1) | instid1(VALU_DEP_2)
	v_mul_f32_e64 v9, 0x2f800000, |v7|
	v_ashrrev_i32_e32 v12, 31, v7
	v_floor_f32_e32 v9, v9
	s_delay_alu instid0(VALU_DEP_1) | instskip(SKIP_1) | instid1(VALU_DEP_2)
	v_fma_f32 v13, 0xcf800000, v9, |v7|
	v_cvt_u32_f32_e32 v7, v9
	v_cvt_u32_f32_e32 v9, v13
	s_delay_alu instid0(VALU_DEP_2) | instskip(NEXT) | instid1(VALU_DEP_2)
	v_dual_mov_b32 v13, v12 :: v_dual_bitop2_b32 v15, v7, v12 bitop3:0x14
	v_xor_b32_e32 v14, v9, v12
	s_delay_alu instid0(VALU_DEP_1)
	v_sub_nc_u64_e32 v[12:13], v[14:15], v[12:13]
.LBB30_2250:
	s_mov_b32 s17, 0
.LBB30_2251:
	s_delay_alu instid0(SALU_CYCLE_1)
	s_and_not1_b32 vcc_lo, exec_lo, s17
	s_cbranch_vccnz .LBB30_2253
; %bb.2252:
	global_load_u8 v7, v[4:5], off
	s_wait_loadcnt 0x0
	v_lshlrev_b32_e32 v9, 25, v7
	v_lshlrev_b16 v7, 8, v7
	s_delay_alu instid0(VALU_DEP_1) | instskip(SKIP_1) | instid1(VALU_DEP_2)
	v_and_or_b32 v13, 0x7f00, v7, 0.5
	v_bfe_i32 v7, v7, 0, 16
	v_add_f32_e32 v13, -0.5, v13
	v_lshrrev_b32_e32 v12, 4, v9
	v_cmp_gt_u32_e32 vcc_lo, 0x8000000, v9
	s_delay_alu instid0(VALU_DEP_2) | instskip(NEXT) | instid1(VALU_DEP_1)
	v_or_b32_e32 v12, 0x70000000, v12
	v_mul_f32_e32 v12, 0x7800000, v12
	s_delay_alu instid0(VALU_DEP_1) | instskip(NEXT) | instid1(VALU_DEP_1)
	v_cndmask_b32_e32 v9, v12, v13, vcc_lo
	v_and_or_b32 v7, 0x80000000, v7, v9
	s_delay_alu instid0(VALU_DEP_1) | instskip(NEXT) | instid1(VALU_DEP_1)
	v_trunc_f32_e32 v7, v7
	v_mul_f32_e64 v9, 0x2f800000, |v7|
	v_ashrrev_i32_e32 v12, 31, v7
	s_delay_alu instid0(VALU_DEP_2) | instskip(NEXT) | instid1(VALU_DEP_1)
	v_floor_f32_e32 v9, v9
	v_fma_f32 v13, 0xcf800000, v9, |v7|
	v_cvt_u32_f32_e32 v7, v9
	s_delay_alu instid0(VALU_DEP_2) | instskip(NEXT) | instid1(VALU_DEP_2)
	v_cvt_u32_f32_e32 v9, v13
	v_dual_mov_b32 v13, v12 :: v_dual_bitop2_b32 v15, v7, v12 bitop3:0x14
	s_delay_alu instid0(VALU_DEP_2) | instskip(NEXT) | instid1(VALU_DEP_1)
	v_xor_b32_e32 v14, v9, v12
	v_sub_nc_u64_e32 v[12:13], v[14:15], v[12:13]
.LBB30_2253:
	s_mov_b32 s17, 0
	s_mov_b32 s18, -1
.LBB30_2254:
	s_and_not1_b32 vcc_lo, exec_lo, s17
	s_mov_b32 s17, 0
	s_cbranch_vccnz .LBB30_2265
; %bb.2255:
	s_cmp_gt_i32 s0, 14
	s_cbranch_scc0 .LBB30_2258
; %bb.2256:
	s_cmp_eq_u32 s0, 15
	s_cbranch_scc0 .LBB30_2261
; %bb.2257:
	global_load_u16 v7, v[4:5], off
	s_mov_b32 s16, 0
	s_mov_b32 s18, -1
	s_wait_loadcnt 0x0
	v_lshlrev_b32_e32 v7, 16, v7
	s_delay_alu instid0(VALU_DEP_1) | instskip(NEXT) | instid1(VALU_DEP_1)
	v_trunc_f32_e32 v7, v7
	v_mul_f32_e64 v9, 0x2f800000, |v7|
	v_ashrrev_i32_e32 v12, 31, v7
	s_delay_alu instid0(VALU_DEP_2) | instskip(NEXT) | instid1(VALU_DEP_1)
	v_floor_f32_e32 v9, v9
	v_fma_f32 v13, 0xcf800000, v9, |v7|
	v_cvt_u32_f32_e32 v7, v9
	s_delay_alu instid0(VALU_DEP_2) | instskip(NEXT) | instid1(VALU_DEP_2)
	v_cvt_u32_f32_e32 v9, v13
	v_dual_mov_b32 v13, v12 :: v_dual_bitop2_b32 v15, v7, v12 bitop3:0x14
	s_delay_alu instid0(VALU_DEP_2) | instskip(NEXT) | instid1(VALU_DEP_1)
	v_xor_b32_e32 v14, v9, v12
	v_sub_nc_u64_e32 v[12:13], v[14:15], v[12:13]
	s_branch .LBB30_2263
.LBB30_2258:
	s_mov_b32 s17, -1
	s_branch .LBB30_2262
.LBB30_2259:
	s_and_not1_saveexec_b32 s17, s17
	s_cbranch_execz .LBB30_2240
.LBB30_2260:
	v_cmp_ne_u16_e32 vcc_lo, 0, v7
	s_and_not1_b32 s18, s18, exec_lo
	s_and_b32 s19, vcc_lo, exec_lo
	s_delay_alu instid0(SALU_CYCLE_1)
	s_or_b32 s18, s18, s19
	s_or_b32 exec_lo, exec_lo, s17
	v_mov_b64_e32 v[12:13], 0
	s_and_saveexec_b32 s17, s18
	s_cbranch_execnz .LBB30_2241
	s_branch .LBB30_2242
.LBB30_2261:
	s_mov_b32 s16, -1
.LBB30_2262:
                                        ; implicit-def: $vgpr12_vgpr13
.LBB30_2263:
	s_and_b32 vcc_lo, exec_lo, s17
	s_mov_b32 s17, 0
	s_cbranch_vccz .LBB30_2265
; %bb.2264:
	s_cmp_lg_u32 s0, 11
	s_mov_b32 s17, -1
	s_cselect_b32 s16, -1, 0
.LBB30_2265:
	s_delay_alu instid0(SALU_CYCLE_1)
	s_and_b32 vcc_lo, exec_lo, s16
	s_cbranch_vccnz .LBB30_2338
; %bb.2266:
	s_and_not1_b32 vcc_lo, exec_lo, s17
	s_cbranch_vccnz .LBB30_2268
.LBB30_2267:
	global_load_u8 v7, v[4:5], off
	s_mov_b32 s0, 0
	s_mov_b32 s18, -1
	s_wait_loadcnt 0x1
	v_mov_b32_e32 v13, s0
	s_wait_loadcnt 0x0
	v_cmp_ne_u16_e32 vcc_lo, 0, v7
	v_cndmask_b32_e64 v12, 0, 1, vcc_lo
.LBB30_2268:
	s_mov_b32 s0, 0
.LBB30_2269:
	s_delay_alu instid0(SALU_CYCLE_1)
	s_and_b32 vcc_lo, exec_lo, s0
	s_cbranch_vccz .LBB30_2318
; %bb.2270:
	s_and_b32 s0, 0xffff, s1
	s_delay_alu instid0(SALU_CYCLE_1)
	s_cmp_lt_i32 s0, 5
	s_cbranch_scc1 .LBB30_2275
; %bb.2271:
	s_cmp_lt_i32 s0, 8
	s_cbranch_scc1 .LBB30_2276
; %bb.2272:
	;; [unrolled: 3-line block ×3, first 2 shown]
	s_cmp_gt_i32 s0, 9
	s_cbranch_scc0 .LBB30_2278
; %bb.2274:
	s_wait_loadcnt 0x0
	global_load_b64 v[12:13], v[4:5], off
	s_mov_b32 s16, 0
	s_wait_loadcnt 0x0
	v_trunc_f64_e32 v[12:13], v[12:13]
	s_delay_alu instid0(VALU_DEP_1) | instskip(NEXT) | instid1(VALU_DEP_1)
	v_ldexp_f64 v[14:15], v[12:13], 0xffffffe0
	v_floor_f64_e32 v[14:15], v[14:15]
	s_delay_alu instid0(VALU_DEP_1) | instskip(SKIP_1) | instid1(VALU_DEP_2)
	v_fmamk_f64 v[18:19], v[14:15], 0xc1f00000, v[12:13]
	v_cvt_i32_f64_e32 v13, v[14:15]
	v_cvt_u32_f64_e32 v12, v[18:19]
	s_branch .LBB30_2279
.LBB30_2275:
	s_mov_b32 s16, -1
                                        ; implicit-def: $vgpr12_vgpr13
	s_branch .LBB30_2297
.LBB30_2276:
	s_mov_b32 s16, -1
                                        ; implicit-def: $vgpr12_vgpr13
	s_branch .LBB30_2285
.LBB30_2277:
	s_mov_b32 s16, -1
                                        ; implicit-def: $vgpr12_vgpr13
	s_branch .LBB30_2282
.LBB30_2278:
	s_mov_b32 s16, -1
                                        ; implicit-def: $vgpr12_vgpr13
.LBB30_2279:
	s_delay_alu instid0(SALU_CYCLE_1)
	s_and_not1_b32 vcc_lo, exec_lo, s16
	s_cbranch_vccnz .LBB30_2281
; %bb.2280:
	global_load_b32 v7, v[4:5], off
	s_wait_loadcnt 0x0
	v_trunc_f32_e32 v7, v7
	s_delay_alu instid0(VALU_DEP_1) | instskip(SKIP_1) | instid1(VALU_DEP_2)
	v_mul_f32_e64 v9, 0x2f800000, |v7|
	v_ashrrev_i32_e32 v12, 31, v7
	v_floor_f32_e32 v9, v9
	s_delay_alu instid0(VALU_DEP_1) | instskip(SKIP_1) | instid1(VALU_DEP_2)
	v_fma_f32 v13, 0xcf800000, v9, |v7|
	v_cvt_u32_f32_e32 v7, v9
	v_cvt_u32_f32_e32 v9, v13
	s_delay_alu instid0(VALU_DEP_2) | instskip(NEXT) | instid1(VALU_DEP_2)
	v_dual_mov_b32 v13, v12 :: v_dual_bitop2_b32 v15, v7, v12 bitop3:0x14
	v_xor_b32_e32 v14, v9, v12
	s_delay_alu instid0(VALU_DEP_1)
	v_sub_nc_u64_e32 v[12:13], v[14:15], v[12:13]
.LBB30_2281:
	s_mov_b32 s16, 0
.LBB30_2282:
	s_delay_alu instid0(SALU_CYCLE_1)
	s_and_not1_b32 vcc_lo, exec_lo, s16
	s_cbranch_vccnz .LBB30_2284
; %bb.2283:
	global_load_b32 v7, v[4:5], off
	s_wait_loadcnt 0x0
	v_cvt_f32_f16_e32 v7, v7
	s_delay_alu instid0(VALU_DEP_1) | instskip(NEXT) | instid1(VALU_DEP_1)
	v_cvt_i32_f32_e32 v12, v7
	v_ashrrev_i32_e32 v13, 31, v12
.LBB30_2284:
	s_mov_b32 s16, 0
.LBB30_2285:
	s_delay_alu instid0(SALU_CYCLE_1)
	s_and_not1_b32 vcc_lo, exec_lo, s16
	s_cbranch_vccnz .LBB30_2296
; %bb.2286:
	s_cmp_lt_i32 s0, 6
	s_cbranch_scc1 .LBB30_2289
; %bb.2287:
	s_cmp_gt_i32 s0, 6
	s_cbranch_scc0 .LBB30_2290
; %bb.2288:
	s_wait_loadcnt 0x0
	global_load_b64 v[12:13], v[4:5], off
	s_mov_b32 s16, 0
	s_wait_loadcnt 0x0
	v_trunc_f64_e32 v[12:13], v[12:13]
	s_delay_alu instid0(VALU_DEP_1) | instskip(NEXT) | instid1(VALU_DEP_1)
	v_ldexp_f64 v[14:15], v[12:13], 0xffffffe0
	v_floor_f64_e32 v[14:15], v[14:15]
	s_delay_alu instid0(VALU_DEP_1) | instskip(SKIP_1) | instid1(VALU_DEP_2)
	v_fmamk_f64 v[18:19], v[14:15], 0xc1f00000, v[12:13]
	v_cvt_i32_f64_e32 v13, v[14:15]
	v_cvt_u32_f64_e32 v12, v[18:19]
	s_branch .LBB30_2291
.LBB30_2289:
	s_mov_b32 s16, -1
                                        ; implicit-def: $vgpr12_vgpr13
	s_branch .LBB30_2294
.LBB30_2290:
	s_mov_b32 s16, -1
                                        ; implicit-def: $vgpr12_vgpr13
.LBB30_2291:
	s_delay_alu instid0(SALU_CYCLE_1)
	s_and_not1_b32 vcc_lo, exec_lo, s16
	s_cbranch_vccnz .LBB30_2293
; %bb.2292:
	global_load_b32 v7, v[4:5], off
	s_wait_loadcnt 0x0
	v_trunc_f32_e32 v7, v7
	s_delay_alu instid0(VALU_DEP_1) | instskip(SKIP_1) | instid1(VALU_DEP_2)
	v_mul_f32_e64 v9, 0x2f800000, |v7|
	v_ashrrev_i32_e32 v12, 31, v7
	v_floor_f32_e32 v9, v9
	s_delay_alu instid0(VALU_DEP_1) | instskip(SKIP_1) | instid1(VALU_DEP_2)
	v_fma_f32 v13, 0xcf800000, v9, |v7|
	v_cvt_u32_f32_e32 v7, v9
	v_cvt_u32_f32_e32 v9, v13
	s_delay_alu instid0(VALU_DEP_2) | instskip(NEXT) | instid1(VALU_DEP_2)
	v_dual_mov_b32 v13, v12 :: v_dual_bitop2_b32 v15, v7, v12 bitop3:0x14
	v_xor_b32_e32 v14, v9, v12
	s_delay_alu instid0(VALU_DEP_1)
	v_sub_nc_u64_e32 v[12:13], v[14:15], v[12:13]
.LBB30_2293:
	s_mov_b32 s16, 0
.LBB30_2294:
	s_delay_alu instid0(SALU_CYCLE_1)
	s_and_not1_b32 vcc_lo, exec_lo, s16
	s_cbranch_vccnz .LBB30_2296
; %bb.2295:
	global_load_u16 v7, v[4:5], off
	s_wait_loadcnt 0x0
	v_cvt_f32_f16_e32 v7, v7
	s_delay_alu instid0(VALU_DEP_1) | instskip(NEXT) | instid1(VALU_DEP_1)
	v_cvt_i32_f32_e32 v12, v7
	v_ashrrev_i32_e32 v13, 31, v12
.LBB30_2296:
	s_mov_b32 s16, 0
.LBB30_2297:
	s_delay_alu instid0(SALU_CYCLE_1)
	s_and_not1_b32 vcc_lo, exec_lo, s16
	s_cbranch_vccnz .LBB30_2317
; %bb.2298:
	s_cmp_lt_i32 s0, 2
	s_cbranch_scc1 .LBB30_2302
; %bb.2299:
	s_cmp_lt_i32 s0, 3
	s_cbranch_scc1 .LBB30_2303
; %bb.2300:
	s_cmp_gt_i32 s0, 3
	s_cbranch_scc0 .LBB30_2304
; %bb.2301:
	s_wait_loadcnt 0x0
	global_load_b64 v[12:13], v[4:5], off
	s_mov_b32 s16, 0
	s_branch .LBB30_2305
.LBB30_2302:
	s_mov_b32 s16, -1
                                        ; implicit-def: $vgpr12_vgpr13
	s_branch .LBB30_2311
.LBB30_2303:
	s_mov_b32 s16, -1
                                        ; implicit-def: $vgpr12_vgpr13
	s_branch .LBB30_2308
.LBB30_2304:
	s_mov_b32 s16, -1
                                        ; implicit-def: $vgpr12_vgpr13
.LBB30_2305:
	s_delay_alu instid0(SALU_CYCLE_1)
	s_and_not1_b32 vcc_lo, exec_lo, s16
	s_cbranch_vccnz .LBB30_2307
; %bb.2306:
	s_wait_loadcnt 0x0
	global_load_b32 v12, v[4:5], off
	s_wait_loadcnt 0x0
	v_ashrrev_i32_e32 v13, 31, v12
.LBB30_2307:
	s_mov_b32 s16, 0
.LBB30_2308:
	s_delay_alu instid0(SALU_CYCLE_1)
	s_and_not1_b32 vcc_lo, exec_lo, s16
	s_cbranch_vccnz .LBB30_2310
; %bb.2309:
	global_load_u16 v7, v[4:5], off
	s_wait_loadcnt 0x0
	v_bfe_i32 v12, v7, 0, 16
	s_delay_alu instid0(VALU_DEP_1)
	v_ashrrev_i32_e32 v13, 31, v12
.LBB30_2310:
	s_mov_b32 s16, 0
.LBB30_2311:
	s_delay_alu instid0(SALU_CYCLE_1)
	s_and_not1_b32 vcc_lo, exec_lo, s16
	s_cbranch_vccnz .LBB30_2317
; %bb.2312:
	s_cmp_gt_i32 s0, 0
	s_mov_b32 s0, 0
	s_cbranch_scc0 .LBB30_2314
; %bb.2313:
	global_load_i8 v7, v[4:5], off
	s_wait_loadcnt 0x0
	v_bfe_i32 v12, v7, 0, 16
	s_delay_alu instid0(VALU_DEP_1)
	v_ashrrev_i32_e32 v13, 31, v12
	s_branch .LBB30_2315
.LBB30_2314:
	s_mov_b32 s0, -1
                                        ; implicit-def: $vgpr12_vgpr13
.LBB30_2315:
	s_delay_alu instid0(SALU_CYCLE_1)
	s_and_not1_b32 vcc_lo, exec_lo, s0
	s_cbranch_vccnz .LBB30_2317
; %bb.2316:
	global_load_u8 v4, v[4:5], off
	s_mov_b32 s0, 0
	s_wait_loadcnt 0x1
	v_mov_b32_e32 v13, s0
	s_wait_loadcnt 0x0
	v_and_b32_e32 v12, 0xffff, v4
.LBB30_2317:
	s_mov_b32 s18, -1
.LBB30_2318:
	s_delay_alu instid0(SALU_CYCLE_1)
	s_and_not1_b32 vcc_lo, exec_lo, s18
	s_cbranch_vccnz .LBB30_2583
; %bb.2319:
	s_wait_loadcnt 0x0
	s_delay_alu instid0(VALU_DEP_1) | instskip(SKIP_1) | instid1(VALU_DEP_1)
	v_sub_nc_u64_e32 v[4:5], 0, v[12:13]
	s_mov_b32 s16, exec_lo
	v_max_i64 v[4:5], v[12:13], v[4:5]
	v_cmpx_ne_u64_e32 0, v[10:11]
	s_cbranch_execz .LBB30_2327
; %bb.2320:
	v_sub_nc_u64_e32 v[12:13], 0, v[10:11]
	s_mov_b32 s17, 0
	s_delay_alu instid0(VALU_DEP_1)
	v_max_i64 v[14:15], v[10:11], v[12:13]
	v_mov_b32_e32 v10, 0
	s_branch .LBB30_2322
.LBB30_2321:                            ;   in Loop: Header=BB30_2322 Depth=1
	s_or_b32 exec_lo, exec_lo, s0
	s_delay_alu instid0(VALU_DEP_1) | instskip(SKIP_2) | instid1(SALU_CYCLE_1)
	v_cmp_eq_u64_e32 vcc_lo, 0, v[14:15]
	v_mov_b64_e32 v[4:5], v[12:13]
	s_or_b32 s17, vcc_lo, s17
	s_and_not1_b32 exec_lo, exec_lo, s17
	s_cbranch_execz .LBB30_2326
.LBB30_2322:                            ; =>This Inner Loop Header: Depth=1
	s_delay_alu instid0(VALU_DEP_2) | instskip(SKIP_1) | instid1(VALU_DEP_1)
	v_mov_b64_e32 v[12:13], v[14:15]
                                        ; implicit-def: $vgpr14_vgpr15
	s_mov_b32 s0, exec_lo
	v_or_b32_e32 v11, v5, v13
	s_delay_alu instid0(VALU_DEP_1)
	v_cmpx_ne_u64_e32 0, v[10:11]
	s_xor_b32 s18, exec_lo, s0
	s_cbranch_execz .LBB30_2324
; %bb.2323:                             ;   in Loop: Header=BB30_2322 Depth=1
	s_delay_alu instid0(VALU_DEP_3) | instskip(SKIP_4) | instid1(VALU_DEP_4)
	v_cvt_f32_u32_e32 v7, v12
	v_cvt_f32_u32_e32 v9, v13
	v_sub_nc_u64_e32 v[18:19], 0, v[12:13]
	v_dual_mov_b32 v15, v10 :: v_dual_mov_b32 v25, v10
	v_mov_b32_e32 v27, v10
	v_fmac_f32_e32 v7, 0x4f800000, v9
	s_delay_alu instid0(VALU_DEP_1) | instskip(SKIP_1) | instid1(TRANS32_DEP_1)
	v_rcp_f32_e32 v7, v7
	v_nop
	v_mul_f32_e32 v7, 0x5f7ffffc, v7
	s_delay_alu instid0(VALU_DEP_1) | instskip(NEXT) | instid1(VALU_DEP_1)
	v_mul_f32_e32 v9, 0x2f800000, v7
	v_trunc_f32_e32 v9, v9
	s_delay_alu instid0(VALU_DEP_1) | instskip(SKIP_1) | instid1(VALU_DEP_2)
	v_fmac_f32_e32 v7, 0xcf800000, v9
	v_cvt_u32_f32_e32 v21, v9
	v_cvt_u32_f32_e32 v14, v7
	s_delay_alu instid0(VALU_DEP_1) | instskip(NEXT) | instid1(VALU_DEP_1)
	v_dual_mov_b32 v26, v21 :: v_dual_mov_b32 v20, v14
	v_mul_u64_e32 v[22:23], v[18:19], v[20:21]
	s_delay_alu instid0(VALU_DEP_1) | instskip(NEXT) | instid1(VALU_DEP_1)
	v_dual_mov_b32 v24, v23 :: v_dual_mov_b32 v23, v10
	v_mul_u64_e32 v[28:29], v[14:15], v[24:25]
	s_delay_alu instid0(VALU_DEP_2) | instskip(SKIP_2) | instid1(VALU_DEP_1)
	v_mul_u64_e32 v[30:31], v[26:27], v[22:23]
	v_mul_u64_e32 v[24:25], v[26:27], v[24:25]
	v_mul_hi_u32 v22, v14, v22
	v_add_nc_u64_e32 v[22:23], v[22:23], v[28:29]
	s_delay_alu instid0(VALU_DEP_1) | instskip(NEXT) | instid1(VALU_DEP_2)
	v_add_co_u32 v7, vcc_lo, v22, v30
	v_add_co_ci_u32_e32 v26, vcc_lo, v23, v31, vcc_lo
	v_add_co_ci_u32_e32 v25, vcc_lo, 0, v25, vcc_lo
	s_delay_alu instid0(VALU_DEP_1) | instskip(NEXT) | instid1(VALU_DEP_1)
	v_add_nc_u64_e32 v[22:23], v[26:27], v[24:25]
	v_add_co_u32 v14, vcc_lo, v14, v22
	s_delay_alu instid0(VALU_DEP_1) | instskip(SKIP_1) | instid1(VALU_DEP_2)
	v_add_co_ci_u32_e64 v20, null, v21, v23, vcc_lo
	v_dual_mov_b32 v23, v10 :: v_dual_mov_b32 v21, v10
	v_mov_b32_e32 v15, v20
	s_delay_alu instid0(VALU_DEP_1) | instskip(NEXT) | instid1(VALU_DEP_1)
	v_mul_u64_e32 v[18:19], v[18:19], v[14:15]
	v_dual_mov_b32 v15, v10 :: v_dual_mov_b32 v22, v19
	s_delay_alu instid0(VALU_DEP_2) | instskip(SKIP_1) | instid1(VALU_DEP_3)
	v_dual_mov_b32 v26, v18 :: v_dual_mov_b32 v19, v10
	v_mul_hi_u32 v18, v14, v18
	v_mul_u64_e32 v[24:25], v[14:15], v[22:23]
	s_delay_alu instid0(VALU_DEP_3) | instskip(SKIP_1) | instid1(VALU_DEP_3)
	v_mul_u64_e32 v[26:27], v[20:21], v[26:27]
	v_mul_u64_e32 v[22:23], v[20:21], v[22:23]
	v_add_nc_u64_e32 v[18:19], v[18:19], v[24:25]
	v_mov_b32_e32 v25, v10
	s_delay_alu instid0(VALU_DEP_2) | instskip(NEXT) | instid1(VALU_DEP_3)
	v_add_co_u32 v7, vcc_lo, v18, v26
	v_add_co_ci_u32_e32 v24, vcc_lo, v19, v27, vcc_lo
	v_add_co_ci_u32_e32 v23, vcc_lo, 0, v23, vcc_lo
	s_delay_alu instid0(VALU_DEP_1) | instskip(SKIP_1) | instid1(VALU_DEP_2)
	v_add_nc_u64_e32 v[18:19], v[24:25], v[22:23]
	v_dual_mov_b32 v22, v4 :: v_dual_mov_b32 v23, v10
	v_add_co_u32 v18, vcc_lo, v14, v18
	s_delay_alu instid0(VALU_DEP_1) | instskip(SKIP_1) | instid1(VALU_DEP_2)
	v_add_co_ci_u32_e64 v14, null, v20, v19, vcc_lo
	v_dual_mov_b32 v20, v5 :: v_dual_mov_b32 v19, v10
	v_mul_u64_e32 v[22:23], v[22:23], v[14:15]
	s_delay_alu instid0(VALU_DEP_2) | instskip(NEXT) | instid1(VALU_DEP_3)
	v_mul_u64_e32 v[14:15], v[20:21], v[14:15]
	v_mul_u64_e32 v[24:25], v[20:21], v[18:19]
	v_mul_hi_u32 v18, v4, v18
	s_delay_alu instid0(VALU_DEP_1) | instskip(NEXT) | instid1(VALU_DEP_1)
	v_add_nc_u64_e32 v[18:19], v[18:19], v[22:23]
	v_add_co_u32 v7, vcc_lo, v18, v24
	s_delay_alu instid0(VALU_DEP_2) | instskip(SKIP_1) | instid1(VALU_DEP_1)
	v_add_co_ci_u32_e32 v20, vcc_lo, v19, v25, vcc_lo
	v_add_co_ci_u32_e32 v15, vcc_lo, 0, v15, vcc_lo
	v_add_nc_u64_e32 v[14:15], v[20:21], v[14:15]
	s_delay_alu instid0(VALU_DEP_1) | instskip(NEXT) | instid1(VALU_DEP_1)
	v_mul_u64_e32 v[14:15], v[12:13], v[14:15]
	v_sub_nc_u32_e32 v7, v5, v15
	s_delay_alu instid0(VALU_DEP_2) | instskip(NEXT) | instid1(VALU_DEP_1)
	v_sub_co_u32 v4, vcc_lo, v4, v14
	v_sub_co_ci_u32_e64 v5, null, v5, v15, vcc_lo
	s_delay_alu instid0(VALU_DEP_3) | instskip(NEXT) | instid1(VALU_DEP_3)
	v_sub_co_ci_u32_e64 v7, null, v7, v13, vcc_lo
	v_sub_co_u32 v9, vcc_lo, v4, v12
	v_cmp_ge_u32_e64 s0, v4, v12
	s_delay_alu instid0(VALU_DEP_3) | instskip(SKIP_1) | instid1(VALU_DEP_3)
	v_subrev_co_ci_u32_e64 v11, null, 0, v7, vcc_lo
	v_sub_co_ci_u32_e64 v7, null, v7, v13, vcc_lo
	v_cndmask_b32_e64 v14, 0, -1, s0
	v_cmp_ge_u32_e64 s0, v9, v12
	v_cmp_ge_u32_e32 vcc_lo, v5, v13
	s_delay_alu instid0(VALU_DEP_2) | instskip(SKIP_3) | instid1(VALU_DEP_3)
	v_cndmask_b32_e64 v15, 0, -1, s0
	v_cmp_ge_u32_e64 s0, v11, v13
	v_cndmask_b32_e64 v18, 0, -1, vcc_lo
	v_cmp_eq_u32_e32 vcc_lo, v11, v13
	v_cndmask_b32_e64 v17, 0, -1, s0
	v_cmp_eq_u32_e64 s0, v5, v13
	s_delay_alu instid0(VALU_DEP_1) | instskip(SKIP_1) | instid1(VALU_DEP_1)
	v_dual_cndmask_b32 v15, v17, v15, vcc_lo :: v_dual_cndmask_b32 v14, v18, v14, s0
	v_sub_co_u32 v17, vcc_lo, v9, v12
	v_subrev_co_ci_u32_e64 v7, null, 0, v7, vcc_lo
	s_delay_alu instid0(VALU_DEP_3) | instskip(NEXT) | instid1(VALU_DEP_2)
	v_cmp_ne_u32_e32 vcc_lo, 0, v15
	v_dual_cndmask_b32 v7, v11, v7, vcc_lo :: v_dual_cndmask_b32 v9, v9, v17, vcc_lo
	v_cmp_ne_u32_e32 vcc_lo, 0, v14
	s_delay_alu instid0(VALU_DEP_2)
	v_dual_cndmask_b32 v15, v5, v7 :: v_dual_cndmask_b32 v14, v4, v9
                                        ; implicit-def: $vgpr4_vgpr5
.LBB30_2324:                            ;   in Loop: Header=BB30_2322 Depth=1
	s_and_not1_saveexec_b32 s0, s18
	s_cbranch_execz .LBB30_2321
; %bb.2325:                             ;   in Loop: Header=BB30_2322 Depth=1
	v_cvt_f32_u32_e32 v5, v12
	v_dual_sub_nc_u32 v7, 0, v12 :: v_dual_mov_b32 v15, v10
	s_delay_alu instid0(VALU_DEP_2) | instskip(SKIP_1) | instid1(TRANS32_DEP_1)
	v_rcp_iflag_f32_e32 v5, v5
	v_nop
	v_mul_f32_e32 v5, 0x4f7ffffe, v5
	s_delay_alu instid0(VALU_DEP_1) | instskip(NEXT) | instid1(VALU_DEP_1)
	v_cvt_u32_f32_e32 v5, v5
	v_mul_lo_u32 v7, v7, v5
	s_delay_alu instid0(VALU_DEP_1) | instskip(NEXT) | instid1(VALU_DEP_1)
	v_mul_hi_u32 v7, v5, v7
	v_add_nc_u32_e32 v5, v5, v7
	s_delay_alu instid0(VALU_DEP_1) | instskip(NEXT) | instid1(VALU_DEP_1)
	v_mul_hi_u32 v5, v4, v5
	v_mul_lo_u32 v5, v5, v12
	s_delay_alu instid0(VALU_DEP_1) | instskip(NEXT) | instid1(VALU_DEP_1)
	v_sub_nc_u32_e32 v4, v4, v5
	v_sub_nc_u32_e32 v5, v4, v12
	v_cmp_ge_u32_e32 vcc_lo, v4, v12
	s_delay_alu instid0(VALU_DEP_2) | instskip(NEXT) | instid1(VALU_DEP_1)
	v_cndmask_b32_e32 v4, v4, v5, vcc_lo
	v_sub_nc_u32_e32 v5, v4, v12
	v_cmp_ge_u32_e32 vcc_lo, v4, v12
	s_delay_alu instid0(VALU_DEP_2)
	v_cndmask_b32_e32 v14, v4, v5, vcc_lo
	s_branch .LBB30_2321
.LBB30_2326:
	s_or_b32 exec_lo, exec_lo, s17
	v_mov_b64_e32 v[4:5], v[12:13]
.LBB30_2327:
	s_or_b32 exec_lo, exec_lo, s16
	v_add_nc_u32_e32 v6, s9, v6
	s_cmp_lt_i32 s13, 11
	s_delay_alu instid0(VALU_DEP_1) | instskip(NEXT) | instid1(VALU_DEP_1)
	v_ashrrev_i32_e32 v7, 31, v6
	v_add_nc_u64_e32 v[6:7], s[6:7], v[6:7]
	s_cbranch_scc1 .LBB30_2334
; %bb.2328:
	s_and_b32 s0, 0xffff, s13
	s_mov_b32 s7, 0
	s_cmp_gt_i32 s0, 25
	s_cbranch_scc0 .LBB30_2335
; %bb.2329:
	s_cmp_gt_i32 s0, 28
	s_cbranch_scc0 .LBB30_2336
; %bb.2330:
	s_cmp_gt_i32 s0, 43
	s_cbranch_scc0 .LBB30_2337
; %bb.2331:
	s_cmp_gt_i32 s0, 45
	s_cbranch_scc0 .LBB30_2339
; %bb.2332:
	s_cmp_eq_u32 s0, 46
	s_mov_b32 s16, 0
	s_cbranch_scc0 .LBB30_2340
; %bb.2333:
	global_load_b32 v9, v[6:7], off
	s_mov_b32 s6, 0
	s_mov_b32 s9, -1
	s_wait_loadcnt 0x0
	v_lshlrev_b32_e32 v9, 16, v9
	s_delay_alu instid0(VALU_DEP_1) | instskip(NEXT) | instid1(VALU_DEP_1)
	v_trunc_f32_e32 v9, v9
	v_mul_f32_e64 v10, 0x2f800000, |v9|
	s_delay_alu instid0(VALU_DEP_1) | instskip(SKIP_1) | instid1(VALU_DEP_2)
	v_floor_f32_e32 v11, v10
	v_ashrrev_i32_e32 v10, 31, v9
	v_fma_f32 v12, 0xcf800000, v11, |v9|
	v_cvt_u32_f32_e32 v9, v11
	s_delay_alu instid0(VALU_DEP_3) | instskip(NEXT) | instid1(VALU_DEP_3)
	v_mov_b32_e32 v11, v10
	v_cvt_u32_f32_e32 v12, v12
	s_delay_alu instid0(VALU_DEP_3) | instskip(NEXT) | instid1(VALU_DEP_2)
	v_xor_b32_e32 v13, v9, v10
	v_xor_b32_e32 v12, v12, v10
	s_delay_alu instid0(VALU_DEP_1)
	v_sub_nc_u64_e32 v[10:11], v[12:13], v[10:11]
	s_branch .LBB30_2342
.LBB30_2334:
	s_mov_b32 s0, -1
	s_mov_b32 s9, 0
                                        ; implicit-def: $vgpr10_vgpr11
	s_branch .LBB30_2404
.LBB30_2335:
	s_mov_b32 s16, -1
	s_mov_b32 s9, 0
	s_mov_b32 s6, 0
                                        ; implicit-def: $vgpr10_vgpr11
	s_branch .LBB30_2369
.LBB30_2336:
	s_mov_b32 s16, -1
	s_mov_b32 s9, 0
	s_mov_b32 s6, 0
                                        ; implicit-def: $vgpr10_vgpr11
	s_branch .LBB30_2352
.LBB30_2337:
	s_mov_b32 s16, -1
	s_mov_b32 s9, 0
	s_mov_b32 s6, 0
                                        ; implicit-def: $vgpr10_vgpr11
	s_branch .LBB30_2347
.LBB30_2338:
	s_or_b32 s12, s12, exec_lo
	s_trap 2
	s_cbranch_execz .LBB30_2267
	s_branch .LBB30_2268
.LBB30_2339:
	s_mov_b32 s16, -1
	s_mov_b32 s9, 0
	s_mov_b32 s6, 0
	s_branch .LBB30_2341
.LBB30_2340:
	s_mov_b32 s6, -1
	s_mov_b32 s9, 0
.LBB30_2341:
                                        ; implicit-def: $vgpr10_vgpr11
.LBB30_2342:
	s_and_b32 vcc_lo, exec_lo, s16
	s_cbranch_vccz .LBB30_2346
; %bb.2343:
	s_cmp_eq_u32 s0, 44
	s_cbranch_scc0 .LBB30_2345
; %bb.2344:
	global_load_u8 v9, v[6:7], off
	s_mov_b32 s6, 0
	s_mov_b32 s9, -1
	s_wait_loadcnt 0x0
	v_cmp_ne_u32_e32 vcc_lo, 0, v9
	v_lshlrev_b32_e32 v10, 23, v9
	s_delay_alu instid0(VALU_DEP_1) | instskip(NEXT) | instid1(VALU_DEP_1)
	v_trunc_f32_e32 v10, v10
	v_mul_f32_e64 v11, 0x2f800000, |v10|
	s_delay_alu instid0(VALU_DEP_1) | instskip(NEXT) | instid1(VALU_DEP_1)
	v_floor_f32_e32 v11, v11
	v_fma_f32 v12, 0xcf800000, v11, |v10|
	v_ashrrev_i32_e32 v10, 31, v10
	v_cvt_u32_f32_e32 v13, v11
	s_delay_alu instid0(VALU_DEP_3) | instskip(NEXT) | instid1(VALU_DEP_2)
	v_cvt_u32_f32_e32 v12, v12
	v_dual_mov_b32 v11, v10 :: v_dual_bitop2_b32 v13, v13, v10 bitop3:0x14
	s_delay_alu instid0(VALU_DEP_2) | instskip(NEXT) | instid1(VALU_DEP_1)
	v_xor_b32_e32 v12, v12, v10
	v_sub_nc_u64_e32 v[10:11], v[12:13], v[10:11]
	s_delay_alu instid0(VALU_DEP_1)
	v_dual_cndmask_b32 v11, 0, v11 :: v_dual_cndmask_b32 v10, 0, v10
	s_branch .LBB30_2346
.LBB30_2345:
	s_mov_b32 s6, -1
                                        ; implicit-def: $vgpr10_vgpr11
.LBB30_2346:
	s_mov_b32 s16, 0
.LBB30_2347:
	s_delay_alu instid0(SALU_CYCLE_1)
	s_and_b32 vcc_lo, exec_lo, s16
	s_cbranch_vccz .LBB30_2351
; %bb.2348:
	s_cmp_eq_u32 s0, 29
	s_cbranch_scc0 .LBB30_2350
; %bb.2349:
	global_load_b64 v[10:11], v[6:7], off
	s_mov_b32 s6, 0
	s_mov_b32 s9, -1
	s_branch .LBB30_2351
.LBB30_2350:
	s_mov_b32 s6, -1
                                        ; implicit-def: $vgpr10_vgpr11
.LBB30_2351:
	s_mov_b32 s16, 0
.LBB30_2352:
	s_delay_alu instid0(SALU_CYCLE_1)
	s_and_b32 vcc_lo, exec_lo, s16
	s_cbranch_vccz .LBB30_2368
; %bb.2353:
	s_cmp_lt_i32 s0, 27
	s_cbranch_scc1 .LBB30_2356
; %bb.2354:
	s_cmp_gt_i32 s0, 27
	s_cbranch_scc0 .LBB30_2357
; %bb.2355:
	s_wait_loadcnt 0x0
	global_load_b32 v10, v[6:7], off
	v_mov_b32_e32 v11, 0
	s_mov_b32 s9, 0
	s_branch .LBB30_2358
.LBB30_2356:
	s_mov_b32 s9, -1
                                        ; implicit-def: $vgpr10_vgpr11
	s_branch .LBB30_2361
.LBB30_2357:
	s_mov_b32 s9, -1
                                        ; implicit-def: $vgpr10_vgpr11
.LBB30_2358:
	s_delay_alu instid0(SALU_CYCLE_1)
	s_and_not1_b32 vcc_lo, exec_lo, s9
	s_cbranch_vccnz .LBB30_2360
; %bb.2359:
	global_load_u16 v9, v[6:7], off
	s_mov_b32 s9, 0
	s_wait_loadcnt 0x1
	v_mov_b32_e32 v11, s9
	s_wait_loadcnt 0x0
	v_and_b32_e32 v10, 0xffff, v9
.LBB30_2360:
	s_mov_b32 s9, 0
.LBB30_2361:
	s_delay_alu instid0(SALU_CYCLE_1)
	s_and_not1_b32 vcc_lo, exec_lo, s9
	s_cbranch_vccnz .LBB30_2367
; %bb.2362:
	global_load_u8 v9, v[6:7], off
	s_mov_b32 s16, 0
	s_mov_b32 s9, exec_lo
	s_wait_loadcnt 0x0
	v_cmpx_lt_i16_e32 0x7f, v9
	s_xor_b32 s9, exec_lo, s9
	s_cbranch_execz .LBB30_2379
; %bb.2363:
	v_cmp_ne_u16_e32 vcc_lo, 0x80, v9
	s_and_b32 s16, vcc_lo, exec_lo
	s_and_not1_saveexec_b32 s9, s9
	s_cbranch_execnz .LBB30_2380
.LBB30_2364:
	s_or_b32 exec_lo, exec_lo, s9
	v_mov_b64_e32 v[10:11], 0
	s_and_saveexec_b32 s9, s16
	s_cbranch_execz .LBB30_2366
.LBB30_2365:
	v_and_b32_e32 v10, 0xffff, v9
	s_delay_alu instid0(VALU_DEP_1) | instskip(SKIP_1) | instid1(VALU_DEP_2)
	v_and_b32_e32 v11, 7, v10
	v_bfe_u32 v14, v10, 3, 4
	v_clz_i32_u32_e32 v12, v11
	s_delay_alu instid0(VALU_DEP_2) | instskip(NEXT) | instid1(VALU_DEP_2)
	v_cmp_eq_u32_e32 vcc_lo, 0, v14
	v_min_u32_e32 v12, 32, v12
	s_delay_alu instid0(VALU_DEP_1) | instskip(NEXT) | instid1(VALU_DEP_1)
	v_subrev_nc_u32_e32 v13, 28, v12
	v_dual_lshlrev_b32 v10, v13, v10 :: v_dual_sub_nc_u32 v12, 29, v12
	s_delay_alu instid0(VALU_DEP_1) | instskip(NEXT) | instid1(VALU_DEP_1)
	v_dual_lshlrev_b32 v9, 24, v9 :: v_dual_bitop2_b32 v10, 7, v10 bitop3:0x40
	v_dual_cndmask_b32 v12, v14, v12, vcc_lo :: v_dual_cndmask_b32 v10, v11, v10, vcc_lo
	s_delay_alu instid0(VALU_DEP_2) | instskip(NEXT) | instid1(VALU_DEP_2)
	v_and_b32_e32 v9, 0x80000000, v9
	v_lshl_add_u32 v11, v12, 23, 0x3b800000
	s_delay_alu instid0(VALU_DEP_3) | instskip(NEXT) | instid1(VALU_DEP_1)
	v_lshlrev_b32_e32 v10, 20, v10
	v_or3_b32 v9, v9, v11, v10
	s_delay_alu instid0(VALU_DEP_1) | instskip(NEXT) | instid1(VALU_DEP_1)
	v_trunc_f32_e32 v9, v9
	v_mul_f32_e64 v10, 0x2f800000, |v9|
	s_delay_alu instid0(VALU_DEP_1) | instskip(SKIP_1) | instid1(VALU_DEP_2)
	v_floor_f32_e32 v11, v10
	v_ashrrev_i32_e32 v10, 31, v9
	v_fma_f32 v12, 0xcf800000, v11, |v9|
	v_cvt_u32_f32_e32 v9, v11
	s_delay_alu instid0(VALU_DEP_3) | instskip(NEXT) | instid1(VALU_DEP_3)
	v_mov_b32_e32 v11, v10
	v_cvt_u32_f32_e32 v12, v12
	s_delay_alu instid0(VALU_DEP_3) | instskip(NEXT) | instid1(VALU_DEP_2)
	v_xor_b32_e32 v13, v9, v10
	v_xor_b32_e32 v12, v12, v10
	s_delay_alu instid0(VALU_DEP_1)
	v_sub_nc_u64_e32 v[10:11], v[12:13], v[10:11]
.LBB30_2366:
	s_or_b32 exec_lo, exec_lo, s9
.LBB30_2367:
	s_mov_b32 s9, -1
.LBB30_2368:
	s_mov_b32 s16, 0
.LBB30_2369:
	s_delay_alu instid0(SALU_CYCLE_1)
	s_and_b32 vcc_lo, exec_lo, s16
	s_cbranch_vccz .LBB30_2400
; %bb.2370:
	s_cmp_gt_i32 s0, 22
	s_cbranch_scc0 .LBB30_2378
; %bb.2371:
	s_cmp_lt_i32 s0, 24
	s_cbranch_scc1 .LBB30_2381
; %bb.2372:
	s_cmp_gt_i32 s0, 24
	s_cbranch_scc0 .LBB30_2382
; %bb.2373:
	global_load_u8 v9, v[6:7], off
	s_mov_b32 s9, 0
	s_mov_b32 s7, exec_lo
	s_wait_loadcnt 0x0
	v_cmpx_lt_i16_e32 0x7f, v9
	s_xor_b32 s7, exec_lo, s7
	s_cbranch_execz .LBB30_2394
; %bb.2374:
	v_cmp_ne_u16_e32 vcc_lo, 0x80, v9
	s_and_b32 s9, vcc_lo, exec_lo
	s_and_not1_saveexec_b32 s7, s7
	s_cbranch_execnz .LBB30_2395
.LBB30_2375:
	s_or_b32 exec_lo, exec_lo, s7
	v_mov_b64_e32 v[10:11], 0
	s_and_saveexec_b32 s7, s9
	s_cbranch_execz .LBB30_2377
.LBB30_2376:
	v_and_b32_e32 v10, 0xffff, v9
	s_delay_alu instid0(VALU_DEP_1) | instskip(SKIP_1) | instid1(VALU_DEP_2)
	v_and_b32_e32 v11, 3, v10
	v_bfe_u32 v14, v10, 2, 5
	v_clz_i32_u32_e32 v12, v11
	s_delay_alu instid0(VALU_DEP_2) | instskip(NEXT) | instid1(VALU_DEP_2)
	v_cmp_eq_u32_e32 vcc_lo, 0, v14
	v_min_u32_e32 v12, 32, v12
	s_delay_alu instid0(VALU_DEP_1) | instskip(NEXT) | instid1(VALU_DEP_1)
	v_subrev_nc_u32_e32 v13, 29, v12
	v_dual_lshlrev_b32 v10, v13, v10 :: v_dual_sub_nc_u32 v12, 30, v12
	s_delay_alu instid0(VALU_DEP_1) | instskip(NEXT) | instid1(VALU_DEP_1)
	v_dual_lshlrev_b32 v9, 24, v9 :: v_dual_bitop2_b32 v10, 3, v10 bitop3:0x40
	v_dual_cndmask_b32 v12, v14, v12, vcc_lo :: v_dual_cndmask_b32 v10, v11, v10, vcc_lo
	s_delay_alu instid0(VALU_DEP_2) | instskip(NEXT) | instid1(VALU_DEP_2)
	v_and_b32_e32 v9, 0x80000000, v9
	v_lshl_add_u32 v11, v12, 23, 0x37800000
	s_delay_alu instid0(VALU_DEP_3) | instskip(NEXT) | instid1(VALU_DEP_1)
	v_lshlrev_b32_e32 v10, 21, v10
	v_or3_b32 v9, v9, v11, v10
	s_delay_alu instid0(VALU_DEP_1) | instskip(NEXT) | instid1(VALU_DEP_1)
	v_trunc_f32_e32 v9, v9
	v_mul_f32_e64 v10, 0x2f800000, |v9|
	s_delay_alu instid0(VALU_DEP_1) | instskip(SKIP_1) | instid1(VALU_DEP_2)
	v_floor_f32_e32 v11, v10
	v_ashrrev_i32_e32 v10, 31, v9
	v_fma_f32 v12, 0xcf800000, v11, |v9|
	v_cvt_u32_f32_e32 v9, v11
	s_delay_alu instid0(VALU_DEP_3) | instskip(NEXT) | instid1(VALU_DEP_3)
	v_mov_b32_e32 v11, v10
	v_cvt_u32_f32_e32 v12, v12
	s_delay_alu instid0(VALU_DEP_3) | instskip(NEXT) | instid1(VALU_DEP_2)
	v_xor_b32_e32 v13, v9, v10
	v_xor_b32_e32 v12, v12, v10
	s_delay_alu instid0(VALU_DEP_1)
	v_sub_nc_u64_e32 v[10:11], v[12:13], v[10:11]
.LBB30_2377:
	s_or_b32 exec_lo, exec_lo, s7
	s_mov_b32 s7, 0
	s_branch .LBB30_2383
.LBB30_2378:
	s_mov_b32 s7, -1
                                        ; implicit-def: $vgpr10_vgpr11
	s_branch .LBB30_2389
.LBB30_2379:
	s_and_not1_saveexec_b32 s9, s9
	s_cbranch_execz .LBB30_2364
.LBB30_2380:
	v_cmp_ne_u16_e32 vcc_lo, 0, v9
	s_and_not1_b32 s16, s16, exec_lo
	s_and_b32 s17, vcc_lo, exec_lo
	s_delay_alu instid0(SALU_CYCLE_1)
	s_or_b32 s16, s16, s17
	s_or_b32 exec_lo, exec_lo, s9
	v_mov_b64_e32 v[10:11], 0
	s_and_saveexec_b32 s9, s16
	s_cbranch_execnz .LBB30_2365
	s_branch .LBB30_2366
.LBB30_2381:
	s_mov_b32 s7, -1
                                        ; implicit-def: $vgpr10_vgpr11
	s_branch .LBB30_2386
.LBB30_2382:
	s_mov_b32 s7, -1
                                        ; implicit-def: $vgpr10_vgpr11
.LBB30_2383:
	s_delay_alu instid0(SALU_CYCLE_1)
	s_and_b32 vcc_lo, exec_lo, s7
	s_cbranch_vccz .LBB30_2385
; %bb.2384:
	global_load_u8 v9, v[6:7], off
	s_wait_loadcnt 0x0
	v_lshlrev_b32_e32 v9, 24, v9
	s_delay_alu instid0(VALU_DEP_1) | instskip(NEXT) | instid1(VALU_DEP_1)
	v_and_b32_e32 v10, 0x7f000000, v9
	v_clz_i32_u32_e32 v11, v10
	v_cmp_ne_u32_e32 vcc_lo, 0, v10
	v_add_nc_u32_e32 v13, 0x1000000, v10
	s_delay_alu instid0(VALU_DEP_3) | instskip(NEXT) | instid1(VALU_DEP_1)
	v_min_u32_e32 v11, 32, v11
	v_sub_nc_u32_e64 v11, v11, 4 clamp
	s_delay_alu instid0(VALU_DEP_1) | instskip(NEXT) | instid1(VALU_DEP_1)
	v_dual_lshlrev_b32 v12, v11, v10 :: v_dual_lshlrev_b32 v11, 23, v11
	v_lshrrev_b32_e32 v12, 4, v12
	s_delay_alu instid0(VALU_DEP_1) | instskip(NEXT) | instid1(VALU_DEP_1)
	v_dual_sub_nc_u32 v11, v12, v11 :: v_dual_ashrrev_i32 v12, 8, v13
	v_add_nc_u32_e32 v11, 0x3c000000, v11
	s_delay_alu instid0(VALU_DEP_1) | instskip(NEXT) | instid1(VALU_DEP_1)
	v_and_or_b32 v11, 0x7f800000, v12, v11
	v_cndmask_b32_e32 v10, 0, v11, vcc_lo
	s_delay_alu instid0(VALU_DEP_1) | instskip(NEXT) | instid1(VALU_DEP_1)
	v_and_or_b32 v9, 0x80000000, v9, v10
	v_trunc_f32_e32 v9, v9
	s_delay_alu instid0(VALU_DEP_1) | instskip(NEXT) | instid1(VALU_DEP_1)
	v_mul_f32_e64 v10, 0x2f800000, |v9|
	v_floor_f32_e32 v11, v10
	v_ashrrev_i32_e32 v10, 31, v9
	s_delay_alu instid0(VALU_DEP_2) | instskip(SKIP_1) | instid1(VALU_DEP_3)
	v_fma_f32 v12, 0xcf800000, v11, |v9|
	v_cvt_u32_f32_e32 v9, v11
	v_mov_b32_e32 v11, v10
	s_delay_alu instid0(VALU_DEP_3) | instskip(NEXT) | instid1(VALU_DEP_3)
	v_cvt_u32_f32_e32 v12, v12
	v_xor_b32_e32 v13, v9, v10
	s_delay_alu instid0(VALU_DEP_2) | instskip(NEXT) | instid1(VALU_DEP_1)
	v_xor_b32_e32 v12, v12, v10
	v_sub_nc_u64_e32 v[10:11], v[12:13], v[10:11]
.LBB30_2385:
	s_mov_b32 s7, 0
.LBB30_2386:
	s_delay_alu instid0(SALU_CYCLE_1)
	s_and_not1_b32 vcc_lo, exec_lo, s7
	s_cbranch_vccnz .LBB30_2388
; %bb.2387:
	global_load_u8 v9, v[6:7], off
	s_wait_loadcnt 0x0
	v_lshlrev_b32_e32 v10, 25, v9
	v_lshlrev_b16 v9, 8, v9
	s_delay_alu instid0(VALU_DEP_1) | instskip(SKIP_1) | instid1(VALU_DEP_2)
	v_and_or_b32 v12, 0x7f00, v9, 0.5
	v_bfe_i32 v9, v9, 0, 16
	v_dual_add_f32 v12, -0.5, v12 :: v_dual_lshrrev_b32 v11, 4, v10
	v_cmp_gt_u32_e32 vcc_lo, 0x8000000, v10
	s_delay_alu instid0(VALU_DEP_2) | instskip(NEXT) | instid1(VALU_DEP_1)
	v_or_b32_e32 v11, 0x70000000, v11
	v_mul_f32_e32 v11, 0x7800000, v11
	s_delay_alu instid0(VALU_DEP_1) | instskip(NEXT) | instid1(VALU_DEP_1)
	v_cndmask_b32_e32 v10, v11, v12, vcc_lo
	v_and_or_b32 v9, 0x80000000, v9, v10
	s_delay_alu instid0(VALU_DEP_1) | instskip(NEXT) | instid1(VALU_DEP_1)
	v_trunc_f32_e32 v9, v9
	v_mul_f32_e64 v10, 0x2f800000, |v9|
	s_delay_alu instid0(VALU_DEP_1) | instskip(SKIP_1) | instid1(VALU_DEP_2)
	v_floor_f32_e32 v11, v10
	v_ashrrev_i32_e32 v10, 31, v9
	v_fma_f32 v12, 0xcf800000, v11, |v9|
	v_cvt_u32_f32_e32 v9, v11
	s_delay_alu instid0(VALU_DEP_3) | instskip(NEXT) | instid1(VALU_DEP_3)
	v_mov_b32_e32 v11, v10
	v_cvt_u32_f32_e32 v12, v12
	s_delay_alu instid0(VALU_DEP_3) | instskip(NEXT) | instid1(VALU_DEP_2)
	v_xor_b32_e32 v13, v9, v10
	v_xor_b32_e32 v12, v12, v10
	s_delay_alu instid0(VALU_DEP_1)
	v_sub_nc_u64_e32 v[10:11], v[12:13], v[10:11]
.LBB30_2388:
	s_mov_b32 s7, 0
	s_mov_b32 s9, -1
.LBB30_2389:
	s_and_not1_b32 vcc_lo, exec_lo, s7
	s_mov_b32 s7, 0
	s_cbranch_vccnz .LBB30_2400
; %bb.2390:
	s_cmp_gt_i32 s0, 14
	s_cbranch_scc0 .LBB30_2393
; %bb.2391:
	s_cmp_eq_u32 s0, 15
	s_cbranch_scc0 .LBB30_2396
; %bb.2392:
	global_load_u16 v9, v[6:7], off
	s_mov_b32 s6, 0
	s_mov_b32 s9, -1
	s_wait_loadcnt 0x0
	v_lshlrev_b32_e32 v9, 16, v9
	s_delay_alu instid0(VALU_DEP_1) | instskip(NEXT) | instid1(VALU_DEP_1)
	v_trunc_f32_e32 v9, v9
	v_mul_f32_e64 v10, 0x2f800000, |v9|
	s_delay_alu instid0(VALU_DEP_1) | instskip(SKIP_1) | instid1(VALU_DEP_2)
	v_floor_f32_e32 v11, v10
	v_ashrrev_i32_e32 v10, 31, v9
	v_fma_f32 v12, 0xcf800000, v11, |v9|
	v_cvt_u32_f32_e32 v9, v11
	s_delay_alu instid0(VALU_DEP_3) | instskip(NEXT) | instid1(VALU_DEP_3)
	v_mov_b32_e32 v11, v10
	v_cvt_u32_f32_e32 v12, v12
	s_delay_alu instid0(VALU_DEP_3) | instskip(NEXT) | instid1(VALU_DEP_2)
	v_xor_b32_e32 v13, v9, v10
	v_xor_b32_e32 v12, v12, v10
	s_delay_alu instid0(VALU_DEP_1)
	v_sub_nc_u64_e32 v[10:11], v[12:13], v[10:11]
	s_branch .LBB30_2398
.LBB30_2393:
	s_mov_b32 s7, -1
	s_branch .LBB30_2397
.LBB30_2394:
	s_and_not1_saveexec_b32 s7, s7
	s_cbranch_execz .LBB30_2375
.LBB30_2395:
	v_cmp_ne_u16_e32 vcc_lo, 0, v9
	s_and_not1_b32 s9, s9, exec_lo
	s_and_b32 s16, vcc_lo, exec_lo
	s_delay_alu instid0(SALU_CYCLE_1)
	s_or_b32 s9, s9, s16
	s_or_b32 exec_lo, exec_lo, s7
	v_mov_b64_e32 v[10:11], 0
	s_and_saveexec_b32 s7, s9
	s_cbranch_execnz .LBB30_2376
	s_branch .LBB30_2377
.LBB30_2396:
	s_mov_b32 s6, -1
.LBB30_2397:
                                        ; implicit-def: $vgpr10_vgpr11
.LBB30_2398:
	s_and_b32 vcc_lo, exec_lo, s7
	s_mov_b32 s7, 0
	s_cbranch_vccz .LBB30_2400
; %bb.2399:
	s_cmp_lg_u32 s0, 11
	s_mov_b32 s7, -1
	s_cselect_b32 s6, -1, 0
.LBB30_2400:
	s_delay_alu instid0(SALU_CYCLE_1)
	s_and_b32 vcc_lo, exec_lo, s6
	s_cbranch_vccnz .LBB30_2465
; %bb.2401:
	s_and_not1_b32 vcc_lo, exec_lo, s7
	s_cbranch_vccnz .LBB30_2403
.LBB30_2402:
	global_load_u8 v9, v[6:7], off
	s_mov_b32 s0, 0
	s_mov_b32 s9, -1
	s_wait_loadcnt 0x1
	v_mov_b32_e32 v11, s0
	s_wait_loadcnt 0x0
	v_cmp_ne_u16_e32 vcc_lo, 0, v9
	v_cndmask_b32_e64 v10, 0, 1, vcc_lo
.LBB30_2403:
	s_mov_b32 s0, 0
.LBB30_2404:
	s_delay_alu instid0(SALU_CYCLE_1)
	s_and_b32 vcc_lo, exec_lo, s0
	s_cbranch_vccz .LBB30_2453
; %bb.2405:
	s_and_b32 s0, 0xffff, s13
	s_delay_alu instid0(SALU_CYCLE_1)
	s_cmp_lt_i32 s0, 5
	s_cbranch_scc1 .LBB30_2410
; %bb.2406:
	s_cmp_lt_i32 s0, 8
	s_cbranch_scc1 .LBB30_2411
; %bb.2407:
	;; [unrolled: 3-line block ×3, first 2 shown]
	s_cmp_gt_i32 s0, 9
	s_cbranch_scc0 .LBB30_2413
; %bb.2409:
	s_wait_loadcnt 0x0
	global_load_b64 v[10:11], v[6:7], off
	s_mov_b32 s6, 0
	s_wait_loadcnt 0x0
	v_trunc_f64_e32 v[10:11], v[10:11]
	s_delay_alu instid0(VALU_DEP_1) | instskip(NEXT) | instid1(VALU_DEP_1)
	v_ldexp_f64 v[12:13], v[10:11], 0xffffffe0
	v_floor_f64_e32 v[12:13], v[12:13]
	s_delay_alu instid0(VALU_DEP_1) | instskip(SKIP_1) | instid1(VALU_DEP_2)
	v_fmamk_f64 v[14:15], v[12:13], 0xc1f00000, v[10:11]
	v_cvt_i32_f64_e32 v11, v[12:13]
	v_cvt_u32_f64_e32 v10, v[14:15]
	s_branch .LBB30_2414
.LBB30_2410:
	s_mov_b32 s6, -1
                                        ; implicit-def: $vgpr10_vgpr11
	s_branch .LBB30_2432
.LBB30_2411:
	s_mov_b32 s6, -1
                                        ; implicit-def: $vgpr10_vgpr11
	s_branch .LBB30_2420
.LBB30_2412:
	s_mov_b32 s6, -1
                                        ; implicit-def: $vgpr10_vgpr11
	s_branch .LBB30_2417
.LBB30_2413:
	s_mov_b32 s6, -1
                                        ; implicit-def: $vgpr10_vgpr11
.LBB30_2414:
	s_delay_alu instid0(SALU_CYCLE_1)
	s_and_not1_b32 vcc_lo, exec_lo, s6
	s_cbranch_vccnz .LBB30_2416
; %bb.2415:
	global_load_b32 v9, v[6:7], off
	s_wait_loadcnt 0x0
	v_trunc_f32_e32 v9, v9
	s_delay_alu instid0(VALU_DEP_1) | instskip(NEXT) | instid1(VALU_DEP_1)
	v_mul_f32_e64 v10, 0x2f800000, |v9|
	v_floor_f32_e32 v11, v10
	v_ashrrev_i32_e32 v10, 31, v9
	s_delay_alu instid0(VALU_DEP_2) | instskip(SKIP_1) | instid1(VALU_DEP_3)
	v_fma_f32 v12, 0xcf800000, v11, |v9|
	v_cvt_u32_f32_e32 v9, v11
	v_mov_b32_e32 v11, v10
	s_delay_alu instid0(VALU_DEP_3) | instskip(NEXT) | instid1(VALU_DEP_3)
	v_cvt_u32_f32_e32 v12, v12
	v_xor_b32_e32 v13, v9, v10
	s_delay_alu instid0(VALU_DEP_2) | instskip(NEXT) | instid1(VALU_DEP_1)
	v_xor_b32_e32 v12, v12, v10
	v_sub_nc_u64_e32 v[10:11], v[12:13], v[10:11]
.LBB30_2416:
	s_mov_b32 s6, 0
.LBB30_2417:
	s_delay_alu instid0(SALU_CYCLE_1)
	s_and_not1_b32 vcc_lo, exec_lo, s6
	s_cbranch_vccnz .LBB30_2419
; %bb.2418:
	global_load_b32 v9, v[6:7], off
	s_wait_loadcnt 0x0
	v_cvt_f32_f16_e32 v9, v9
	s_delay_alu instid0(VALU_DEP_1) | instskip(NEXT) | instid1(VALU_DEP_1)
	v_cvt_i32_f32_e32 v10, v9
	v_ashrrev_i32_e32 v11, 31, v10
.LBB30_2419:
	s_mov_b32 s6, 0
.LBB30_2420:
	s_delay_alu instid0(SALU_CYCLE_1)
	s_and_not1_b32 vcc_lo, exec_lo, s6
	s_cbranch_vccnz .LBB30_2431
; %bb.2421:
	s_cmp_lt_i32 s0, 6
	s_cbranch_scc1 .LBB30_2424
; %bb.2422:
	s_cmp_gt_i32 s0, 6
	s_cbranch_scc0 .LBB30_2425
; %bb.2423:
	s_wait_loadcnt 0x0
	global_load_b64 v[10:11], v[6:7], off
	s_mov_b32 s6, 0
	s_wait_loadcnt 0x0
	v_trunc_f64_e32 v[10:11], v[10:11]
	s_delay_alu instid0(VALU_DEP_1) | instskip(NEXT) | instid1(VALU_DEP_1)
	v_ldexp_f64 v[12:13], v[10:11], 0xffffffe0
	v_floor_f64_e32 v[12:13], v[12:13]
	s_delay_alu instid0(VALU_DEP_1) | instskip(SKIP_1) | instid1(VALU_DEP_2)
	v_fmamk_f64 v[14:15], v[12:13], 0xc1f00000, v[10:11]
	v_cvt_i32_f64_e32 v11, v[12:13]
	v_cvt_u32_f64_e32 v10, v[14:15]
	s_branch .LBB30_2426
.LBB30_2424:
	s_mov_b32 s6, -1
                                        ; implicit-def: $vgpr10_vgpr11
	s_branch .LBB30_2429
.LBB30_2425:
	s_mov_b32 s6, -1
                                        ; implicit-def: $vgpr10_vgpr11
.LBB30_2426:
	s_delay_alu instid0(SALU_CYCLE_1)
	s_and_not1_b32 vcc_lo, exec_lo, s6
	s_cbranch_vccnz .LBB30_2428
; %bb.2427:
	global_load_b32 v9, v[6:7], off
	s_wait_loadcnt 0x0
	v_trunc_f32_e32 v9, v9
	s_delay_alu instid0(VALU_DEP_1) | instskip(NEXT) | instid1(VALU_DEP_1)
	v_mul_f32_e64 v10, 0x2f800000, |v9|
	v_floor_f32_e32 v11, v10
	v_ashrrev_i32_e32 v10, 31, v9
	s_delay_alu instid0(VALU_DEP_2) | instskip(SKIP_1) | instid1(VALU_DEP_3)
	v_fma_f32 v12, 0xcf800000, v11, |v9|
	v_cvt_u32_f32_e32 v9, v11
	v_mov_b32_e32 v11, v10
	s_delay_alu instid0(VALU_DEP_3) | instskip(NEXT) | instid1(VALU_DEP_3)
	v_cvt_u32_f32_e32 v12, v12
	v_xor_b32_e32 v13, v9, v10
	s_delay_alu instid0(VALU_DEP_2) | instskip(NEXT) | instid1(VALU_DEP_1)
	v_xor_b32_e32 v12, v12, v10
	v_sub_nc_u64_e32 v[10:11], v[12:13], v[10:11]
.LBB30_2428:
	s_mov_b32 s6, 0
.LBB30_2429:
	s_delay_alu instid0(SALU_CYCLE_1)
	s_and_not1_b32 vcc_lo, exec_lo, s6
	s_cbranch_vccnz .LBB30_2431
; %bb.2430:
	global_load_u16 v9, v[6:7], off
	s_wait_loadcnt 0x0
	v_cvt_f32_f16_e32 v9, v9
	s_delay_alu instid0(VALU_DEP_1) | instskip(NEXT) | instid1(VALU_DEP_1)
	v_cvt_i32_f32_e32 v10, v9
	v_ashrrev_i32_e32 v11, 31, v10
.LBB30_2431:
	s_mov_b32 s6, 0
.LBB30_2432:
	s_delay_alu instid0(SALU_CYCLE_1)
	s_and_not1_b32 vcc_lo, exec_lo, s6
	s_cbranch_vccnz .LBB30_2452
; %bb.2433:
	s_cmp_lt_i32 s0, 2
	s_cbranch_scc1 .LBB30_2437
; %bb.2434:
	s_cmp_lt_i32 s0, 3
	s_cbranch_scc1 .LBB30_2438
; %bb.2435:
	s_cmp_gt_i32 s0, 3
	s_cbranch_scc0 .LBB30_2439
; %bb.2436:
	s_wait_loadcnt 0x0
	global_load_b64 v[10:11], v[6:7], off
	s_mov_b32 s6, 0
	s_branch .LBB30_2440
.LBB30_2437:
	s_mov_b32 s6, -1
                                        ; implicit-def: $vgpr10_vgpr11
	s_branch .LBB30_2446
.LBB30_2438:
	s_mov_b32 s6, -1
                                        ; implicit-def: $vgpr10_vgpr11
	s_branch .LBB30_2443
.LBB30_2439:
	s_mov_b32 s6, -1
                                        ; implicit-def: $vgpr10_vgpr11
.LBB30_2440:
	s_delay_alu instid0(SALU_CYCLE_1)
	s_and_not1_b32 vcc_lo, exec_lo, s6
	s_cbranch_vccnz .LBB30_2442
; %bb.2441:
	s_wait_loadcnt 0x0
	global_load_b32 v10, v[6:7], off
	s_wait_loadcnt 0x0
	v_ashrrev_i32_e32 v11, 31, v10
.LBB30_2442:
	s_mov_b32 s6, 0
.LBB30_2443:
	s_delay_alu instid0(SALU_CYCLE_1)
	s_and_not1_b32 vcc_lo, exec_lo, s6
	s_cbranch_vccnz .LBB30_2445
; %bb.2444:
	global_load_u16 v9, v[6:7], off
	s_wait_loadcnt 0x0
	v_bfe_i32 v10, v9, 0, 16
	s_delay_alu instid0(VALU_DEP_1)
	v_ashrrev_i32_e32 v11, 31, v10
.LBB30_2445:
	s_mov_b32 s6, 0
.LBB30_2446:
	s_delay_alu instid0(SALU_CYCLE_1)
	s_and_not1_b32 vcc_lo, exec_lo, s6
	s_cbranch_vccnz .LBB30_2452
; %bb.2447:
	s_cmp_gt_i32 s0, 0
	s_mov_b32 s0, 0
	s_cbranch_scc0 .LBB30_2449
; %bb.2448:
	global_load_i8 v9, v[6:7], off
	s_wait_loadcnt 0x0
	v_bfe_i32 v10, v9, 0, 16
	s_delay_alu instid0(VALU_DEP_1)
	v_ashrrev_i32_e32 v11, 31, v10
	s_branch .LBB30_2450
.LBB30_2449:
	s_mov_b32 s0, -1
                                        ; implicit-def: $vgpr10_vgpr11
.LBB30_2450:
	s_delay_alu instid0(SALU_CYCLE_1)
	s_and_not1_b32 vcc_lo, exec_lo, s0
	s_cbranch_vccnz .LBB30_2452
; %bb.2451:
	global_load_u8 v6, v[6:7], off
	s_mov_b32 s0, 0
	s_wait_loadcnt 0x1
	v_mov_b32_e32 v11, s0
	s_wait_loadcnt 0x0
	v_and_b32_e32 v10, 0xffff, v6
.LBB30_2452:
	s_mov_b32 s9, -1
.LBB30_2453:
	s_delay_alu instid0(SALU_CYCLE_1)
	s_and_not1_b32 vcc_lo, exec_lo, s9
	s_cbranch_vccnz .LBB30_2583
; %bb.2454:
	s_wait_xcnt 0x0
	v_add_nc_u32_e32 v6, s10, v8
	s_cmp_lt_i32 s1, 11
	s_delay_alu instid0(VALU_DEP_1) | instskip(NEXT) | instid1(VALU_DEP_1)
	v_ashrrev_i32_e32 v7, 31, v6
	v_add_nc_u64_e32 v[6:7], s[2:3], v[6:7]
	s_cbranch_scc1 .LBB30_2461
; %bb.2455:
	s_and_b32 s0, 0xffff, s1
	s_mov_b32 s3, 0
	s_cmp_gt_i32 s0, 25
	s_cbranch_scc0 .LBB30_2462
; %bb.2456:
	s_cmp_gt_i32 s0, 28
	s_cbranch_scc0 .LBB30_2463
; %bb.2457:
	;; [unrolled: 3-line block ×4, first 2 shown]
	s_cmp_eq_u32 s0, 46
	s_mov_b32 s7, 0
	s_cbranch_scc0 .LBB30_2467
; %bb.2460:
	global_load_b32 v8, v[6:7], off
	s_mov_b32 s2, 0
	s_mov_b32 s6, -1
	s_wait_loadcnt 0x0
	v_lshlrev_b32_e32 v8, 16, v8
	s_delay_alu instid0(VALU_DEP_1) | instskip(NEXT) | instid1(VALU_DEP_1)
	v_trunc_f32_e32 v8, v8
	v_mul_f32_e64 v9, 0x2f800000, |v8|
	s_delay_alu instid0(VALU_DEP_1) | instskip(NEXT) | instid1(VALU_DEP_1)
	v_floor_f32_e32 v9, v9
	v_fma_f32 v12, 0xcf800000, v9, |v8|
	v_ashrrev_i32_e32 v8, 31, v8
	v_cvt_u32_f32_e32 v13, v9
	s_delay_alu instid0(VALU_DEP_3) | instskip(NEXT) | instid1(VALU_DEP_2)
	v_cvt_u32_f32_e32 v12, v12
	v_dual_mov_b32 v9, v8 :: v_dual_bitop2_b32 v13, v13, v8 bitop3:0x14
	s_delay_alu instid0(VALU_DEP_2) | instskip(NEXT) | instid1(VALU_DEP_1)
	v_xor_b32_e32 v12, v12, v8
	v_sub_nc_u64_e32 v[8:9], v[12:13], v[8:9]
	s_branch .LBB30_2469
.LBB30_2461:
	s_mov_b32 s0, -1
	s_mov_b32 s6, 0
                                        ; implicit-def: $vgpr8_vgpr9
	s_branch .LBB30_2531
.LBB30_2462:
	s_mov_b32 s7, -1
	s_mov_b32 s6, 0
	s_mov_b32 s2, 0
                                        ; implicit-def: $vgpr8_vgpr9
	s_branch .LBB30_2496
.LBB30_2463:
	s_mov_b32 s7, -1
	s_mov_b32 s6, 0
	s_mov_b32 s2, 0
                                        ; implicit-def: $vgpr8_vgpr9
	s_branch .LBB30_2479
.LBB30_2464:
	s_mov_b32 s7, -1
	s_mov_b32 s6, 0
	s_mov_b32 s2, 0
                                        ; implicit-def: $vgpr8_vgpr9
	s_branch .LBB30_2474
.LBB30_2465:
	s_or_b32 s12, s12, exec_lo
	s_trap 2
	s_cbranch_execz .LBB30_2402
	s_branch .LBB30_2403
.LBB30_2466:
	s_mov_b32 s7, -1
	s_mov_b32 s6, 0
	s_mov_b32 s2, 0
	s_branch .LBB30_2468
.LBB30_2467:
	s_mov_b32 s2, -1
	s_mov_b32 s6, 0
.LBB30_2468:
                                        ; implicit-def: $vgpr8_vgpr9
.LBB30_2469:
	s_and_b32 vcc_lo, exec_lo, s7
	s_cbranch_vccz .LBB30_2473
; %bb.2470:
	s_cmp_eq_u32 s0, 44
	s_cbranch_scc0 .LBB30_2472
; %bb.2471:
	global_load_u8 v14, v[6:7], off
	s_mov_b32 s2, 0
	s_mov_b32 s6, -1
	s_wait_loadcnt 0x0
	v_cmp_ne_u32_e32 vcc_lo, 0, v14
	v_lshlrev_b32_e32 v8, 23, v14
	s_delay_alu instid0(VALU_DEP_1) | instskip(NEXT) | instid1(VALU_DEP_1)
	v_trunc_f32_e32 v8, v8
	v_mul_f32_e64 v9, 0x2f800000, |v8|
	s_delay_alu instid0(VALU_DEP_1) | instskip(NEXT) | instid1(VALU_DEP_1)
	v_floor_f32_e32 v9, v9
	v_fma_f32 v12, 0xcf800000, v9, |v8|
	v_ashrrev_i32_e32 v8, 31, v8
	v_cvt_u32_f32_e32 v13, v9
	s_delay_alu instid0(VALU_DEP_3) | instskip(NEXT) | instid1(VALU_DEP_2)
	v_cvt_u32_f32_e32 v12, v12
	v_dual_mov_b32 v9, v8 :: v_dual_bitop2_b32 v13, v13, v8 bitop3:0x14
	s_delay_alu instid0(VALU_DEP_2) | instskip(NEXT) | instid1(VALU_DEP_1)
	v_xor_b32_e32 v12, v12, v8
	v_sub_nc_u64_e32 v[8:9], v[12:13], v[8:9]
	s_delay_alu instid0(VALU_DEP_1)
	v_dual_cndmask_b32 v9, 0, v9 :: v_dual_cndmask_b32 v8, 0, v8
	s_branch .LBB30_2473
.LBB30_2472:
	s_mov_b32 s2, -1
                                        ; implicit-def: $vgpr8_vgpr9
.LBB30_2473:
	s_mov_b32 s7, 0
.LBB30_2474:
	s_delay_alu instid0(SALU_CYCLE_1)
	s_and_b32 vcc_lo, exec_lo, s7
	s_cbranch_vccz .LBB30_2478
; %bb.2475:
	s_cmp_eq_u32 s0, 29
	s_cbranch_scc0 .LBB30_2477
; %bb.2476:
	global_load_b64 v[8:9], v[6:7], off
	s_mov_b32 s2, 0
	s_mov_b32 s6, -1
	s_branch .LBB30_2478
.LBB30_2477:
	s_mov_b32 s2, -1
                                        ; implicit-def: $vgpr8_vgpr9
.LBB30_2478:
	s_mov_b32 s7, 0
.LBB30_2479:
	s_delay_alu instid0(SALU_CYCLE_1)
	s_and_b32 vcc_lo, exec_lo, s7
	s_cbranch_vccz .LBB30_2495
; %bb.2480:
	s_cmp_lt_i32 s0, 27
	s_cbranch_scc1 .LBB30_2483
; %bb.2481:
	s_cmp_gt_i32 s0, 27
	s_cbranch_scc0 .LBB30_2484
; %bb.2482:
	s_wait_loadcnt 0x0
	global_load_b32 v8, v[6:7], off
	v_mov_b32_e32 v9, 0
	s_mov_b32 s6, 0
	s_branch .LBB30_2485
.LBB30_2483:
	s_mov_b32 s6, -1
                                        ; implicit-def: $vgpr8_vgpr9
	s_branch .LBB30_2488
.LBB30_2484:
	s_mov_b32 s6, -1
                                        ; implicit-def: $vgpr8_vgpr9
.LBB30_2485:
	s_delay_alu instid0(SALU_CYCLE_1)
	s_and_not1_b32 vcc_lo, exec_lo, s6
	s_cbranch_vccnz .LBB30_2487
; %bb.2486:
	s_wait_loadcnt 0x0
	global_load_u16 v8, v[6:7], off
	s_mov_b32 s6, 0
	s_delay_alu instid0(SALU_CYCLE_1)
	v_mov_b32_e32 v9, s6
	s_wait_loadcnt 0x0
	v_and_b32_e32 v8, 0xffff, v8
.LBB30_2487:
	s_mov_b32 s6, 0
.LBB30_2488:
	s_delay_alu instid0(SALU_CYCLE_1)
	s_and_not1_b32 vcc_lo, exec_lo, s6
	s_cbranch_vccnz .LBB30_2494
; %bb.2489:
	global_load_u8 v12, v[6:7], off
	s_mov_b32 s7, 0
	s_mov_b32 s6, exec_lo
	s_wait_loadcnt 0x0
	v_cmpx_lt_i16_e32 0x7f, v12
	s_xor_b32 s6, exec_lo, s6
	s_cbranch_execz .LBB30_2506
; %bb.2490:
	v_cmp_ne_u16_e32 vcc_lo, 0x80, v12
	s_and_b32 s7, vcc_lo, exec_lo
	s_and_not1_saveexec_b32 s6, s6
	s_cbranch_execnz .LBB30_2507
.LBB30_2491:
	s_or_b32 exec_lo, exec_lo, s6
	v_mov_b64_e32 v[8:9], 0
	s_and_saveexec_b32 s6, s7
	s_cbranch_execz .LBB30_2493
.LBB30_2492:
	v_and_b32_e32 v8, 0xffff, v12
	s_delay_alu instid0(VALU_DEP_1) | instskip(SKIP_1) | instid1(VALU_DEP_2)
	v_and_b32_e32 v9, 7, v8
	v_bfe_u32 v15, v8, 3, 4
	v_clz_i32_u32_e32 v13, v9
	s_delay_alu instid0(VALU_DEP_2) | instskip(NEXT) | instid1(VALU_DEP_2)
	v_cmp_eq_u32_e32 vcc_lo, 0, v15
	v_min_u32_e32 v13, 32, v13
	s_delay_alu instid0(VALU_DEP_1) | instskip(NEXT) | instid1(VALU_DEP_1)
	v_subrev_nc_u32_e32 v14, 28, v13
	v_dual_lshlrev_b32 v8, v14, v8 :: v_dual_sub_nc_u32 v13, 29, v13
	s_delay_alu instid0(VALU_DEP_1) | instskip(NEXT) | instid1(VALU_DEP_2)
	v_and_b32_e32 v8, 7, v8
	v_dual_cndmask_b32 v13, v15, v13 :: v_dual_lshlrev_b32 v12, 24, v12
	s_delay_alu instid0(VALU_DEP_2) | instskip(NEXT) | instid1(VALU_DEP_2)
	v_cndmask_b32_e32 v8, v9, v8, vcc_lo
	v_and_b32_e32 v9, 0x80000000, v12
	s_delay_alu instid0(VALU_DEP_3) | instskip(NEXT) | instid1(VALU_DEP_3)
	v_lshl_add_u32 v12, v13, 23, 0x3b800000
	v_lshlrev_b32_e32 v8, 20, v8
	s_delay_alu instid0(VALU_DEP_1) | instskip(NEXT) | instid1(VALU_DEP_1)
	v_or3_b32 v8, v9, v12, v8
	v_trunc_f32_e32 v8, v8
	s_delay_alu instid0(VALU_DEP_1) | instskip(NEXT) | instid1(VALU_DEP_1)
	v_mul_f32_e64 v9, 0x2f800000, |v8|
	v_floor_f32_e32 v9, v9
	s_delay_alu instid0(VALU_DEP_1) | instskip(SKIP_2) | instid1(VALU_DEP_3)
	v_fma_f32 v12, 0xcf800000, v9, |v8|
	v_ashrrev_i32_e32 v8, 31, v8
	v_cvt_u32_f32_e32 v13, v9
	v_cvt_u32_f32_e32 v12, v12
	s_delay_alu instid0(VALU_DEP_2) | instskip(NEXT) | instid1(VALU_DEP_2)
	v_dual_mov_b32 v9, v8 :: v_dual_bitop2_b32 v13, v13, v8 bitop3:0x14
	v_xor_b32_e32 v12, v12, v8
	s_delay_alu instid0(VALU_DEP_1)
	v_sub_nc_u64_e32 v[8:9], v[12:13], v[8:9]
.LBB30_2493:
	s_or_b32 exec_lo, exec_lo, s6
.LBB30_2494:
	s_mov_b32 s6, -1
.LBB30_2495:
	s_mov_b32 s7, 0
.LBB30_2496:
	s_delay_alu instid0(SALU_CYCLE_1)
	s_and_b32 vcc_lo, exec_lo, s7
	s_cbranch_vccz .LBB30_2527
; %bb.2497:
	s_cmp_gt_i32 s0, 22
	s_cbranch_scc0 .LBB30_2505
; %bb.2498:
	s_cmp_lt_i32 s0, 24
	s_cbranch_scc1 .LBB30_2508
; %bb.2499:
	s_cmp_gt_i32 s0, 24
	s_cbranch_scc0 .LBB30_2509
; %bb.2500:
	global_load_u8 v12, v[6:7], off
	s_mov_b32 s6, 0
	s_mov_b32 s3, exec_lo
	s_wait_loadcnt 0x0
	v_cmpx_lt_i16_e32 0x7f, v12
	s_xor_b32 s3, exec_lo, s3
	s_cbranch_execz .LBB30_2521
; %bb.2501:
	v_cmp_ne_u16_e32 vcc_lo, 0x80, v12
	s_and_b32 s6, vcc_lo, exec_lo
	s_and_not1_saveexec_b32 s3, s3
	s_cbranch_execnz .LBB30_2522
.LBB30_2502:
	s_or_b32 exec_lo, exec_lo, s3
	v_mov_b64_e32 v[8:9], 0
	s_and_saveexec_b32 s3, s6
	s_cbranch_execz .LBB30_2504
.LBB30_2503:
	v_and_b32_e32 v8, 0xffff, v12
	s_delay_alu instid0(VALU_DEP_1) | instskip(SKIP_1) | instid1(VALU_DEP_2)
	v_and_b32_e32 v9, 3, v8
	v_bfe_u32 v15, v8, 2, 5
	v_clz_i32_u32_e32 v13, v9
	s_delay_alu instid0(VALU_DEP_2) | instskip(NEXT) | instid1(VALU_DEP_2)
	v_cmp_eq_u32_e32 vcc_lo, 0, v15
	v_min_u32_e32 v13, 32, v13
	s_delay_alu instid0(VALU_DEP_1) | instskip(NEXT) | instid1(VALU_DEP_1)
	v_subrev_nc_u32_e32 v14, 29, v13
	v_dual_lshlrev_b32 v8, v14, v8 :: v_dual_sub_nc_u32 v13, 30, v13
	s_delay_alu instid0(VALU_DEP_1) | instskip(NEXT) | instid1(VALU_DEP_2)
	v_and_b32_e32 v8, 3, v8
	v_dual_cndmask_b32 v13, v15, v13 :: v_dual_lshlrev_b32 v12, 24, v12
	s_delay_alu instid0(VALU_DEP_2) | instskip(NEXT) | instid1(VALU_DEP_2)
	v_cndmask_b32_e32 v8, v9, v8, vcc_lo
	v_and_b32_e32 v9, 0x80000000, v12
	s_delay_alu instid0(VALU_DEP_3) | instskip(NEXT) | instid1(VALU_DEP_3)
	v_lshl_add_u32 v12, v13, 23, 0x37800000
	v_lshlrev_b32_e32 v8, 21, v8
	s_delay_alu instid0(VALU_DEP_1) | instskip(NEXT) | instid1(VALU_DEP_1)
	v_or3_b32 v8, v9, v12, v8
	v_trunc_f32_e32 v8, v8
	s_delay_alu instid0(VALU_DEP_1) | instskip(NEXT) | instid1(VALU_DEP_1)
	v_mul_f32_e64 v9, 0x2f800000, |v8|
	v_floor_f32_e32 v9, v9
	s_delay_alu instid0(VALU_DEP_1) | instskip(SKIP_2) | instid1(VALU_DEP_3)
	v_fma_f32 v12, 0xcf800000, v9, |v8|
	v_ashrrev_i32_e32 v8, 31, v8
	v_cvt_u32_f32_e32 v13, v9
	v_cvt_u32_f32_e32 v12, v12
	s_delay_alu instid0(VALU_DEP_2) | instskip(NEXT) | instid1(VALU_DEP_2)
	v_dual_mov_b32 v9, v8 :: v_dual_bitop2_b32 v13, v13, v8 bitop3:0x14
	v_xor_b32_e32 v12, v12, v8
	s_delay_alu instid0(VALU_DEP_1)
	v_sub_nc_u64_e32 v[8:9], v[12:13], v[8:9]
.LBB30_2504:
	s_or_b32 exec_lo, exec_lo, s3
	s_mov_b32 s3, 0
	s_branch .LBB30_2510
.LBB30_2505:
	s_mov_b32 s3, -1
                                        ; implicit-def: $vgpr8_vgpr9
	s_branch .LBB30_2516
.LBB30_2506:
	s_and_not1_saveexec_b32 s6, s6
	s_cbranch_execz .LBB30_2491
.LBB30_2507:
	v_cmp_ne_u16_e32 vcc_lo, 0, v12
	s_and_not1_b32 s7, s7, exec_lo
	s_and_b32 s9, vcc_lo, exec_lo
	s_delay_alu instid0(SALU_CYCLE_1)
	s_or_b32 s7, s7, s9
	s_or_b32 exec_lo, exec_lo, s6
	v_mov_b64_e32 v[8:9], 0
	s_and_saveexec_b32 s6, s7
	s_cbranch_execnz .LBB30_2492
	s_branch .LBB30_2493
.LBB30_2508:
	s_mov_b32 s3, -1
                                        ; implicit-def: $vgpr8_vgpr9
	s_branch .LBB30_2513
.LBB30_2509:
	s_mov_b32 s3, -1
                                        ; implicit-def: $vgpr8_vgpr9
.LBB30_2510:
	s_delay_alu instid0(SALU_CYCLE_1)
	s_and_b32 vcc_lo, exec_lo, s3
	s_cbranch_vccz .LBB30_2512
; %bb.2511:
	s_wait_loadcnt 0x0
	global_load_u8 v8, v[6:7], off
	s_wait_loadcnt 0x0
	v_lshlrev_b32_e32 v8, 24, v8
	s_delay_alu instid0(VALU_DEP_1) | instskip(NEXT) | instid1(VALU_DEP_1)
	v_and_b32_e32 v9, 0x7f000000, v8
	v_clz_i32_u32_e32 v12, v9
	v_cmp_ne_u32_e32 vcc_lo, 0, v9
	v_add_nc_u32_e32 v14, 0x1000000, v9
	s_delay_alu instid0(VALU_DEP_3) | instskip(NEXT) | instid1(VALU_DEP_1)
	v_min_u32_e32 v12, 32, v12
	v_sub_nc_u32_e64 v12, v12, 4 clamp
	s_delay_alu instid0(VALU_DEP_1) | instskip(NEXT) | instid1(VALU_DEP_1)
	v_dual_lshlrev_b32 v13, v12, v9 :: v_dual_lshlrev_b32 v12, 23, v12
	v_lshrrev_b32_e32 v13, 4, v13
	s_delay_alu instid0(VALU_DEP_1) | instskip(NEXT) | instid1(VALU_DEP_1)
	v_dual_sub_nc_u32 v12, v13, v12 :: v_dual_ashrrev_i32 v13, 8, v14
	v_add_nc_u32_e32 v12, 0x3c000000, v12
	s_delay_alu instid0(VALU_DEP_1) | instskip(NEXT) | instid1(VALU_DEP_1)
	v_and_or_b32 v12, 0x7f800000, v13, v12
	v_cndmask_b32_e32 v9, 0, v12, vcc_lo
	s_delay_alu instid0(VALU_DEP_1) | instskip(NEXT) | instid1(VALU_DEP_1)
	v_and_or_b32 v8, 0x80000000, v8, v9
	v_trunc_f32_e32 v8, v8
	s_delay_alu instid0(VALU_DEP_1) | instskip(NEXT) | instid1(VALU_DEP_1)
	v_mul_f32_e64 v9, 0x2f800000, |v8|
	v_floor_f32_e32 v9, v9
	s_delay_alu instid0(VALU_DEP_1) | instskip(SKIP_2) | instid1(VALU_DEP_3)
	v_fma_f32 v12, 0xcf800000, v9, |v8|
	v_ashrrev_i32_e32 v8, 31, v8
	v_cvt_u32_f32_e32 v13, v9
	v_cvt_u32_f32_e32 v12, v12
	s_delay_alu instid0(VALU_DEP_2) | instskip(NEXT) | instid1(VALU_DEP_2)
	v_dual_mov_b32 v9, v8 :: v_dual_bitop2_b32 v13, v13, v8 bitop3:0x14
	v_xor_b32_e32 v12, v12, v8
	s_delay_alu instid0(VALU_DEP_1)
	v_sub_nc_u64_e32 v[8:9], v[12:13], v[8:9]
.LBB30_2512:
	s_mov_b32 s3, 0
.LBB30_2513:
	s_delay_alu instid0(SALU_CYCLE_1)
	s_and_not1_b32 vcc_lo, exec_lo, s3
	s_cbranch_vccnz .LBB30_2515
; %bb.2514:
	s_wait_loadcnt 0x0
	global_load_u8 v8, v[6:7], off
	s_wait_loadcnt 0x0
	v_lshlrev_b32_e32 v9, 25, v8
	v_lshlrev_b16 v8, 8, v8
	s_delay_alu instid0(VALU_DEP_1) | instskip(SKIP_1) | instid1(VALU_DEP_2)
	v_and_or_b32 v13, 0x7f00, v8, 0.5
	v_bfe_i32 v8, v8, 0, 16
	v_add_f32_e32 v13, -0.5, v13
	v_lshrrev_b32_e32 v12, 4, v9
	v_cmp_gt_u32_e32 vcc_lo, 0x8000000, v9
	s_delay_alu instid0(VALU_DEP_2) | instskip(NEXT) | instid1(VALU_DEP_1)
	v_or_b32_e32 v12, 0x70000000, v12
	v_mul_f32_e32 v12, 0x7800000, v12
	s_delay_alu instid0(VALU_DEP_1) | instskip(NEXT) | instid1(VALU_DEP_1)
	v_cndmask_b32_e32 v9, v12, v13, vcc_lo
	v_and_or_b32 v8, 0x80000000, v8, v9
	s_delay_alu instid0(VALU_DEP_1) | instskip(NEXT) | instid1(VALU_DEP_1)
	v_trunc_f32_e32 v8, v8
	v_mul_f32_e64 v9, 0x2f800000, |v8|
	s_delay_alu instid0(VALU_DEP_1) | instskip(NEXT) | instid1(VALU_DEP_1)
	v_floor_f32_e32 v9, v9
	v_fma_f32 v12, 0xcf800000, v9, |v8|
	v_ashrrev_i32_e32 v8, 31, v8
	v_cvt_u32_f32_e32 v13, v9
	s_delay_alu instid0(VALU_DEP_3) | instskip(NEXT) | instid1(VALU_DEP_2)
	v_cvt_u32_f32_e32 v12, v12
	v_dual_mov_b32 v9, v8 :: v_dual_bitop2_b32 v13, v13, v8 bitop3:0x14
	s_delay_alu instid0(VALU_DEP_2) | instskip(NEXT) | instid1(VALU_DEP_1)
	v_xor_b32_e32 v12, v12, v8
	v_sub_nc_u64_e32 v[8:9], v[12:13], v[8:9]
.LBB30_2515:
	s_mov_b32 s3, 0
	s_mov_b32 s6, -1
.LBB30_2516:
	s_and_not1_b32 vcc_lo, exec_lo, s3
	s_mov_b32 s3, 0
	s_cbranch_vccnz .LBB30_2527
; %bb.2517:
	s_cmp_gt_i32 s0, 14
	s_cbranch_scc0 .LBB30_2520
; %bb.2518:
	s_cmp_eq_u32 s0, 15
	s_cbranch_scc0 .LBB30_2523
; %bb.2519:
	s_wait_loadcnt 0x0
	global_load_u16 v8, v[6:7], off
	s_mov_b32 s2, 0
	s_mov_b32 s6, -1
	s_wait_loadcnt 0x0
	v_lshlrev_b32_e32 v8, 16, v8
	s_delay_alu instid0(VALU_DEP_1) | instskip(NEXT) | instid1(VALU_DEP_1)
	v_trunc_f32_e32 v8, v8
	v_mul_f32_e64 v9, 0x2f800000, |v8|
	s_delay_alu instid0(VALU_DEP_1) | instskip(NEXT) | instid1(VALU_DEP_1)
	v_floor_f32_e32 v9, v9
	v_fma_f32 v12, 0xcf800000, v9, |v8|
	v_ashrrev_i32_e32 v8, 31, v8
	v_cvt_u32_f32_e32 v13, v9
	s_delay_alu instid0(VALU_DEP_3) | instskip(NEXT) | instid1(VALU_DEP_2)
	v_cvt_u32_f32_e32 v12, v12
	v_dual_mov_b32 v9, v8 :: v_dual_bitop2_b32 v13, v13, v8 bitop3:0x14
	s_delay_alu instid0(VALU_DEP_2) | instskip(NEXT) | instid1(VALU_DEP_1)
	v_xor_b32_e32 v12, v12, v8
	v_sub_nc_u64_e32 v[8:9], v[12:13], v[8:9]
	s_branch .LBB30_2525
.LBB30_2520:
	s_mov_b32 s3, -1
	s_branch .LBB30_2524
.LBB30_2521:
	s_and_not1_saveexec_b32 s3, s3
	s_cbranch_execz .LBB30_2502
.LBB30_2522:
	v_cmp_ne_u16_e32 vcc_lo, 0, v12
	s_and_not1_b32 s6, s6, exec_lo
	s_and_b32 s7, vcc_lo, exec_lo
	s_delay_alu instid0(SALU_CYCLE_1)
	s_or_b32 s6, s6, s7
	s_or_b32 exec_lo, exec_lo, s3
	v_mov_b64_e32 v[8:9], 0
	s_and_saveexec_b32 s3, s6
	s_cbranch_execnz .LBB30_2503
	s_branch .LBB30_2504
.LBB30_2523:
	s_mov_b32 s2, -1
.LBB30_2524:
                                        ; implicit-def: $vgpr8_vgpr9
.LBB30_2525:
	s_and_b32 vcc_lo, exec_lo, s3
	s_mov_b32 s3, 0
	s_cbranch_vccz .LBB30_2527
; %bb.2526:
	s_cmp_lg_u32 s0, 11
	s_mov_b32 s3, -1
	s_cselect_b32 s2, -1, 0
.LBB30_2527:
	s_delay_alu instid0(SALU_CYCLE_1)
	s_and_b32 vcc_lo, exec_lo, s2
	s_cbranch_vccnz .LBB30_3069
; %bb.2528:
	s_and_not1_b32 vcc_lo, exec_lo, s3
	s_cbranch_vccnz .LBB30_2530
.LBB30_2529:
	s_wait_loadcnt 0x0
	global_load_u8 v8, v[6:7], off
	s_mov_b32 s0, 0
	s_mov_b32 s6, -1
	v_mov_b32_e32 v9, s0
	s_wait_loadcnt 0x0
	v_cmp_ne_u16_e32 vcc_lo, 0, v8
	v_cndmask_b32_e64 v8, 0, 1, vcc_lo
.LBB30_2530:
	s_mov_b32 s0, 0
.LBB30_2531:
	s_delay_alu instid0(SALU_CYCLE_1)
	s_and_b32 vcc_lo, exec_lo, s0
	s_cbranch_vccz .LBB30_2580
; %bb.2532:
	s_and_b32 s0, 0xffff, s1
	s_delay_alu instid0(SALU_CYCLE_1)
	s_cmp_lt_i32 s0, 5
	s_cbranch_scc1 .LBB30_2537
; %bb.2533:
	s_cmp_lt_i32 s0, 8
	s_cbranch_scc1 .LBB30_2538
; %bb.2534:
	;; [unrolled: 3-line block ×3, first 2 shown]
	s_cmp_gt_i32 s0, 9
	s_cbranch_scc0 .LBB30_2540
; %bb.2536:
	s_wait_loadcnt 0x0
	global_load_b64 v[8:9], v[6:7], off
	s_mov_b32 s1, 0
	s_wait_loadcnt 0x0
	v_trunc_f64_e32 v[8:9], v[8:9]
	s_delay_alu instid0(VALU_DEP_1) | instskip(NEXT) | instid1(VALU_DEP_1)
	v_ldexp_f64 v[12:13], v[8:9], 0xffffffe0
	v_floor_f64_e32 v[12:13], v[12:13]
	s_delay_alu instid0(VALU_DEP_1) | instskip(SKIP_1) | instid1(VALU_DEP_2)
	v_fmamk_f64 v[14:15], v[12:13], 0xc1f00000, v[8:9]
	v_cvt_i32_f64_e32 v9, v[12:13]
	v_cvt_u32_f64_e32 v8, v[14:15]
	s_branch .LBB30_2541
.LBB30_2537:
	s_mov_b32 s1, -1
                                        ; implicit-def: $vgpr8_vgpr9
	s_branch .LBB30_2559
.LBB30_2538:
	s_mov_b32 s1, -1
                                        ; implicit-def: $vgpr8_vgpr9
	s_branch .LBB30_2547
.LBB30_2539:
	s_mov_b32 s1, -1
                                        ; implicit-def: $vgpr8_vgpr9
	s_branch .LBB30_2544
.LBB30_2540:
	s_mov_b32 s1, -1
                                        ; implicit-def: $vgpr8_vgpr9
.LBB30_2541:
	s_delay_alu instid0(SALU_CYCLE_1)
	s_and_not1_b32 vcc_lo, exec_lo, s1
	s_cbranch_vccnz .LBB30_2543
; %bb.2542:
	s_wait_loadcnt 0x0
	global_load_b32 v8, v[6:7], off
	s_wait_loadcnt 0x0
	v_trunc_f32_e32 v8, v8
	s_delay_alu instid0(VALU_DEP_1) | instskip(NEXT) | instid1(VALU_DEP_1)
	v_mul_f32_e64 v9, 0x2f800000, |v8|
	v_floor_f32_e32 v9, v9
	s_delay_alu instid0(VALU_DEP_1) | instskip(SKIP_2) | instid1(VALU_DEP_3)
	v_fma_f32 v12, 0xcf800000, v9, |v8|
	v_ashrrev_i32_e32 v8, 31, v8
	v_cvt_u32_f32_e32 v13, v9
	v_cvt_u32_f32_e32 v12, v12
	s_delay_alu instid0(VALU_DEP_2) | instskip(NEXT) | instid1(VALU_DEP_2)
	v_dual_mov_b32 v9, v8 :: v_dual_bitop2_b32 v13, v13, v8 bitop3:0x14
	v_xor_b32_e32 v12, v12, v8
	s_delay_alu instid0(VALU_DEP_1)
	v_sub_nc_u64_e32 v[8:9], v[12:13], v[8:9]
.LBB30_2543:
	s_mov_b32 s1, 0
.LBB30_2544:
	s_delay_alu instid0(SALU_CYCLE_1)
	s_and_not1_b32 vcc_lo, exec_lo, s1
	s_cbranch_vccnz .LBB30_2546
; %bb.2545:
	s_wait_loadcnt 0x0
	global_load_b32 v8, v[6:7], off
	s_wait_loadcnt 0x0
	v_cvt_f32_f16_e32 v8, v8
	s_delay_alu instid0(VALU_DEP_1) | instskip(NEXT) | instid1(VALU_DEP_1)
	v_cvt_i32_f32_e32 v8, v8
	v_ashrrev_i32_e32 v9, 31, v8
.LBB30_2546:
	s_mov_b32 s1, 0
.LBB30_2547:
	s_delay_alu instid0(SALU_CYCLE_1)
	s_and_not1_b32 vcc_lo, exec_lo, s1
	s_cbranch_vccnz .LBB30_2558
; %bb.2548:
	s_cmp_lt_i32 s0, 6
	s_cbranch_scc1 .LBB30_2551
; %bb.2549:
	s_cmp_gt_i32 s0, 6
	s_cbranch_scc0 .LBB30_2552
; %bb.2550:
	s_wait_loadcnt 0x0
	global_load_b64 v[8:9], v[6:7], off
	s_mov_b32 s1, 0
	s_wait_loadcnt 0x0
	v_trunc_f64_e32 v[8:9], v[8:9]
	s_delay_alu instid0(VALU_DEP_1) | instskip(NEXT) | instid1(VALU_DEP_1)
	v_ldexp_f64 v[12:13], v[8:9], 0xffffffe0
	v_floor_f64_e32 v[12:13], v[12:13]
	s_delay_alu instid0(VALU_DEP_1) | instskip(SKIP_1) | instid1(VALU_DEP_2)
	v_fmamk_f64 v[14:15], v[12:13], 0xc1f00000, v[8:9]
	v_cvt_i32_f64_e32 v9, v[12:13]
	v_cvt_u32_f64_e32 v8, v[14:15]
	s_branch .LBB30_2553
.LBB30_2551:
	s_mov_b32 s1, -1
                                        ; implicit-def: $vgpr8_vgpr9
	s_branch .LBB30_2556
.LBB30_2552:
	s_mov_b32 s1, -1
                                        ; implicit-def: $vgpr8_vgpr9
.LBB30_2553:
	s_delay_alu instid0(SALU_CYCLE_1)
	s_and_not1_b32 vcc_lo, exec_lo, s1
	s_cbranch_vccnz .LBB30_2555
; %bb.2554:
	s_wait_loadcnt 0x0
	global_load_b32 v8, v[6:7], off
	s_wait_loadcnt 0x0
	v_trunc_f32_e32 v8, v8
	s_delay_alu instid0(VALU_DEP_1) | instskip(NEXT) | instid1(VALU_DEP_1)
	v_mul_f32_e64 v9, 0x2f800000, |v8|
	v_floor_f32_e32 v9, v9
	s_delay_alu instid0(VALU_DEP_1) | instskip(SKIP_2) | instid1(VALU_DEP_3)
	v_fma_f32 v12, 0xcf800000, v9, |v8|
	v_ashrrev_i32_e32 v8, 31, v8
	v_cvt_u32_f32_e32 v13, v9
	v_cvt_u32_f32_e32 v12, v12
	s_delay_alu instid0(VALU_DEP_2) | instskip(NEXT) | instid1(VALU_DEP_2)
	v_dual_mov_b32 v9, v8 :: v_dual_bitop2_b32 v13, v13, v8 bitop3:0x14
	v_xor_b32_e32 v12, v12, v8
	s_delay_alu instid0(VALU_DEP_1)
	v_sub_nc_u64_e32 v[8:9], v[12:13], v[8:9]
.LBB30_2555:
	s_mov_b32 s1, 0
.LBB30_2556:
	s_delay_alu instid0(SALU_CYCLE_1)
	s_and_not1_b32 vcc_lo, exec_lo, s1
	s_cbranch_vccnz .LBB30_2558
; %bb.2557:
	s_wait_loadcnt 0x0
	global_load_u16 v8, v[6:7], off
	s_wait_loadcnt 0x0
	v_cvt_f32_f16_e32 v8, v8
	s_delay_alu instid0(VALU_DEP_1) | instskip(NEXT) | instid1(VALU_DEP_1)
	v_cvt_i32_f32_e32 v8, v8
	v_ashrrev_i32_e32 v9, 31, v8
.LBB30_2558:
	s_mov_b32 s1, 0
.LBB30_2559:
	s_delay_alu instid0(SALU_CYCLE_1)
	s_and_not1_b32 vcc_lo, exec_lo, s1
	s_cbranch_vccnz .LBB30_2579
; %bb.2560:
	s_cmp_lt_i32 s0, 2
	s_cbranch_scc1 .LBB30_2564
; %bb.2561:
	s_cmp_lt_i32 s0, 3
	s_cbranch_scc1 .LBB30_2565
; %bb.2562:
	s_cmp_gt_i32 s0, 3
	s_cbranch_scc0 .LBB30_2566
; %bb.2563:
	s_wait_loadcnt 0x0
	global_load_b64 v[8:9], v[6:7], off
	s_mov_b32 s1, 0
	s_branch .LBB30_2567
.LBB30_2564:
	s_mov_b32 s1, -1
                                        ; implicit-def: $vgpr8_vgpr9
	s_branch .LBB30_2573
.LBB30_2565:
	s_mov_b32 s1, -1
                                        ; implicit-def: $vgpr8_vgpr9
	s_branch .LBB30_2570
.LBB30_2566:
	s_mov_b32 s1, -1
                                        ; implicit-def: $vgpr8_vgpr9
.LBB30_2567:
	s_delay_alu instid0(SALU_CYCLE_1)
	s_and_not1_b32 vcc_lo, exec_lo, s1
	s_cbranch_vccnz .LBB30_2569
; %bb.2568:
	s_wait_loadcnt 0x0
	global_load_b32 v8, v[6:7], off
	s_wait_loadcnt 0x0
	v_ashrrev_i32_e32 v9, 31, v8
.LBB30_2569:
	s_mov_b32 s1, 0
.LBB30_2570:
	s_delay_alu instid0(SALU_CYCLE_1)
	s_and_not1_b32 vcc_lo, exec_lo, s1
	s_cbranch_vccnz .LBB30_2572
; %bb.2571:
	s_wait_loadcnt 0x0
	global_load_u16 v8, v[6:7], off
	s_wait_loadcnt 0x0
	v_bfe_i32 v8, v8, 0, 16
	s_delay_alu instid0(VALU_DEP_1)
	v_ashrrev_i32_e32 v9, 31, v8
.LBB30_2572:
	s_mov_b32 s1, 0
.LBB30_2573:
	s_delay_alu instid0(SALU_CYCLE_1)
	s_and_not1_b32 vcc_lo, exec_lo, s1
	s_cbranch_vccnz .LBB30_2579
; %bb.2574:
	s_cmp_gt_i32 s0, 0
	s_mov_b32 s0, 0
	s_cbranch_scc0 .LBB30_2576
; %bb.2575:
	s_wait_loadcnt 0x0
	global_load_i8 v8, v[6:7], off
	s_wait_loadcnt 0x0
	v_bfe_i32 v8, v8, 0, 16
	s_delay_alu instid0(VALU_DEP_1)
	v_ashrrev_i32_e32 v9, 31, v8
	s_branch .LBB30_2577
.LBB30_2576:
	s_mov_b32 s0, -1
                                        ; implicit-def: $vgpr8_vgpr9
.LBB30_2577:
	s_delay_alu instid0(SALU_CYCLE_1)
	s_and_not1_b32 vcc_lo, exec_lo, s0
	s_cbranch_vccnz .LBB30_2579
; %bb.2578:
	global_load_u8 v6, v[6:7], off
	s_mov_b32 s0, 0
	s_wait_loadcnt 0x1
	v_mov_b32_e32 v9, s0
	s_wait_loadcnt 0x0
	v_and_b32_e32 v8, 0xffff, v6
.LBB30_2579:
	s_mov_b32 s6, -1
.LBB30_2580:
	s_delay_alu instid0(SALU_CYCLE_1)
	s_and_not1_b32 vcc_lo, exec_lo, s6
	s_cbranch_vccnz .LBB30_2583
; %bb.2581:
	s_wait_loadcnt 0x0
	s_delay_alu instid0(VALU_DEP_1) | instskip(SKIP_1) | instid1(VALU_DEP_1)
	v_sub_nc_u64_e32 v[6:7], 0, v[8:9]
	s_mov_b32 s1, exec_lo
	v_max_i64 v[6:7], v[8:9], v[6:7]
	v_cmpx_ne_u64_e32 0, v[10:11]
	s_cbranch_execz .LBB30_2634
; %bb.2582:
	v_sub_nc_u64_e32 v[8:9], 0, v[10:11]
	s_mov_b32 s2, 0
	s_delay_alu instid0(VALU_DEP_1)
	v_max_i64 v[12:13], v[10:11], v[8:9]
	v_mov_b32_e32 v8, 0
	s_branch .LBB30_2629
.LBB30_2583:
	s_mov_b32 s0, 0
	s_mov_b32 s2, 0
                                        ; implicit-def: $sgpr16
                                        ; implicit-def: $vgpr0_vgpr1
                                        ; implicit-def: $vgpr6_vgpr7
.LBB30_2584:
	s_and_not1_b32 s1, s15, exec_lo
	s_and_b32 s3, s12, exec_lo
	s_and_b32 s0, s0, exec_lo
	;; [unrolled: 1-line block ×3, first 2 shown]
	s_or_b32 s15, s1, s3
.LBB30_2585:
	s_wait_xcnt 0x0
	s_or_b32 exec_lo, exec_lo, s14
	s_and_saveexec_b32 s1, s15
	s_cbranch_execz .LBB30_2588
; %bb.2586:
	; divergent unreachable
	s_or_b32 exec_lo, exec_lo, s1
	s_and_saveexec_b32 s1, s12
	s_delay_alu instid0(SALU_CYCLE_1)
	s_xor_b32 s1, exec_lo, s1
	s_cbranch_execnz .LBB30_2589
.LBB30_2587:
	s_or_b32 exec_lo, exec_lo, s1
	s_and_saveexec_b32 s1, s0
	s_cbranch_execnz .LBB30_2590
	s_branch .LBB30_2627
.LBB30_2588:
	s_or_b32 exec_lo, exec_lo, s1
	s_and_saveexec_b32 s1, s12
	s_delay_alu instid0(SALU_CYCLE_1)
	s_xor_b32 s1, exec_lo, s1
	s_cbranch_execz .LBB30_2587
.LBB30_2589:
	s_wait_loadcnt 0x0
	v_cmp_ne_u64_e32 vcc_lo, 0, v[6:7]
	v_cndmask_b32_e64 v2, 0, 1, vcc_lo
	global_store_b8 v[0:1], v2, off
	s_wait_xcnt 0x0
	s_or_b32 exec_lo, exec_lo, s1
	s_and_saveexec_b32 s1, s0
	s_cbranch_execz .LBB30_2627
.LBB30_2590:
	s_sext_i32_i16 s1, s16
	s_mov_b32 s0, -1
	s_cmp_lt_i32 s1, 5
	s_cbranch_scc1 .LBB30_2611
; %bb.2591:
	s_cmp_lt_i32 s1, 8
	s_cbranch_scc1 .LBB30_2601
; %bb.2592:
	;; [unrolled: 3-line block ×3, first 2 shown]
	s_cmp_gt_i32 s1, 9
	s_cbranch_scc0 .LBB30_2595
; %bb.2594:
	s_wait_loadcnt 0x0
	v_cvt_f64_u32_e32 v[2:3], v7
	v_cvt_f64_u32_e32 v[4:5], v6
	s_mov_b32 s0, 0
	s_delay_alu instid0(VALU_DEP_2) | instskip(NEXT) | instid1(VALU_DEP_1)
	v_ldexp_f64 v[2:3], v[2:3], 32
	v_dual_add_f64 v[2:3], v[2:3], v[4:5] :: v_dual_mov_b32 v4, 0
	s_delay_alu instid0(VALU_DEP_1)
	v_mov_b32_e32 v5, v4
	global_store_b128 v[0:1], v[2:5], off
.LBB30_2595:
	s_and_not1_b32 vcc_lo, exec_lo, s0
	s_cbranch_vccnz .LBB30_2597
; %bb.2596:
	s_wait_loadcnt 0x0
	v_clz_i32_u32_e32 v2, v7
	s_delay_alu instid0(VALU_DEP_1) | instskip(NEXT) | instid1(VALU_DEP_1)
	v_min_u32_e32 v4, 32, v2
	v_lshlrev_b64_e32 v[2:3], v4, v[6:7]
	s_delay_alu instid0(VALU_DEP_1) | instskip(NEXT) | instid1(VALU_DEP_1)
	v_min_u32_e32 v2, 1, v2
	v_dual_sub_nc_u32 v3, 32, v4 :: v_dual_bitop2_b32 v2, v3, v2 bitop3:0x54
	s_delay_alu instid0(VALU_DEP_1) | instskip(NEXT) | instid1(VALU_DEP_1)
	v_cvt_f32_u32_e32 v2, v2
	v_ldexp_f32 v2, v2, v3
	v_mov_b32_e32 v3, 0
	global_store_b64 v[0:1], v[2:3], off
.LBB30_2597:
	s_mov_b32 s0, 0
.LBB30_2598:
	s_delay_alu instid0(SALU_CYCLE_1)
	s_and_not1_b32 vcc_lo, exec_lo, s0
	s_cbranch_vccnz .LBB30_2600
; %bb.2599:
	s_wait_loadcnt 0x0
	v_clz_i32_u32_e32 v2, v7
	s_delay_alu instid0(VALU_DEP_1) | instskip(NEXT) | instid1(VALU_DEP_1)
	v_min_u32_e32 v4, 32, v2
	v_lshlrev_b64_e32 v[2:3], v4, v[6:7]
	s_delay_alu instid0(VALU_DEP_1) | instskip(NEXT) | instid1(VALU_DEP_1)
	v_min_u32_e32 v2, 1, v2
	v_dual_sub_nc_u32 v3, 32, v4 :: v_dual_bitop2_b32 v2, v3, v2 bitop3:0x54
	s_delay_alu instid0(VALU_DEP_1) | instskip(NEXT) | instid1(VALU_DEP_1)
	v_cvt_f32_u32_e32 v2, v2
	v_ldexp_f32 v2, v2, v3
	s_delay_alu instid0(VALU_DEP_1) | instskip(NEXT) | instid1(VALU_DEP_1)
	v_cvt_f16_f32_e32 v2, v2
	v_and_b32_e32 v2, 0xffff, v2
	global_store_b32 v[0:1], v2, off
.LBB30_2600:
	s_mov_b32 s0, 0
.LBB30_2601:
	s_delay_alu instid0(SALU_CYCLE_1)
	s_and_not1_b32 vcc_lo, exec_lo, s0
	s_cbranch_vccnz .LBB30_2610
; %bb.2602:
	s_sext_i32_i16 s1, s16
	s_mov_b32 s0, -1
	s_cmp_lt_i32 s1, 6
	s_cbranch_scc1 .LBB30_2608
; %bb.2603:
	s_cmp_gt_i32 s1, 6
	s_cbranch_scc0 .LBB30_2605
; %bb.2604:
	s_wait_loadcnt 0x0
	v_cvt_f64_u32_e32 v[2:3], v7
	v_cvt_f64_u32_e32 v[4:5], v6
	s_mov_b32 s0, 0
	s_delay_alu instid0(VALU_DEP_2) | instskip(NEXT) | instid1(VALU_DEP_1)
	v_ldexp_f64 v[2:3], v[2:3], 32
	v_add_f64_e32 v[2:3], v[2:3], v[4:5]
	global_store_b64 v[0:1], v[2:3], off
.LBB30_2605:
	s_and_not1_b32 vcc_lo, exec_lo, s0
	s_cbranch_vccnz .LBB30_2607
; %bb.2606:
	s_wait_loadcnt 0x0
	v_clz_i32_u32_e32 v2, v7
	s_delay_alu instid0(VALU_DEP_1) | instskip(NEXT) | instid1(VALU_DEP_1)
	v_min_u32_e32 v4, 32, v2
	v_lshlrev_b64_e32 v[2:3], v4, v[6:7]
	s_delay_alu instid0(VALU_DEP_1) | instskip(NEXT) | instid1(VALU_DEP_1)
	v_min_u32_e32 v2, 1, v2
	v_dual_sub_nc_u32 v3, 32, v4 :: v_dual_bitop2_b32 v2, v3, v2 bitop3:0x54
	s_delay_alu instid0(VALU_DEP_1) | instskip(NEXT) | instid1(VALU_DEP_1)
	v_cvt_f32_u32_e32 v2, v2
	v_ldexp_f32 v2, v2, v3
	global_store_b32 v[0:1], v2, off
.LBB30_2607:
	s_mov_b32 s0, 0
.LBB30_2608:
	s_delay_alu instid0(SALU_CYCLE_1)
	s_and_not1_b32 vcc_lo, exec_lo, s0
	s_cbranch_vccnz .LBB30_2610
; %bb.2609:
	s_wait_loadcnt 0x0
	v_clz_i32_u32_e32 v2, v7
	s_delay_alu instid0(VALU_DEP_1) | instskip(NEXT) | instid1(VALU_DEP_1)
	v_min_u32_e32 v4, 32, v2
	v_lshlrev_b64_e32 v[2:3], v4, v[6:7]
	s_delay_alu instid0(VALU_DEP_1) | instskip(NEXT) | instid1(VALU_DEP_1)
	v_min_u32_e32 v2, 1, v2
	v_dual_sub_nc_u32 v3, 32, v4 :: v_dual_bitop2_b32 v2, v3, v2 bitop3:0x54
	s_delay_alu instid0(VALU_DEP_1) | instskip(NEXT) | instid1(VALU_DEP_1)
	v_cvt_f32_u32_e32 v2, v2
	v_ldexp_f32 v2, v2, v3
	s_delay_alu instid0(VALU_DEP_1)
	v_cvt_f16_f32_e32 v2, v2
	global_store_b16 v[0:1], v2, off
.LBB30_2610:
	s_mov_b32 s0, 0
.LBB30_2611:
	s_delay_alu instid0(SALU_CYCLE_1)
	s_and_not1_b32 vcc_lo, exec_lo, s0
	s_cbranch_vccnz .LBB30_2627
; %bb.2612:
	s_sext_i32_i16 s1, s16
	s_mov_b32 s0, -1
	s_cmp_lt_i32 s1, 2
	s_cbranch_scc1 .LBB30_2622
; %bb.2613:
	s_cmp_lt_i32 s1, 3
	s_cbranch_scc1 .LBB30_2619
; %bb.2614:
	s_cmp_gt_i32 s1, 3
	s_cbranch_scc0 .LBB30_2616
; %bb.2615:
	s_mov_b32 s0, 0
	s_wait_loadcnt 0x0
	global_store_b64 v[0:1], v[6:7], off
.LBB30_2616:
	s_and_not1_b32 vcc_lo, exec_lo, s0
	s_cbranch_vccnz .LBB30_2618
; %bb.2617:
	s_wait_loadcnt 0x0
	global_store_b32 v[0:1], v6, off
.LBB30_2618:
	s_mov_b32 s0, 0
.LBB30_2619:
	s_delay_alu instid0(SALU_CYCLE_1)
	s_and_not1_b32 vcc_lo, exec_lo, s0
	s_cbranch_vccnz .LBB30_2621
; %bb.2620:
	s_wait_loadcnt 0x0
	global_store_b16 v[0:1], v6, off
.LBB30_2621:
	s_mov_b32 s0, 0
.LBB30_2622:
	s_delay_alu instid0(SALU_CYCLE_1)
	s_and_not1_b32 vcc_lo, exec_lo, s0
	s_cbranch_vccnz .LBB30_2627
; %bb.2623:
	s_sext_i32_i16 s0, s16
	s_delay_alu instid0(SALU_CYCLE_1)
	s_cmp_gt_i32 s0, 0
	s_mov_b32 s0, -1
	s_cbranch_scc0 .LBB30_2625
; %bb.2624:
	s_mov_b32 s0, 0
	s_wait_loadcnt 0x0
	global_store_b8 v[0:1], v6, off
.LBB30_2625:
	s_and_not1_b32 vcc_lo, exec_lo, s0
	s_cbranch_vccnz .LBB30_2627
; %bb.2626:
	s_wait_loadcnt 0x0
	global_store_b8 v[0:1], v6, off
	s_endpgm
.LBB30_2627:
	s_endpgm
.LBB30_2628:                            ;   in Loop: Header=BB30_2629 Depth=1
	s_or_b32 exec_lo, exec_lo, s0
	s_delay_alu instid0(VALU_DEP_1) | instskip(SKIP_2) | instid1(SALU_CYCLE_1)
	v_cmp_eq_u64_e32 vcc_lo, 0, v[12:13]
	v_mov_b64_e32 v[6:7], v[10:11]
	s_or_b32 s2, vcc_lo, s2
	s_and_not1_b32 exec_lo, exec_lo, s2
	s_cbranch_execz .LBB30_2633
.LBB30_2629:                            ; =>This Inner Loop Header: Depth=1
	s_delay_alu instid0(VALU_DEP_2) | instskip(SKIP_1) | instid1(VALU_DEP_1)
	v_mov_b64_e32 v[10:11], v[12:13]
                                        ; implicit-def: $vgpr12_vgpr13
	s_mov_b32 s0, exec_lo
	v_or_b32_e32 v9, v7, v11
	s_delay_alu instid0(VALU_DEP_1)
	v_cmpx_ne_u64_e32 0, v[8:9]
	s_xor_b32 s3, exec_lo, s0
	s_cbranch_execz .LBB30_2631
; %bb.2630:                             ;   in Loop: Header=BB30_2629 Depth=1
	s_delay_alu instid0(VALU_DEP_3) | instskip(SKIP_3) | instid1(VALU_DEP_3)
	v_cvt_f32_u32_e32 v9, v10
	v_cvt_f32_u32_e32 v12, v11
	v_sub_nc_u64_e32 v[14:15], 0, v[10:11]
	v_dual_mov_b32 v23, v8 :: v_dual_mov_b32 v25, v8
	v_fmac_f32_e32 v9, 0x4f800000, v12
	s_delay_alu instid0(VALU_DEP_1) | instskip(SKIP_1) | instid1(TRANS32_DEP_1)
	v_rcp_f32_e32 v9, v9
	v_nop
	v_mul_f32_e32 v9, 0x5f7ffffc, v9
	s_delay_alu instid0(VALU_DEP_1) | instskip(NEXT) | instid1(VALU_DEP_1)
	v_mul_f32_e32 v12, 0x2f800000, v9
	v_trunc_f32_e32 v13, v12
	s_delay_alu instid0(VALU_DEP_1) | instskip(SKIP_1) | instid1(VALU_DEP_2)
	v_cvt_u32_f32_e32 v19, v13
	v_fmac_f32_e32 v9, 0xcf800000, v13
	v_dual_mov_b32 v13, v8 :: v_dual_mov_b32 v24, v19
	s_delay_alu instid0(VALU_DEP_2) | instskip(NEXT) | instid1(VALU_DEP_1)
	v_cvt_u32_f32_e32 v12, v9
	v_mov_b32_e32 v18, v12
	s_delay_alu instid0(VALU_DEP_1) | instskip(NEXT) | instid1(VALU_DEP_1)
	v_mul_u64_e32 v[20:21], v[14:15], v[18:19]
	v_dual_mov_b32 v22, v21 :: v_dual_mov_b32 v21, v8
	s_delay_alu instid0(VALU_DEP_1) | instskip(NEXT) | instid1(VALU_DEP_2)
	v_mul_u64_e32 v[26:27], v[12:13], v[22:23]
	v_mul_u64_e32 v[28:29], v[24:25], v[20:21]
	;; [unrolled: 1-line block ×3, first 2 shown]
	v_mul_hi_u32 v20, v12, v20
	s_delay_alu instid0(VALU_DEP_1) | instskip(NEXT) | instid1(VALU_DEP_1)
	v_add_nc_u64_e32 v[20:21], v[20:21], v[26:27]
	v_add_co_u32 v9, vcc_lo, v20, v28
	s_delay_alu instid0(VALU_DEP_2) | instskip(SKIP_1) | instid1(VALU_DEP_1)
	v_add_co_ci_u32_e32 v24, vcc_lo, v21, v29, vcc_lo
	v_add_co_ci_u32_e32 v23, vcc_lo, 0, v23, vcc_lo
	v_add_nc_u64_e32 v[20:21], v[24:25], v[22:23]
	s_delay_alu instid0(VALU_DEP_1) | instskip(NEXT) | instid1(VALU_DEP_1)
	v_add_co_u32 v12, vcc_lo, v12, v20
	v_add_co_ci_u32_e64 v18, null, v19, v21, vcc_lo
	v_dual_mov_b32 v21, v8 :: v_dual_mov_b32 v19, v8
	s_delay_alu instid0(VALU_DEP_2) | instskip(NEXT) | instid1(VALU_DEP_1)
	v_mov_b32_e32 v13, v18
	v_mul_u64_e32 v[14:15], v[14:15], v[12:13]
	s_delay_alu instid0(VALU_DEP_1) | instskip(NEXT) | instid1(VALU_DEP_2)
	v_dual_mov_b32 v13, v8 :: v_dual_mov_b32 v20, v15
	v_dual_mov_b32 v24, v14 :: v_dual_mov_b32 v15, v8
	v_mul_hi_u32 v14, v12, v14
	s_delay_alu instid0(VALU_DEP_3) | instskip(NEXT) | instid1(VALU_DEP_3)
	v_mul_u64_e32 v[22:23], v[12:13], v[20:21]
	v_mul_u64_e32 v[24:25], v[18:19], v[24:25]
	;; [unrolled: 1-line block ×3, first 2 shown]
	s_delay_alu instid0(VALU_DEP_3) | instskip(SKIP_1) | instid1(VALU_DEP_2)
	v_add_nc_u64_e32 v[14:15], v[14:15], v[22:23]
	v_mov_b32_e32 v23, v8
	v_add_co_u32 v9, vcc_lo, v14, v24
	s_delay_alu instid0(VALU_DEP_3) | instskip(SKIP_1) | instid1(VALU_DEP_1)
	v_add_co_ci_u32_e32 v22, vcc_lo, v15, v25, vcc_lo
	v_add_co_ci_u32_e32 v21, vcc_lo, 0, v21, vcc_lo
	v_add_nc_u64_e32 v[14:15], v[22:23], v[20:21]
	v_dual_mov_b32 v20, v6 :: v_dual_mov_b32 v21, v8
	s_delay_alu instid0(VALU_DEP_2) | instskip(NEXT) | instid1(VALU_DEP_1)
	v_add_co_u32 v14, vcc_lo, v12, v14
	v_add_co_ci_u32_e64 v12, null, v18, v15, vcc_lo
	v_dual_mov_b32 v18, v7 :: v_dual_mov_b32 v15, v8
	s_delay_alu instid0(VALU_DEP_2) | instskip(NEXT) | instid1(VALU_DEP_2)
	v_mul_u64_e32 v[20:21], v[20:21], v[12:13]
	v_mul_u64_e32 v[12:13], v[18:19], v[12:13]
	s_delay_alu instid0(VALU_DEP_3) | instskip(SKIP_1) | instid1(VALU_DEP_1)
	v_mul_u64_e32 v[22:23], v[18:19], v[14:15]
	v_mul_hi_u32 v14, v6, v14
	v_add_nc_u64_e32 v[14:15], v[14:15], v[20:21]
	s_delay_alu instid0(VALU_DEP_1) | instskip(NEXT) | instid1(VALU_DEP_2)
	v_add_co_u32 v9, vcc_lo, v14, v22
	v_add_co_ci_u32_e32 v18, vcc_lo, v15, v23, vcc_lo
	v_add_co_ci_u32_e32 v13, vcc_lo, 0, v13, vcc_lo
	s_delay_alu instid0(VALU_DEP_1) | instskip(NEXT) | instid1(VALU_DEP_1)
	v_add_nc_u64_e32 v[12:13], v[18:19], v[12:13]
	v_mul_u64_e32 v[12:13], v[10:11], v[12:13]
	s_delay_alu instid0(VALU_DEP_1) | instskip(NEXT) | instid1(VALU_DEP_2)
	v_sub_nc_u32_e32 v9, v7, v13
	v_sub_co_u32 v6, vcc_lo, v6, v12
	s_delay_alu instid0(VALU_DEP_1) | instskip(NEXT) | instid1(VALU_DEP_3)
	v_sub_co_ci_u32_e64 v7, null, v7, v13, vcc_lo
	v_sub_co_ci_u32_e64 v9, null, v9, v11, vcc_lo
	s_delay_alu instid0(VALU_DEP_3) | instskip(SKIP_1) | instid1(VALU_DEP_3)
	v_sub_co_u32 v12, vcc_lo, v6, v10
	v_cmp_ge_u32_e64 s0, v6, v10
	v_subrev_co_ci_u32_e64 v13, null, 0, v9, vcc_lo
	v_sub_co_ci_u32_e64 v9, null, v9, v11, vcc_lo
	s_delay_alu instid0(VALU_DEP_3) | instskip(SKIP_2) | instid1(VALU_DEP_2)
	v_cndmask_b32_e64 v14, 0, -1, s0
	v_cmp_ge_u32_e64 s0, v12, v10
	v_cmp_ge_u32_e32 vcc_lo, v7, v11
	v_cndmask_b32_e64 v15, 0, -1, s0
	v_cmp_ge_u32_e64 s0, v13, v11
	v_cndmask_b32_e64 v18, 0, -1, vcc_lo
	v_cmp_eq_u32_e32 vcc_lo, v13, v11
	s_delay_alu instid0(VALU_DEP_3) | instskip(SKIP_1) | instid1(VALU_DEP_1)
	v_cndmask_b32_e64 v17, 0, -1, s0
	v_cmp_eq_u32_e64 s0, v7, v11
	v_dual_cndmask_b32 v15, v17, v15, vcc_lo :: v_dual_cndmask_b32 v14, v18, v14, s0
	v_sub_co_u32 v17, vcc_lo, v12, v10
	s_delay_alu instid0(VALU_DEP_1) | instskip(NEXT) | instid1(VALU_DEP_3)
	v_subrev_co_ci_u32_e64 v9, null, 0, v9, vcc_lo
	v_cmp_ne_u32_e32 vcc_lo, 0, v15
	s_delay_alu instid0(VALU_DEP_3) | instskip(NEXT) | instid1(VALU_DEP_3)
	v_cndmask_b32_e32 v12, v12, v17, vcc_lo
	v_cndmask_b32_e32 v9, v13, v9, vcc_lo
	v_cmp_ne_u32_e32 vcc_lo, 0, v14
	s_delay_alu instid0(VALU_DEP_2)
	v_dual_cndmask_b32 v12, v6, v12 :: v_dual_cndmask_b32 v13, v7, v9
                                        ; implicit-def: $vgpr6_vgpr7
.LBB30_2631:                            ;   in Loop: Header=BB30_2629 Depth=1
	s_and_not1_saveexec_b32 s0, s3
	s_cbranch_execz .LBB30_2628
; %bb.2632:                             ;   in Loop: Header=BB30_2629 Depth=1
	v_cvt_f32_u32_e32 v7, v10
	v_dual_sub_nc_u32 v9, 0, v10 :: v_dual_mov_b32 v13, v8
	s_delay_alu instid0(VALU_DEP_2) | instskip(SKIP_1) | instid1(TRANS32_DEP_1)
	v_rcp_iflag_f32_e32 v7, v7
	v_nop
	v_mul_f32_e32 v7, 0x4f7ffffe, v7
	s_delay_alu instid0(VALU_DEP_1) | instskip(NEXT) | instid1(VALU_DEP_1)
	v_cvt_u32_f32_e32 v7, v7
	v_mul_lo_u32 v9, v9, v7
	s_delay_alu instid0(VALU_DEP_1) | instskip(NEXT) | instid1(VALU_DEP_1)
	v_mul_hi_u32 v9, v7, v9
	v_add_nc_u32_e32 v7, v7, v9
	s_delay_alu instid0(VALU_DEP_1) | instskip(NEXT) | instid1(VALU_DEP_1)
	v_mul_hi_u32 v7, v6, v7
	v_mul_lo_u32 v7, v7, v10
	s_delay_alu instid0(VALU_DEP_1) | instskip(NEXT) | instid1(VALU_DEP_1)
	v_sub_nc_u32_e32 v6, v6, v7
	v_sub_nc_u32_e32 v7, v6, v10
	v_cmp_ge_u32_e32 vcc_lo, v6, v10
	s_delay_alu instid0(VALU_DEP_2) | instskip(NEXT) | instid1(VALU_DEP_1)
	v_cndmask_b32_e32 v6, v6, v7, vcc_lo
	v_sub_nc_u32_e32 v7, v6, v10
	v_cmp_ge_u32_e32 vcc_lo, v6, v10
	s_delay_alu instid0(VALU_DEP_2)
	v_cndmask_b32_e32 v12, v6, v7, vcc_lo
	s_branch .LBB30_2628
.LBB30_2633:
	s_or_b32 exec_lo, exec_lo, s2
	v_mov_b64_e32 v[6:7], v[10:11]
.LBB30_2634:
	s_or_b32 exec_lo, exec_lo, s1
	v_mul_lo_u32 v8, s8, v16
	s_and_b32 s16, s11, 0xff
	s_delay_alu instid0(SALU_CYCLE_1) | instskip(NEXT) | instid1(VALU_DEP_1)
	s_cmp_lt_i32 s16, 11
	v_ashrrev_i32_e32 v9, 31, v8
	s_delay_alu instid0(VALU_DEP_1)
	v_add_nc_u64_e32 v[10:11], s[4:5], v[8:9]
	s_cbranch_scc1 .LBB30_2712
; %bb.2635:
	s_and_b32 s1, 0xffff, s16
	s_mov_b32 s6, -1
	s_mov_b32 s2, 0
	s_cmp_gt_i32 s1, 25
	s_mov_b32 s3, 0
	s_mov_b32 s0, 0
	s_cbranch_scc0 .LBB30_2668
; %bb.2636:
	s_cmp_gt_i32 s1, 28
	s_cbranch_scc0 .LBB30_2651
; %bb.2637:
	s_cmp_gt_i32 s1, 43
	;; [unrolled: 3-line block ×3, first 2 shown]
	s_cbranch_scc0 .LBB30_2641
; %bb.2639:
	s_mov_b32 s0, -1
	s_mov_b32 s6, 0
	s_cmp_eq_u32 s1, 46
	s_cbranch_scc0 .LBB30_2641
; %bb.2640:
	v_clz_i32_u32_e32 v9, v1
	s_mov_b32 s0, 0
	s_mov_b32 s3, -1
	s_delay_alu instid0(VALU_DEP_1) | instskip(NEXT) | instid1(VALU_DEP_1)
	v_min_u32_e32 v9, 32, v9
	v_lshlrev_b64_e32 v[12:13], v9, v[0:1]
	v_sub_nc_u32_e32 v9, 32, v9
	s_delay_alu instid0(VALU_DEP_2) | instskip(NEXT) | instid1(VALU_DEP_1)
	v_min_u32_e32 v12, 1, v12
	v_or_b32_e32 v12, v13, v12
	s_delay_alu instid0(VALU_DEP_1) | instskip(NEXT) | instid1(VALU_DEP_1)
	v_cvt_f32_u32_e32 v12, v12
	v_ldexp_f32 v9, v12, v9
	s_delay_alu instid0(VALU_DEP_1) | instskip(NEXT) | instid1(VALU_DEP_1)
	v_bfe_u32 v12, v9, 16, 1
	v_add3_u32 v9, v9, v12, 0x7fff
	s_delay_alu instid0(VALU_DEP_1)
	v_lshrrev_b32_e32 v9, 16, v9
	global_store_b32 v[10:11], v9, off
.LBB30_2641:
	s_and_b32 vcc_lo, exec_lo, s6
	s_cbranch_vccz .LBB30_2646
; %bb.2642:
	s_cmp_eq_u32 s1, 44
	s_mov_b32 s0, -1
	s_cbranch_scc0 .LBB30_2646
; %bb.2643:
	s_wait_xcnt 0x0
	v_clz_i32_u32_e32 v9, v1
	s_mov_b32 s3, exec_lo
	s_delay_alu instid0(VALU_DEP_1) | instskip(NEXT) | instid1(VALU_DEP_1)
	v_min_u32_e32 v9, 32, v9
	v_lshlrev_b64_e32 v[12:13], v9, v[0:1]
	v_sub_nc_u32_e32 v9, 32, v9
	s_delay_alu instid0(VALU_DEP_2) | instskip(NEXT) | instid1(VALU_DEP_1)
	v_min_u32_e32 v12, 1, v12
	v_or_b32_e32 v12, v13, v12
	s_delay_alu instid0(VALU_DEP_1) | instskip(NEXT) | instid1(VALU_DEP_1)
	v_cvt_f32_u32_e32 v12, v12
	v_ldexp_f32 v13, v12, v9
	s_delay_alu instid0(VALU_DEP_1) | instskip(NEXT) | instid1(VALU_DEP_1)
	v_dual_mov_b32 v12, 0xff :: v_dual_lshrrev_b32 v9, 23, v13
	v_cmpx_ne_u32_e32 0xff, v9
; %bb.2644:
	v_and_b32_e32 v12, 0x400000, v13
	v_and_or_b32 v13, 0x3fffff, v13, v9
	s_delay_alu instid0(VALU_DEP_2) | instskip(NEXT) | instid1(VALU_DEP_2)
	v_cmp_ne_u32_e32 vcc_lo, 0, v12
	v_cmp_ne_u32_e64 s0, 0, v13
	s_and_b32 s0, vcc_lo, s0
	s_delay_alu instid0(SALU_CYCLE_1) | instskip(NEXT) | instid1(VALU_DEP_1)
	v_cndmask_b32_e64 v12, 0, 1, s0
	v_add_nc_u32_e32 v12, v9, v12
; %bb.2645:
	s_or_b32 exec_lo, exec_lo, s3
	s_mov_b32 s0, 0
	s_mov_b32 s3, -1
	global_store_b8 v[10:11], v12, off
.LBB30_2646:
	s_mov_b32 s6, 0
.LBB30_2647:
	s_delay_alu instid0(SALU_CYCLE_1)
	s_and_b32 vcc_lo, exec_lo, s6
	s_cbranch_vccz .LBB30_2650
; %bb.2648:
	s_cmp_eq_u32 s1, 29
	s_mov_b32 s0, -1
	s_cbranch_scc0 .LBB30_2650
; %bb.2649:
	s_mov_b32 s0, 0
	s_mov_b32 s3, -1
	global_store_b64 v[10:11], v[0:1], off
.LBB30_2650:
	s_mov_b32 s6, 0
.LBB30_2651:
	s_delay_alu instid0(SALU_CYCLE_1)
	s_and_b32 vcc_lo, exec_lo, s6
	s_cbranch_vccz .LBB30_2667
; %bb.2652:
	s_cmp_lt_i32 s1, 27
	s_mov_b32 s3, -1
	s_cbranch_scc1 .LBB30_2658
; %bb.2653:
	s_cmp_gt_i32 s1, 27
	s_cbranch_scc0 .LBB30_2655
; %bb.2654:
	s_mov_b32 s3, 0
	global_store_b32 v[10:11], v0, off
.LBB30_2655:
	s_and_not1_b32 vcc_lo, exec_lo, s3
	s_cbranch_vccnz .LBB30_2657
; %bb.2656:
	global_store_b16 v[10:11], v0, off
.LBB30_2657:
	s_mov_b32 s3, 0
.LBB30_2658:
	s_delay_alu instid0(SALU_CYCLE_1)
	s_and_not1_b32 vcc_lo, exec_lo, s3
	s_cbranch_vccnz .LBB30_2666
; %bb.2659:
	s_wait_xcnt 0x0
	v_clz_i32_u32_e32 v9, v1
	s_mov_b32 s3, exec_lo
	s_delay_alu instid0(VALU_DEP_1) | instskip(NEXT) | instid1(VALU_DEP_1)
	v_min_u32_e32 v9, 32, v9
	v_lshlrev_b64_e32 v[12:13], v9, v[0:1]
	v_sub_nc_u32_e32 v9, 32, v9
	s_delay_alu instid0(VALU_DEP_2) | instskip(NEXT) | instid1(VALU_DEP_1)
	v_min_u32_e32 v12, 1, v12
	v_or_b32_e32 v12, v13, v12
	v_mov_b32_e32 v13, 0x80
	s_delay_alu instid0(VALU_DEP_2) | instskip(NEXT) | instid1(VALU_DEP_1)
	v_cvt_f32_u32_e32 v12, v12
	v_ldexp_f32 v12, v12, v9
	s_delay_alu instid0(VALU_DEP_1)
	v_cmpx_gt_u32_e32 0x43800000, v12
	s_cbranch_execz .LBB30_2665
; %bb.2660:
	s_mov_b32 s6, 0
	s_mov_b32 s7, exec_lo
                                        ; implicit-def: $vgpr9
	v_cmpx_lt_u32_e32 0x3bffffff, v12
	s_xor_b32 s7, exec_lo, s7
	s_cbranch_execz .LBB30_3070
; %bb.2661:
	v_bfe_u32 v9, v12, 20, 1
	s_mov_b32 s6, exec_lo
	s_delay_alu instid0(VALU_DEP_1) | instskip(NEXT) | instid1(VALU_DEP_1)
	v_add3_u32 v9, v12, v9, 0x487ffff
                                        ; implicit-def: $vgpr12
	v_lshrrev_b32_e32 v9, 20, v9
	s_and_not1_saveexec_b32 s7, s7
	s_cbranch_execnz .LBB30_3071
.LBB30_2662:
	s_or_b32 exec_lo, exec_lo, s7
	v_mov_b32_e32 v13, 0
	s_and_saveexec_b32 s7, s6
.LBB30_2663:
	v_mov_b32_e32 v13, v9
.LBB30_2664:
	s_or_b32 exec_lo, exec_lo, s7
.LBB30_2665:
	s_delay_alu instid0(SALU_CYCLE_1)
	s_or_b32 exec_lo, exec_lo, s3
	global_store_b8 v[10:11], v13, off
.LBB30_2666:
	s_mov_b32 s3, -1
.LBB30_2667:
	s_mov_b32 s6, 0
.LBB30_2668:
	s_delay_alu instid0(SALU_CYCLE_1)
	s_and_b32 vcc_lo, exec_lo, s6
	s_cbranch_vccz .LBB30_2708
; %bb.2669:
	s_cmp_gt_i32 s1, 22
	s_mov_b32 s2, -1
	s_cbranch_scc0 .LBB30_2701
; %bb.2670:
	s_cmp_lt_i32 s1, 24
	s_cbranch_scc1 .LBB30_2690
; %bb.2671:
	s_cmp_gt_i32 s1, 24
	s_cbranch_scc0 .LBB30_2679
; %bb.2672:
	s_wait_xcnt 0x0
	v_clz_i32_u32_e32 v9, v1
	s_mov_b32 s2, exec_lo
	s_delay_alu instid0(VALU_DEP_1) | instskip(NEXT) | instid1(VALU_DEP_1)
	v_min_u32_e32 v9, 32, v9
	v_lshlrev_b64_e32 v[12:13], v9, v[0:1]
	v_sub_nc_u32_e32 v9, 32, v9
	s_delay_alu instid0(VALU_DEP_2) | instskip(NEXT) | instid1(VALU_DEP_1)
	v_min_u32_e32 v12, 1, v12
	v_or_b32_e32 v12, v13, v12
	v_mov_b32_e32 v13, 0x80
	s_delay_alu instid0(VALU_DEP_2) | instskip(NEXT) | instid1(VALU_DEP_1)
	v_cvt_f32_u32_e32 v12, v12
	v_ldexp_f32 v12, v12, v9
	s_delay_alu instid0(VALU_DEP_1)
	v_cmpx_gt_u32_e32 0x47800000, v12
	s_cbranch_execz .LBB30_2678
; %bb.2673:
	s_mov_b32 s3, 0
	s_mov_b32 s6, exec_lo
                                        ; implicit-def: $vgpr9
	v_cmpx_lt_u32_e32 0x37ffffff, v12
	s_xor_b32 s6, exec_lo, s6
	s_cbranch_execz .LBB30_3073
; %bb.2674:
	v_bfe_u32 v9, v12, 21, 1
	s_mov_b32 s3, exec_lo
	s_delay_alu instid0(VALU_DEP_1) | instskip(NEXT) | instid1(VALU_DEP_1)
	v_add3_u32 v9, v12, v9, 0x88fffff
                                        ; implicit-def: $vgpr12
	v_lshrrev_b32_e32 v9, 21, v9
	s_and_not1_saveexec_b32 s6, s6
	s_cbranch_execnz .LBB30_3074
.LBB30_2675:
	s_or_b32 exec_lo, exec_lo, s6
	v_mov_b32_e32 v13, 0
	s_and_saveexec_b32 s6, s3
.LBB30_2676:
	v_mov_b32_e32 v13, v9
.LBB30_2677:
	s_or_b32 exec_lo, exec_lo, s6
.LBB30_2678:
	s_delay_alu instid0(SALU_CYCLE_1)
	s_or_b32 exec_lo, exec_lo, s2
	s_mov_b32 s2, 0
	global_store_b8 v[10:11], v13, off
.LBB30_2679:
	s_and_b32 vcc_lo, exec_lo, s2
	s_cbranch_vccz .LBB30_2689
; %bb.2680:
	s_wait_xcnt 0x0
	v_clz_i32_u32_e32 v9, v1
	s_mov_b32 s2, exec_lo
	s_delay_alu instid0(VALU_DEP_1) | instskip(NEXT) | instid1(VALU_DEP_1)
	v_min_u32_e32 v9, 32, v9
	v_lshlrev_b64_e32 v[12:13], v9, v[0:1]
	v_sub_nc_u32_e32 v9, 32, v9
	s_delay_alu instid0(VALU_DEP_2) | instskip(NEXT) | instid1(VALU_DEP_1)
	v_min_u32_e32 v12, 1, v12
	v_or_b32_e32 v12, v13, v12
	s_delay_alu instid0(VALU_DEP_1) | instskip(NEXT) | instid1(VALU_DEP_1)
	v_cvt_f32_u32_e32 v12, v12
	v_ldexp_f32 v12, v12, v9
                                        ; implicit-def: $vgpr9
	s_delay_alu instid0(VALU_DEP_1)
	v_cmpx_gt_u32_e32 0x43f00000, v12
	s_xor_b32 s2, exec_lo, s2
	s_cbranch_execz .LBB30_2686
; %bb.2681:
	s_mov_b32 s3, exec_lo
                                        ; implicit-def: $vgpr9
	v_cmpx_lt_u32_e32 0x3c7fffff, v12
	s_xor_b32 s3, exec_lo, s3
; %bb.2682:
	v_bfe_u32 v9, v12, 20, 1
	s_delay_alu instid0(VALU_DEP_1) | instskip(NEXT) | instid1(VALU_DEP_1)
	v_add3_u32 v9, v12, v9, 0x407ffff
	v_and_b32_e32 v12, 0xff00000, v9
	v_lshrrev_b32_e32 v9, 20, v9
	s_delay_alu instid0(VALU_DEP_2) | instskip(NEXT) | instid1(VALU_DEP_2)
	v_cmp_ne_u32_e32 vcc_lo, 0x7f00000, v12
                                        ; implicit-def: $vgpr12
	v_cndmask_b32_e32 v9, 0x7e, v9, vcc_lo
; %bb.2683:
	s_and_not1_saveexec_b32 s3, s3
; %bb.2684:
	v_add_f32_e32 v9, 0x46800000, v12
; %bb.2685:
	s_or_b32 exec_lo, exec_lo, s3
                                        ; implicit-def: $vgpr12
.LBB30_2686:
	s_and_not1_saveexec_b32 s2, s2
; %bb.2687:
	v_mov_b32_e32 v9, 0x7f
	v_cmp_lt_u32_e32 vcc_lo, 0x7f800000, v12
	s_delay_alu instid0(VALU_DEP_2)
	v_cndmask_b32_e32 v9, 0x7e, v9, vcc_lo
; %bb.2688:
	s_or_b32 exec_lo, exec_lo, s2
	global_store_b8 v[10:11], v9, off
.LBB30_2689:
	s_mov_b32 s2, 0
.LBB30_2690:
	s_delay_alu instid0(SALU_CYCLE_1)
	s_and_not1_b32 vcc_lo, exec_lo, s2
	s_cbranch_vccnz .LBB30_2700
; %bb.2691:
	s_wait_xcnt 0x0
	v_clz_i32_u32_e32 v9, v1
	s_mov_b32 s2, exec_lo
	s_delay_alu instid0(VALU_DEP_1) | instskip(NEXT) | instid1(VALU_DEP_1)
	v_min_u32_e32 v9, 32, v9
	v_lshlrev_b64_e32 v[12:13], v9, v[0:1]
	v_sub_nc_u32_e32 v9, 32, v9
	s_delay_alu instid0(VALU_DEP_2) | instskip(NEXT) | instid1(VALU_DEP_1)
	v_min_u32_e32 v12, 1, v12
	v_or_b32_e32 v12, v13, v12
	s_delay_alu instid0(VALU_DEP_1) | instskip(NEXT) | instid1(VALU_DEP_1)
	v_cvt_f32_u32_e32 v12, v12
	v_ldexp_f32 v12, v12, v9
                                        ; implicit-def: $vgpr9
	s_delay_alu instid0(VALU_DEP_1)
	v_cmpx_gt_u32_e32 0x47800000, v12
	s_xor_b32 s2, exec_lo, s2
	s_cbranch_execz .LBB30_2697
; %bb.2692:
	s_mov_b32 s3, exec_lo
                                        ; implicit-def: $vgpr9
	v_cmpx_lt_u32_e32 0x387fffff, v12
	s_xor_b32 s3, exec_lo, s3
; %bb.2693:
	v_bfe_u32 v9, v12, 21, 1
	s_delay_alu instid0(VALU_DEP_1) | instskip(NEXT) | instid1(VALU_DEP_1)
	v_add3_u32 v9, v12, v9, 0x80fffff
                                        ; implicit-def: $vgpr12
	v_lshrrev_b32_e32 v9, 21, v9
; %bb.2694:
	s_and_not1_saveexec_b32 s3, s3
; %bb.2695:
	v_add_f32_e32 v9, 0x43000000, v12
; %bb.2696:
	s_or_b32 exec_lo, exec_lo, s3
                                        ; implicit-def: $vgpr12
.LBB30_2697:
	s_and_not1_saveexec_b32 s2, s2
; %bb.2698:
	v_mov_b32_e32 v9, 0x7f
	v_cmp_lt_u32_e32 vcc_lo, 0x7f800000, v12
	s_delay_alu instid0(VALU_DEP_2)
	v_cndmask_b32_e32 v9, 0x7c, v9, vcc_lo
; %bb.2699:
	s_or_b32 exec_lo, exec_lo, s2
	global_store_b8 v[10:11], v9, off
.LBB30_2700:
	s_mov_b32 s2, 0
	s_mov_b32 s3, -1
.LBB30_2701:
	s_and_not1_b32 vcc_lo, exec_lo, s2
	s_mov_b32 s2, 0
	s_cbranch_vccnz .LBB30_2708
; %bb.2702:
	s_cmp_gt_i32 s1, 14
	s_mov_b32 s2, -1
	s_cbranch_scc0 .LBB30_2706
; %bb.2703:
	s_cmp_eq_u32 s1, 15
	s_mov_b32 s0, -1
	s_cbranch_scc0 .LBB30_2705
; %bb.2704:
	s_wait_xcnt 0x0
	v_clz_i32_u32_e32 v9, v1
	s_mov_b32 s0, 0
	s_mov_b32 s3, -1
	s_delay_alu instid0(VALU_DEP_1) | instskip(NEXT) | instid1(VALU_DEP_1)
	v_min_u32_e32 v9, 32, v9
	v_lshlrev_b64_e32 v[12:13], v9, v[0:1]
	v_sub_nc_u32_e32 v9, 32, v9
	s_delay_alu instid0(VALU_DEP_2) | instskip(NEXT) | instid1(VALU_DEP_1)
	v_min_u32_e32 v12, 1, v12
	v_or_b32_e32 v12, v13, v12
	s_delay_alu instid0(VALU_DEP_1) | instskip(NEXT) | instid1(VALU_DEP_1)
	v_cvt_f32_u32_e32 v12, v12
	v_ldexp_f32 v9, v12, v9
	s_delay_alu instid0(VALU_DEP_1) | instskip(NEXT) | instid1(VALU_DEP_1)
	v_bfe_u32 v12, v9, 16, 1
	v_add3_u32 v9, v9, v12, 0x7fff
	global_store_d16_hi_b16 v[10:11], v9, off
.LBB30_2705:
	s_mov_b32 s2, 0
.LBB30_2706:
	s_delay_alu instid0(SALU_CYCLE_1)
	s_and_b32 vcc_lo, exec_lo, s2
	s_mov_b32 s2, 0
	s_cbranch_vccz .LBB30_2708
; %bb.2707:
	s_cmp_lg_u32 s1, 11
	s_mov_b32 s2, -1
	s_cselect_b32 s0, -1, 0
.LBB30_2708:
	s_delay_alu instid0(SALU_CYCLE_1)
	s_and_b32 vcc_lo, exec_lo, s0
	s_cbranch_vccnz .LBB30_3072
; %bb.2709:
	s_and_not1_b32 vcc_lo, exec_lo, s2
	s_cbranch_vccnz .LBB30_2711
.LBB30_2710:
	v_cmp_ne_u64_e32 vcc_lo, 0, v[0:1]
	s_mov_b32 s3, -1
	s_wait_xcnt 0x0
	v_cndmask_b32_e64 v9, 0, 1, vcc_lo
	global_store_b8 v[10:11], v9, off
.LBB30_2711:
	s_mov_b32 s0, 0
	s_branch .LBB30_2713
.LBB30_2712:
	s_mov_b32 s0, -1
	s_mov_b32 s3, 0
.LBB30_2713:
	s_and_b32 vcc_lo, exec_lo, s0
	s_cbranch_vccz .LBB30_2752
; %bb.2714:
	s_and_b32 s0, 0xffff, s16
	s_mov_b32 s1, -1
	s_cmp_lt_i32 s0, 5
	s_cbranch_scc1 .LBB30_2735
; %bb.2715:
	s_cmp_lt_i32 s0, 8
	s_cbranch_scc1 .LBB30_2725
; %bb.2716:
	;; [unrolled: 3-line block ×3, first 2 shown]
	s_cmp_gt_i32 s0, 9
	s_cbranch_scc0 .LBB30_2719
; %bb.2718:
	s_wait_xcnt 0x0
	v_cvt_f64_u32_e32 v[12:13], v1
	v_cvt_f64_u32_e32 v[14:15], v0
	s_mov_b32 s1, 0
	s_delay_alu instid0(VALU_DEP_2) | instskip(NEXT) | instid1(VALU_DEP_1)
	v_ldexp_f64 v[12:13], v[12:13], 32
	v_dual_add_f64 v[12:13], v[12:13], v[14:15] :: v_dual_mov_b32 v14, 0
	s_delay_alu instid0(VALU_DEP_1)
	v_mov_b32_e32 v15, v14
	global_store_b128 v[10:11], v[12:15], off
.LBB30_2719:
	s_and_not1_b32 vcc_lo, exec_lo, s1
	s_cbranch_vccnz .LBB30_2721
; %bb.2720:
	s_wait_xcnt 0x0
	v_clz_i32_u32_e32 v9, v1
	s_delay_alu instid0(VALU_DEP_1) | instskip(NEXT) | instid1(VALU_DEP_1)
	v_min_u32_e32 v9, 32, v9
	v_lshlrev_b64_e32 v[12:13], v9, v[0:1]
	v_sub_nc_u32_e32 v9, 32, v9
	s_delay_alu instid0(VALU_DEP_2) | instskip(NEXT) | instid1(VALU_DEP_1)
	v_min_u32_e32 v12, 1, v12
	v_dual_mov_b32 v13, 0 :: v_dual_bitop2_b32 v12, v13, v12 bitop3:0x54
	s_delay_alu instid0(VALU_DEP_1) | instskip(NEXT) | instid1(VALU_DEP_1)
	v_cvt_f32_u32_e32 v12, v12
	v_ldexp_f32 v12, v12, v9
	global_store_b64 v[10:11], v[12:13], off
.LBB30_2721:
	s_mov_b32 s1, 0
.LBB30_2722:
	s_delay_alu instid0(SALU_CYCLE_1)
	s_and_not1_b32 vcc_lo, exec_lo, s1
	s_cbranch_vccnz .LBB30_2724
; %bb.2723:
	s_wait_xcnt 0x0
	v_clz_i32_u32_e32 v9, v1
	s_delay_alu instid0(VALU_DEP_1) | instskip(NEXT) | instid1(VALU_DEP_1)
	v_min_u32_e32 v9, 32, v9
	v_lshlrev_b64_e32 v[12:13], v9, v[0:1]
	v_sub_nc_u32_e32 v9, 32, v9
	s_delay_alu instid0(VALU_DEP_2) | instskip(NEXT) | instid1(VALU_DEP_1)
	v_min_u32_e32 v12, 1, v12
	v_or_b32_e32 v12, v13, v12
	s_delay_alu instid0(VALU_DEP_1) | instskip(NEXT) | instid1(VALU_DEP_1)
	v_cvt_f32_u32_e32 v12, v12
	v_ldexp_f32 v9, v12, v9
	s_delay_alu instid0(VALU_DEP_1) | instskip(NEXT) | instid1(VALU_DEP_1)
	v_cvt_f16_f32_e32 v9, v9
	v_and_b32_e32 v9, 0xffff, v9
	global_store_b32 v[10:11], v9, off
.LBB30_2724:
	s_mov_b32 s1, 0
.LBB30_2725:
	s_delay_alu instid0(SALU_CYCLE_1)
	s_and_not1_b32 vcc_lo, exec_lo, s1
	s_cbranch_vccnz .LBB30_2734
; %bb.2726:
	s_cmp_lt_i32 s0, 6
	s_mov_b32 s1, -1
	s_cbranch_scc1 .LBB30_2732
; %bb.2727:
	s_cmp_gt_i32 s0, 6
	s_cbranch_scc0 .LBB30_2729
; %bb.2728:
	s_wait_xcnt 0x0
	v_cvt_f64_u32_e32 v[12:13], v1
	v_cvt_f64_u32_e32 v[14:15], v0
	s_mov_b32 s1, 0
	s_delay_alu instid0(VALU_DEP_2) | instskip(NEXT) | instid1(VALU_DEP_1)
	v_ldexp_f64 v[12:13], v[12:13], 32
	v_add_f64_e32 v[12:13], v[12:13], v[14:15]
	global_store_b64 v[10:11], v[12:13], off
.LBB30_2729:
	s_and_not1_b32 vcc_lo, exec_lo, s1
	s_cbranch_vccnz .LBB30_2731
; %bb.2730:
	s_wait_xcnt 0x0
	v_clz_i32_u32_e32 v9, v1
	s_delay_alu instid0(VALU_DEP_1) | instskip(NEXT) | instid1(VALU_DEP_1)
	v_min_u32_e32 v9, 32, v9
	v_lshlrev_b64_e32 v[12:13], v9, v[0:1]
	v_sub_nc_u32_e32 v9, 32, v9
	s_delay_alu instid0(VALU_DEP_2) | instskip(NEXT) | instid1(VALU_DEP_1)
	v_min_u32_e32 v12, 1, v12
	v_or_b32_e32 v12, v13, v12
	s_delay_alu instid0(VALU_DEP_1) | instskip(NEXT) | instid1(VALU_DEP_1)
	v_cvt_f32_u32_e32 v12, v12
	v_ldexp_f32 v9, v12, v9
	global_store_b32 v[10:11], v9, off
.LBB30_2731:
	s_mov_b32 s1, 0
.LBB30_2732:
	s_delay_alu instid0(SALU_CYCLE_1)
	s_and_not1_b32 vcc_lo, exec_lo, s1
	s_cbranch_vccnz .LBB30_2734
; %bb.2733:
	s_wait_xcnt 0x0
	v_clz_i32_u32_e32 v9, v1
	s_delay_alu instid0(VALU_DEP_1) | instskip(NEXT) | instid1(VALU_DEP_1)
	v_min_u32_e32 v9, 32, v9
	v_lshlrev_b64_e32 v[12:13], v9, v[0:1]
	v_sub_nc_u32_e32 v9, 32, v9
	s_delay_alu instid0(VALU_DEP_2) | instskip(NEXT) | instid1(VALU_DEP_1)
	v_min_u32_e32 v12, 1, v12
	v_or_b32_e32 v12, v13, v12
	s_delay_alu instid0(VALU_DEP_1) | instskip(NEXT) | instid1(VALU_DEP_1)
	v_cvt_f32_u32_e32 v12, v12
	v_ldexp_f32 v9, v12, v9
	s_delay_alu instid0(VALU_DEP_1)
	v_cvt_f16_f32_e32 v9, v9
	global_store_b16 v[10:11], v9, off
.LBB30_2734:
	s_mov_b32 s1, 0
.LBB30_2735:
	s_delay_alu instid0(SALU_CYCLE_1)
	s_and_not1_b32 vcc_lo, exec_lo, s1
	s_cbranch_vccnz .LBB30_2751
; %bb.2736:
	s_cmp_lt_i32 s0, 2
	s_mov_b32 s1, -1
	s_cbranch_scc1 .LBB30_2746
; %bb.2737:
	s_cmp_lt_i32 s0, 3
	s_cbranch_scc1 .LBB30_2743
; %bb.2738:
	s_cmp_gt_i32 s0, 3
	s_cbranch_scc0 .LBB30_2740
; %bb.2739:
	s_mov_b32 s1, 0
	global_store_b64 v[10:11], v[0:1], off
.LBB30_2740:
	s_and_not1_b32 vcc_lo, exec_lo, s1
	s_cbranch_vccnz .LBB30_2742
; %bb.2741:
	global_store_b32 v[10:11], v0, off
.LBB30_2742:
	s_mov_b32 s1, 0
.LBB30_2743:
	s_delay_alu instid0(SALU_CYCLE_1)
	s_and_not1_b32 vcc_lo, exec_lo, s1
	s_cbranch_vccnz .LBB30_2745
; %bb.2744:
	global_store_b16 v[10:11], v0, off
.LBB30_2745:
	s_mov_b32 s1, 0
.LBB30_2746:
	s_delay_alu instid0(SALU_CYCLE_1)
	s_and_not1_b32 vcc_lo, exec_lo, s1
	s_cbranch_vccnz .LBB30_2751
; %bb.2747:
	s_cmp_gt_i32 s0, 0
	s_mov_b32 s0, -1
	s_cbranch_scc0 .LBB30_2749
; %bb.2748:
	s_mov_b32 s0, 0
	global_store_b8 v[10:11], v0, off
.LBB30_2749:
	s_and_not1_b32 vcc_lo, exec_lo, s0
	s_cbranch_vccnz .LBB30_2751
; %bb.2750:
	global_store_b8 v[10:11], v0, off
.LBB30_2751:
	s_mov_b32 s3, -1
.LBB30_2752:
	s_delay_alu instid0(SALU_CYCLE_1)
	s_and_not1_b32 vcc_lo, exec_lo, s3
	s_cbranch_vccnz .LBB30_3067
; %bb.2753:
	s_lshl_b32 s1, s8, 7
	s_cmp_lt_i32 s16, 11
	s_wait_xcnt 0x0
	v_add_nc_u32_e32 v0, s1, v8
	s_delay_alu instid0(VALU_DEP_1) | instskip(NEXT) | instid1(VALU_DEP_1)
	v_ashrrev_i32_e32 v1, 31, v0
	v_add_nc_u64_e32 v[8:9], s[4:5], v[0:1]
	s_cbranch_scc1 .LBB30_2831
; %bb.2754:
	s_and_b32 s2, 0xffff, s16
	s_mov_b32 s7, -1
	s_mov_b32 s3, 0
	s_cmp_gt_i32 s2, 25
	s_mov_b32 s6, 0
	s_mov_b32 s0, 0
	s_cbranch_scc0 .LBB30_2787
; %bb.2755:
	s_cmp_gt_i32 s2, 28
	s_cbranch_scc0 .LBB30_2770
; %bb.2756:
	s_cmp_gt_i32 s2, 43
	;; [unrolled: 3-line block ×3, first 2 shown]
	s_cbranch_scc0 .LBB30_2760
; %bb.2758:
	s_mov_b32 s0, -1
	s_mov_b32 s7, 0
	s_cmp_eq_u32 s2, 46
	s_cbranch_scc0 .LBB30_2760
; %bb.2759:
	v_clz_i32_u32_e32 v1, v3
	s_mov_b32 s0, 0
	s_mov_b32 s6, -1
	s_delay_alu instid0(VALU_DEP_1) | instskip(NEXT) | instid1(VALU_DEP_1)
	v_min_u32_e32 v1, 32, v1
	v_lshlrev_b64_e32 v[10:11], v1, v[2:3]
	v_sub_nc_u32_e32 v1, 32, v1
	s_delay_alu instid0(VALU_DEP_2) | instskip(NEXT) | instid1(VALU_DEP_1)
	v_min_u32_e32 v10, 1, v10
	v_or_b32_e32 v10, v11, v10
	s_delay_alu instid0(VALU_DEP_1) | instskip(NEXT) | instid1(VALU_DEP_1)
	v_cvt_f32_u32_e32 v10, v10
	v_ldexp_f32 v1, v10, v1
	s_delay_alu instid0(VALU_DEP_1) | instskip(NEXT) | instid1(VALU_DEP_1)
	v_bfe_u32 v10, v1, 16, 1
	v_add3_u32 v1, v1, v10, 0x7fff
	s_delay_alu instid0(VALU_DEP_1)
	v_lshrrev_b32_e32 v1, 16, v1
	global_store_b32 v[8:9], v1, off
.LBB30_2760:
	s_and_b32 vcc_lo, exec_lo, s7
	s_cbranch_vccz .LBB30_2765
; %bb.2761:
	s_cmp_eq_u32 s2, 44
	s_mov_b32 s0, -1
	s_cbranch_scc0 .LBB30_2765
; %bb.2762:
	s_wait_xcnt 0x0
	v_clz_i32_u32_e32 v1, v3
	s_mov_b32 s6, exec_lo
	s_delay_alu instid0(VALU_DEP_1) | instskip(NEXT) | instid1(VALU_DEP_1)
	v_min_u32_e32 v1, 32, v1
	v_lshlrev_b64_e32 v[10:11], v1, v[2:3]
	v_sub_nc_u32_e32 v1, 32, v1
	s_delay_alu instid0(VALU_DEP_2) | instskip(NEXT) | instid1(VALU_DEP_1)
	v_min_u32_e32 v10, 1, v10
	v_or_b32_e32 v10, v11, v10
	s_delay_alu instid0(VALU_DEP_1) | instskip(NEXT) | instid1(VALU_DEP_1)
	v_cvt_f32_u32_e32 v10, v10
	v_ldexp_f32 v11, v10, v1
	s_delay_alu instid0(VALU_DEP_1) | instskip(NEXT) | instid1(VALU_DEP_1)
	v_dual_mov_b32 v10, 0xff :: v_dual_lshrrev_b32 v1, 23, v11
	v_cmpx_ne_u32_e32 0xff, v1
; %bb.2763:
	v_and_b32_e32 v10, 0x400000, v11
	v_and_or_b32 v11, 0x3fffff, v11, v1
	s_delay_alu instid0(VALU_DEP_2) | instskip(NEXT) | instid1(VALU_DEP_2)
	v_cmp_ne_u32_e32 vcc_lo, 0, v10
	v_cmp_ne_u32_e64 s0, 0, v11
	s_and_b32 s0, vcc_lo, s0
	s_delay_alu instid0(SALU_CYCLE_1) | instskip(NEXT) | instid1(VALU_DEP_1)
	v_cndmask_b32_e64 v10, 0, 1, s0
	v_add_nc_u32_e32 v10, v1, v10
; %bb.2764:
	s_or_b32 exec_lo, exec_lo, s6
	s_mov_b32 s0, 0
	s_mov_b32 s6, -1
	global_store_b8 v[8:9], v10, off
.LBB30_2765:
	s_mov_b32 s7, 0
.LBB30_2766:
	s_delay_alu instid0(SALU_CYCLE_1)
	s_and_b32 vcc_lo, exec_lo, s7
	s_cbranch_vccz .LBB30_2769
; %bb.2767:
	s_cmp_eq_u32 s2, 29
	s_mov_b32 s0, -1
	s_cbranch_scc0 .LBB30_2769
; %bb.2768:
	s_mov_b32 s0, 0
	s_mov_b32 s6, -1
	global_store_b64 v[8:9], v[2:3], off
.LBB30_2769:
	s_mov_b32 s7, 0
.LBB30_2770:
	s_delay_alu instid0(SALU_CYCLE_1)
	s_and_b32 vcc_lo, exec_lo, s7
	s_cbranch_vccz .LBB30_2786
; %bb.2771:
	s_cmp_lt_i32 s2, 27
	s_mov_b32 s6, -1
	s_cbranch_scc1 .LBB30_2777
; %bb.2772:
	s_cmp_gt_i32 s2, 27
	s_cbranch_scc0 .LBB30_2774
; %bb.2773:
	s_mov_b32 s6, 0
	global_store_b32 v[8:9], v2, off
.LBB30_2774:
	s_and_not1_b32 vcc_lo, exec_lo, s6
	s_cbranch_vccnz .LBB30_2776
; %bb.2775:
	global_store_b16 v[8:9], v2, off
.LBB30_2776:
	s_mov_b32 s6, 0
.LBB30_2777:
	s_delay_alu instid0(SALU_CYCLE_1)
	s_and_not1_b32 vcc_lo, exec_lo, s6
	s_cbranch_vccnz .LBB30_2785
; %bb.2778:
	s_wait_xcnt 0x0
	v_clz_i32_u32_e32 v1, v3
	s_mov_b32 s6, exec_lo
	s_delay_alu instid0(VALU_DEP_1) | instskip(NEXT) | instid1(VALU_DEP_1)
	v_min_u32_e32 v1, 32, v1
	v_lshlrev_b64_e32 v[10:11], v1, v[2:3]
	v_sub_nc_u32_e32 v1, 32, v1
	s_delay_alu instid0(VALU_DEP_2) | instskip(NEXT) | instid1(VALU_DEP_1)
	v_min_u32_e32 v10, 1, v10
	v_or_b32_e32 v10, v11, v10
	v_mov_b32_e32 v11, 0x80
	s_delay_alu instid0(VALU_DEP_2) | instskip(NEXT) | instid1(VALU_DEP_1)
	v_cvt_f32_u32_e32 v10, v10
	v_ldexp_f32 v10, v10, v1
	s_delay_alu instid0(VALU_DEP_1)
	v_cmpx_gt_u32_e32 0x43800000, v10
	s_cbranch_execz .LBB30_2784
; %bb.2779:
	s_mov_b32 s7, 0
	s_mov_b32 s8, exec_lo
                                        ; implicit-def: $vgpr1
	v_cmpx_lt_u32_e32 0x3bffffff, v10
	s_xor_b32 s8, exec_lo, s8
	s_cbranch_execz .LBB30_3075
; %bb.2780:
	v_bfe_u32 v1, v10, 20, 1
	s_mov_b32 s7, exec_lo
	s_delay_alu instid0(VALU_DEP_1) | instskip(NEXT) | instid1(VALU_DEP_1)
	v_add3_u32 v1, v10, v1, 0x487ffff
                                        ; implicit-def: $vgpr10
	v_lshrrev_b32_e32 v1, 20, v1
	s_and_not1_saveexec_b32 s8, s8
	s_cbranch_execnz .LBB30_3076
.LBB30_2781:
	s_or_b32 exec_lo, exec_lo, s8
	v_mov_b32_e32 v11, 0
	s_and_saveexec_b32 s8, s7
.LBB30_2782:
	v_mov_b32_e32 v11, v1
.LBB30_2783:
	s_or_b32 exec_lo, exec_lo, s8
.LBB30_2784:
	s_delay_alu instid0(SALU_CYCLE_1)
	s_or_b32 exec_lo, exec_lo, s6
	global_store_b8 v[8:9], v11, off
.LBB30_2785:
	s_mov_b32 s6, -1
.LBB30_2786:
	s_mov_b32 s7, 0
.LBB30_2787:
	s_delay_alu instid0(SALU_CYCLE_1)
	s_and_b32 vcc_lo, exec_lo, s7
	s_cbranch_vccz .LBB30_2827
; %bb.2788:
	s_cmp_gt_i32 s2, 22
	s_mov_b32 s3, -1
	s_cbranch_scc0 .LBB30_2820
; %bb.2789:
	s_cmp_lt_i32 s2, 24
	s_cbranch_scc1 .LBB30_2809
; %bb.2790:
	s_cmp_gt_i32 s2, 24
	s_cbranch_scc0 .LBB30_2798
; %bb.2791:
	s_wait_xcnt 0x0
	v_clz_i32_u32_e32 v1, v3
	s_mov_b32 s3, exec_lo
	s_delay_alu instid0(VALU_DEP_1) | instskip(NEXT) | instid1(VALU_DEP_1)
	v_min_u32_e32 v1, 32, v1
	v_lshlrev_b64_e32 v[10:11], v1, v[2:3]
	v_sub_nc_u32_e32 v1, 32, v1
	s_delay_alu instid0(VALU_DEP_2) | instskip(NEXT) | instid1(VALU_DEP_1)
	v_min_u32_e32 v10, 1, v10
	v_or_b32_e32 v10, v11, v10
	v_mov_b32_e32 v11, 0x80
	s_delay_alu instid0(VALU_DEP_2) | instskip(NEXT) | instid1(VALU_DEP_1)
	v_cvt_f32_u32_e32 v10, v10
	v_ldexp_f32 v10, v10, v1
	s_delay_alu instid0(VALU_DEP_1)
	v_cmpx_gt_u32_e32 0x47800000, v10
	s_cbranch_execz .LBB30_2797
; %bb.2792:
	s_mov_b32 s6, 0
	s_mov_b32 s7, exec_lo
                                        ; implicit-def: $vgpr1
	v_cmpx_lt_u32_e32 0x37ffffff, v10
	s_xor_b32 s7, exec_lo, s7
	s_cbranch_execz .LBB30_3078
; %bb.2793:
	v_bfe_u32 v1, v10, 21, 1
	s_mov_b32 s6, exec_lo
	s_delay_alu instid0(VALU_DEP_1) | instskip(NEXT) | instid1(VALU_DEP_1)
	v_add3_u32 v1, v10, v1, 0x88fffff
                                        ; implicit-def: $vgpr10
	v_lshrrev_b32_e32 v1, 21, v1
	s_and_not1_saveexec_b32 s7, s7
	s_cbranch_execnz .LBB30_3079
.LBB30_2794:
	s_or_b32 exec_lo, exec_lo, s7
	v_mov_b32_e32 v11, 0
	s_and_saveexec_b32 s7, s6
.LBB30_2795:
	v_mov_b32_e32 v11, v1
.LBB30_2796:
	s_or_b32 exec_lo, exec_lo, s7
.LBB30_2797:
	s_delay_alu instid0(SALU_CYCLE_1)
	s_or_b32 exec_lo, exec_lo, s3
	s_mov_b32 s3, 0
	global_store_b8 v[8:9], v11, off
.LBB30_2798:
	s_and_b32 vcc_lo, exec_lo, s3
	s_cbranch_vccz .LBB30_2808
; %bb.2799:
	s_wait_xcnt 0x0
	v_clz_i32_u32_e32 v1, v3
	s_mov_b32 s3, exec_lo
	s_delay_alu instid0(VALU_DEP_1) | instskip(NEXT) | instid1(VALU_DEP_1)
	v_min_u32_e32 v1, 32, v1
	v_lshlrev_b64_e32 v[10:11], v1, v[2:3]
	v_sub_nc_u32_e32 v1, 32, v1
	s_delay_alu instid0(VALU_DEP_2) | instskip(NEXT) | instid1(VALU_DEP_1)
	v_min_u32_e32 v10, 1, v10
	v_or_b32_e32 v10, v11, v10
	s_delay_alu instid0(VALU_DEP_1) | instskip(NEXT) | instid1(VALU_DEP_1)
	v_cvt_f32_u32_e32 v10, v10
	v_ldexp_f32 v10, v10, v1
                                        ; implicit-def: $vgpr1
	s_delay_alu instid0(VALU_DEP_1)
	v_cmpx_gt_u32_e32 0x43f00000, v10
	s_xor_b32 s3, exec_lo, s3
	s_cbranch_execz .LBB30_2805
; %bb.2800:
	s_mov_b32 s6, exec_lo
                                        ; implicit-def: $vgpr1
	v_cmpx_lt_u32_e32 0x3c7fffff, v10
	s_xor_b32 s6, exec_lo, s6
; %bb.2801:
	v_bfe_u32 v1, v10, 20, 1
	s_delay_alu instid0(VALU_DEP_1) | instskip(NEXT) | instid1(VALU_DEP_1)
	v_add3_u32 v1, v10, v1, 0x407ffff
	v_and_b32_e32 v10, 0xff00000, v1
	v_lshrrev_b32_e32 v1, 20, v1
	s_delay_alu instid0(VALU_DEP_2) | instskip(NEXT) | instid1(VALU_DEP_2)
	v_cmp_ne_u32_e32 vcc_lo, 0x7f00000, v10
                                        ; implicit-def: $vgpr10
	v_cndmask_b32_e32 v1, 0x7e, v1, vcc_lo
; %bb.2802:
	s_and_not1_saveexec_b32 s6, s6
; %bb.2803:
	v_add_f32_e32 v1, 0x46800000, v10
; %bb.2804:
	s_or_b32 exec_lo, exec_lo, s6
                                        ; implicit-def: $vgpr10
.LBB30_2805:
	s_and_not1_saveexec_b32 s3, s3
; %bb.2806:
	v_mov_b32_e32 v1, 0x7f
	v_cmp_lt_u32_e32 vcc_lo, 0x7f800000, v10
	s_delay_alu instid0(VALU_DEP_2)
	v_cndmask_b32_e32 v1, 0x7e, v1, vcc_lo
; %bb.2807:
	s_or_b32 exec_lo, exec_lo, s3
	global_store_b8 v[8:9], v1, off
.LBB30_2808:
	s_mov_b32 s3, 0
.LBB30_2809:
	s_delay_alu instid0(SALU_CYCLE_1)
	s_and_not1_b32 vcc_lo, exec_lo, s3
	s_cbranch_vccnz .LBB30_2819
; %bb.2810:
	s_wait_xcnt 0x0
	v_clz_i32_u32_e32 v1, v3
	s_mov_b32 s3, exec_lo
	s_delay_alu instid0(VALU_DEP_1) | instskip(NEXT) | instid1(VALU_DEP_1)
	v_min_u32_e32 v1, 32, v1
	v_lshlrev_b64_e32 v[10:11], v1, v[2:3]
	v_sub_nc_u32_e32 v1, 32, v1
	s_delay_alu instid0(VALU_DEP_2) | instskip(NEXT) | instid1(VALU_DEP_1)
	v_min_u32_e32 v10, 1, v10
	v_or_b32_e32 v10, v11, v10
	s_delay_alu instid0(VALU_DEP_1) | instskip(NEXT) | instid1(VALU_DEP_1)
	v_cvt_f32_u32_e32 v10, v10
	v_ldexp_f32 v10, v10, v1
                                        ; implicit-def: $vgpr1
	s_delay_alu instid0(VALU_DEP_1)
	v_cmpx_gt_u32_e32 0x47800000, v10
	s_xor_b32 s3, exec_lo, s3
	s_cbranch_execz .LBB30_2816
; %bb.2811:
	s_mov_b32 s6, exec_lo
                                        ; implicit-def: $vgpr1
	v_cmpx_lt_u32_e32 0x387fffff, v10
	s_xor_b32 s6, exec_lo, s6
; %bb.2812:
	v_bfe_u32 v1, v10, 21, 1
	s_delay_alu instid0(VALU_DEP_1) | instskip(NEXT) | instid1(VALU_DEP_1)
	v_add3_u32 v1, v10, v1, 0x80fffff
                                        ; implicit-def: $vgpr10
	v_lshrrev_b32_e32 v1, 21, v1
; %bb.2813:
	s_and_not1_saveexec_b32 s6, s6
; %bb.2814:
	v_add_f32_e32 v1, 0x43000000, v10
; %bb.2815:
	s_or_b32 exec_lo, exec_lo, s6
                                        ; implicit-def: $vgpr10
.LBB30_2816:
	s_and_not1_saveexec_b32 s3, s3
; %bb.2817:
	v_mov_b32_e32 v1, 0x7f
	v_cmp_lt_u32_e32 vcc_lo, 0x7f800000, v10
	s_delay_alu instid0(VALU_DEP_2)
	v_cndmask_b32_e32 v1, 0x7c, v1, vcc_lo
; %bb.2818:
	s_or_b32 exec_lo, exec_lo, s3
	global_store_b8 v[8:9], v1, off
.LBB30_2819:
	s_mov_b32 s3, 0
	s_mov_b32 s6, -1
.LBB30_2820:
	s_and_not1_b32 vcc_lo, exec_lo, s3
	s_mov_b32 s3, 0
	s_cbranch_vccnz .LBB30_2827
; %bb.2821:
	s_cmp_gt_i32 s2, 14
	s_mov_b32 s3, -1
	s_cbranch_scc0 .LBB30_2825
; %bb.2822:
	s_cmp_eq_u32 s2, 15
	s_mov_b32 s0, -1
	s_cbranch_scc0 .LBB30_2824
; %bb.2823:
	s_wait_xcnt 0x0
	v_clz_i32_u32_e32 v1, v3
	s_mov_b32 s0, 0
	s_mov_b32 s6, -1
	s_delay_alu instid0(VALU_DEP_1) | instskip(NEXT) | instid1(VALU_DEP_1)
	v_min_u32_e32 v1, 32, v1
	v_lshlrev_b64_e32 v[10:11], v1, v[2:3]
	v_sub_nc_u32_e32 v1, 32, v1
	s_delay_alu instid0(VALU_DEP_2) | instskip(NEXT) | instid1(VALU_DEP_1)
	v_min_u32_e32 v10, 1, v10
	v_or_b32_e32 v10, v11, v10
	s_delay_alu instid0(VALU_DEP_1) | instskip(NEXT) | instid1(VALU_DEP_1)
	v_cvt_f32_u32_e32 v10, v10
	v_ldexp_f32 v1, v10, v1
	s_delay_alu instid0(VALU_DEP_1) | instskip(NEXT) | instid1(VALU_DEP_1)
	v_bfe_u32 v10, v1, 16, 1
	v_add3_u32 v1, v1, v10, 0x7fff
	global_store_d16_hi_b16 v[8:9], v1, off
.LBB30_2824:
	s_mov_b32 s3, 0
.LBB30_2825:
	s_delay_alu instid0(SALU_CYCLE_1)
	s_and_b32 vcc_lo, exec_lo, s3
	s_mov_b32 s3, 0
	s_cbranch_vccz .LBB30_2827
; %bb.2826:
	s_cmp_lg_u32 s2, 11
	s_mov_b32 s3, -1
	s_cselect_b32 s0, -1, 0
.LBB30_2827:
	s_delay_alu instid0(SALU_CYCLE_1)
	s_and_b32 vcc_lo, exec_lo, s0
	s_cbranch_vccnz .LBB30_3077
; %bb.2828:
	s_and_not1_b32 vcc_lo, exec_lo, s3
	s_cbranch_vccnz .LBB30_2830
.LBB30_2829:
	v_cmp_ne_u64_e32 vcc_lo, 0, v[2:3]
	s_mov_b32 s6, -1
	s_wait_xcnt 0x0
	v_cndmask_b32_e64 v1, 0, 1, vcc_lo
	global_store_b8 v[8:9], v1, off
.LBB30_2830:
	s_mov_b32 s0, 0
	s_branch .LBB30_2832
.LBB30_2831:
	s_mov_b32 s0, -1
	s_mov_b32 s6, 0
.LBB30_2832:
	s_and_b32 vcc_lo, exec_lo, s0
	s_cbranch_vccz .LBB30_2871
; %bb.2833:
	s_and_b32 s0, 0xffff, s16
	s_mov_b32 s2, -1
	s_cmp_lt_i32 s0, 5
	s_cbranch_scc1 .LBB30_2854
; %bb.2834:
	s_cmp_lt_i32 s0, 8
	s_cbranch_scc1 .LBB30_2844
; %bb.2835:
	;; [unrolled: 3-line block ×3, first 2 shown]
	s_cmp_gt_i32 s0, 9
	s_cbranch_scc0 .LBB30_2838
; %bb.2837:
	s_wait_xcnt 0x0
	v_cvt_f64_u32_e32 v[10:11], v3
	v_cvt_f64_u32_e32 v[12:13], v2
	s_mov_b32 s2, 0
	s_delay_alu instid0(VALU_DEP_2) | instskip(NEXT) | instid1(VALU_DEP_1)
	v_ldexp_f64 v[10:11], v[10:11], 32
	v_dual_add_f64 v[10:11], v[10:11], v[12:13] :: v_dual_mov_b32 v12, 0
	s_delay_alu instid0(VALU_DEP_1)
	v_mov_b32_e32 v13, v12
	global_store_b128 v[8:9], v[10:13], off
.LBB30_2838:
	s_and_not1_b32 vcc_lo, exec_lo, s2
	s_cbranch_vccnz .LBB30_2840
; %bb.2839:
	s_wait_xcnt 0x0
	v_clz_i32_u32_e32 v1, v3
	s_delay_alu instid0(VALU_DEP_1) | instskip(NEXT) | instid1(VALU_DEP_1)
	v_min_u32_e32 v1, 32, v1
	v_lshlrev_b64_e32 v[10:11], v1, v[2:3]
	v_sub_nc_u32_e32 v1, 32, v1
	s_delay_alu instid0(VALU_DEP_2) | instskip(NEXT) | instid1(VALU_DEP_1)
	v_min_u32_e32 v10, 1, v10
	v_dual_mov_b32 v11, 0 :: v_dual_bitop2_b32 v10, v11, v10 bitop3:0x54
	s_delay_alu instid0(VALU_DEP_1) | instskip(NEXT) | instid1(VALU_DEP_1)
	v_cvt_f32_u32_e32 v10, v10
	v_ldexp_f32 v10, v10, v1
	global_store_b64 v[8:9], v[10:11], off
.LBB30_2840:
	s_mov_b32 s2, 0
.LBB30_2841:
	s_delay_alu instid0(SALU_CYCLE_1)
	s_and_not1_b32 vcc_lo, exec_lo, s2
	s_cbranch_vccnz .LBB30_2843
; %bb.2842:
	s_wait_xcnt 0x0
	v_clz_i32_u32_e32 v1, v3
	s_delay_alu instid0(VALU_DEP_1) | instskip(NEXT) | instid1(VALU_DEP_1)
	v_min_u32_e32 v1, 32, v1
	v_lshlrev_b64_e32 v[10:11], v1, v[2:3]
	v_sub_nc_u32_e32 v1, 32, v1
	s_delay_alu instid0(VALU_DEP_2) | instskip(NEXT) | instid1(VALU_DEP_1)
	v_min_u32_e32 v10, 1, v10
	v_or_b32_e32 v10, v11, v10
	s_delay_alu instid0(VALU_DEP_1) | instskip(NEXT) | instid1(VALU_DEP_1)
	v_cvt_f32_u32_e32 v10, v10
	v_ldexp_f32 v1, v10, v1
	s_delay_alu instid0(VALU_DEP_1) | instskip(NEXT) | instid1(VALU_DEP_1)
	v_cvt_f16_f32_e32 v1, v1
	v_and_b32_e32 v1, 0xffff, v1
	global_store_b32 v[8:9], v1, off
.LBB30_2843:
	s_mov_b32 s2, 0
.LBB30_2844:
	s_delay_alu instid0(SALU_CYCLE_1)
	s_and_not1_b32 vcc_lo, exec_lo, s2
	s_cbranch_vccnz .LBB30_2853
; %bb.2845:
	s_cmp_lt_i32 s0, 6
	s_mov_b32 s2, -1
	s_cbranch_scc1 .LBB30_2851
; %bb.2846:
	s_cmp_gt_i32 s0, 6
	s_cbranch_scc0 .LBB30_2848
; %bb.2847:
	s_wait_xcnt 0x0
	v_cvt_f64_u32_e32 v[10:11], v3
	v_cvt_f64_u32_e32 v[12:13], v2
	s_mov_b32 s2, 0
	s_delay_alu instid0(VALU_DEP_2) | instskip(NEXT) | instid1(VALU_DEP_1)
	v_ldexp_f64 v[10:11], v[10:11], 32
	v_add_f64_e32 v[10:11], v[10:11], v[12:13]
	global_store_b64 v[8:9], v[10:11], off
.LBB30_2848:
	s_and_not1_b32 vcc_lo, exec_lo, s2
	s_cbranch_vccnz .LBB30_2850
; %bb.2849:
	s_wait_xcnt 0x0
	v_clz_i32_u32_e32 v1, v3
	s_delay_alu instid0(VALU_DEP_1) | instskip(NEXT) | instid1(VALU_DEP_1)
	v_min_u32_e32 v1, 32, v1
	v_lshlrev_b64_e32 v[10:11], v1, v[2:3]
	v_sub_nc_u32_e32 v1, 32, v1
	s_delay_alu instid0(VALU_DEP_2) | instskip(NEXT) | instid1(VALU_DEP_1)
	v_min_u32_e32 v10, 1, v10
	v_or_b32_e32 v10, v11, v10
	s_delay_alu instid0(VALU_DEP_1) | instskip(NEXT) | instid1(VALU_DEP_1)
	v_cvt_f32_u32_e32 v10, v10
	v_ldexp_f32 v1, v10, v1
	global_store_b32 v[8:9], v1, off
.LBB30_2850:
	s_mov_b32 s2, 0
.LBB30_2851:
	s_delay_alu instid0(SALU_CYCLE_1)
	s_and_not1_b32 vcc_lo, exec_lo, s2
	s_cbranch_vccnz .LBB30_2853
; %bb.2852:
	s_wait_xcnt 0x0
	v_clz_i32_u32_e32 v1, v3
	s_delay_alu instid0(VALU_DEP_1) | instskip(NEXT) | instid1(VALU_DEP_1)
	v_min_u32_e32 v1, 32, v1
	v_lshlrev_b64_e32 v[10:11], v1, v[2:3]
	v_sub_nc_u32_e32 v1, 32, v1
	s_delay_alu instid0(VALU_DEP_2) | instskip(NEXT) | instid1(VALU_DEP_1)
	v_min_u32_e32 v10, 1, v10
	v_or_b32_e32 v10, v11, v10
	s_delay_alu instid0(VALU_DEP_1) | instskip(NEXT) | instid1(VALU_DEP_1)
	v_cvt_f32_u32_e32 v10, v10
	v_ldexp_f32 v1, v10, v1
	s_delay_alu instid0(VALU_DEP_1)
	v_cvt_f16_f32_e32 v1, v1
	global_store_b16 v[8:9], v1, off
.LBB30_2853:
	s_mov_b32 s2, 0
.LBB30_2854:
	s_delay_alu instid0(SALU_CYCLE_1)
	s_and_not1_b32 vcc_lo, exec_lo, s2
	s_cbranch_vccnz .LBB30_2870
; %bb.2855:
	s_cmp_lt_i32 s0, 2
	s_mov_b32 s2, -1
	s_cbranch_scc1 .LBB30_2865
; %bb.2856:
	s_cmp_lt_i32 s0, 3
	s_cbranch_scc1 .LBB30_2862
; %bb.2857:
	s_cmp_gt_i32 s0, 3
	s_cbranch_scc0 .LBB30_2859
; %bb.2858:
	s_mov_b32 s2, 0
	global_store_b64 v[8:9], v[2:3], off
.LBB30_2859:
	s_and_not1_b32 vcc_lo, exec_lo, s2
	s_cbranch_vccnz .LBB30_2861
; %bb.2860:
	global_store_b32 v[8:9], v2, off
.LBB30_2861:
	s_mov_b32 s2, 0
.LBB30_2862:
	s_delay_alu instid0(SALU_CYCLE_1)
	s_and_not1_b32 vcc_lo, exec_lo, s2
	s_cbranch_vccnz .LBB30_2864
; %bb.2863:
	global_store_b16 v[8:9], v2, off
.LBB30_2864:
	s_mov_b32 s2, 0
.LBB30_2865:
	s_delay_alu instid0(SALU_CYCLE_1)
	s_and_not1_b32 vcc_lo, exec_lo, s2
	s_cbranch_vccnz .LBB30_2870
; %bb.2866:
	s_cmp_gt_i32 s0, 0
	s_mov_b32 s0, -1
	s_cbranch_scc0 .LBB30_2868
; %bb.2867:
	s_mov_b32 s0, 0
	global_store_b8 v[8:9], v2, off
.LBB30_2868:
	s_and_not1_b32 vcc_lo, exec_lo, s0
	s_cbranch_vccnz .LBB30_2870
; %bb.2869:
	global_store_b8 v[8:9], v2, off
.LBB30_2870:
	s_mov_b32 s6, -1
.LBB30_2871:
	s_delay_alu instid0(SALU_CYCLE_1)
	s_and_not1_b32 vcc_lo, exec_lo, s6
	s_cbranch_vccnz .LBB30_3067
; %bb.2872:
	v_add_nc_u32_e32 v0, s1, v0
	s_cmp_lt_i32 s16, 11
	s_wait_xcnt 0x0
	s_delay_alu instid0(VALU_DEP_1) | instskip(NEXT) | instid1(VALU_DEP_1)
	v_ashrrev_i32_e32 v1, 31, v0
	v_add_nc_u64_e32 v[2:3], s[4:5], v[0:1]
	s_cbranch_scc1 .LBB30_2950
; %bb.2873:
	s_and_b32 s2, 0xffff, s16
	s_mov_b32 s7, -1
	s_mov_b32 s3, 0
	s_cmp_gt_i32 s2, 25
	s_mov_b32 s6, 0
	s_mov_b32 s0, 0
	s_cbranch_scc0 .LBB30_2906
; %bb.2874:
	s_cmp_gt_i32 s2, 28
	s_cbranch_scc0 .LBB30_2889
; %bb.2875:
	s_cmp_gt_i32 s2, 43
	;; [unrolled: 3-line block ×3, first 2 shown]
	s_cbranch_scc0 .LBB30_2879
; %bb.2877:
	s_mov_b32 s0, -1
	s_mov_b32 s7, 0
	s_cmp_eq_u32 s2, 46
	s_cbranch_scc0 .LBB30_2879
; %bb.2878:
	v_clz_i32_u32_e32 v1, v5
	s_mov_b32 s0, 0
	s_mov_b32 s6, -1
	s_delay_alu instid0(VALU_DEP_1) | instskip(NEXT) | instid1(VALU_DEP_1)
	v_min_u32_e32 v1, 32, v1
	v_lshlrev_b64_e32 v[8:9], v1, v[4:5]
	v_sub_nc_u32_e32 v1, 32, v1
	s_delay_alu instid0(VALU_DEP_2) | instskip(NEXT) | instid1(VALU_DEP_1)
	v_min_u32_e32 v8, 1, v8
	v_or_b32_e32 v8, v9, v8
	s_delay_alu instid0(VALU_DEP_1) | instskip(NEXT) | instid1(VALU_DEP_1)
	v_cvt_f32_u32_e32 v8, v8
	v_ldexp_f32 v1, v8, v1
	s_delay_alu instid0(VALU_DEP_1) | instskip(NEXT) | instid1(VALU_DEP_1)
	v_bfe_u32 v8, v1, 16, 1
	v_add3_u32 v1, v1, v8, 0x7fff
	s_delay_alu instid0(VALU_DEP_1)
	v_lshrrev_b32_e32 v1, 16, v1
	global_store_b32 v[2:3], v1, off
.LBB30_2879:
	s_and_b32 vcc_lo, exec_lo, s7
	s_cbranch_vccz .LBB30_2884
; %bb.2880:
	s_cmp_eq_u32 s2, 44
	s_mov_b32 s0, -1
	s_cbranch_scc0 .LBB30_2884
; %bb.2881:
	s_wait_xcnt 0x0
	v_clz_i32_u32_e32 v1, v5
	s_mov_b32 s6, exec_lo
	s_delay_alu instid0(VALU_DEP_1) | instskip(NEXT) | instid1(VALU_DEP_1)
	v_min_u32_e32 v1, 32, v1
	v_lshlrev_b64_e32 v[8:9], v1, v[4:5]
	v_sub_nc_u32_e32 v1, 32, v1
	s_delay_alu instid0(VALU_DEP_2) | instskip(NEXT) | instid1(VALU_DEP_1)
	v_min_u32_e32 v8, 1, v8
	v_or_b32_e32 v8, v9, v8
	s_delay_alu instid0(VALU_DEP_1) | instskip(NEXT) | instid1(VALU_DEP_1)
	v_cvt_f32_u32_e32 v8, v8
	v_ldexp_f32 v9, v8, v1
	s_delay_alu instid0(VALU_DEP_1) | instskip(NEXT) | instid1(VALU_DEP_1)
	v_dual_mov_b32 v8, 0xff :: v_dual_lshrrev_b32 v1, 23, v9
	v_cmpx_ne_u32_e32 0xff, v1
; %bb.2882:
	v_and_b32_e32 v8, 0x400000, v9
	v_and_or_b32 v9, 0x3fffff, v9, v1
	s_delay_alu instid0(VALU_DEP_2) | instskip(NEXT) | instid1(VALU_DEP_2)
	v_cmp_ne_u32_e32 vcc_lo, 0, v8
	v_cmp_ne_u32_e64 s0, 0, v9
	s_and_b32 s0, vcc_lo, s0
	s_delay_alu instid0(SALU_CYCLE_1) | instskip(NEXT) | instid1(VALU_DEP_1)
	v_cndmask_b32_e64 v8, 0, 1, s0
	v_add_nc_u32_e32 v8, v1, v8
; %bb.2883:
	s_or_b32 exec_lo, exec_lo, s6
	s_mov_b32 s0, 0
	s_mov_b32 s6, -1
	global_store_b8 v[2:3], v8, off
.LBB30_2884:
	s_mov_b32 s7, 0
.LBB30_2885:
	s_delay_alu instid0(SALU_CYCLE_1)
	s_and_b32 vcc_lo, exec_lo, s7
	s_cbranch_vccz .LBB30_2888
; %bb.2886:
	s_cmp_eq_u32 s2, 29
	s_mov_b32 s0, -1
	s_cbranch_scc0 .LBB30_2888
; %bb.2887:
	s_mov_b32 s0, 0
	s_mov_b32 s6, -1
	global_store_b64 v[2:3], v[4:5], off
.LBB30_2888:
	s_mov_b32 s7, 0
.LBB30_2889:
	s_delay_alu instid0(SALU_CYCLE_1)
	s_and_b32 vcc_lo, exec_lo, s7
	s_cbranch_vccz .LBB30_2905
; %bb.2890:
	s_cmp_lt_i32 s2, 27
	s_mov_b32 s6, -1
	s_cbranch_scc1 .LBB30_2896
; %bb.2891:
	s_cmp_gt_i32 s2, 27
	s_cbranch_scc0 .LBB30_2893
; %bb.2892:
	s_mov_b32 s6, 0
	global_store_b32 v[2:3], v4, off
.LBB30_2893:
	s_and_not1_b32 vcc_lo, exec_lo, s6
	s_cbranch_vccnz .LBB30_2895
; %bb.2894:
	global_store_b16 v[2:3], v4, off
.LBB30_2895:
	s_mov_b32 s6, 0
.LBB30_2896:
	s_delay_alu instid0(SALU_CYCLE_1)
	s_and_not1_b32 vcc_lo, exec_lo, s6
	s_cbranch_vccnz .LBB30_2904
; %bb.2897:
	s_wait_xcnt 0x0
	v_clz_i32_u32_e32 v1, v5
	s_mov_b32 s6, exec_lo
	s_delay_alu instid0(VALU_DEP_1) | instskip(NEXT) | instid1(VALU_DEP_1)
	v_min_u32_e32 v1, 32, v1
	v_lshlrev_b64_e32 v[8:9], v1, v[4:5]
	v_sub_nc_u32_e32 v1, 32, v1
	s_delay_alu instid0(VALU_DEP_2) | instskip(NEXT) | instid1(VALU_DEP_1)
	v_min_u32_e32 v8, 1, v8
	v_or_b32_e32 v8, v9, v8
	v_mov_b32_e32 v9, 0x80
	s_delay_alu instid0(VALU_DEP_2) | instskip(NEXT) | instid1(VALU_DEP_1)
	v_cvt_f32_u32_e32 v8, v8
	v_ldexp_f32 v8, v8, v1
	s_delay_alu instid0(VALU_DEP_1)
	v_cmpx_gt_u32_e32 0x43800000, v8
	s_cbranch_execz .LBB30_2903
; %bb.2898:
	s_mov_b32 s7, 0
	s_mov_b32 s8, exec_lo
                                        ; implicit-def: $vgpr1
	v_cmpx_lt_u32_e32 0x3bffffff, v8
	s_xor_b32 s8, exec_lo, s8
	s_cbranch_execz .LBB30_3080
; %bb.2899:
	v_bfe_u32 v1, v8, 20, 1
	s_mov_b32 s7, exec_lo
	s_delay_alu instid0(VALU_DEP_1) | instskip(NEXT) | instid1(VALU_DEP_1)
	v_add3_u32 v1, v8, v1, 0x487ffff
                                        ; implicit-def: $vgpr8
	v_lshrrev_b32_e32 v1, 20, v1
	s_and_not1_saveexec_b32 s8, s8
	s_cbranch_execnz .LBB30_3081
.LBB30_2900:
	s_or_b32 exec_lo, exec_lo, s8
	v_mov_b32_e32 v9, 0
	s_and_saveexec_b32 s8, s7
.LBB30_2901:
	v_mov_b32_e32 v9, v1
.LBB30_2902:
	s_or_b32 exec_lo, exec_lo, s8
.LBB30_2903:
	s_delay_alu instid0(SALU_CYCLE_1)
	s_or_b32 exec_lo, exec_lo, s6
	global_store_b8 v[2:3], v9, off
.LBB30_2904:
	s_mov_b32 s6, -1
.LBB30_2905:
	s_mov_b32 s7, 0
.LBB30_2906:
	s_delay_alu instid0(SALU_CYCLE_1)
	s_and_b32 vcc_lo, exec_lo, s7
	s_cbranch_vccz .LBB30_2946
; %bb.2907:
	s_cmp_gt_i32 s2, 22
	s_mov_b32 s3, -1
	s_cbranch_scc0 .LBB30_2939
; %bb.2908:
	s_cmp_lt_i32 s2, 24
	s_cbranch_scc1 .LBB30_2928
; %bb.2909:
	s_cmp_gt_i32 s2, 24
	s_cbranch_scc0 .LBB30_2917
; %bb.2910:
	s_wait_xcnt 0x0
	v_clz_i32_u32_e32 v1, v5
	s_mov_b32 s3, exec_lo
	s_delay_alu instid0(VALU_DEP_1) | instskip(NEXT) | instid1(VALU_DEP_1)
	v_min_u32_e32 v1, 32, v1
	v_lshlrev_b64_e32 v[8:9], v1, v[4:5]
	v_sub_nc_u32_e32 v1, 32, v1
	s_delay_alu instid0(VALU_DEP_2) | instskip(NEXT) | instid1(VALU_DEP_1)
	v_min_u32_e32 v8, 1, v8
	v_or_b32_e32 v8, v9, v8
	v_mov_b32_e32 v9, 0x80
	s_delay_alu instid0(VALU_DEP_2) | instskip(NEXT) | instid1(VALU_DEP_1)
	v_cvt_f32_u32_e32 v8, v8
	v_ldexp_f32 v8, v8, v1
	s_delay_alu instid0(VALU_DEP_1)
	v_cmpx_gt_u32_e32 0x47800000, v8
	s_cbranch_execz .LBB30_2916
; %bb.2911:
	s_mov_b32 s6, 0
	s_mov_b32 s7, exec_lo
                                        ; implicit-def: $vgpr1
	v_cmpx_lt_u32_e32 0x37ffffff, v8
	s_xor_b32 s7, exec_lo, s7
	s_cbranch_execz .LBB30_3083
; %bb.2912:
	v_bfe_u32 v1, v8, 21, 1
	s_mov_b32 s6, exec_lo
	s_delay_alu instid0(VALU_DEP_1) | instskip(NEXT) | instid1(VALU_DEP_1)
	v_add3_u32 v1, v8, v1, 0x88fffff
                                        ; implicit-def: $vgpr8
	v_lshrrev_b32_e32 v1, 21, v1
	s_and_not1_saveexec_b32 s7, s7
	s_cbranch_execnz .LBB30_3084
.LBB30_2913:
	s_or_b32 exec_lo, exec_lo, s7
	v_mov_b32_e32 v9, 0
	s_and_saveexec_b32 s7, s6
.LBB30_2914:
	v_mov_b32_e32 v9, v1
.LBB30_2915:
	s_or_b32 exec_lo, exec_lo, s7
.LBB30_2916:
	s_delay_alu instid0(SALU_CYCLE_1)
	s_or_b32 exec_lo, exec_lo, s3
	s_mov_b32 s3, 0
	global_store_b8 v[2:3], v9, off
.LBB30_2917:
	s_and_b32 vcc_lo, exec_lo, s3
	s_cbranch_vccz .LBB30_2927
; %bb.2918:
	s_wait_xcnt 0x0
	v_clz_i32_u32_e32 v1, v5
	s_mov_b32 s3, exec_lo
	s_delay_alu instid0(VALU_DEP_1) | instskip(NEXT) | instid1(VALU_DEP_1)
	v_min_u32_e32 v1, 32, v1
	v_lshlrev_b64_e32 v[8:9], v1, v[4:5]
	v_sub_nc_u32_e32 v1, 32, v1
	s_delay_alu instid0(VALU_DEP_2) | instskip(NEXT) | instid1(VALU_DEP_1)
	v_min_u32_e32 v8, 1, v8
	v_or_b32_e32 v8, v9, v8
	s_delay_alu instid0(VALU_DEP_1) | instskip(NEXT) | instid1(VALU_DEP_1)
	v_cvt_f32_u32_e32 v8, v8
	v_ldexp_f32 v8, v8, v1
                                        ; implicit-def: $vgpr1
	s_delay_alu instid0(VALU_DEP_1)
	v_cmpx_gt_u32_e32 0x43f00000, v8
	s_xor_b32 s3, exec_lo, s3
	s_cbranch_execz .LBB30_2924
; %bb.2919:
	s_mov_b32 s6, exec_lo
                                        ; implicit-def: $vgpr1
	v_cmpx_lt_u32_e32 0x3c7fffff, v8
	s_xor_b32 s6, exec_lo, s6
; %bb.2920:
	v_bfe_u32 v1, v8, 20, 1
	s_delay_alu instid0(VALU_DEP_1) | instskip(NEXT) | instid1(VALU_DEP_1)
	v_add3_u32 v1, v8, v1, 0x407ffff
	v_and_b32_e32 v8, 0xff00000, v1
	v_lshrrev_b32_e32 v1, 20, v1
	s_delay_alu instid0(VALU_DEP_2) | instskip(NEXT) | instid1(VALU_DEP_2)
	v_cmp_ne_u32_e32 vcc_lo, 0x7f00000, v8
                                        ; implicit-def: $vgpr8
	v_cndmask_b32_e32 v1, 0x7e, v1, vcc_lo
; %bb.2921:
	s_and_not1_saveexec_b32 s6, s6
; %bb.2922:
	v_add_f32_e32 v1, 0x46800000, v8
; %bb.2923:
	s_or_b32 exec_lo, exec_lo, s6
                                        ; implicit-def: $vgpr8
.LBB30_2924:
	s_and_not1_saveexec_b32 s3, s3
; %bb.2925:
	v_mov_b32_e32 v1, 0x7f
	v_cmp_lt_u32_e32 vcc_lo, 0x7f800000, v8
	s_delay_alu instid0(VALU_DEP_2)
	v_cndmask_b32_e32 v1, 0x7e, v1, vcc_lo
; %bb.2926:
	s_or_b32 exec_lo, exec_lo, s3
	global_store_b8 v[2:3], v1, off
.LBB30_2927:
	s_mov_b32 s3, 0
.LBB30_2928:
	s_delay_alu instid0(SALU_CYCLE_1)
	s_and_not1_b32 vcc_lo, exec_lo, s3
	s_cbranch_vccnz .LBB30_2938
; %bb.2929:
	s_wait_xcnt 0x0
	v_clz_i32_u32_e32 v1, v5
	s_mov_b32 s3, exec_lo
	s_delay_alu instid0(VALU_DEP_1) | instskip(NEXT) | instid1(VALU_DEP_1)
	v_min_u32_e32 v1, 32, v1
	v_lshlrev_b64_e32 v[8:9], v1, v[4:5]
	v_sub_nc_u32_e32 v1, 32, v1
	s_delay_alu instid0(VALU_DEP_2) | instskip(NEXT) | instid1(VALU_DEP_1)
	v_min_u32_e32 v8, 1, v8
	v_or_b32_e32 v8, v9, v8
	s_delay_alu instid0(VALU_DEP_1) | instskip(NEXT) | instid1(VALU_DEP_1)
	v_cvt_f32_u32_e32 v8, v8
	v_ldexp_f32 v8, v8, v1
                                        ; implicit-def: $vgpr1
	s_delay_alu instid0(VALU_DEP_1)
	v_cmpx_gt_u32_e32 0x47800000, v8
	s_xor_b32 s3, exec_lo, s3
	s_cbranch_execz .LBB30_2935
; %bb.2930:
	s_mov_b32 s6, exec_lo
                                        ; implicit-def: $vgpr1
	v_cmpx_lt_u32_e32 0x387fffff, v8
	s_xor_b32 s6, exec_lo, s6
; %bb.2931:
	v_bfe_u32 v1, v8, 21, 1
	s_delay_alu instid0(VALU_DEP_1) | instskip(NEXT) | instid1(VALU_DEP_1)
	v_add3_u32 v1, v8, v1, 0x80fffff
                                        ; implicit-def: $vgpr8
	v_lshrrev_b32_e32 v1, 21, v1
; %bb.2932:
	s_and_not1_saveexec_b32 s6, s6
; %bb.2933:
	v_add_f32_e32 v1, 0x43000000, v8
; %bb.2934:
	s_or_b32 exec_lo, exec_lo, s6
                                        ; implicit-def: $vgpr8
.LBB30_2935:
	s_and_not1_saveexec_b32 s3, s3
; %bb.2936:
	v_mov_b32_e32 v1, 0x7f
	v_cmp_lt_u32_e32 vcc_lo, 0x7f800000, v8
	s_delay_alu instid0(VALU_DEP_2)
	v_cndmask_b32_e32 v1, 0x7c, v1, vcc_lo
; %bb.2937:
	s_or_b32 exec_lo, exec_lo, s3
	global_store_b8 v[2:3], v1, off
.LBB30_2938:
	s_mov_b32 s3, 0
	s_mov_b32 s6, -1
.LBB30_2939:
	s_and_not1_b32 vcc_lo, exec_lo, s3
	s_mov_b32 s3, 0
	s_cbranch_vccnz .LBB30_2946
; %bb.2940:
	s_cmp_gt_i32 s2, 14
	s_mov_b32 s3, -1
	s_cbranch_scc0 .LBB30_2944
; %bb.2941:
	s_cmp_eq_u32 s2, 15
	s_mov_b32 s0, -1
	s_cbranch_scc0 .LBB30_2943
; %bb.2942:
	s_wait_xcnt 0x0
	v_clz_i32_u32_e32 v1, v5
	s_mov_b32 s0, 0
	s_mov_b32 s6, -1
	s_delay_alu instid0(VALU_DEP_1) | instskip(NEXT) | instid1(VALU_DEP_1)
	v_min_u32_e32 v1, 32, v1
	v_lshlrev_b64_e32 v[8:9], v1, v[4:5]
	v_sub_nc_u32_e32 v1, 32, v1
	s_delay_alu instid0(VALU_DEP_2) | instskip(NEXT) | instid1(VALU_DEP_1)
	v_min_u32_e32 v8, 1, v8
	v_or_b32_e32 v8, v9, v8
	s_delay_alu instid0(VALU_DEP_1) | instskip(NEXT) | instid1(VALU_DEP_1)
	v_cvt_f32_u32_e32 v8, v8
	v_ldexp_f32 v1, v8, v1
	s_delay_alu instid0(VALU_DEP_1) | instskip(NEXT) | instid1(VALU_DEP_1)
	v_bfe_u32 v8, v1, 16, 1
	v_add3_u32 v1, v1, v8, 0x7fff
	global_store_d16_hi_b16 v[2:3], v1, off
.LBB30_2943:
	s_mov_b32 s3, 0
.LBB30_2944:
	s_delay_alu instid0(SALU_CYCLE_1)
	s_and_b32 vcc_lo, exec_lo, s3
	s_mov_b32 s3, 0
	s_cbranch_vccz .LBB30_2946
; %bb.2945:
	s_cmp_lg_u32 s2, 11
	s_mov_b32 s3, -1
	s_cselect_b32 s0, -1, 0
.LBB30_2946:
	s_delay_alu instid0(SALU_CYCLE_1)
	s_and_b32 vcc_lo, exec_lo, s0
	s_cbranch_vccnz .LBB30_3082
; %bb.2947:
	s_and_not1_b32 vcc_lo, exec_lo, s3
	s_cbranch_vccnz .LBB30_2949
.LBB30_2948:
	v_cmp_ne_u64_e32 vcc_lo, 0, v[4:5]
	s_mov_b32 s6, -1
	s_wait_xcnt 0x0
	v_cndmask_b32_e64 v1, 0, 1, vcc_lo
	global_store_b8 v[2:3], v1, off
.LBB30_2949:
	s_mov_b32 s0, 0
	s_branch .LBB30_2951
.LBB30_2950:
	s_mov_b32 s0, -1
	s_mov_b32 s6, 0
.LBB30_2951:
	s_and_b32 vcc_lo, exec_lo, s0
	s_cbranch_vccz .LBB30_2990
; %bb.2952:
	s_and_b32 s0, 0xffff, s16
	s_mov_b32 s2, -1
	s_cmp_lt_i32 s0, 5
	s_cbranch_scc1 .LBB30_2973
; %bb.2953:
	s_cmp_lt_i32 s0, 8
	s_cbranch_scc1 .LBB30_2963
; %bb.2954:
	;; [unrolled: 3-line block ×3, first 2 shown]
	s_cmp_gt_i32 s0, 9
	s_cbranch_scc0 .LBB30_2957
; %bb.2956:
	s_wait_xcnt 0x0
	v_cvt_f64_u32_e32 v[8:9], v5
	v_cvt_f64_u32_e32 v[10:11], v4
	s_mov_b32 s2, 0
	s_delay_alu instid0(VALU_DEP_2) | instskip(NEXT) | instid1(VALU_DEP_1)
	v_ldexp_f64 v[8:9], v[8:9], 32
	v_dual_add_f64 v[8:9], v[8:9], v[10:11] :: v_dual_mov_b32 v10, 0
	s_delay_alu instid0(VALU_DEP_1)
	v_mov_b32_e32 v11, v10
	global_store_b128 v[2:3], v[8:11], off
.LBB30_2957:
	s_and_not1_b32 vcc_lo, exec_lo, s2
	s_cbranch_vccnz .LBB30_2959
; %bb.2958:
	s_wait_xcnt 0x0
	v_clz_i32_u32_e32 v1, v5
	s_delay_alu instid0(VALU_DEP_1) | instskip(NEXT) | instid1(VALU_DEP_1)
	v_min_u32_e32 v1, 32, v1
	v_lshlrev_b64_e32 v[8:9], v1, v[4:5]
	v_sub_nc_u32_e32 v1, 32, v1
	s_delay_alu instid0(VALU_DEP_2) | instskip(NEXT) | instid1(VALU_DEP_1)
	v_min_u32_e32 v8, 1, v8
	v_dual_mov_b32 v9, 0 :: v_dual_bitop2_b32 v8, v9, v8 bitop3:0x54
	s_delay_alu instid0(VALU_DEP_1) | instskip(NEXT) | instid1(VALU_DEP_1)
	v_cvt_f32_u32_e32 v8, v8
	v_ldexp_f32 v8, v8, v1
	global_store_b64 v[2:3], v[8:9], off
.LBB30_2959:
	s_mov_b32 s2, 0
.LBB30_2960:
	s_delay_alu instid0(SALU_CYCLE_1)
	s_and_not1_b32 vcc_lo, exec_lo, s2
	s_cbranch_vccnz .LBB30_2962
; %bb.2961:
	s_wait_xcnt 0x0
	v_clz_i32_u32_e32 v1, v5
	s_delay_alu instid0(VALU_DEP_1) | instskip(NEXT) | instid1(VALU_DEP_1)
	v_min_u32_e32 v1, 32, v1
	v_lshlrev_b64_e32 v[8:9], v1, v[4:5]
	v_sub_nc_u32_e32 v1, 32, v1
	s_delay_alu instid0(VALU_DEP_2) | instskip(NEXT) | instid1(VALU_DEP_1)
	v_min_u32_e32 v8, 1, v8
	v_or_b32_e32 v8, v9, v8
	s_delay_alu instid0(VALU_DEP_1) | instskip(NEXT) | instid1(VALU_DEP_1)
	v_cvt_f32_u32_e32 v8, v8
	v_ldexp_f32 v1, v8, v1
	s_delay_alu instid0(VALU_DEP_1) | instskip(NEXT) | instid1(VALU_DEP_1)
	v_cvt_f16_f32_e32 v1, v1
	v_and_b32_e32 v1, 0xffff, v1
	global_store_b32 v[2:3], v1, off
.LBB30_2962:
	s_mov_b32 s2, 0
.LBB30_2963:
	s_delay_alu instid0(SALU_CYCLE_1)
	s_and_not1_b32 vcc_lo, exec_lo, s2
	s_cbranch_vccnz .LBB30_2972
; %bb.2964:
	s_cmp_lt_i32 s0, 6
	s_mov_b32 s2, -1
	s_cbranch_scc1 .LBB30_2970
; %bb.2965:
	s_cmp_gt_i32 s0, 6
	s_cbranch_scc0 .LBB30_2967
; %bb.2966:
	s_wait_xcnt 0x0
	v_cvt_f64_u32_e32 v[8:9], v5
	v_cvt_f64_u32_e32 v[10:11], v4
	s_mov_b32 s2, 0
	s_delay_alu instid0(VALU_DEP_2) | instskip(NEXT) | instid1(VALU_DEP_1)
	v_ldexp_f64 v[8:9], v[8:9], 32
	v_add_f64_e32 v[8:9], v[8:9], v[10:11]
	global_store_b64 v[2:3], v[8:9], off
.LBB30_2967:
	s_and_not1_b32 vcc_lo, exec_lo, s2
	s_cbranch_vccnz .LBB30_2969
; %bb.2968:
	s_wait_xcnt 0x0
	v_clz_i32_u32_e32 v1, v5
	s_delay_alu instid0(VALU_DEP_1) | instskip(NEXT) | instid1(VALU_DEP_1)
	v_min_u32_e32 v1, 32, v1
	v_lshlrev_b64_e32 v[8:9], v1, v[4:5]
	v_sub_nc_u32_e32 v1, 32, v1
	s_delay_alu instid0(VALU_DEP_2) | instskip(NEXT) | instid1(VALU_DEP_1)
	v_min_u32_e32 v8, 1, v8
	v_or_b32_e32 v8, v9, v8
	s_delay_alu instid0(VALU_DEP_1) | instskip(NEXT) | instid1(VALU_DEP_1)
	v_cvt_f32_u32_e32 v8, v8
	v_ldexp_f32 v1, v8, v1
	global_store_b32 v[2:3], v1, off
.LBB30_2969:
	s_mov_b32 s2, 0
.LBB30_2970:
	s_delay_alu instid0(SALU_CYCLE_1)
	s_and_not1_b32 vcc_lo, exec_lo, s2
	s_cbranch_vccnz .LBB30_2972
; %bb.2971:
	s_wait_xcnt 0x0
	v_clz_i32_u32_e32 v1, v5
	s_delay_alu instid0(VALU_DEP_1) | instskip(NEXT) | instid1(VALU_DEP_1)
	v_min_u32_e32 v1, 32, v1
	v_lshlrev_b64_e32 v[8:9], v1, v[4:5]
	v_sub_nc_u32_e32 v1, 32, v1
	s_delay_alu instid0(VALU_DEP_2) | instskip(NEXT) | instid1(VALU_DEP_1)
	v_min_u32_e32 v8, 1, v8
	v_or_b32_e32 v8, v9, v8
	s_delay_alu instid0(VALU_DEP_1) | instskip(NEXT) | instid1(VALU_DEP_1)
	v_cvt_f32_u32_e32 v8, v8
	v_ldexp_f32 v1, v8, v1
	s_delay_alu instid0(VALU_DEP_1)
	v_cvt_f16_f32_e32 v1, v1
	global_store_b16 v[2:3], v1, off
.LBB30_2972:
	s_mov_b32 s2, 0
.LBB30_2973:
	s_delay_alu instid0(SALU_CYCLE_1)
	s_and_not1_b32 vcc_lo, exec_lo, s2
	s_cbranch_vccnz .LBB30_2989
; %bb.2974:
	s_cmp_lt_i32 s0, 2
	s_mov_b32 s2, -1
	s_cbranch_scc1 .LBB30_2984
; %bb.2975:
	s_cmp_lt_i32 s0, 3
	s_cbranch_scc1 .LBB30_2981
; %bb.2976:
	s_cmp_gt_i32 s0, 3
	s_cbranch_scc0 .LBB30_2978
; %bb.2977:
	s_mov_b32 s2, 0
	global_store_b64 v[2:3], v[4:5], off
.LBB30_2978:
	s_and_not1_b32 vcc_lo, exec_lo, s2
	s_cbranch_vccnz .LBB30_2980
; %bb.2979:
	global_store_b32 v[2:3], v4, off
.LBB30_2980:
	s_mov_b32 s2, 0
.LBB30_2981:
	s_delay_alu instid0(SALU_CYCLE_1)
	s_and_not1_b32 vcc_lo, exec_lo, s2
	s_cbranch_vccnz .LBB30_2983
; %bb.2982:
	global_store_b16 v[2:3], v4, off
.LBB30_2983:
	s_mov_b32 s2, 0
.LBB30_2984:
	s_delay_alu instid0(SALU_CYCLE_1)
	s_and_not1_b32 vcc_lo, exec_lo, s2
	s_cbranch_vccnz .LBB30_2989
; %bb.2985:
	s_cmp_gt_i32 s0, 0
	s_mov_b32 s0, -1
	s_cbranch_scc0 .LBB30_2987
; %bb.2986:
	s_mov_b32 s0, 0
	global_store_b8 v[2:3], v4, off
.LBB30_2987:
	s_and_not1_b32 vcc_lo, exec_lo, s0
	s_cbranch_vccnz .LBB30_2989
; %bb.2988:
	global_store_b8 v[2:3], v4, off
.LBB30_2989:
	s_mov_b32 s6, -1
.LBB30_2990:
	s_delay_alu instid0(SALU_CYCLE_1)
	s_and_not1_b32 vcc_lo, exec_lo, s6
	s_cbranch_vccnz .LBB30_3067
; %bb.2991:
	v_add_nc_u32_e32 v0, s1, v0
	s_cmp_lt_i32 s16, 11
	s_wait_xcnt 0x0
	s_delay_alu instid0(VALU_DEP_1) | instskip(NEXT) | instid1(VALU_DEP_1)
	v_ashrrev_i32_e32 v1, 31, v0
	v_add_nc_u64_e32 v[0:1], s[4:5], v[0:1]
	s_cbranch_scc1 .LBB30_3068
; %bb.2992:
	s_and_b32 s1, 0xffff, s16
	s_mov_b32 s3, -1
	s_mov_b32 s2, 0
	s_cmp_gt_i32 s1, 25
	s_mov_b32 s0, 0
	s_cbranch_scc0 .LBB30_3025
; %bb.2993:
	s_cmp_gt_i32 s1, 28
	s_cbranch_scc0 .LBB30_3009
; %bb.2994:
	s_cmp_gt_i32 s1, 43
	;; [unrolled: 3-line block ×3, first 2 shown]
	s_cbranch_scc0 .LBB30_2999
; %bb.2996:
	s_cmp_eq_u32 s1, 46
	s_mov_b32 s0, -1
	s_cbranch_scc0 .LBB30_2998
; %bb.2997:
	v_clz_i32_u32_e32 v2, v7
	s_mov_b32 s0, 0
	s_delay_alu instid0(VALU_DEP_1) | instskip(NEXT) | instid1(VALU_DEP_1)
	v_min_u32_e32 v4, 32, v2
	v_lshlrev_b64_e32 v[2:3], v4, v[6:7]
	s_delay_alu instid0(VALU_DEP_1) | instskip(NEXT) | instid1(VALU_DEP_1)
	v_min_u32_e32 v2, 1, v2
	v_dual_sub_nc_u32 v3, 32, v4 :: v_dual_bitop2_b32 v2, v3, v2 bitop3:0x54
	s_delay_alu instid0(VALU_DEP_1) | instskip(NEXT) | instid1(VALU_DEP_1)
	v_cvt_f32_u32_e32 v2, v2
	v_ldexp_f32 v2, v2, v3
	s_delay_alu instid0(VALU_DEP_1) | instskip(NEXT) | instid1(VALU_DEP_1)
	v_bfe_u32 v3, v2, 16, 1
	v_add3_u32 v2, v2, v3, 0x7fff
	s_delay_alu instid0(VALU_DEP_1)
	v_lshrrev_b32_e32 v2, 16, v2
	global_store_b32 v[0:1], v2, off
.LBB30_2998:
	s_mov_b32 s3, 0
.LBB30_2999:
	s_delay_alu instid0(SALU_CYCLE_1)
	s_and_b32 vcc_lo, exec_lo, s3
	s_cbranch_vccz .LBB30_3004
; %bb.3000:
	s_cmp_eq_u32 s1, 44
	s_mov_b32 s0, -1
	s_cbranch_scc0 .LBB30_3004
; %bb.3001:
	s_wait_xcnt 0x0
	v_clz_i32_u32_e32 v2, v7
	s_mov_b32 s3, exec_lo
	s_delay_alu instid0(VALU_DEP_1) | instskip(NEXT) | instid1(VALU_DEP_1)
	v_min_u32_e32 v4, 32, v2
	v_lshlrev_b64_e32 v[2:3], v4, v[6:7]
	s_delay_alu instid0(VALU_DEP_1) | instskip(NEXT) | instid1(VALU_DEP_1)
	v_min_u32_e32 v2, 1, v2
	v_dual_sub_nc_u32 v3, 32, v4 :: v_dual_bitop2_b32 v2, v3, v2 bitop3:0x54
	s_delay_alu instid0(VALU_DEP_1) | instskip(NEXT) | instid1(VALU_DEP_1)
	v_cvt_f32_u32_e32 v2, v2
	v_ldexp_f32 v4, v2, v3
	s_delay_alu instid0(VALU_DEP_1) | instskip(NEXT) | instid1(VALU_DEP_1)
	v_dual_mov_b32 v3, 0xff :: v_dual_lshrrev_b32 v2, 23, v4
	v_cmpx_ne_u32_e32 0xff, v2
; %bb.3002:
	v_and_b32_e32 v3, 0x400000, v4
	v_and_or_b32 v4, 0x3fffff, v4, v2
	s_delay_alu instid0(VALU_DEP_2) | instskip(NEXT) | instid1(VALU_DEP_2)
	v_cmp_ne_u32_e32 vcc_lo, 0, v3
	v_cmp_ne_u32_e64 s0, 0, v4
	s_and_b32 s0, vcc_lo, s0
	s_delay_alu instid0(SALU_CYCLE_1) | instskip(NEXT) | instid1(VALU_DEP_1)
	v_cndmask_b32_e64 v3, 0, 1, s0
	v_add_nc_u32_e32 v3, v2, v3
; %bb.3003:
	s_or_b32 exec_lo, exec_lo, s3
	s_mov_b32 s0, 0
	global_store_b8 v[0:1], v3, off
.LBB30_3004:
	s_mov_b32 s3, 0
.LBB30_3005:
	s_delay_alu instid0(SALU_CYCLE_1)
	s_and_b32 vcc_lo, exec_lo, s3
	s_cbranch_vccz .LBB30_3008
; %bb.3006:
	s_cmp_eq_u32 s1, 29
	s_mov_b32 s0, -1
	s_cbranch_scc0 .LBB30_3008
; %bb.3007:
	s_mov_b32 s0, 0
	global_store_b64 v[0:1], v[6:7], off
.LBB30_3008:
	s_mov_b32 s3, 0
.LBB30_3009:
	s_delay_alu instid0(SALU_CYCLE_1)
	s_and_b32 vcc_lo, exec_lo, s3
	s_cbranch_vccz .LBB30_3024
; %bb.3010:
	s_cmp_lt_i32 s1, 27
	s_mov_b32 s3, -1
	s_cbranch_scc1 .LBB30_3016
; %bb.3011:
	s_cmp_gt_i32 s1, 27
	s_cbranch_scc0 .LBB30_3013
; %bb.3012:
	s_mov_b32 s3, 0
	global_store_b32 v[0:1], v6, off
.LBB30_3013:
	s_and_not1_b32 vcc_lo, exec_lo, s3
	s_cbranch_vccnz .LBB30_3015
; %bb.3014:
	global_store_b16 v[0:1], v6, off
.LBB30_3015:
	s_mov_b32 s3, 0
.LBB30_3016:
	s_delay_alu instid0(SALU_CYCLE_1)
	s_and_not1_b32 vcc_lo, exec_lo, s3
	s_cbranch_vccnz .LBB30_3024
; %bb.3017:
	s_wait_xcnt 0x0
	v_clz_i32_u32_e32 v2, v7
	s_mov_b32 s3, exec_lo
	s_delay_alu instid0(VALU_DEP_1) | instskip(NEXT) | instid1(VALU_DEP_1)
	v_min_u32_e32 v4, 32, v2
	v_lshlrev_b64_e32 v[2:3], v4, v[6:7]
	s_delay_alu instid0(VALU_DEP_1) | instskip(NEXT) | instid1(VALU_DEP_1)
	v_min_u32_e32 v2, 1, v2
	v_dual_sub_nc_u32 v3, 32, v4 :: v_dual_bitop2_b32 v2, v3, v2 bitop3:0x54
	v_mov_b32_e32 v4, 0x80
	s_delay_alu instid0(VALU_DEP_2) | instskip(NEXT) | instid1(VALU_DEP_1)
	v_cvt_f32_u32_e32 v2, v2
	v_ldexp_f32 v3, v2, v3
	s_delay_alu instid0(VALU_DEP_1)
	v_cmpx_gt_u32_e32 0x43800000, v3
	s_cbranch_execz .LBB30_3023
; %bb.3018:
	s_mov_b32 s4, 0
	s_mov_b32 s5, exec_lo
                                        ; implicit-def: $vgpr2
	v_cmpx_lt_u32_e32 0x3bffffff, v3
	s_xor_b32 s5, exec_lo, s5
	s_cbranch_execz .LBB30_3085
; %bb.3019:
	v_bfe_u32 v2, v3, 20, 1
	s_mov_b32 s4, exec_lo
	s_delay_alu instid0(VALU_DEP_1) | instskip(NEXT) | instid1(VALU_DEP_1)
	v_add3_u32 v2, v3, v2, 0x487ffff
                                        ; implicit-def: $vgpr3
	v_lshrrev_b32_e32 v2, 20, v2
	s_and_not1_saveexec_b32 s5, s5
	s_cbranch_execnz .LBB30_3086
.LBB30_3020:
	s_or_b32 exec_lo, exec_lo, s5
	v_mov_b32_e32 v4, 0
	s_and_saveexec_b32 s5, s4
.LBB30_3021:
	v_mov_b32_e32 v4, v2
.LBB30_3022:
	s_or_b32 exec_lo, exec_lo, s5
.LBB30_3023:
	s_delay_alu instid0(SALU_CYCLE_1)
	s_or_b32 exec_lo, exec_lo, s3
	global_store_b8 v[0:1], v4, off
.LBB30_3024:
	s_mov_b32 s3, 0
.LBB30_3025:
	s_delay_alu instid0(SALU_CYCLE_1)
	s_and_b32 vcc_lo, exec_lo, s3
	s_cbranch_vccz .LBB30_3065
; %bb.3026:
	s_cmp_gt_i32 s1, 22
	s_mov_b32 s2, -1
	s_cbranch_scc0 .LBB30_3058
; %bb.3027:
	s_cmp_lt_i32 s1, 24
	s_cbranch_scc1 .LBB30_3047
; %bb.3028:
	s_cmp_gt_i32 s1, 24
	s_cbranch_scc0 .LBB30_3036
; %bb.3029:
	s_wait_xcnt 0x0
	v_clz_i32_u32_e32 v2, v7
	s_mov_b32 s2, exec_lo
	s_delay_alu instid0(VALU_DEP_1) | instskip(NEXT) | instid1(VALU_DEP_1)
	v_min_u32_e32 v4, 32, v2
	v_lshlrev_b64_e32 v[2:3], v4, v[6:7]
	s_delay_alu instid0(VALU_DEP_1) | instskip(NEXT) | instid1(VALU_DEP_1)
	v_min_u32_e32 v2, 1, v2
	v_dual_sub_nc_u32 v3, 32, v4 :: v_dual_bitop2_b32 v2, v3, v2 bitop3:0x54
	v_mov_b32_e32 v4, 0x80
	s_delay_alu instid0(VALU_DEP_2) | instskip(NEXT) | instid1(VALU_DEP_1)
	v_cvt_f32_u32_e32 v2, v2
	v_ldexp_f32 v3, v2, v3
	s_delay_alu instid0(VALU_DEP_1)
	v_cmpx_gt_u32_e32 0x47800000, v3
	s_cbranch_execz .LBB30_3035
; %bb.3030:
	s_mov_b32 s3, 0
	s_mov_b32 s4, exec_lo
                                        ; implicit-def: $vgpr2
	v_cmpx_lt_u32_e32 0x37ffffff, v3
	s_xor_b32 s4, exec_lo, s4
	s_cbranch_execz .LBB30_3088
; %bb.3031:
	v_bfe_u32 v2, v3, 21, 1
	s_mov_b32 s3, exec_lo
	s_delay_alu instid0(VALU_DEP_1) | instskip(NEXT) | instid1(VALU_DEP_1)
	v_add3_u32 v2, v3, v2, 0x88fffff
                                        ; implicit-def: $vgpr3
	v_lshrrev_b32_e32 v2, 21, v2
	s_and_not1_saveexec_b32 s4, s4
	s_cbranch_execnz .LBB30_3089
.LBB30_3032:
	s_or_b32 exec_lo, exec_lo, s4
	v_mov_b32_e32 v4, 0
	s_and_saveexec_b32 s4, s3
.LBB30_3033:
	v_mov_b32_e32 v4, v2
.LBB30_3034:
	s_or_b32 exec_lo, exec_lo, s4
.LBB30_3035:
	s_delay_alu instid0(SALU_CYCLE_1)
	s_or_b32 exec_lo, exec_lo, s2
	s_mov_b32 s2, 0
	global_store_b8 v[0:1], v4, off
.LBB30_3036:
	s_and_b32 vcc_lo, exec_lo, s2
	s_cbranch_vccz .LBB30_3046
; %bb.3037:
	s_wait_xcnt 0x0
	v_clz_i32_u32_e32 v2, v7
	s_mov_b32 s2, exec_lo
	s_delay_alu instid0(VALU_DEP_1) | instskip(NEXT) | instid1(VALU_DEP_1)
	v_min_u32_e32 v4, 32, v2
	v_lshlrev_b64_e32 v[2:3], v4, v[6:7]
	s_delay_alu instid0(VALU_DEP_1) | instskip(NEXT) | instid1(VALU_DEP_1)
	v_min_u32_e32 v2, 1, v2
	v_dual_sub_nc_u32 v3, 32, v4 :: v_dual_bitop2_b32 v2, v3, v2 bitop3:0x54
	s_delay_alu instid0(VALU_DEP_1) | instskip(NEXT) | instid1(VALU_DEP_1)
	v_cvt_f32_u32_e32 v2, v2
	v_ldexp_f32 v3, v2, v3
                                        ; implicit-def: $vgpr2
	s_delay_alu instid0(VALU_DEP_1)
	v_cmpx_gt_u32_e32 0x43f00000, v3
	s_xor_b32 s2, exec_lo, s2
	s_cbranch_execz .LBB30_3043
; %bb.3038:
	s_mov_b32 s3, exec_lo
                                        ; implicit-def: $vgpr2
	v_cmpx_lt_u32_e32 0x3c7fffff, v3
	s_xor_b32 s3, exec_lo, s3
; %bb.3039:
	v_bfe_u32 v2, v3, 20, 1
	s_delay_alu instid0(VALU_DEP_1) | instskip(NEXT) | instid1(VALU_DEP_1)
	v_add3_u32 v2, v3, v2, 0x407ffff
	v_and_b32_e32 v3, 0xff00000, v2
	v_lshrrev_b32_e32 v2, 20, v2
	s_delay_alu instid0(VALU_DEP_2) | instskip(NEXT) | instid1(VALU_DEP_2)
	v_cmp_ne_u32_e32 vcc_lo, 0x7f00000, v3
                                        ; implicit-def: $vgpr3
	v_cndmask_b32_e32 v2, 0x7e, v2, vcc_lo
; %bb.3040:
	s_and_not1_saveexec_b32 s3, s3
; %bb.3041:
	v_add_f32_e32 v2, 0x46800000, v3
; %bb.3042:
	s_or_b32 exec_lo, exec_lo, s3
                                        ; implicit-def: $vgpr3
.LBB30_3043:
	s_and_not1_saveexec_b32 s2, s2
; %bb.3044:
	v_mov_b32_e32 v2, 0x7f
	v_cmp_lt_u32_e32 vcc_lo, 0x7f800000, v3
	s_delay_alu instid0(VALU_DEP_2)
	v_cndmask_b32_e32 v2, 0x7e, v2, vcc_lo
; %bb.3045:
	s_or_b32 exec_lo, exec_lo, s2
	global_store_b8 v[0:1], v2, off
.LBB30_3046:
	s_mov_b32 s2, 0
.LBB30_3047:
	s_delay_alu instid0(SALU_CYCLE_1)
	s_and_not1_b32 vcc_lo, exec_lo, s2
	s_cbranch_vccnz .LBB30_3057
; %bb.3048:
	s_wait_xcnt 0x0
	v_clz_i32_u32_e32 v2, v7
	s_mov_b32 s2, exec_lo
	s_delay_alu instid0(VALU_DEP_1) | instskip(NEXT) | instid1(VALU_DEP_1)
	v_min_u32_e32 v4, 32, v2
	v_lshlrev_b64_e32 v[2:3], v4, v[6:7]
	s_delay_alu instid0(VALU_DEP_1) | instskip(NEXT) | instid1(VALU_DEP_1)
	v_min_u32_e32 v2, 1, v2
	v_dual_sub_nc_u32 v3, 32, v4 :: v_dual_bitop2_b32 v2, v3, v2 bitop3:0x54
	s_delay_alu instid0(VALU_DEP_1) | instskip(NEXT) | instid1(VALU_DEP_1)
	v_cvt_f32_u32_e32 v2, v2
	v_ldexp_f32 v3, v2, v3
                                        ; implicit-def: $vgpr2
	s_delay_alu instid0(VALU_DEP_1)
	v_cmpx_gt_u32_e32 0x47800000, v3
	s_xor_b32 s2, exec_lo, s2
	s_cbranch_execz .LBB30_3054
; %bb.3049:
	s_mov_b32 s3, exec_lo
                                        ; implicit-def: $vgpr2
	v_cmpx_lt_u32_e32 0x387fffff, v3
	s_xor_b32 s3, exec_lo, s3
; %bb.3050:
	v_bfe_u32 v2, v3, 21, 1
	s_delay_alu instid0(VALU_DEP_1) | instskip(NEXT) | instid1(VALU_DEP_1)
	v_add3_u32 v2, v3, v2, 0x80fffff
                                        ; implicit-def: $vgpr3
	v_lshrrev_b32_e32 v2, 21, v2
; %bb.3051:
	s_and_not1_saveexec_b32 s3, s3
; %bb.3052:
	v_add_f32_e32 v2, 0x43000000, v3
; %bb.3053:
	s_or_b32 exec_lo, exec_lo, s3
                                        ; implicit-def: $vgpr3
.LBB30_3054:
	s_and_not1_saveexec_b32 s2, s2
; %bb.3055:
	v_mov_b32_e32 v2, 0x7f
	v_cmp_lt_u32_e32 vcc_lo, 0x7f800000, v3
	s_delay_alu instid0(VALU_DEP_2)
	v_cndmask_b32_e32 v2, 0x7c, v2, vcc_lo
; %bb.3056:
	s_or_b32 exec_lo, exec_lo, s2
	global_store_b8 v[0:1], v2, off
.LBB30_3057:
	s_mov_b32 s2, 0
.LBB30_3058:
	s_delay_alu instid0(SALU_CYCLE_1)
	s_and_not1_b32 vcc_lo, exec_lo, s2
	s_mov_b32 s2, 0
	s_cbranch_vccnz .LBB30_3065
; %bb.3059:
	s_cmp_gt_i32 s1, 14
	s_mov_b32 s2, -1
	s_cbranch_scc0 .LBB30_3063
; %bb.3060:
	s_cmp_eq_u32 s1, 15
	s_mov_b32 s0, -1
	s_cbranch_scc0 .LBB30_3062
; %bb.3061:
	s_wait_xcnt 0x0
	v_clz_i32_u32_e32 v2, v7
	s_mov_b32 s0, 0
	s_delay_alu instid0(VALU_DEP_1) | instskip(NEXT) | instid1(VALU_DEP_1)
	v_min_u32_e32 v4, 32, v2
	v_lshlrev_b64_e32 v[2:3], v4, v[6:7]
	s_delay_alu instid0(VALU_DEP_1) | instskip(NEXT) | instid1(VALU_DEP_1)
	v_min_u32_e32 v2, 1, v2
	v_dual_sub_nc_u32 v3, 32, v4 :: v_dual_bitop2_b32 v2, v3, v2 bitop3:0x54
	s_delay_alu instid0(VALU_DEP_1) | instskip(NEXT) | instid1(VALU_DEP_1)
	v_cvt_f32_u32_e32 v2, v2
	v_ldexp_f32 v2, v2, v3
	s_delay_alu instid0(VALU_DEP_1) | instskip(NEXT) | instid1(VALU_DEP_1)
	v_bfe_u32 v3, v2, 16, 1
	v_add3_u32 v2, v2, v3, 0x7fff
	global_store_d16_hi_b16 v[0:1], v2, off
.LBB30_3062:
	s_mov_b32 s2, 0
.LBB30_3063:
	s_delay_alu instid0(SALU_CYCLE_1)
	s_and_b32 vcc_lo, exec_lo, s2
	s_mov_b32 s2, 0
	s_cbranch_vccz .LBB30_3065
; %bb.3064:
	s_cmp_lg_u32 s1, 11
	s_mov_b32 s2, -1
	s_cselect_b32 s0, -1, 0
.LBB30_3065:
	s_delay_alu instid0(SALU_CYCLE_1)
	s_and_b32 vcc_lo, exec_lo, s0
	s_cbranch_vccnz .LBB30_3087
.LBB30_3066:
	s_mov_b32 s0, 0
	s_branch .LBB30_2584
.LBB30_3067:
	s_mov_b32 s0, 0
	s_mov_b32 s2, 0
                                        ; implicit-def: $sgpr16
                                        ; implicit-def: $vgpr0_vgpr1
	s_branch .LBB30_2584
.LBB30_3068:
	s_mov_b32 s2, 0
	s_mov_b32 s0, -1
	s_branch .LBB30_2584
.LBB30_3069:
	s_or_b32 s12, s12, exec_lo
	s_trap 2
	s_cbranch_execz .LBB30_2529
	s_branch .LBB30_2530
.LBB30_3070:
	s_and_not1_saveexec_b32 s7, s7
	s_cbranch_execz .LBB30_2662
.LBB30_3071:
	v_add_f32_e32 v9, 0x46000000, v12
	s_and_not1_b32 s6, s6, exec_lo
	s_delay_alu instid0(VALU_DEP_1) | instskip(NEXT) | instid1(VALU_DEP_1)
	v_and_b32_e32 v9, 0xff, v9
	v_cmp_ne_u32_e32 vcc_lo, 0, v9
	s_and_b32 s9, vcc_lo, exec_lo
	s_delay_alu instid0(SALU_CYCLE_1)
	s_or_b32 s6, s6, s9
	s_or_b32 exec_lo, exec_lo, s7
	v_mov_b32_e32 v13, 0
	s_and_saveexec_b32 s7, s6
	s_cbranch_execnz .LBB30_2663
	s_branch .LBB30_2664
.LBB30_3072:
	s_or_b32 s12, s12, exec_lo
	s_trap 2
	s_cbranch_execz .LBB30_2710
	s_branch .LBB30_2711
.LBB30_3073:
	s_and_not1_saveexec_b32 s6, s6
	s_cbranch_execz .LBB30_2675
.LBB30_3074:
	v_add_f32_e32 v9, 0x42800000, v12
	s_and_not1_b32 s3, s3, exec_lo
	s_delay_alu instid0(VALU_DEP_1) | instskip(NEXT) | instid1(VALU_DEP_1)
	v_and_b32_e32 v9, 0xff, v9
	v_cmp_ne_u32_e32 vcc_lo, 0, v9
	s_and_b32 s7, vcc_lo, exec_lo
	s_delay_alu instid0(SALU_CYCLE_1)
	s_or_b32 s3, s3, s7
	s_or_b32 exec_lo, exec_lo, s6
	v_mov_b32_e32 v13, 0
	s_and_saveexec_b32 s6, s3
	s_cbranch_execnz .LBB30_2676
	s_branch .LBB30_2677
.LBB30_3075:
	s_and_not1_saveexec_b32 s8, s8
	s_cbranch_execz .LBB30_2781
.LBB30_3076:
	v_add_f32_e32 v1, 0x46000000, v10
	s_and_not1_b32 s7, s7, exec_lo
	s_delay_alu instid0(VALU_DEP_1) | instskip(NEXT) | instid1(VALU_DEP_1)
	v_and_b32_e32 v1, 0xff, v1
	v_cmp_ne_u32_e32 vcc_lo, 0, v1
	s_and_b32 s9, vcc_lo, exec_lo
	s_delay_alu instid0(SALU_CYCLE_1)
	s_or_b32 s7, s7, s9
	s_or_b32 exec_lo, exec_lo, s8
	v_mov_b32_e32 v11, 0
	s_and_saveexec_b32 s8, s7
	s_cbranch_execnz .LBB30_2782
	s_branch .LBB30_2783
.LBB30_3077:
	s_or_b32 s12, s12, exec_lo
	s_trap 2
	s_cbranch_execz .LBB30_2829
	s_branch .LBB30_2830
.LBB30_3078:
	s_and_not1_saveexec_b32 s7, s7
	s_cbranch_execz .LBB30_2794
.LBB30_3079:
	v_add_f32_e32 v1, 0x42800000, v10
	s_and_not1_b32 s6, s6, exec_lo
	s_delay_alu instid0(VALU_DEP_1) | instskip(NEXT) | instid1(VALU_DEP_1)
	v_and_b32_e32 v1, 0xff, v1
	v_cmp_ne_u32_e32 vcc_lo, 0, v1
	s_and_b32 s8, vcc_lo, exec_lo
	s_delay_alu instid0(SALU_CYCLE_1)
	s_or_b32 s6, s6, s8
	s_or_b32 exec_lo, exec_lo, s7
	v_mov_b32_e32 v11, 0
	s_and_saveexec_b32 s7, s6
	s_cbranch_execnz .LBB30_2795
	s_branch .LBB30_2796
.LBB30_3080:
	s_and_not1_saveexec_b32 s8, s8
	s_cbranch_execz .LBB30_2900
.LBB30_3081:
	v_add_f32_e32 v1, 0x46000000, v8
	s_and_not1_b32 s7, s7, exec_lo
	s_delay_alu instid0(VALU_DEP_1) | instskip(NEXT) | instid1(VALU_DEP_1)
	v_and_b32_e32 v1, 0xff, v1
	v_cmp_ne_u32_e32 vcc_lo, 0, v1
	s_and_b32 s9, vcc_lo, exec_lo
	s_delay_alu instid0(SALU_CYCLE_1)
	s_or_b32 s7, s7, s9
	s_or_b32 exec_lo, exec_lo, s8
	v_mov_b32_e32 v9, 0
	s_and_saveexec_b32 s8, s7
	s_cbranch_execnz .LBB30_2901
	s_branch .LBB30_2902
.LBB30_3082:
	s_or_b32 s12, s12, exec_lo
	s_trap 2
	s_cbranch_execz .LBB30_2948
	s_branch .LBB30_2949
.LBB30_3083:
	s_and_not1_saveexec_b32 s7, s7
	s_cbranch_execz .LBB30_2913
.LBB30_3084:
	v_add_f32_e32 v1, 0x42800000, v8
	s_and_not1_b32 s6, s6, exec_lo
	s_delay_alu instid0(VALU_DEP_1) | instskip(NEXT) | instid1(VALU_DEP_1)
	v_and_b32_e32 v1, 0xff, v1
	v_cmp_ne_u32_e32 vcc_lo, 0, v1
	s_and_b32 s8, vcc_lo, exec_lo
	s_delay_alu instid0(SALU_CYCLE_1)
	s_or_b32 s6, s6, s8
	s_or_b32 exec_lo, exec_lo, s7
	v_mov_b32_e32 v9, 0
	s_and_saveexec_b32 s7, s6
	s_cbranch_execnz .LBB30_2914
	s_branch .LBB30_2915
.LBB30_3085:
	s_and_not1_saveexec_b32 s5, s5
	s_cbranch_execz .LBB30_3020
.LBB30_3086:
	v_add_f32_e32 v2, 0x46000000, v3
	s_and_not1_b32 s4, s4, exec_lo
	s_delay_alu instid0(VALU_DEP_1) | instskip(NEXT) | instid1(VALU_DEP_1)
	v_and_b32_e32 v2, 0xff, v2
	v_cmp_ne_u32_e32 vcc_lo, 0, v2
	s_and_b32 s6, vcc_lo, exec_lo
	s_delay_alu instid0(SALU_CYCLE_1)
	s_or_b32 s4, s4, s6
	s_or_b32 exec_lo, exec_lo, s5
	v_mov_b32_e32 v4, 0
	s_and_saveexec_b32 s5, s4
	s_cbranch_execnz .LBB30_3021
	s_branch .LBB30_3022
.LBB30_3087:
	s_mov_b32 s2, 0
	s_or_b32 s12, s12, exec_lo
	s_trap 2
	s_branch .LBB30_3066
.LBB30_3088:
	s_and_not1_saveexec_b32 s4, s4
	s_cbranch_execz .LBB30_3032
.LBB30_3089:
	v_add_f32_e32 v2, 0x42800000, v3
	s_and_not1_b32 s3, s3, exec_lo
	s_delay_alu instid0(VALU_DEP_1) | instskip(NEXT) | instid1(VALU_DEP_1)
	v_and_b32_e32 v2, 0xff, v2
	v_cmp_ne_u32_e32 vcc_lo, 0, v2
	s_and_b32 s5, vcc_lo, exec_lo
	s_delay_alu instid0(SALU_CYCLE_1)
	s_or_b32 s3, s3, s5
	s_or_b32 exec_lo, exec_lo, s4
	v_mov_b32_e32 v4, 0
	s_and_saveexec_b32 s4, s3
	s_cbranch_execnz .LBB30_3033
	s_branch .LBB30_3034
	.section	.rodata,"a",@progbits
	.p2align	6, 0x0
	.amdhsa_kernel _ZN2at6native32elementwise_kernel_manual_unrollILi128ELi4EZNS0_15gpu_kernel_implIZZZNS0_15gcd_kernel_cudaERNS_18TensorIteratorBaseEENKUlvE_clEvENKUlvE2_clEvEUlllE_EEvS4_RKT_EUlibE_EEviT1_
		.amdhsa_group_segment_fixed_size 0
		.amdhsa_private_segment_fixed_size 0
		.amdhsa_kernarg_size 48
		.amdhsa_user_sgpr_count 2
		.amdhsa_user_sgpr_dispatch_ptr 0
		.amdhsa_user_sgpr_queue_ptr 0
		.amdhsa_user_sgpr_kernarg_segment_ptr 1
		.amdhsa_user_sgpr_dispatch_id 0
		.amdhsa_user_sgpr_kernarg_preload_length 0
		.amdhsa_user_sgpr_kernarg_preload_offset 0
		.amdhsa_user_sgpr_private_segment_size 0
		.amdhsa_wavefront_size32 1
		.amdhsa_uses_dynamic_stack 0
		.amdhsa_enable_private_segment 0
		.amdhsa_system_sgpr_workgroup_id_x 1
		.amdhsa_system_sgpr_workgroup_id_y 0
		.amdhsa_system_sgpr_workgroup_id_z 0
		.amdhsa_system_sgpr_workgroup_info 0
		.amdhsa_system_vgpr_workitem_id 0
		.amdhsa_next_free_vgpr 32
		.amdhsa_next_free_sgpr 35
		.amdhsa_named_barrier_count 0
		.amdhsa_reserve_vcc 1
		.amdhsa_float_round_mode_32 0
		.amdhsa_float_round_mode_16_64 0
		.amdhsa_float_denorm_mode_32 3
		.amdhsa_float_denorm_mode_16_64 3
		.amdhsa_fp16_overflow 0
		.amdhsa_memory_ordered 1
		.amdhsa_forward_progress 1
		.amdhsa_inst_pref_size 255
		.amdhsa_round_robin_scheduling 0
		.amdhsa_exception_fp_ieee_invalid_op 0
		.amdhsa_exception_fp_denorm_src 0
		.amdhsa_exception_fp_ieee_div_zero 0
		.amdhsa_exception_fp_ieee_overflow 0
		.amdhsa_exception_fp_ieee_underflow 0
		.amdhsa_exception_fp_ieee_inexact 0
		.amdhsa_exception_int_div_zero 0
	.end_amdhsa_kernel
	.section	.text._ZN2at6native32elementwise_kernel_manual_unrollILi128ELi4EZNS0_15gpu_kernel_implIZZZNS0_15gcd_kernel_cudaERNS_18TensorIteratorBaseEENKUlvE_clEvENKUlvE2_clEvEUlllE_EEvS4_RKT_EUlibE_EEviT1_,"axG",@progbits,_ZN2at6native32elementwise_kernel_manual_unrollILi128ELi4EZNS0_15gpu_kernel_implIZZZNS0_15gcd_kernel_cudaERNS_18TensorIteratorBaseEENKUlvE_clEvENKUlvE2_clEvEUlllE_EEvS4_RKT_EUlibE_EEviT1_,comdat
.Lfunc_end30:
	.size	_ZN2at6native32elementwise_kernel_manual_unrollILi128ELi4EZNS0_15gpu_kernel_implIZZZNS0_15gcd_kernel_cudaERNS_18TensorIteratorBaseEENKUlvE_clEvENKUlvE2_clEvEUlllE_EEvS4_RKT_EUlibE_EEviT1_, .Lfunc_end30-_ZN2at6native32elementwise_kernel_manual_unrollILi128ELi4EZNS0_15gpu_kernel_implIZZZNS0_15gcd_kernel_cudaERNS_18TensorIteratorBaseEENKUlvE_clEvENKUlvE2_clEvEUlllE_EEvS4_RKT_EUlibE_EEviT1_
                                        ; -- End function
	.set _ZN2at6native32elementwise_kernel_manual_unrollILi128ELi4EZNS0_15gpu_kernel_implIZZZNS0_15gcd_kernel_cudaERNS_18TensorIteratorBaseEENKUlvE_clEvENKUlvE2_clEvEUlllE_EEvS4_RKT_EUlibE_EEviT1_.num_vgpr, 32
	.set _ZN2at6native32elementwise_kernel_manual_unrollILi128ELi4EZNS0_15gpu_kernel_implIZZZNS0_15gcd_kernel_cudaERNS_18TensorIteratorBaseEENKUlvE_clEvENKUlvE2_clEvEUlllE_EEvS4_RKT_EUlibE_EEviT1_.num_agpr, 0
	.set _ZN2at6native32elementwise_kernel_manual_unrollILi128ELi4EZNS0_15gpu_kernel_implIZZZNS0_15gcd_kernel_cudaERNS_18TensorIteratorBaseEENKUlvE_clEvENKUlvE2_clEvEUlllE_EEvS4_RKT_EUlibE_EEviT1_.numbered_sgpr, 35
	.set _ZN2at6native32elementwise_kernel_manual_unrollILi128ELi4EZNS0_15gpu_kernel_implIZZZNS0_15gcd_kernel_cudaERNS_18TensorIteratorBaseEENKUlvE_clEvENKUlvE2_clEvEUlllE_EEvS4_RKT_EUlibE_EEviT1_.num_named_barrier, 0
	.set _ZN2at6native32elementwise_kernel_manual_unrollILi128ELi4EZNS0_15gpu_kernel_implIZZZNS0_15gcd_kernel_cudaERNS_18TensorIteratorBaseEENKUlvE_clEvENKUlvE2_clEvEUlllE_EEvS4_RKT_EUlibE_EEviT1_.private_seg_size, 0
	.set _ZN2at6native32elementwise_kernel_manual_unrollILi128ELi4EZNS0_15gpu_kernel_implIZZZNS0_15gcd_kernel_cudaERNS_18TensorIteratorBaseEENKUlvE_clEvENKUlvE2_clEvEUlllE_EEvS4_RKT_EUlibE_EEviT1_.uses_vcc, 1
	.set _ZN2at6native32elementwise_kernel_manual_unrollILi128ELi4EZNS0_15gpu_kernel_implIZZZNS0_15gcd_kernel_cudaERNS_18TensorIteratorBaseEENKUlvE_clEvENKUlvE2_clEvEUlllE_EEvS4_RKT_EUlibE_EEviT1_.uses_flat_scratch, 0
	.set _ZN2at6native32elementwise_kernel_manual_unrollILi128ELi4EZNS0_15gpu_kernel_implIZZZNS0_15gcd_kernel_cudaERNS_18TensorIteratorBaseEENKUlvE_clEvENKUlvE2_clEvEUlllE_EEvS4_RKT_EUlibE_EEviT1_.has_dyn_sized_stack, 0
	.set _ZN2at6native32elementwise_kernel_manual_unrollILi128ELi4EZNS0_15gpu_kernel_implIZZZNS0_15gcd_kernel_cudaERNS_18TensorIteratorBaseEENKUlvE_clEvENKUlvE2_clEvEUlllE_EEvS4_RKT_EUlibE_EEviT1_.has_recursion, 0
	.set _ZN2at6native32elementwise_kernel_manual_unrollILi128ELi4EZNS0_15gpu_kernel_implIZZZNS0_15gcd_kernel_cudaERNS_18TensorIteratorBaseEENKUlvE_clEvENKUlvE2_clEvEUlllE_EEvS4_RKT_EUlibE_EEviT1_.has_indirect_call, 0
	.section	.AMDGPU.csdata,"",@progbits
; Kernel info:
; codeLenInByte = 75668
; TotalNumSgprs: 37
; NumVgprs: 32
; ScratchSize: 0
; MemoryBound: 1
; FloatMode: 240
; IeeeMode: 1
; LDSByteSize: 0 bytes/workgroup (compile time only)
; SGPRBlocks: 0
; VGPRBlocks: 1
; NumSGPRsForWavesPerEU: 37
; NumVGPRsForWavesPerEU: 32
; NamedBarCnt: 0
; Occupancy: 16
; WaveLimiterHint : 0
; COMPUTE_PGM_RSRC2:SCRATCH_EN: 0
; COMPUTE_PGM_RSRC2:USER_SGPR: 2
; COMPUTE_PGM_RSRC2:TRAP_HANDLER: 0
; COMPUTE_PGM_RSRC2:TGID_X_EN: 1
; COMPUTE_PGM_RSRC2:TGID_Y_EN: 0
; COMPUTE_PGM_RSRC2:TGID_Z_EN: 0
; COMPUTE_PGM_RSRC2:TIDIG_COMP_CNT: 0
	.section	.text._ZN2at6native32elementwise_kernel_manual_unrollILi128ELi4EZNS0_15gpu_kernel_implIZZZNS0_15gcd_kernel_cudaERNS_18TensorIteratorBaseEENKUlvE_clEvENKUlvE2_clEvEUlllE_EEvS4_RKT_EUlibE0_EEviT1_,"axG",@progbits,_ZN2at6native32elementwise_kernel_manual_unrollILi128ELi4EZNS0_15gpu_kernel_implIZZZNS0_15gcd_kernel_cudaERNS_18TensorIteratorBaseEENKUlvE_clEvENKUlvE2_clEvEUlllE_EEvS4_RKT_EUlibE0_EEviT1_,comdat
	.globl	_ZN2at6native32elementwise_kernel_manual_unrollILi128ELi4EZNS0_15gpu_kernel_implIZZZNS0_15gcd_kernel_cudaERNS_18TensorIteratorBaseEENKUlvE_clEvENKUlvE2_clEvEUlllE_EEvS4_RKT_EUlibE0_EEviT1_ ; -- Begin function _ZN2at6native32elementwise_kernel_manual_unrollILi128ELi4EZNS0_15gpu_kernel_implIZZZNS0_15gcd_kernel_cudaERNS_18TensorIteratorBaseEENKUlvE_clEvENKUlvE2_clEvEUlllE_EEvS4_RKT_EUlibE0_EEviT1_
	.p2align	8
	.type	_ZN2at6native32elementwise_kernel_manual_unrollILi128ELi4EZNS0_15gpu_kernel_implIZZZNS0_15gcd_kernel_cudaERNS_18TensorIteratorBaseEENKUlvE_clEvENKUlvE2_clEvEUlllE_EEvS4_RKT_EUlibE0_EEviT1_,@function
_ZN2at6native32elementwise_kernel_manual_unrollILi128ELi4EZNS0_15gpu_kernel_implIZZZNS0_15gcd_kernel_cudaERNS_18TensorIteratorBaseEENKUlvE_clEvENKUlvE2_clEvEUlllE_EEvS4_RKT_EUlibE0_EEviT1_: ; @_ZN2at6native32elementwise_kernel_manual_unrollILi128ELi4EZNS0_15gpu_kernel_implIZZZNS0_15gcd_kernel_cudaERNS_18TensorIteratorBaseEENKUlvE_clEvENKUlvE2_clEvEUlllE_EEvS4_RKT_EUlibE0_EEviT1_
; %bb.0:
	s_clause 0x1
	s_load_b32 s26, s[0:1], 0x8
	s_load_b32 s36, s[0:1], 0x0
	s_bfe_u32 s2, ttmp6, 0x4000c
	s_and_b32 s3, ttmp6, 15
	s_add_co_i32 s2, s2, 1
	s_getreg_b32 s4, hwreg(HW_REG_IB_STS2, 6, 4)
	s_mul_i32 s2, ttmp9, s2
	s_mov_b32 s28, 0
	s_add_co_i32 s3, s3, s2
	s_cmp_eq_u32 s4, 0
	s_mov_b32 s25, -1
	s_cselect_b32 s2, ttmp9, s3
	s_mov_b32 s10, 0
	v_lshl_or_b32 v0, s2, 9, v0
	s_add_nc_u64 s[2:3], s[0:1], 8
	s_wait_xcnt 0x0
	s_mov_b32 s0, exec_lo
	s_delay_alu instid0(VALU_DEP_1) | instskip(SKIP_2) | instid1(SALU_CYCLE_1)
	v_or_b32_e32 v1, 0x180, v0
	s_wait_kmcnt 0x0
	s_add_co_i32 s27, s26, -1
	s_cmp_gt_u32 s27, 1
	s_cselect_b32 s29, -1, 0
	v_cmpx_le_i32_e64 s36, v1
	s_xor_b32 s30, exec_lo, s0
	s_cbranch_execz .LBB31_1593
; %bb.1:
	v_mov_b32_e32 v1, 0
	s_cmp_lg_u32 s26, 0
	s_mov_b32 s19, 0
	s_cselect_b32 s37, -1, 0
	s_min_u32 s35, s27, 15
	s_clause 0x1
	global_load_u16 v2, v1, s[2:3] offset:417
	global_load_i8 v3, v1, s[2:3] offset:419
	s_clause 0x5
	s_load_b128 s[8:11], s[2:3], 0x4
	s_load_b64 s[0:1], s[2:3], 0x14
	s_load_b128 s[12:15], s[2:3], 0xc4
	s_load_b64 s[20:21], s[2:3], 0xd4
	s_load_b64 s[16:17], s[2:3], 0x198
	s_load_b128 s[4:7], s[2:3], 0x188
	s_cmp_gt_u32 s26, 1
	s_mov_b32 s23, s19
	s_mov_b32 s40, s19
	s_mov_b32 s39, s19
	s_cselect_b32 s34, -1, 0
	s_mov_b32 s38, s19
	s_mov_b32 s41, exec_lo
	s_wait_kmcnt 0x0
	s_mov_b32 s18, s9
	s_mov_b32 s22, s0
	s_wait_loadcnt 0x1
	v_readfirstlane_b32 s31, v2
	s_wait_loadcnt 0x0
	v_readfirstlane_b32 s9, v3
	s_lshr_b32 s33, s31, 8
	v_cmpx_gt_i32_e64 s36, v0
	s_cbranch_execz .LBB31_393
; %bb.2:
	s_and_not1_b32 vcc_lo, exec_lo, s29
	s_cbranch_vccnz .LBB31_8
; %bb.3:
	s_and_not1_b32 vcc_lo, exec_lo, s37
	s_cbranch_vccnz .LBB31_9
; %bb.4:
	v_dual_mov_b32 v2, 0 :: v_dual_mov_b32 v1, v0
	v_dual_mov_b32 v4, 0 :: v_dual_mov_b32 v6, 0
	s_add_co_i32 s0, s35, 1
	s_mov_b64 s[24:25], 0xffffffffffffffe8
	s_and_b32 s0, s0, 30
	s_add_nc_u64 s[24:25], s[2:3], s[24:25]
.LBB31_5:                               ; =>This Inner Loop Header: Depth=1
	s_clause 0x3
	s_load_b128 s[44:47], s[24:25], 0x1c
	s_load_b64 s[38:39], s[24:25], 0x2c
	s_load_b128 s[48:51], s[24:25], 0xdc
	s_load_b64 s[42:43], s[24:25], 0xec
	s_add_co_i32 s0, s0, -2
	s_wait_xcnt 0x0
	s_add_nc_u64 s[24:25], s[24:25], 24
	s_cmp_lg_u32 s0, 0
	s_wait_kmcnt 0x0
	v_mul_hi_u32 v3, s45, v1
	s_delay_alu instid0(VALU_DEP_1) | instskip(NEXT) | instid1(VALU_DEP_1)
	v_add_nc_u32_e32 v3, v1, v3
	v_lshrrev_b32_e32 v3, s46, v3
	s_delay_alu instid0(VALU_DEP_1) | instskip(SKIP_1) | instid1(VALU_DEP_1)
	v_mul_hi_u32 v5, s38, v3
	v_mul_lo_u32 v7, v3, s44
	v_dual_add_nc_u32 v5, v3, v5 :: v_dual_sub_nc_u32 v7, v1, v7
	s_delay_alu instid0(VALU_DEP_1) | instskip(NEXT) | instid1(VALU_DEP_2)
	v_lshrrev_b32_e32 v1, s39, v5
	v_mad_u32 v2, v7, s48, v2
	v_mad_u32 v6, v7, s50, v6
	;; [unrolled: 1-line block ×3, first 2 shown]
	s_delay_alu instid0(VALU_DEP_4) | instskip(NEXT) | instid1(VALU_DEP_1)
	v_mul_lo_u32 v5, v1, s47
	v_sub_nc_u32_e32 v3, v3, v5
	s_delay_alu instid0(VALU_DEP_1)
	v_mad_u32 v2, v3, s51, v2
	v_mad_u32 v6, v3, s43, v6
	;; [unrolled: 1-line block ×3, first 2 shown]
	s_cbranch_scc1 .LBB31_5
; %bb.6:
	s_bitcmp1_b32 s35, 0
	s_cselect_b32 s0, -1, 0
	s_delay_alu instid0(SALU_CYCLE_1)
	s_and_b32 vcc_lo, exec_lo, s0
	s_cbranch_vccnz .LBB31_10
; %bb.7:
	s_clause 0x1
	s_load_b96 s[44:46], s[24:25], 0x1c
	s_load_b96 s[48:50], s[24:25], 0xdc
	s_wait_kmcnt 0x0
	v_mul_hi_u32 v3, s45, v1
	s_delay_alu instid0(VALU_DEP_1) | instskip(NEXT) | instid1(VALU_DEP_1)
	v_add_nc_u32_e32 v3, v1, v3
	v_lshrrev_b32_e32 v3, s46, v3
	s_delay_alu instid0(VALU_DEP_1) | instskip(NEXT) | instid1(VALU_DEP_1)
	v_mul_lo_u32 v3, v3, s44
	v_sub_nc_u32_e32 v1, v1, v3
	s_delay_alu instid0(VALU_DEP_1)
	v_mad_u32 v2, v1, s48, v2
	v_mad_u32 v4, v1, s49, v4
	;; [unrolled: 1-line block ×3, first 2 shown]
	s_cbranch_execz .LBB31_11
	s_branch .LBB31_13
.LBB31_8:
                                        ; implicit-def: $vgpr6
                                        ; implicit-def: $vgpr4
                                        ; implicit-def: $vgpr2
	s_branch .LBB31_11
.LBB31_9:
	v_dual_mov_b32 v6, 0 :: v_dual_mov_b32 v4, 0
	v_mov_b32_e32 v2, 0
.LBB31_10:
	s_cbranch_execnz .LBB31_13
.LBB31_11:
	v_mov_b32_e32 v1, 0
	s_and_not1_b32 vcc_lo, exec_lo, s34
	s_delay_alu instid0(VALU_DEP_1) | instskip(NEXT) | instid1(VALU_DEP_1)
	v_mul_u64_e32 v[2:3], s[18:19], v[0:1]
	v_add_nc_u32_e32 v2, v0, v3
	s_delay_alu instid0(VALU_DEP_1) | instskip(NEXT) | instid1(VALU_DEP_1)
	v_lshrrev_b32_e32 v8, s10, v2
	v_mul_lo_u32 v2, v8, s8
	s_delay_alu instid0(VALU_DEP_1) | instskip(NEXT) | instid1(VALU_DEP_1)
	v_sub_nc_u32_e32 v3, v0, v2
	v_mul_lo_u32 v2, v3, s12
	v_mul_lo_u32 v6, v3, s14
	;; [unrolled: 1-line block ×3, first 2 shown]
	s_cbranch_vccnz .LBB31_13
; %bb.12:
	v_mov_b32_e32 v9, v1
	s_delay_alu instid0(VALU_DEP_1) | instskip(NEXT) | instid1(VALU_DEP_1)
	v_mul_u64_e32 v[10:11], s[22:23], v[8:9]
	v_add_nc_u32_e32 v1, v8, v11
	s_delay_alu instid0(VALU_DEP_1) | instskip(NEXT) | instid1(VALU_DEP_1)
	v_lshrrev_b32_e32 v1, s1, v1
	v_mul_lo_u32 v1, v1, s11
	s_delay_alu instid0(VALU_DEP_1) | instskip(NEXT) | instid1(VALU_DEP_1)
	v_sub_nc_u32_e32 v1, v8, v1
	v_mad_u32 v2, v1, s15, v2
	v_mad_u32 v4, v1, s20, v4
	;; [unrolled: 1-line block ×3, first 2 shown]
.LBB31_13:
	v_mov_b32_e32 v5, 0
	s_and_b32 s0, s33, 0xff
	s_delay_alu instid0(SALU_CYCLE_1) | instskip(NEXT) | instid1(VALU_DEP_1)
	s_cmp_lt_i32 s0, 11
	v_add_nc_u64_e32 v[8:9], s[6:7], v[4:5]
	s_cbranch_scc1 .LBB31_20
; %bb.14:
	s_and_b32 s25, 0xffff, s0
	s_delay_alu instid0(SALU_CYCLE_1)
	s_cmp_gt_i32 s25, 25
	s_cbranch_scc0 .LBB31_29
; %bb.15:
	s_cmp_gt_i32 s25, 28
	s_cbranch_scc0 .LBB31_39
; %bb.16:
	;; [unrolled: 3-line block ×4, first 2 shown]
	s_cmp_eq_u32 s25, 46
	s_mov_b32 s39, 0
	s_cbranch_scc0 .LBB31_56
; %bb.19:
	global_load_b32 v1, v[8:9], off
	s_mov_b32 s38, -1
	s_mov_b32 s24, 0
	s_wait_loadcnt 0x0
	v_lshlrev_b32_e32 v1, 16, v1
	s_delay_alu instid0(VALU_DEP_1) | instskip(NEXT) | instid1(VALU_DEP_1)
	v_trunc_f32_e32 v1, v1
	v_mul_f32_e64 v3, 0x2f800000, |v1|
	v_ashrrev_i32_e32 v4, 31, v1
	s_delay_alu instid0(VALU_DEP_2) | instskip(NEXT) | instid1(VALU_DEP_1)
	v_floor_f32_e32 v3, v3
	v_fma_f32 v5, 0xcf800000, v3, |v1|
	v_cvt_u32_f32_e32 v1, v3
	s_delay_alu instid0(VALU_DEP_2) | instskip(NEXT) | instid1(VALU_DEP_2)
	v_cvt_u32_f32_e32 v3, v5
	v_dual_mov_b32 v5, v4 :: v_dual_bitop2_b32 v11, v1, v4 bitop3:0x14
	s_delay_alu instid0(VALU_DEP_2) | instskip(NEXT) | instid1(VALU_DEP_1)
	v_xor_b32_e32 v10, v3, v4
	v_sub_nc_u64_e32 v[4:5], v[10:11], v[4:5]
	s_branch .LBB31_58
.LBB31_20:
	s_mov_b32 s24, 0
	s_mov_b32 s38, 0
                                        ; implicit-def: $vgpr4_vgpr5
	s_cbranch_execnz .LBB31_120
.LBB31_21:
	s_and_not1_b32 vcc_lo, exec_lo, s38
	s_cbranch_vccnz .LBB31_167
.LBB31_22:
	v_mov_b32_e32 v7, 0
	s_and_b32 s0, s9, 0xff
	s_delay_alu instid0(SALU_CYCLE_1) | instskip(NEXT) | instid1(VALU_DEP_1)
	s_cmp_lt_i32 s0, 11
	v_add_nc_u64_e32 v[6:7], s[16:17], v[6:7]
	s_cbranch_scc1 .LBB31_30
; %bb.23:
	s_and_b32 s38, 0xffff, s0
	s_delay_alu instid0(SALU_CYCLE_1)
	s_cmp_gt_i32 s38, 25
	s_cbranch_scc0 .LBB31_40
; %bb.24:
	s_cmp_gt_i32 s38, 28
	s_cbranch_scc0 .LBB31_51
; %bb.25:
	;; [unrolled: 3-line block ×4, first 2 shown]
	s_cmp_eq_u32 s38, 46
	s_mov_b32 s40, 0
	s_cbranch_scc0 .LBB31_168
; %bb.28:
	global_load_b32 v1, v[6:7], off
	s_mov_b32 s39, -1
	s_mov_b32 s25, 0
	s_wait_loadcnt 0x0
	v_lshlrev_b32_e32 v1, 16, v1
	s_delay_alu instid0(VALU_DEP_1) | instskip(NEXT) | instid1(VALU_DEP_1)
	v_trunc_f32_e32 v1, v1
	v_mul_f32_e64 v3, 0x2f800000, |v1|
	v_ashrrev_i32_e32 v8, 31, v1
	s_delay_alu instid0(VALU_DEP_2) | instskip(NEXT) | instid1(VALU_DEP_1)
	v_floor_f32_e32 v3, v3
	v_fma_f32 v9, 0xcf800000, v3, |v1|
	v_cvt_u32_f32_e32 v1, v3
	s_delay_alu instid0(VALU_DEP_2) | instskip(NEXT) | instid1(VALU_DEP_2)
	v_cvt_u32_f32_e32 v3, v9
	v_dual_mov_b32 v9, v8 :: v_dual_bitop2_b32 v11, v1, v8 bitop3:0x14
	s_delay_alu instid0(VALU_DEP_2) | instskip(NEXT) | instid1(VALU_DEP_1)
	v_xor_b32_e32 v10, v3, v8
	v_sub_nc_u64_e32 v[8:9], v[10:11], v[8:9]
	s_branch .LBB31_170
.LBB31_29:
	s_mov_b32 s24, 0
	s_mov_b32 s38, 0
                                        ; implicit-def: $vgpr4_vgpr5
	s_cbranch_execnz .LBB31_87
	s_branch .LBB31_119
.LBB31_30:
	s_mov_b32 s25, 0
	s_mov_b32 s39, 0
                                        ; implicit-def: $vgpr8_vgpr9
	s_cbranch_execnz .LBB31_342
.LBB31_31:
	s_and_not1_b32 vcc_lo, exec_lo, s39
	s_cbranch_vccnz .LBB31_390
.LBB31_32:
	s_wait_loadcnt 0x0
	s_delay_alu instid0(VALU_DEP_1) | instskip(SKIP_1) | instid1(VALU_DEP_1)
	v_sub_nc_u64_e32 v[6:7], 0, v[8:9]
	s_mov_b32 s38, exec_lo
	v_max_i64 v[6:7], v[8:9], v[6:7]
	v_cmpx_ne_u64_e32 0, v[4:5]
	s_cbranch_execz .LBB31_42
; %bb.33:
	v_sub_nc_u64_e32 v[8:9], 0, v[4:5]
	s_mov_b32 s39, 0
	s_delay_alu instid0(VALU_DEP_1)
	v_max_i64 v[10:11], v[4:5], v[8:9]
	v_mov_b32_e32 v4, 0
	s_branch .LBB31_35
.LBB31_34:                              ;   in Loop: Header=BB31_35 Depth=1
	s_or_b32 exec_lo, exec_lo, s0
	s_delay_alu instid0(VALU_DEP_1) | instskip(SKIP_2) | instid1(SALU_CYCLE_1)
	v_cmp_eq_u64_e32 vcc_lo, 0, v[10:11]
	v_mov_b64_e32 v[6:7], v[8:9]
	s_or_b32 s39, vcc_lo, s39
	s_and_not1_b32 exec_lo, exec_lo, s39
	s_cbranch_execz .LBB31_41
.LBB31_35:                              ; =>This Inner Loop Header: Depth=1
	s_delay_alu instid0(VALU_DEP_2) | instskip(SKIP_1) | instid1(VALU_DEP_1)
	v_mov_b64_e32 v[8:9], v[10:11]
                                        ; implicit-def: $vgpr10_vgpr11
	s_mov_b32 s0, exec_lo
	v_or_b32_e32 v5, v7, v9
	s_delay_alu instid0(VALU_DEP_1)
	v_cmpx_ne_u64_e32 0, v[4:5]
	s_xor_b32 s40, exec_lo, s0
	s_cbranch_execz .LBB31_37
; %bb.36:                               ;   in Loop: Header=BB31_35 Depth=1
	s_delay_alu instid0(VALU_DEP_3) | instskip(SKIP_4) | instid1(VALU_DEP_4)
	v_cvt_f32_u32_e32 v1, v8
	v_cvt_f32_u32_e32 v3, v9
	v_sub_nc_u64_e32 v[12:13], 0, v[8:9]
	v_dual_mov_b32 v11, v4 :: v_dual_mov_b32 v19, v4
	v_mov_b32_e32 v21, v4
	v_fmac_f32_e32 v1, 0x4f800000, v3
	s_delay_alu instid0(VALU_DEP_1) | instskip(SKIP_1) | instid1(TRANS32_DEP_1)
	v_rcp_f32_e32 v1, v1
	v_nop
	v_mul_f32_e32 v1, 0x5f7ffffc, v1
	s_delay_alu instid0(VALU_DEP_1) | instskip(NEXT) | instid1(VALU_DEP_1)
	v_mul_f32_e32 v3, 0x2f800000, v1
	v_trunc_f32_e32 v3, v3
	s_delay_alu instid0(VALU_DEP_1) | instskip(SKIP_1) | instid1(VALU_DEP_2)
	v_fmac_f32_e32 v1, 0xcf800000, v3
	v_cvt_u32_f32_e32 v15, v3
	v_cvt_u32_f32_e32 v10, v1
	s_delay_alu instid0(VALU_DEP_1) | instskip(NEXT) | instid1(VALU_DEP_1)
	v_dual_mov_b32 v20, v15 :: v_dual_mov_b32 v14, v10
	v_mul_u64_e32 v[16:17], v[12:13], v[14:15]
	s_delay_alu instid0(VALU_DEP_1) | instskip(NEXT) | instid1(VALU_DEP_1)
	v_dual_mov_b32 v18, v17 :: v_dual_mov_b32 v17, v4
	v_mul_u64_e32 v[22:23], v[10:11], v[18:19]
	s_delay_alu instid0(VALU_DEP_2) | instskip(SKIP_2) | instid1(VALU_DEP_1)
	v_mul_u64_e32 v[24:25], v[20:21], v[16:17]
	v_mul_u64_e32 v[18:19], v[20:21], v[18:19]
	v_mul_hi_u32 v16, v10, v16
	v_add_nc_u64_e32 v[16:17], v[16:17], v[22:23]
	s_delay_alu instid0(VALU_DEP_1) | instskip(NEXT) | instid1(VALU_DEP_2)
	v_add_co_u32 v1, vcc_lo, v16, v24
	v_add_co_ci_u32_e32 v20, vcc_lo, v17, v25, vcc_lo
	v_add_co_ci_u32_e32 v19, vcc_lo, 0, v19, vcc_lo
	s_delay_alu instid0(VALU_DEP_1) | instskip(NEXT) | instid1(VALU_DEP_1)
	v_add_nc_u64_e32 v[16:17], v[20:21], v[18:19]
	v_add_co_u32 v10, vcc_lo, v10, v16
	s_delay_alu instid0(VALU_DEP_1) | instskip(SKIP_1) | instid1(VALU_DEP_2)
	v_add_co_ci_u32_e64 v14, null, v15, v17, vcc_lo
	v_dual_mov_b32 v17, v4 :: v_dual_mov_b32 v15, v4
	v_mov_b32_e32 v11, v14
	s_delay_alu instid0(VALU_DEP_1) | instskip(NEXT) | instid1(VALU_DEP_1)
	v_mul_u64_e32 v[12:13], v[12:13], v[10:11]
	v_dual_mov_b32 v11, v4 :: v_dual_mov_b32 v16, v13
	s_delay_alu instid0(VALU_DEP_2) | instskip(SKIP_1) | instid1(VALU_DEP_3)
	v_dual_mov_b32 v20, v12 :: v_dual_mov_b32 v13, v4
	v_mul_hi_u32 v12, v10, v12
	v_mul_u64_e32 v[18:19], v[10:11], v[16:17]
	s_delay_alu instid0(VALU_DEP_3) | instskip(SKIP_1) | instid1(VALU_DEP_3)
	v_mul_u64_e32 v[20:21], v[14:15], v[20:21]
	v_mul_u64_e32 v[16:17], v[14:15], v[16:17]
	v_add_nc_u64_e32 v[12:13], v[12:13], v[18:19]
	v_mov_b32_e32 v19, v4
	s_delay_alu instid0(VALU_DEP_2) | instskip(NEXT) | instid1(VALU_DEP_3)
	v_add_co_u32 v1, vcc_lo, v12, v20
	v_add_co_ci_u32_e32 v18, vcc_lo, v13, v21, vcc_lo
	v_add_co_ci_u32_e32 v17, vcc_lo, 0, v17, vcc_lo
	s_delay_alu instid0(VALU_DEP_1) | instskip(SKIP_1) | instid1(VALU_DEP_2)
	v_add_nc_u64_e32 v[12:13], v[18:19], v[16:17]
	v_dual_mov_b32 v16, v6 :: v_dual_mov_b32 v17, v4
	v_add_co_u32 v12, vcc_lo, v10, v12
	s_delay_alu instid0(VALU_DEP_1) | instskip(SKIP_1) | instid1(VALU_DEP_2)
	v_add_co_ci_u32_e64 v10, null, v14, v13, vcc_lo
	v_dual_mov_b32 v14, v7 :: v_dual_mov_b32 v13, v4
	v_mul_u64_e32 v[16:17], v[16:17], v[10:11]
	s_delay_alu instid0(VALU_DEP_2) | instskip(NEXT) | instid1(VALU_DEP_3)
	v_mul_u64_e32 v[10:11], v[14:15], v[10:11]
	v_mul_u64_e32 v[18:19], v[14:15], v[12:13]
	v_mul_hi_u32 v12, v6, v12
	s_delay_alu instid0(VALU_DEP_1) | instskip(NEXT) | instid1(VALU_DEP_1)
	v_add_nc_u64_e32 v[12:13], v[12:13], v[16:17]
	v_add_co_u32 v1, vcc_lo, v12, v18
	s_delay_alu instid0(VALU_DEP_2) | instskip(SKIP_1) | instid1(VALU_DEP_1)
	v_add_co_ci_u32_e32 v14, vcc_lo, v13, v19, vcc_lo
	v_add_co_ci_u32_e32 v11, vcc_lo, 0, v11, vcc_lo
	v_add_nc_u64_e32 v[10:11], v[14:15], v[10:11]
	s_delay_alu instid0(VALU_DEP_1) | instskip(NEXT) | instid1(VALU_DEP_1)
	v_mul_u64_e32 v[10:11], v[8:9], v[10:11]
	v_sub_nc_u32_e32 v1, v7, v11
	s_delay_alu instid0(VALU_DEP_2) | instskip(NEXT) | instid1(VALU_DEP_1)
	v_sub_co_u32 v3, vcc_lo, v6, v10
	v_sub_co_ci_u32_e64 v5, null, v7, v11, vcc_lo
	s_delay_alu instid0(VALU_DEP_3) | instskip(NEXT) | instid1(VALU_DEP_3)
	v_sub_co_ci_u32_e64 v1, null, v1, v9, vcc_lo
	v_sub_co_u32 v6, vcc_lo, v3, v8
	v_cmp_ge_u32_e64 s0, v3, v8
	s_delay_alu instid0(VALU_DEP_3) | instskip(SKIP_1) | instid1(VALU_DEP_3)
	v_subrev_co_ci_u32_e64 v7, null, 0, v1, vcc_lo
	v_sub_co_ci_u32_e64 v1, null, v1, v9, vcc_lo
	v_cndmask_b32_e64 v10, 0, -1, s0
	v_cmp_ge_u32_e64 s0, v6, v8
	v_cmp_ge_u32_e32 vcc_lo, v5, v9
	s_delay_alu instid0(VALU_DEP_2) | instskip(SKIP_3) | instid1(VALU_DEP_3)
	v_cndmask_b32_e64 v11, 0, -1, s0
	v_cmp_ge_u32_e64 s0, v7, v9
	v_cndmask_b32_e64 v13, 0, -1, vcc_lo
	v_cmp_eq_u32_e32 vcc_lo, v7, v9
	v_cndmask_b32_e64 v12, 0, -1, s0
	v_cmp_eq_u32_e64 s0, v5, v9
	s_delay_alu instid0(VALU_DEP_1) | instskip(SKIP_1) | instid1(VALU_DEP_1)
	v_dual_cndmask_b32 v11, v12, v11, vcc_lo :: v_dual_cndmask_b32 v10, v13, v10, s0
	v_sub_co_u32 v12, vcc_lo, v6, v8
	v_subrev_co_ci_u32_e64 v1, null, 0, v1, vcc_lo
	s_delay_alu instid0(VALU_DEP_3) | instskip(NEXT) | instid1(VALU_DEP_2)
	v_cmp_ne_u32_e32 vcc_lo, 0, v11
	v_dual_cndmask_b32 v1, v7, v1 :: v_dual_cndmask_b32 v6, v6, v12
	v_cmp_ne_u32_e32 vcc_lo, 0, v10
	s_delay_alu instid0(VALU_DEP_2)
	v_dual_cndmask_b32 v11, v5, v1 :: v_dual_cndmask_b32 v10, v3, v6
                                        ; implicit-def: $vgpr6_vgpr7
.LBB31_37:                              ;   in Loop: Header=BB31_35 Depth=1
	s_and_not1_saveexec_b32 s0, s40
	s_cbranch_execz .LBB31_34
; %bb.38:                               ;   in Loop: Header=BB31_35 Depth=1
	v_cvt_f32_u32_e32 v1, v8
	v_dual_sub_nc_u32 v3, 0, v8 :: v_dual_mov_b32 v11, v4
	s_delay_alu instid0(VALU_DEP_2) | instskip(SKIP_1) | instid1(TRANS32_DEP_1)
	v_rcp_iflag_f32_e32 v1, v1
	v_nop
	v_mul_f32_e32 v1, 0x4f7ffffe, v1
	s_delay_alu instid0(VALU_DEP_1) | instskip(NEXT) | instid1(VALU_DEP_1)
	v_cvt_u32_f32_e32 v1, v1
	v_mul_lo_u32 v3, v3, v1
	s_delay_alu instid0(VALU_DEP_1) | instskip(NEXT) | instid1(VALU_DEP_1)
	v_mul_hi_u32 v3, v1, v3
	v_add_nc_u32_e32 v1, v1, v3
	s_delay_alu instid0(VALU_DEP_1) | instskip(NEXT) | instid1(VALU_DEP_1)
	v_mul_hi_u32 v1, v6, v1
	v_mul_lo_u32 v1, v1, v8
	s_delay_alu instid0(VALU_DEP_1) | instskip(NEXT) | instid1(VALU_DEP_1)
	v_sub_nc_u32_e32 v1, v6, v1
	v_sub_nc_u32_e32 v3, v1, v8
	v_cmp_ge_u32_e32 vcc_lo, v1, v8
	s_delay_alu instid0(VALU_DEP_2) | instskip(NEXT) | instid1(VALU_DEP_1)
	v_cndmask_b32_e32 v1, v1, v3, vcc_lo
	v_sub_nc_u32_e32 v3, v1, v8
	v_cmp_ge_u32_e32 vcc_lo, v1, v8
	s_delay_alu instid0(VALU_DEP_2)
	v_cndmask_b32_e32 v10, v1, v3, vcc_lo
	s_branch .LBB31_34
.LBB31_39:
	s_mov_b32 s39, -1
	s_mov_b32 s24, 0
	s_mov_b32 s38, 0
                                        ; implicit-def: $vgpr4_vgpr5
	s_branch .LBB31_70
.LBB31_40:
	s_mov_b32 s40, -1
	s_mov_b32 s25, 0
	s_mov_b32 s39, 0
                                        ; implicit-def: $vgpr8_vgpr9
	s_branch .LBB31_308
.LBB31_41:
	s_or_b32 exec_lo, exec_lo, s39
	v_mov_b64_e32 v[6:7], v[8:9]
.LBB31_42:
	s_or_b32 exec_lo, exec_lo, s38
	v_mov_b32_e32 v3, 0
	s_and_b32 s38, s31, 0xff
	s_delay_alu instid0(SALU_CYCLE_1) | instskip(NEXT) | instid1(VALU_DEP_1)
	s_cmp_lt_i32 s38, 11
	v_add_nc_u64_e32 v[2:3], s[4:5], v[2:3]
	s_cbranch_scc1 .LBB31_49
; %bb.43:
	s_and_b32 s39, 0xffff, s38
	s_delay_alu instid0(SALU_CYCLE_1)
	s_cmp_gt_i32 s39, 25
	s_cbranch_scc0 .LBB31_52
; %bb.44:
	s_cmp_gt_i32 s39, 28
	s_cbranch_scc0 .LBB31_55
; %bb.45:
	s_cmp_gt_i32 s39, 43
	s_cbranch_scc0 .LBB31_62
; %bb.46:
	s_cmp_gt_i32 s39, 45
	s_cbranch_scc0 .LBB31_173
; %bb.47:
	s_mov_b32 s42, 0
	s_mov_b32 s0, -1
	s_cmp_eq_u32 s39, 46
	s_mov_b32 s40, 0
	s_cbranch_scc0 .LBB31_174
; %bb.48:
	s_delay_alu instid0(VALU_DEP_3) | instskip(SKIP_2) | instid1(VALU_DEP_1)
	v_clz_i32_u32_e32 v1, v7
	s_mov_b32 s40, -1
	s_mov_b32 s0, 0
	v_min_u32_e32 v1, 32, v1
	s_delay_alu instid0(VALU_DEP_1) | instskip(SKIP_1) | instid1(VALU_DEP_2)
	v_lshlrev_b64_e32 v[4:5], v1, v[6:7]
	v_sub_nc_u32_e32 v1, 32, v1
	v_min_u32_e32 v4, 1, v4
	s_delay_alu instid0(VALU_DEP_1) | instskip(NEXT) | instid1(VALU_DEP_1)
	v_or_b32_e32 v4, v5, v4
	v_cvt_f32_u32_e32 v4, v4
	s_delay_alu instid0(VALU_DEP_1) | instskip(NEXT) | instid1(VALU_DEP_1)
	v_ldexp_f32 v1, v4, v1
	v_bfe_u32 v4, v1, 16, 1
	s_delay_alu instid0(VALU_DEP_1) | instskip(NEXT) | instid1(VALU_DEP_1)
	v_add3_u32 v1, v1, v4, 0x7fff
	v_lshrrev_b32_e32 v1, 16, v1
	global_store_b32 v[2:3], v1, off
	s_branch .LBB31_174
.LBB31_49:
	s_mov_b32 s39, -1
	s_mov_b32 s0, 0
	s_mov_b32 s40, 0
	s_branch .LBB31_243
.LBB31_50:
	s_mov_b32 s39, -1
	s_mov_b32 s24, 0
	s_mov_b32 s38, 0
                                        ; implicit-def: $vgpr4_vgpr5
	s_branch .LBB31_65
.LBB31_51:
	s_mov_b32 s40, -1
	s_mov_b32 s25, 0
	s_mov_b32 s39, 0
                                        ; implicit-def: $vgpr8_vgpr9
	s_branch .LBB31_291
.LBB31_52:
	s_mov_b32 s42, -1
	s_mov_b32 s0, 0
	s_mov_b32 s40, 0
	s_branch .LBB31_201
.LBB31_53:
	s_mov_b32 s39, -1
	s_mov_b32 s24, 0
	s_branch .LBB31_57
.LBB31_54:
	s_mov_b32 s40, -1
	s_mov_b32 s25, 0
	s_mov_b32 s39, 0
                                        ; implicit-def: $vgpr8_vgpr9
	s_branch .LBB31_286
.LBB31_55:
	s_mov_b32 s42, -1
	s_mov_b32 s0, 0
	s_mov_b32 s40, 0
	s_branch .LBB31_184
.LBB31_56:
	s_mov_b32 s24, -1
.LBB31_57:
	s_mov_b32 s38, 0
                                        ; implicit-def: $vgpr4_vgpr5
.LBB31_58:
	s_and_b32 vcc_lo, exec_lo, s39
	s_cbranch_vccz .LBB31_64
; %bb.59:
	s_cmp_eq_u32 s25, 44
	s_cbranch_scc0 .LBB31_63
; %bb.60:
	global_load_u8 v1, v[8:9], off
	s_mov_b32 s24, 0
	s_mov_b32 s38, -1
	s_wait_loadcnt 0x0
	v_lshlrev_b32_e32 v3, 23, v1
	v_cmp_ne_u32_e32 vcc_lo, 0, v1
	s_delay_alu instid0(VALU_DEP_2) | instskip(NEXT) | instid1(VALU_DEP_1)
	v_trunc_f32_e32 v3, v3
	v_mul_f32_e64 v4, 0x2f800000, |v3|
	s_delay_alu instid0(VALU_DEP_1) | instskip(SKIP_1) | instid1(VALU_DEP_2)
	v_floor_f32_e32 v5, v4
	v_ashrrev_i32_e32 v4, 31, v3
	v_fma_f32 v7, 0xcf800000, v5, |v3|
	v_cvt_u32_f32_e32 v3, v5
	s_delay_alu instid0(VALU_DEP_3) | instskip(NEXT) | instid1(VALU_DEP_3)
	v_mov_b32_e32 v5, v4
	v_cvt_u32_f32_e32 v7, v7
	s_delay_alu instid0(VALU_DEP_3) | instskip(NEXT) | instid1(VALU_DEP_2)
	v_xor_b32_e32 v11, v3, v4
	v_xor_b32_e32 v10, v7, v4
	s_delay_alu instid0(VALU_DEP_1) | instskip(NEXT) | instid1(VALU_DEP_1)
	v_sub_nc_u64_e32 v[4:5], v[10:11], v[4:5]
	v_dual_cndmask_b32 v5, 0, v5 :: v_dual_cndmask_b32 v4, 0, v4
	s_branch .LBB31_64
.LBB31_61:
	s_mov_b32 s40, -1
	s_mov_b32 s25, 0
	s_branch .LBB31_169
.LBB31_62:
	s_mov_b32 s42, -1
	s_mov_b32 s0, 0
	s_mov_b32 s40, 0
	s_branch .LBB31_180
.LBB31_63:
	s_mov_b32 s24, -1
                                        ; implicit-def: $vgpr4_vgpr5
.LBB31_64:
	s_mov_b32 s39, 0
.LBB31_65:
	s_delay_alu instid0(SALU_CYCLE_1)
	s_and_b32 vcc_lo, exec_lo, s39
	s_cbranch_vccz .LBB31_69
; %bb.66:
	s_cmp_eq_u32 s25, 29
	s_cbranch_scc0 .LBB31_68
; %bb.67:
	global_load_b64 v[4:5], v[8:9], off
	s_mov_b32 s38, -1
	s_mov_b32 s24, 0
	s_branch .LBB31_69
.LBB31_68:
	s_mov_b32 s24, -1
                                        ; implicit-def: $vgpr4_vgpr5
.LBB31_69:
	s_mov_b32 s39, 0
.LBB31_70:
	s_delay_alu instid0(SALU_CYCLE_1)
	s_and_b32 vcc_lo, exec_lo, s39
	s_cbranch_vccz .LBB31_86
; %bb.71:
	s_cmp_lt_i32 s25, 27
	s_cbranch_scc1 .LBB31_74
; %bb.72:
	s_cmp_gt_i32 s25, 27
	s_cbranch_scc0 .LBB31_75
; %bb.73:
	s_wait_loadcnt 0x0
	global_load_b32 v4, v[8:9], off
	v_mov_b32_e32 v5, 0
	s_mov_b32 s38, 0
	s_branch .LBB31_76
.LBB31_74:
	s_mov_b32 s38, -1
                                        ; implicit-def: $vgpr4_vgpr5
	s_branch .LBB31_79
.LBB31_75:
	s_mov_b32 s38, -1
                                        ; implicit-def: $vgpr4_vgpr5
.LBB31_76:
	s_delay_alu instid0(SALU_CYCLE_1)
	s_and_not1_b32 vcc_lo, exec_lo, s38
	s_cbranch_vccnz .LBB31_78
; %bb.77:
	global_load_u16 v1, v[8:9], off
	s_mov_b32 s38, 0
	s_wait_loadcnt 0x1
	v_mov_b32_e32 v5, s38
	s_wait_loadcnt 0x0
	v_and_b32_e32 v4, 0xffff, v1
.LBB31_78:
	s_mov_b32 s38, 0
.LBB31_79:
	s_delay_alu instid0(SALU_CYCLE_1)
	s_and_not1_b32 vcc_lo, exec_lo, s38
	s_cbranch_vccnz .LBB31_85
; %bb.80:
	global_load_u8 v1, v[8:9], off
	s_mov_b32 s39, 0
	s_mov_b32 s38, exec_lo
	s_wait_loadcnt 0x0
	v_cmpx_lt_i16_e32 0x7f, v1
	s_xor_b32 s38, exec_lo, s38
	s_cbranch_execz .LBB31_96
; %bb.81:
	v_cmp_ne_u16_e32 vcc_lo, 0x80, v1
	s_and_b32 s39, vcc_lo, exec_lo
	s_and_not1_saveexec_b32 s38, s38
	s_cbranch_execnz .LBB31_97
.LBB31_82:
	s_or_b32 exec_lo, exec_lo, s38
	v_mov_b64_e32 v[4:5], 0
	s_and_saveexec_b32 s38, s39
	s_cbranch_execz .LBB31_84
.LBB31_83:
	v_and_b32_e32 v3, 0xffff, v1
	s_delay_alu instid0(VALU_DEP_1) | instskip(SKIP_1) | instid1(VALU_DEP_2)
	v_and_b32_e32 v4, 7, v3
	v_bfe_u32 v10, v3, 3, 4
	v_clz_i32_u32_e32 v5, v4
	s_delay_alu instid0(VALU_DEP_2) | instskip(NEXT) | instid1(VALU_DEP_2)
	v_cmp_eq_u32_e32 vcc_lo, 0, v10
	v_min_u32_e32 v5, 32, v5
	s_delay_alu instid0(VALU_DEP_1) | instskip(NEXT) | instid1(VALU_DEP_1)
	v_subrev_nc_u32_e32 v7, 28, v5
	v_dual_lshlrev_b32 v3, v7, v3 :: v_dual_sub_nc_u32 v5, 29, v5
	s_delay_alu instid0(VALU_DEP_1) | instskip(NEXT) | instid1(VALU_DEP_1)
	v_dual_lshlrev_b32 v1, 24, v1 :: v_dual_bitop2_b32 v3, 7, v3 bitop3:0x40
	v_dual_cndmask_b32 v3, v4, v3, vcc_lo :: v_dual_cndmask_b32 v5, v10, v5, vcc_lo
	s_delay_alu instid0(VALU_DEP_2) | instskip(NEXT) | instid1(VALU_DEP_2)
	v_and_b32_e32 v1, 0x80000000, v1
	v_lshlrev_b32_e32 v3, 20, v3
	s_delay_alu instid0(VALU_DEP_3) | instskip(NEXT) | instid1(VALU_DEP_1)
	v_lshl_add_u32 v4, v5, 23, 0x3b800000
	v_or3_b32 v1, v1, v4, v3
	s_delay_alu instid0(VALU_DEP_1) | instskip(NEXT) | instid1(VALU_DEP_1)
	v_trunc_f32_e32 v1, v1
	v_mul_f32_e64 v3, 0x2f800000, |v1|
	v_ashrrev_i32_e32 v4, 31, v1
	s_delay_alu instid0(VALU_DEP_2) | instskip(NEXT) | instid1(VALU_DEP_1)
	v_floor_f32_e32 v3, v3
	v_fma_f32 v5, 0xcf800000, v3, |v1|
	v_cvt_u32_f32_e32 v1, v3
	s_delay_alu instid0(VALU_DEP_2) | instskip(NEXT) | instid1(VALU_DEP_2)
	v_cvt_u32_f32_e32 v3, v5
	v_dual_mov_b32 v5, v4 :: v_dual_bitop2_b32 v11, v1, v4 bitop3:0x14
	s_delay_alu instid0(VALU_DEP_2) | instskip(NEXT) | instid1(VALU_DEP_1)
	v_xor_b32_e32 v10, v3, v4
	v_sub_nc_u64_e32 v[4:5], v[10:11], v[4:5]
.LBB31_84:
	s_or_b32 exec_lo, exec_lo, s38
.LBB31_85:
	s_mov_b32 s38, -1
.LBB31_86:
	s_branch .LBB31_119
.LBB31_87:
	s_cmp_gt_i32 s25, 22
	s_cbranch_scc0 .LBB31_95
; %bb.88:
	s_cmp_lt_i32 s25, 24
	s_cbranch_scc1 .LBB31_98
; %bb.89:
	s_cmp_gt_i32 s25, 24
	s_cbranch_scc0 .LBB31_99
; %bb.90:
	global_load_u8 v1, v[8:9], off
	s_mov_b32 s39, 0
	s_mov_b32 s38, exec_lo
	s_wait_loadcnt 0x0
	v_cmpx_lt_i16_e32 0x7f, v1
	s_xor_b32 s38, exec_lo, s38
	s_cbranch_execz .LBB31_111
; %bb.91:
	v_cmp_ne_u16_e32 vcc_lo, 0x80, v1
	s_and_b32 s39, vcc_lo, exec_lo
	s_and_not1_saveexec_b32 s38, s38
	s_cbranch_execnz .LBB31_112
.LBB31_92:
	s_or_b32 exec_lo, exec_lo, s38
	v_mov_b64_e32 v[4:5], 0
	s_and_saveexec_b32 s38, s39
	s_cbranch_execz .LBB31_94
.LBB31_93:
	v_and_b32_e32 v3, 0xffff, v1
	s_delay_alu instid0(VALU_DEP_1) | instskip(SKIP_1) | instid1(VALU_DEP_2)
	v_and_b32_e32 v4, 3, v3
	v_bfe_u32 v10, v3, 2, 5
	v_clz_i32_u32_e32 v5, v4
	s_delay_alu instid0(VALU_DEP_2) | instskip(NEXT) | instid1(VALU_DEP_2)
	v_cmp_eq_u32_e32 vcc_lo, 0, v10
	v_min_u32_e32 v5, 32, v5
	s_delay_alu instid0(VALU_DEP_1) | instskip(NEXT) | instid1(VALU_DEP_1)
	v_subrev_nc_u32_e32 v7, 29, v5
	v_dual_lshlrev_b32 v3, v7, v3 :: v_dual_sub_nc_u32 v5, 30, v5
	s_delay_alu instid0(VALU_DEP_1) | instskip(NEXT) | instid1(VALU_DEP_1)
	v_dual_lshlrev_b32 v1, 24, v1 :: v_dual_bitop2_b32 v3, 3, v3 bitop3:0x40
	v_dual_cndmask_b32 v3, v4, v3, vcc_lo :: v_dual_cndmask_b32 v5, v10, v5, vcc_lo
	s_delay_alu instid0(VALU_DEP_2) | instskip(NEXT) | instid1(VALU_DEP_2)
	v_and_b32_e32 v1, 0x80000000, v1
	v_lshlrev_b32_e32 v3, 21, v3
	s_delay_alu instid0(VALU_DEP_3) | instskip(NEXT) | instid1(VALU_DEP_1)
	v_lshl_add_u32 v4, v5, 23, 0x37800000
	v_or3_b32 v1, v1, v4, v3
	s_delay_alu instid0(VALU_DEP_1) | instskip(NEXT) | instid1(VALU_DEP_1)
	v_trunc_f32_e32 v1, v1
	v_mul_f32_e64 v3, 0x2f800000, |v1|
	v_ashrrev_i32_e32 v4, 31, v1
	s_delay_alu instid0(VALU_DEP_2) | instskip(NEXT) | instid1(VALU_DEP_1)
	v_floor_f32_e32 v3, v3
	v_fma_f32 v5, 0xcf800000, v3, |v1|
	v_cvt_u32_f32_e32 v1, v3
	s_delay_alu instid0(VALU_DEP_2) | instskip(NEXT) | instid1(VALU_DEP_2)
	v_cvt_u32_f32_e32 v3, v5
	v_dual_mov_b32 v5, v4 :: v_dual_bitop2_b32 v11, v1, v4 bitop3:0x14
	s_delay_alu instid0(VALU_DEP_2) | instskip(NEXT) | instid1(VALU_DEP_1)
	v_xor_b32_e32 v10, v3, v4
	v_sub_nc_u64_e32 v[4:5], v[10:11], v[4:5]
.LBB31_94:
	s_or_b32 exec_lo, exec_lo, s38
	s_mov_b32 s38, 0
	s_branch .LBB31_100
.LBB31_95:
	s_mov_b32 s39, -1
                                        ; implicit-def: $vgpr4_vgpr5
	s_branch .LBB31_106
.LBB31_96:
	s_and_not1_saveexec_b32 s38, s38
	s_cbranch_execz .LBB31_82
.LBB31_97:
	v_cmp_ne_u16_e32 vcc_lo, 0, v1
	s_and_not1_b32 s39, s39, exec_lo
	s_and_b32 s40, vcc_lo, exec_lo
	s_delay_alu instid0(SALU_CYCLE_1)
	s_or_b32 s39, s39, s40
	s_or_b32 exec_lo, exec_lo, s38
	v_mov_b64_e32 v[4:5], 0
	s_and_saveexec_b32 s38, s39
	s_cbranch_execnz .LBB31_83
	s_branch .LBB31_84
.LBB31_98:
	s_mov_b32 s38, -1
                                        ; implicit-def: $vgpr4_vgpr5
	s_branch .LBB31_103
.LBB31_99:
	s_mov_b32 s38, -1
                                        ; implicit-def: $vgpr4_vgpr5
.LBB31_100:
	s_delay_alu instid0(SALU_CYCLE_1)
	s_and_b32 vcc_lo, exec_lo, s38
	s_cbranch_vccz .LBB31_102
; %bb.101:
	global_load_u8 v1, v[8:9], off
	s_wait_loadcnt 0x0
	v_lshlrev_b32_e32 v1, 24, v1
	s_delay_alu instid0(VALU_DEP_1) | instskip(NEXT) | instid1(VALU_DEP_1)
	v_and_b32_e32 v3, 0x7f000000, v1
	v_clz_i32_u32_e32 v4, v3
	v_add_nc_u32_e32 v7, 0x1000000, v3
	v_cmp_ne_u32_e32 vcc_lo, 0, v3
	s_delay_alu instid0(VALU_DEP_3) | instskip(NEXT) | instid1(VALU_DEP_1)
	v_min_u32_e32 v4, 32, v4
	v_sub_nc_u32_e64 v4, v4, 4 clamp
	s_delay_alu instid0(VALU_DEP_1) | instskip(NEXT) | instid1(VALU_DEP_1)
	v_dual_lshlrev_b32 v5, v4, v3 :: v_dual_lshlrev_b32 v4, 23, v4
	v_lshrrev_b32_e32 v5, 4, v5
	s_delay_alu instid0(VALU_DEP_1) | instskip(NEXT) | instid1(VALU_DEP_1)
	v_dual_sub_nc_u32 v4, v5, v4 :: v_dual_ashrrev_i32 v5, 8, v7
	v_add_nc_u32_e32 v4, 0x3c000000, v4
	s_delay_alu instid0(VALU_DEP_1) | instskip(NEXT) | instid1(VALU_DEP_1)
	v_and_or_b32 v4, 0x7f800000, v5, v4
	v_cndmask_b32_e32 v3, 0, v4, vcc_lo
	s_delay_alu instid0(VALU_DEP_1) | instskip(NEXT) | instid1(VALU_DEP_1)
	v_and_or_b32 v1, 0x80000000, v1, v3
	v_trunc_f32_e32 v1, v1
	s_delay_alu instid0(VALU_DEP_1) | instskip(SKIP_1) | instid1(VALU_DEP_2)
	v_mul_f32_e64 v3, 0x2f800000, |v1|
	v_ashrrev_i32_e32 v4, 31, v1
	v_floor_f32_e32 v3, v3
	s_delay_alu instid0(VALU_DEP_1) | instskip(SKIP_1) | instid1(VALU_DEP_2)
	v_fma_f32 v5, 0xcf800000, v3, |v1|
	v_cvt_u32_f32_e32 v1, v3
	v_cvt_u32_f32_e32 v3, v5
	s_delay_alu instid0(VALU_DEP_2) | instskip(NEXT) | instid1(VALU_DEP_2)
	v_dual_mov_b32 v5, v4 :: v_dual_bitop2_b32 v11, v1, v4 bitop3:0x14
	v_xor_b32_e32 v10, v3, v4
	s_delay_alu instid0(VALU_DEP_1)
	v_sub_nc_u64_e32 v[4:5], v[10:11], v[4:5]
.LBB31_102:
	s_mov_b32 s38, 0
.LBB31_103:
	s_delay_alu instid0(SALU_CYCLE_1)
	s_and_not1_b32 vcc_lo, exec_lo, s38
	s_cbranch_vccnz .LBB31_105
; %bb.104:
	global_load_u8 v1, v[8:9], off
	s_wait_loadcnt 0x0
	v_lshlrev_b32_e32 v3, 25, v1
	v_lshlrev_b16 v1, 8, v1
	s_delay_alu instid0(VALU_DEP_1) | instskip(NEXT) | instid1(VALU_DEP_3)
	v_and_or_b32 v5, 0x7f00, v1, 0.5
	v_lshrrev_b32_e32 v4, 4, v3
	v_bfe_i32 v1, v1, 0, 16
	s_delay_alu instid0(VALU_DEP_3) | instskip(NEXT) | instid1(VALU_DEP_3)
	v_add_f32_e32 v5, -0.5, v5
	v_or_b32_e32 v4, 0x70000000, v4
	s_delay_alu instid0(VALU_DEP_1) | instskip(SKIP_1) | instid1(VALU_DEP_2)
	v_mul_f32_e32 v4, 0x7800000, v4
	v_cmp_gt_u32_e32 vcc_lo, 0x8000000, v3
	v_cndmask_b32_e32 v3, v4, v5, vcc_lo
	s_delay_alu instid0(VALU_DEP_1) | instskip(NEXT) | instid1(VALU_DEP_1)
	v_and_or_b32 v1, 0x80000000, v1, v3
	v_trunc_f32_e32 v1, v1
	s_delay_alu instid0(VALU_DEP_1) | instskip(SKIP_1) | instid1(VALU_DEP_2)
	v_mul_f32_e64 v3, 0x2f800000, |v1|
	v_ashrrev_i32_e32 v4, 31, v1
	v_floor_f32_e32 v3, v3
	s_delay_alu instid0(VALU_DEP_1) | instskip(SKIP_1) | instid1(VALU_DEP_2)
	v_fma_f32 v5, 0xcf800000, v3, |v1|
	v_cvt_u32_f32_e32 v1, v3
	v_cvt_u32_f32_e32 v3, v5
	s_delay_alu instid0(VALU_DEP_2) | instskip(NEXT) | instid1(VALU_DEP_2)
	v_dual_mov_b32 v5, v4 :: v_dual_bitop2_b32 v11, v1, v4 bitop3:0x14
	v_xor_b32_e32 v10, v3, v4
	s_delay_alu instid0(VALU_DEP_1)
	v_sub_nc_u64_e32 v[4:5], v[10:11], v[4:5]
.LBB31_105:
	s_mov_b32 s39, 0
	s_mov_b32 s38, -1
.LBB31_106:
	s_and_not1_b32 vcc_lo, exec_lo, s39
	s_cbranch_vccnz .LBB31_119
; %bb.107:
	s_cmp_gt_i32 s25, 14
	s_cbranch_scc0 .LBB31_110
; %bb.108:
	s_cmp_eq_u32 s25, 15
	s_cbranch_scc0 .LBB31_113
; %bb.109:
	global_load_u16 v1, v[8:9], off
	s_mov_b32 s38, -1
	s_mov_b32 s24, 0
	s_wait_loadcnt 0x0
	v_lshlrev_b32_e32 v1, 16, v1
	s_delay_alu instid0(VALU_DEP_1) | instskip(NEXT) | instid1(VALU_DEP_1)
	v_trunc_f32_e32 v1, v1
	v_mul_f32_e64 v3, 0x2f800000, |v1|
	v_ashrrev_i32_e32 v4, 31, v1
	s_delay_alu instid0(VALU_DEP_2) | instskip(NEXT) | instid1(VALU_DEP_1)
	v_floor_f32_e32 v3, v3
	v_fma_f32 v5, 0xcf800000, v3, |v1|
	v_cvt_u32_f32_e32 v1, v3
	s_delay_alu instid0(VALU_DEP_2) | instskip(NEXT) | instid1(VALU_DEP_2)
	v_cvt_u32_f32_e32 v3, v5
	v_dual_mov_b32 v5, v4 :: v_dual_bitop2_b32 v11, v1, v4 bitop3:0x14
	s_delay_alu instid0(VALU_DEP_2) | instskip(NEXT) | instid1(VALU_DEP_1)
	v_xor_b32_e32 v10, v3, v4
	v_sub_nc_u64_e32 v[4:5], v[10:11], v[4:5]
	s_branch .LBB31_114
.LBB31_110:
	s_mov_b32 s39, -1
                                        ; implicit-def: $vgpr4_vgpr5
	s_branch .LBB31_115
.LBB31_111:
	s_and_not1_saveexec_b32 s38, s38
	s_cbranch_execz .LBB31_92
.LBB31_112:
	v_cmp_ne_u16_e32 vcc_lo, 0, v1
	s_and_not1_b32 s39, s39, exec_lo
	s_and_b32 s40, vcc_lo, exec_lo
	s_delay_alu instid0(SALU_CYCLE_1)
	s_or_b32 s39, s39, s40
	s_or_b32 exec_lo, exec_lo, s38
	v_mov_b64_e32 v[4:5], 0
	s_and_saveexec_b32 s38, s39
	s_cbranch_execnz .LBB31_93
	s_branch .LBB31_94
.LBB31_113:
	s_mov_b32 s24, -1
                                        ; implicit-def: $vgpr4_vgpr5
.LBB31_114:
	s_mov_b32 s39, 0
.LBB31_115:
	s_delay_alu instid0(SALU_CYCLE_1)
	s_and_b32 vcc_lo, exec_lo, s39
	s_cbranch_vccz .LBB31_119
; %bb.116:
	s_cmp_eq_u32 s25, 11
	s_cbranch_scc0 .LBB31_118
; %bb.117:
	global_load_u8 v1, v[8:9], off
	s_mov_b32 s24, 0
	s_mov_b32 s38, -1
	s_wait_loadcnt 0x1
	v_mov_b32_e32 v5, s24
	s_wait_loadcnt 0x0
	v_cmp_ne_u16_e32 vcc_lo, 0, v1
	v_cndmask_b32_e64 v4, 0, 1, vcc_lo
	s_branch .LBB31_119
.LBB31_118:
	s_mov_b32 s24, -1
                                        ; implicit-def: $vgpr4_vgpr5
.LBB31_119:
	s_branch .LBB31_21
.LBB31_120:
	s_and_b32 s0, 0xffff, s0
	s_delay_alu instid0(SALU_CYCLE_1)
	s_cmp_lt_i32 s0, 5
	s_cbranch_scc1 .LBB31_125
; %bb.121:
	s_cmp_lt_i32 s0, 8
	s_cbranch_scc1 .LBB31_126
; %bb.122:
	s_cmp_lt_i32 s0, 9
	s_cbranch_scc1 .LBB31_127
; %bb.123:
	s_cmp_gt_i32 s0, 9
	s_cbranch_scc0 .LBB31_128
; %bb.124:
	s_wait_loadcnt 0x0
	global_load_b64 v[4:5], v[8:9], off
	s_mov_b32 s25, 0
	s_wait_loadcnt 0x0
	v_trunc_f64_e32 v[4:5], v[4:5]
	s_delay_alu instid0(VALU_DEP_1) | instskip(NEXT) | instid1(VALU_DEP_1)
	v_ldexp_f64 v[10:11], v[4:5], 0xffffffe0
	v_floor_f64_e32 v[10:11], v[10:11]
	s_delay_alu instid0(VALU_DEP_1) | instskip(SKIP_1) | instid1(VALU_DEP_2)
	v_fmamk_f64 v[12:13], v[10:11], 0xc1f00000, v[4:5]
	v_cvt_i32_f64_e32 v5, v[10:11]
	v_cvt_u32_f64_e32 v4, v[12:13]
	s_branch .LBB31_129
.LBB31_125:
                                        ; implicit-def: $vgpr4_vgpr5
	s_branch .LBB31_147
.LBB31_126:
	s_mov_b32 s25, -1
                                        ; implicit-def: $vgpr4_vgpr5
	s_branch .LBB31_135
.LBB31_127:
	s_mov_b32 s25, -1
                                        ; implicit-def: $vgpr4_vgpr5
	s_branch .LBB31_132
.LBB31_128:
	s_mov_b32 s25, -1
                                        ; implicit-def: $vgpr4_vgpr5
.LBB31_129:
	s_delay_alu instid0(SALU_CYCLE_1)
	s_and_not1_b32 vcc_lo, exec_lo, s25
	s_cbranch_vccnz .LBB31_131
; %bb.130:
	global_load_b32 v1, v[8:9], off
	s_wait_loadcnt 0x0
	v_trunc_f32_e32 v1, v1
	s_delay_alu instid0(VALU_DEP_1) | instskip(SKIP_1) | instid1(VALU_DEP_2)
	v_mul_f32_e64 v3, 0x2f800000, |v1|
	v_ashrrev_i32_e32 v4, 31, v1
	v_floor_f32_e32 v3, v3
	s_delay_alu instid0(VALU_DEP_1) | instskip(SKIP_1) | instid1(VALU_DEP_2)
	v_fma_f32 v5, 0xcf800000, v3, |v1|
	v_cvt_u32_f32_e32 v1, v3
	v_cvt_u32_f32_e32 v3, v5
	s_delay_alu instid0(VALU_DEP_2) | instskip(NEXT) | instid1(VALU_DEP_2)
	v_dual_mov_b32 v5, v4 :: v_dual_bitop2_b32 v11, v1, v4 bitop3:0x14
	v_xor_b32_e32 v10, v3, v4
	s_delay_alu instid0(VALU_DEP_1)
	v_sub_nc_u64_e32 v[4:5], v[10:11], v[4:5]
.LBB31_131:
	s_mov_b32 s25, 0
.LBB31_132:
	s_delay_alu instid0(SALU_CYCLE_1)
	s_and_not1_b32 vcc_lo, exec_lo, s25
	s_cbranch_vccnz .LBB31_134
; %bb.133:
	global_load_b32 v1, v[8:9], off
	s_wait_loadcnt 0x0
	v_cvt_f32_f16_e32 v1, v1
	s_delay_alu instid0(VALU_DEP_1) | instskip(NEXT) | instid1(VALU_DEP_1)
	v_cvt_i32_f32_e32 v4, v1
	v_ashrrev_i32_e32 v5, 31, v4
.LBB31_134:
	s_mov_b32 s25, 0
.LBB31_135:
	s_delay_alu instid0(SALU_CYCLE_1)
	s_and_not1_b32 vcc_lo, exec_lo, s25
	s_cbranch_vccnz .LBB31_146
; %bb.136:
	s_cmp_lt_i32 s0, 6
	s_cbranch_scc1 .LBB31_139
; %bb.137:
	s_cmp_gt_i32 s0, 6
	s_cbranch_scc0 .LBB31_140
; %bb.138:
	s_wait_loadcnt 0x0
	global_load_b64 v[4:5], v[8:9], off
	s_mov_b32 s25, 0
	s_wait_loadcnt 0x0
	v_trunc_f64_e32 v[4:5], v[4:5]
	s_delay_alu instid0(VALU_DEP_1) | instskip(NEXT) | instid1(VALU_DEP_1)
	v_ldexp_f64 v[10:11], v[4:5], 0xffffffe0
	v_floor_f64_e32 v[10:11], v[10:11]
	s_delay_alu instid0(VALU_DEP_1) | instskip(SKIP_1) | instid1(VALU_DEP_2)
	v_fmamk_f64 v[12:13], v[10:11], 0xc1f00000, v[4:5]
	v_cvt_i32_f64_e32 v5, v[10:11]
	v_cvt_u32_f64_e32 v4, v[12:13]
	s_branch .LBB31_141
.LBB31_139:
	s_mov_b32 s25, -1
                                        ; implicit-def: $vgpr4_vgpr5
	s_branch .LBB31_144
.LBB31_140:
	s_mov_b32 s25, -1
                                        ; implicit-def: $vgpr4_vgpr5
.LBB31_141:
	s_delay_alu instid0(SALU_CYCLE_1)
	s_and_not1_b32 vcc_lo, exec_lo, s25
	s_cbranch_vccnz .LBB31_143
; %bb.142:
	global_load_b32 v1, v[8:9], off
	s_wait_loadcnt 0x0
	v_trunc_f32_e32 v1, v1
	s_delay_alu instid0(VALU_DEP_1) | instskip(SKIP_1) | instid1(VALU_DEP_2)
	v_mul_f32_e64 v3, 0x2f800000, |v1|
	v_ashrrev_i32_e32 v4, 31, v1
	v_floor_f32_e32 v3, v3
	s_delay_alu instid0(VALU_DEP_1) | instskip(SKIP_1) | instid1(VALU_DEP_2)
	v_fma_f32 v5, 0xcf800000, v3, |v1|
	v_cvt_u32_f32_e32 v1, v3
	v_cvt_u32_f32_e32 v3, v5
	s_delay_alu instid0(VALU_DEP_2) | instskip(NEXT) | instid1(VALU_DEP_2)
	v_dual_mov_b32 v5, v4 :: v_dual_bitop2_b32 v11, v1, v4 bitop3:0x14
	v_xor_b32_e32 v10, v3, v4
	s_delay_alu instid0(VALU_DEP_1)
	v_sub_nc_u64_e32 v[4:5], v[10:11], v[4:5]
.LBB31_143:
	s_mov_b32 s25, 0
.LBB31_144:
	s_delay_alu instid0(SALU_CYCLE_1)
	s_and_not1_b32 vcc_lo, exec_lo, s25
	s_cbranch_vccnz .LBB31_146
; %bb.145:
	global_load_u16 v1, v[8:9], off
	s_wait_loadcnt 0x0
	v_cvt_f32_f16_e32 v1, v1
	s_delay_alu instid0(VALU_DEP_1) | instskip(NEXT) | instid1(VALU_DEP_1)
	v_cvt_i32_f32_e32 v4, v1
	v_ashrrev_i32_e32 v5, 31, v4
.LBB31_146:
	s_cbranch_execnz .LBB31_166
.LBB31_147:
	s_cmp_lt_i32 s0, 2
	s_cbranch_scc1 .LBB31_151
; %bb.148:
	s_cmp_lt_i32 s0, 3
	s_cbranch_scc1 .LBB31_152
; %bb.149:
	s_cmp_gt_i32 s0, 3
	s_cbranch_scc0 .LBB31_153
; %bb.150:
	s_wait_loadcnt 0x0
	global_load_b64 v[4:5], v[8:9], off
	s_mov_b32 s25, 0
	s_branch .LBB31_154
.LBB31_151:
	s_mov_b32 s25, -1
                                        ; implicit-def: $vgpr4_vgpr5
	s_branch .LBB31_160
.LBB31_152:
	s_mov_b32 s25, -1
                                        ; implicit-def: $vgpr4_vgpr5
	s_branch .LBB31_157
.LBB31_153:
	s_mov_b32 s25, -1
                                        ; implicit-def: $vgpr4_vgpr5
.LBB31_154:
	s_delay_alu instid0(SALU_CYCLE_1)
	s_and_not1_b32 vcc_lo, exec_lo, s25
	s_cbranch_vccnz .LBB31_156
; %bb.155:
	s_wait_loadcnt 0x0
	global_load_b32 v4, v[8:9], off
	s_wait_loadcnt 0x0
	v_ashrrev_i32_e32 v5, 31, v4
.LBB31_156:
	s_mov_b32 s25, 0
.LBB31_157:
	s_delay_alu instid0(SALU_CYCLE_1)
	s_and_not1_b32 vcc_lo, exec_lo, s25
	s_cbranch_vccnz .LBB31_159
; %bb.158:
	global_load_u16 v1, v[8:9], off
	s_wait_loadcnt 0x0
	v_bfe_i32 v4, v1, 0, 16
	s_delay_alu instid0(VALU_DEP_1)
	v_ashrrev_i32_e32 v5, 31, v4
.LBB31_159:
	s_mov_b32 s25, 0
.LBB31_160:
	s_delay_alu instid0(SALU_CYCLE_1)
	s_and_not1_b32 vcc_lo, exec_lo, s25
	s_cbranch_vccnz .LBB31_166
; %bb.161:
	s_cmp_gt_i32 s0, 0
	s_mov_b32 s0, 0
	s_cbranch_scc0 .LBB31_163
; %bb.162:
	global_load_i8 v1, v[8:9], off
	s_wait_loadcnt 0x0
	v_bfe_i32 v4, v1, 0, 16
	s_delay_alu instid0(VALU_DEP_1)
	v_ashrrev_i32_e32 v5, 31, v4
	s_branch .LBB31_164
.LBB31_163:
	s_mov_b32 s0, -1
                                        ; implicit-def: $vgpr4_vgpr5
.LBB31_164:
	s_delay_alu instid0(SALU_CYCLE_1)
	s_and_not1_b32 vcc_lo, exec_lo, s0
	s_cbranch_vccnz .LBB31_166
; %bb.165:
	global_load_u8 v1, v[8:9], off
	s_mov_b32 s0, 0
	s_wait_loadcnt 0x1
	v_mov_b32_e32 v5, s0
	s_wait_loadcnt 0x0
	v_and_b32_e32 v4, 0xffff, v1
.LBB31_166:
	s_branch .LBB31_22
.LBB31_167:
	s_mov_b32 s0, 0
	s_mov_b32 s25, 0
	s_branch .LBB31_391
.LBB31_168:
	s_mov_b32 s25, -1
.LBB31_169:
	s_mov_b32 s39, 0
                                        ; implicit-def: $vgpr8_vgpr9
.LBB31_170:
	s_and_b32 vcc_lo, exec_lo, s40
	s_cbranch_vccz .LBB31_285
; %bb.171:
	s_cmp_eq_u32 s38, 44
	s_cbranch_scc0 .LBB31_284
; %bb.172:
	global_load_u8 v1, v[6:7], off
	s_mov_b32 s25, 0
	s_mov_b32 s39, -1
	s_wait_loadcnt 0x0
	v_lshlrev_b32_e32 v3, 23, v1
	v_cmp_ne_u32_e32 vcc_lo, 0, v1
	s_delay_alu instid0(VALU_DEP_2) | instskip(NEXT) | instid1(VALU_DEP_1)
	v_trunc_f32_e32 v3, v3
	v_mul_f32_e64 v8, 0x2f800000, |v3|
	s_delay_alu instid0(VALU_DEP_1) | instskip(SKIP_1) | instid1(VALU_DEP_2)
	v_floor_f32_e32 v9, v8
	v_ashrrev_i32_e32 v8, 31, v3
	v_fma_f32 v10, 0xcf800000, v9, |v3|
	v_cvt_u32_f32_e32 v3, v9
	s_delay_alu instid0(VALU_DEP_3) | instskip(NEXT) | instid1(VALU_DEP_3)
	v_mov_b32_e32 v9, v8
	v_cvt_u32_f32_e32 v10, v10
	s_delay_alu instid0(VALU_DEP_3) | instskip(NEXT) | instid1(VALU_DEP_2)
	v_xor_b32_e32 v11, v3, v8
	v_xor_b32_e32 v10, v10, v8
	s_delay_alu instid0(VALU_DEP_1) | instskip(NEXT) | instid1(VALU_DEP_1)
	v_sub_nc_u64_e32 v[8:9], v[10:11], v[8:9]
	v_dual_cndmask_b32 v9, 0, v9 :: v_dual_cndmask_b32 v8, 0, v8
	s_branch .LBB31_285
.LBB31_173:
	s_mov_b32 s42, -1
	s_mov_b32 s0, 0
	s_mov_b32 s40, 0
.LBB31_174:
	s_and_b32 vcc_lo, exec_lo, s42
	s_cbranch_vccz .LBB31_179
; %bb.175:
	s_cmp_eq_u32 s39, 44
	s_mov_b32 s0, -1
	s_cbranch_scc0 .LBB31_179
; %bb.176:
	s_wait_xcnt 0x0
	s_delay_alu instid0(VALU_DEP_3) | instskip(SKIP_1) | instid1(VALU_DEP_1)
	v_clz_i32_u32_e32 v1, v7
	s_mov_b32 s40, exec_lo
	v_min_u32_e32 v1, 32, v1
	s_delay_alu instid0(VALU_DEP_1) | instskip(SKIP_1) | instid1(VALU_DEP_2)
	v_lshlrev_b64_e32 v[4:5], v1, v[6:7]
	v_sub_nc_u32_e32 v1, 32, v1
	v_min_u32_e32 v4, 1, v4
	s_delay_alu instid0(VALU_DEP_1) | instskip(NEXT) | instid1(VALU_DEP_1)
	v_or_b32_e32 v4, v5, v4
	v_cvt_f32_u32_e32 v4, v4
	s_delay_alu instid0(VALU_DEP_1) | instskip(NEXT) | instid1(VALU_DEP_1)
	v_ldexp_f32 v5, v4, v1
	v_dual_mov_b32 v4, 0xff :: v_dual_lshrrev_b32 v1, 23, v5
	s_delay_alu instid0(VALU_DEP_1)
	v_cmpx_ne_u32_e32 0xff, v1
; %bb.177:
	v_and_b32_e32 v4, 0x400000, v5
	v_and_or_b32 v5, 0x3fffff, v5, v1
	s_delay_alu instid0(VALU_DEP_2) | instskip(NEXT) | instid1(VALU_DEP_2)
	v_cmp_ne_u32_e32 vcc_lo, 0, v4
	v_cmp_ne_u32_e64 s0, 0, v5
	s_and_b32 s0, vcc_lo, s0
	s_delay_alu instid0(SALU_CYCLE_1) | instskip(NEXT) | instid1(VALU_DEP_1)
	v_cndmask_b32_e64 v4, 0, 1, s0
	v_add_nc_u32_e32 v4, v1, v4
; %bb.178:
	s_or_b32 exec_lo, exec_lo, s40
	s_mov_b32 s40, -1
	s_mov_b32 s0, 0
	global_store_b8 v[2:3], v4, off
.LBB31_179:
	s_mov_b32 s42, 0
.LBB31_180:
	s_delay_alu instid0(SALU_CYCLE_1)
	s_and_b32 vcc_lo, exec_lo, s42
	s_cbranch_vccz .LBB31_183
; %bb.181:
	s_cmp_eq_u32 s39, 29
	s_mov_b32 s0, -1
	s_cbranch_scc0 .LBB31_183
; %bb.182:
	s_mov_b32 s40, -1
	s_mov_b32 s0, 0
	global_store_b64 v[2:3], v[6:7], off
.LBB31_183:
	s_mov_b32 s42, 0
.LBB31_184:
	s_delay_alu instid0(SALU_CYCLE_1)
	s_and_b32 vcc_lo, exec_lo, s42
	s_cbranch_vccz .LBB31_200
; %bb.185:
	s_cmp_lt_i32 s39, 27
	s_mov_b32 s40, -1
	s_cbranch_scc1 .LBB31_191
; %bb.186:
	s_cmp_gt_i32 s39, 27
	s_cbranch_scc0 .LBB31_188
; %bb.187:
	s_mov_b32 s40, 0
	global_store_b32 v[2:3], v6, off
.LBB31_188:
	s_and_not1_b32 vcc_lo, exec_lo, s40
	s_cbranch_vccnz .LBB31_190
; %bb.189:
	global_store_b16 v[2:3], v6, off
.LBB31_190:
	s_mov_b32 s40, 0
.LBB31_191:
	s_delay_alu instid0(SALU_CYCLE_1)
	s_and_not1_b32 vcc_lo, exec_lo, s40
	s_cbranch_vccnz .LBB31_199
; %bb.192:
	s_wait_xcnt 0x0
	s_delay_alu instid0(VALU_DEP_3) | instskip(SKIP_1) | instid1(VALU_DEP_1)
	v_clz_i32_u32_e32 v1, v7
	s_mov_b32 s40, exec_lo
	v_min_u32_e32 v1, 32, v1
	s_delay_alu instid0(VALU_DEP_1) | instskip(SKIP_1) | instid1(VALU_DEP_2)
	v_lshlrev_b64_e32 v[4:5], v1, v[6:7]
	v_sub_nc_u32_e32 v1, 32, v1
	v_min_u32_e32 v4, 1, v4
	s_delay_alu instid0(VALU_DEP_1) | instskip(SKIP_1) | instid1(VALU_DEP_2)
	v_or_b32_e32 v4, v5, v4
	v_mov_b32_e32 v5, 0x80
	v_cvt_f32_u32_e32 v4, v4
	s_delay_alu instid0(VALU_DEP_1) | instskip(NEXT) | instid1(VALU_DEP_1)
	v_ldexp_f32 v4, v4, v1
	v_cmpx_gt_u32_e32 0x43800000, v4
	s_cbranch_execz .LBB31_198
; %bb.193:
	s_mov_b32 s42, 0
	s_mov_b32 s43, exec_lo
                                        ; implicit-def: $vgpr1
	v_cmpx_lt_u32_e32 0x3bffffff, v4
	s_xor_b32 s43, exec_lo, s43
	s_cbranch_execz .LBB31_433
; %bb.194:
	v_bfe_u32 v1, v4, 20, 1
	s_mov_b32 s42, exec_lo
	s_delay_alu instid0(VALU_DEP_1) | instskip(NEXT) | instid1(VALU_DEP_1)
	v_add3_u32 v1, v4, v1, 0x487ffff
                                        ; implicit-def: $vgpr4
	v_lshrrev_b32_e32 v1, 20, v1
	s_and_not1_saveexec_b32 s43, s43
	s_cbranch_execnz .LBB31_434
.LBB31_195:
	s_or_b32 exec_lo, exec_lo, s43
	v_mov_b32_e32 v5, 0
	s_and_saveexec_b32 s43, s42
.LBB31_196:
	v_mov_b32_e32 v5, v1
.LBB31_197:
	s_or_b32 exec_lo, exec_lo, s43
.LBB31_198:
	s_delay_alu instid0(SALU_CYCLE_1)
	s_or_b32 exec_lo, exec_lo, s40
	global_store_b8 v[2:3], v5, off
.LBB31_199:
	s_mov_b32 s40, -1
.LBB31_200:
	s_mov_b32 s42, 0
.LBB31_201:
	s_delay_alu instid0(SALU_CYCLE_1)
	s_and_b32 vcc_lo, exec_lo, s42
	s_cbranch_vccz .LBB31_242
; %bb.202:
	s_cmp_gt_i32 s39, 22
	s_mov_b32 s42, -1
	s_cbranch_scc0 .LBB31_234
; %bb.203:
	s_cmp_lt_i32 s39, 24
	s_mov_b32 s40, -1
	s_cbranch_scc1 .LBB31_223
; %bb.204:
	s_cmp_gt_i32 s39, 24
	s_cbranch_scc0 .LBB31_212
; %bb.205:
	s_wait_xcnt 0x0
	s_delay_alu instid0(VALU_DEP_3) | instskip(SKIP_1) | instid1(VALU_DEP_1)
	v_clz_i32_u32_e32 v1, v7
	s_mov_b32 s40, exec_lo
	v_min_u32_e32 v1, 32, v1
	s_delay_alu instid0(VALU_DEP_1) | instskip(SKIP_1) | instid1(VALU_DEP_2)
	v_lshlrev_b64_e32 v[4:5], v1, v[6:7]
	v_sub_nc_u32_e32 v1, 32, v1
	v_min_u32_e32 v4, 1, v4
	s_delay_alu instid0(VALU_DEP_1) | instskip(SKIP_1) | instid1(VALU_DEP_2)
	v_or_b32_e32 v4, v5, v4
	v_mov_b32_e32 v5, 0x80
	v_cvt_f32_u32_e32 v4, v4
	s_delay_alu instid0(VALU_DEP_1) | instskip(NEXT) | instid1(VALU_DEP_1)
	v_ldexp_f32 v4, v4, v1
	v_cmpx_gt_u32_e32 0x47800000, v4
	s_cbranch_execz .LBB31_211
; %bb.206:
	s_mov_b32 s42, 0
	s_mov_b32 s43, exec_lo
                                        ; implicit-def: $vgpr1
	v_cmpx_lt_u32_e32 0x37ffffff, v4
	s_xor_b32 s43, exec_lo, s43
	s_cbranch_execz .LBB31_548
; %bb.207:
	v_bfe_u32 v1, v4, 21, 1
	s_mov_b32 s42, exec_lo
	s_delay_alu instid0(VALU_DEP_1) | instskip(NEXT) | instid1(VALU_DEP_1)
	v_add3_u32 v1, v4, v1, 0x88fffff
                                        ; implicit-def: $vgpr4
	v_lshrrev_b32_e32 v1, 21, v1
	s_and_not1_saveexec_b32 s43, s43
	s_cbranch_execnz .LBB31_549
.LBB31_208:
	s_or_b32 exec_lo, exec_lo, s43
	v_mov_b32_e32 v5, 0
	s_and_saveexec_b32 s43, s42
.LBB31_209:
	v_mov_b32_e32 v5, v1
.LBB31_210:
	s_or_b32 exec_lo, exec_lo, s43
.LBB31_211:
	s_delay_alu instid0(SALU_CYCLE_1)
	s_or_b32 exec_lo, exec_lo, s40
	s_mov_b32 s40, 0
	global_store_b8 v[2:3], v5, off
.LBB31_212:
	s_and_b32 vcc_lo, exec_lo, s40
	s_cbranch_vccz .LBB31_222
; %bb.213:
	s_wait_xcnt 0x0
	s_delay_alu instid0(VALU_DEP_3) | instskip(SKIP_1) | instid1(VALU_DEP_1)
	v_clz_i32_u32_e32 v1, v7
	s_mov_b32 s40, exec_lo
	v_min_u32_e32 v1, 32, v1
	s_delay_alu instid0(VALU_DEP_1) | instskip(SKIP_1) | instid1(VALU_DEP_2)
	v_lshlrev_b64_e32 v[4:5], v1, v[6:7]
	v_sub_nc_u32_e32 v1, 32, v1
	v_min_u32_e32 v4, 1, v4
	s_delay_alu instid0(VALU_DEP_1) | instskip(NEXT) | instid1(VALU_DEP_1)
	v_or_b32_e32 v4, v5, v4
	v_cvt_f32_u32_e32 v4, v4
	s_delay_alu instid0(VALU_DEP_1) | instskip(NEXT) | instid1(VALU_DEP_1)
	v_ldexp_f32 v4, v4, v1
                                        ; implicit-def: $vgpr1
	v_cmpx_gt_u32_e32 0x43f00000, v4
	s_xor_b32 s40, exec_lo, s40
	s_cbranch_execz .LBB31_219
; %bb.214:
	s_mov_b32 s42, exec_lo
                                        ; implicit-def: $vgpr1
	v_cmpx_lt_u32_e32 0x3c7fffff, v4
	s_xor_b32 s42, exec_lo, s42
; %bb.215:
	v_bfe_u32 v1, v4, 20, 1
	s_delay_alu instid0(VALU_DEP_1) | instskip(NEXT) | instid1(VALU_DEP_1)
	v_add3_u32 v1, v4, v1, 0x407ffff
	v_and_b32_e32 v4, 0xff00000, v1
	v_lshrrev_b32_e32 v1, 20, v1
	s_delay_alu instid0(VALU_DEP_2) | instskip(NEXT) | instid1(VALU_DEP_2)
	v_cmp_ne_u32_e32 vcc_lo, 0x7f00000, v4
                                        ; implicit-def: $vgpr4
	v_cndmask_b32_e32 v1, 0x7e, v1, vcc_lo
; %bb.216:
	s_and_not1_saveexec_b32 s42, s42
; %bb.217:
	v_add_f32_e32 v1, 0x46800000, v4
; %bb.218:
	s_or_b32 exec_lo, exec_lo, s42
                                        ; implicit-def: $vgpr4
.LBB31_219:
	s_and_not1_saveexec_b32 s40, s40
; %bb.220:
	v_mov_b32_e32 v1, 0x7f
	v_cmp_lt_u32_e32 vcc_lo, 0x7f800000, v4
	s_delay_alu instid0(VALU_DEP_2)
	v_cndmask_b32_e32 v1, 0x7e, v1, vcc_lo
; %bb.221:
	s_or_b32 exec_lo, exec_lo, s40
	global_store_b8 v[2:3], v1, off
.LBB31_222:
	s_mov_b32 s40, 0
.LBB31_223:
	s_delay_alu instid0(SALU_CYCLE_1)
	s_and_not1_b32 vcc_lo, exec_lo, s40
	s_cbranch_vccnz .LBB31_233
; %bb.224:
	s_wait_xcnt 0x0
	s_delay_alu instid0(VALU_DEP_3) | instskip(SKIP_1) | instid1(VALU_DEP_1)
	v_clz_i32_u32_e32 v1, v7
	s_mov_b32 s40, exec_lo
	v_min_u32_e32 v1, 32, v1
	s_delay_alu instid0(VALU_DEP_1) | instskip(SKIP_1) | instid1(VALU_DEP_2)
	v_lshlrev_b64_e32 v[4:5], v1, v[6:7]
	v_sub_nc_u32_e32 v1, 32, v1
	v_min_u32_e32 v4, 1, v4
	s_delay_alu instid0(VALU_DEP_1) | instskip(NEXT) | instid1(VALU_DEP_1)
	v_or_b32_e32 v4, v5, v4
	v_cvt_f32_u32_e32 v4, v4
	s_delay_alu instid0(VALU_DEP_1) | instskip(NEXT) | instid1(VALU_DEP_1)
	v_ldexp_f32 v4, v4, v1
                                        ; implicit-def: $vgpr1
	v_cmpx_gt_u32_e32 0x47800000, v4
	s_xor_b32 s40, exec_lo, s40
	s_cbranch_execz .LBB31_230
; %bb.225:
	s_mov_b32 s42, exec_lo
                                        ; implicit-def: $vgpr1
	v_cmpx_lt_u32_e32 0x387fffff, v4
	s_xor_b32 s42, exec_lo, s42
; %bb.226:
	v_bfe_u32 v1, v4, 21, 1
	s_delay_alu instid0(VALU_DEP_1) | instskip(NEXT) | instid1(VALU_DEP_1)
	v_add3_u32 v1, v4, v1, 0x80fffff
                                        ; implicit-def: $vgpr4
	v_lshrrev_b32_e32 v1, 21, v1
; %bb.227:
	s_and_not1_saveexec_b32 s42, s42
; %bb.228:
	v_add_f32_e32 v1, 0x43000000, v4
; %bb.229:
	s_or_b32 exec_lo, exec_lo, s42
                                        ; implicit-def: $vgpr4
.LBB31_230:
	s_and_not1_saveexec_b32 s40, s40
; %bb.231:
	v_mov_b32_e32 v1, 0x7f
	v_cmp_lt_u32_e32 vcc_lo, 0x7f800000, v4
	s_delay_alu instid0(VALU_DEP_2)
	v_cndmask_b32_e32 v1, 0x7c, v1, vcc_lo
; %bb.232:
	s_or_b32 exec_lo, exec_lo, s40
	global_store_b8 v[2:3], v1, off
.LBB31_233:
	s_mov_b32 s42, 0
	s_mov_b32 s40, -1
.LBB31_234:
	s_and_not1_b32 vcc_lo, exec_lo, s42
	s_cbranch_vccnz .LBB31_242
; %bb.235:
	s_cmp_gt_i32 s39, 14
	s_mov_b32 s42, -1
	s_cbranch_scc0 .LBB31_239
; %bb.236:
	s_cmp_eq_u32 s39, 15
	s_mov_b32 s0, -1
	s_cbranch_scc0 .LBB31_238
; %bb.237:
	s_wait_xcnt 0x0
	s_delay_alu instid0(VALU_DEP_3) | instskip(SKIP_2) | instid1(VALU_DEP_1)
	v_clz_i32_u32_e32 v1, v7
	s_mov_b32 s40, -1
	s_mov_b32 s0, 0
	v_min_u32_e32 v1, 32, v1
	s_delay_alu instid0(VALU_DEP_1) | instskip(SKIP_1) | instid1(VALU_DEP_2)
	v_lshlrev_b64_e32 v[4:5], v1, v[6:7]
	v_sub_nc_u32_e32 v1, 32, v1
	v_min_u32_e32 v4, 1, v4
	s_delay_alu instid0(VALU_DEP_1) | instskip(NEXT) | instid1(VALU_DEP_1)
	v_or_b32_e32 v4, v5, v4
	v_cvt_f32_u32_e32 v4, v4
	s_delay_alu instid0(VALU_DEP_1) | instskip(NEXT) | instid1(VALU_DEP_1)
	v_ldexp_f32 v1, v4, v1
	v_bfe_u32 v4, v1, 16, 1
	s_delay_alu instid0(VALU_DEP_1)
	v_add3_u32 v1, v1, v4, 0x7fff
	global_store_d16_hi_b16 v[2:3], v1, off
.LBB31_238:
	s_mov_b32 s42, 0
.LBB31_239:
	s_delay_alu instid0(SALU_CYCLE_1)
	s_and_b32 vcc_lo, exec_lo, s42
	s_cbranch_vccz .LBB31_242
; %bb.240:
	s_cmp_eq_u32 s39, 11
	s_mov_b32 s0, -1
	s_cbranch_scc0 .LBB31_242
; %bb.241:
	s_delay_alu instid0(VALU_DEP_3)
	v_cmp_ne_u64_e32 vcc_lo, 0, v[6:7]
	s_mov_b32 s40, -1
	s_mov_b32 s0, 0
	s_wait_xcnt 0x0
	v_cndmask_b32_e64 v1, 0, 1, vcc_lo
	global_store_b8 v[2:3], v1, off
.LBB31_242:
	s_mov_b32 s39, 0
.LBB31_243:
	s_delay_alu instid0(SALU_CYCLE_1)
	s_and_b32 vcc_lo, exec_lo, s39
	s_cbranch_vccz .LBB31_282
; %bb.244:
	s_and_b32 s38, 0xffff, s38
	s_mov_b32 s39, -1
	s_cmp_lt_i32 s38, 5
	s_cbranch_scc1 .LBB31_265
; %bb.245:
	s_cmp_lt_i32 s38, 8
	s_cbranch_scc1 .LBB31_255
; %bb.246:
	;; [unrolled: 3-line block ×3, first 2 shown]
	s_cmp_gt_i32 s38, 9
	s_cbranch_scc0 .LBB31_249
; %bb.248:
	s_wait_xcnt 0x0
	s_delay_alu instid0(VALU_DEP_3) | instskip(NEXT) | instid1(VALU_DEP_4)
	v_cvt_f64_u32_e32 v[4:5], v7
	v_cvt_f64_u32_e32 v[8:9], v6
	s_mov_b32 s39, 0
	v_mov_b32_e32 v10, 0
	s_delay_alu instid0(VALU_DEP_1) | instskip(NEXT) | instid1(VALU_DEP_4)
	v_mov_b32_e32 v11, v10
	v_ldexp_f64 v[4:5], v[4:5], 32
	s_delay_alu instid0(VALU_DEP_1)
	v_add_f64_e32 v[8:9], v[4:5], v[8:9]
	global_store_b128 v[2:3], v[8:11], off
.LBB31_249:
	s_and_not1_b32 vcc_lo, exec_lo, s39
	s_cbranch_vccnz .LBB31_251
; %bb.250:
	s_wait_xcnt 0x0
	s_delay_alu instid0(VALU_DEP_3) | instskip(NEXT) | instid1(VALU_DEP_1)
	v_clz_i32_u32_e32 v1, v7
	v_min_u32_e32 v1, 32, v1
	s_delay_alu instid0(VALU_DEP_1) | instskip(SKIP_1) | instid1(VALU_DEP_2)
	v_lshlrev_b64_e32 v[4:5], v1, v[6:7]
	v_sub_nc_u32_e32 v1, 32, v1
	v_min_u32_e32 v4, 1, v4
	s_delay_alu instid0(VALU_DEP_1) | instskip(NEXT) | instid1(VALU_DEP_1)
	v_dual_mov_b32 v5, 0 :: v_dual_bitop2_b32 v4, v5, v4 bitop3:0x54
	v_cvt_f32_u32_e32 v4, v4
	s_delay_alu instid0(VALU_DEP_1)
	v_ldexp_f32 v4, v4, v1
	global_store_b64 v[2:3], v[4:5], off
.LBB31_251:
	s_mov_b32 s39, 0
.LBB31_252:
	s_delay_alu instid0(SALU_CYCLE_1)
	s_and_not1_b32 vcc_lo, exec_lo, s39
	s_cbranch_vccnz .LBB31_254
; %bb.253:
	s_wait_xcnt 0x0
	s_delay_alu instid0(VALU_DEP_3) | instskip(NEXT) | instid1(VALU_DEP_1)
	v_clz_i32_u32_e32 v1, v7
	v_min_u32_e32 v1, 32, v1
	s_delay_alu instid0(VALU_DEP_1) | instskip(SKIP_1) | instid1(VALU_DEP_2)
	v_lshlrev_b64_e32 v[4:5], v1, v[6:7]
	v_sub_nc_u32_e32 v1, 32, v1
	v_min_u32_e32 v4, 1, v4
	s_delay_alu instid0(VALU_DEP_1) | instskip(NEXT) | instid1(VALU_DEP_1)
	v_or_b32_e32 v4, v5, v4
	v_cvt_f32_u32_e32 v4, v4
	s_delay_alu instid0(VALU_DEP_1) | instskip(NEXT) | instid1(VALU_DEP_1)
	v_ldexp_f32 v1, v4, v1
	v_cvt_f16_f32_e32 v1, v1
	s_delay_alu instid0(VALU_DEP_1)
	v_and_b32_e32 v1, 0xffff, v1
	global_store_b32 v[2:3], v1, off
.LBB31_254:
	s_mov_b32 s39, 0
.LBB31_255:
	s_delay_alu instid0(SALU_CYCLE_1)
	s_and_not1_b32 vcc_lo, exec_lo, s39
	s_cbranch_vccnz .LBB31_264
; %bb.256:
	s_cmp_lt_i32 s38, 6
	s_mov_b32 s39, -1
	s_cbranch_scc1 .LBB31_262
; %bb.257:
	s_cmp_gt_i32 s38, 6
	s_cbranch_scc0 .LBB31_259
; %bb.258:
	s_wait_xcnt 0x0
	s_delay_alu instid0(VALU_DEP_3) | instskip(NEXT) | instid1(VALU_DEP_4)
	v_cvt_f64_u32_e32 v[4:5], v7
	v_cvt_f64_u32_e32 v[8:9], v6
	s_mov_b32 s39, 0
	s_delay_alu instid0(VALU_DEP_2) | instskip(NEXT) | instid1(VALU_DEP_1)
	v_ldexp_f64 v[4:5], v[4:5], 32
	v_add_f64_e32 v[4:5], v[4:5], v[8:9]
	global_store_b64 v[2:3], v[4:5], off
.LBB31_259:
	s_and_not1_b32 vcc_lo, exec_lo, s39
	s_cbranch_vccnz .LBB31_261
; %bb.260:
	s_wait_xcnt 0x0
	s_delay_alu instid0(VALU_DEP_3) | instskip(NEXT) | instid1(VALU_DEP_1)
	v_clz_i32_u32_e32 v1, v7
	v_min_u32_e32 v1, 32, v1
	s_delay_alu instid0(VALU_DEP_1) | instskip(SKIP_1) | instid1(VALU_DEP_2)
	v_lshlrev_b64_e32 v[4:5], v1, v[6:7]
	v_sub_nc_u32_e32 v1, 32, v1
	v_min_u32_e32 v4, 1, v4
	s_delay_alu instid0(VALU_DEP_1) | instskip(NEXT) | instid1(VALU_DEP_1)
	v_or_b32_e32 v4, v5, v4
	v_cvt_f32_u32_e32 v4, v4
	s_delay_alu instid0(VALU_DEP_1)
	v_ldexp_f32 v1, v4, v1
	global_store_b32 v[2:3], v1, off
.LBB31_261:
	s_mov_b32 s39, 0
.LBB31_262:
	s_delay_alu instid0(SALU_CYCLE_1)
	s_and_not1_b32 vcc_lo, exec_lo, s39
	s_cbranch_vccnz .LBB31_264
; %bb.263:
	s_wait_xcnt 0x0
	s_delay_alu instid0(VALU_DEP_3) | instskip(NEXT) | instid1(VALU_DEP_1)
	v_clz_i32_u32_e32 v1, v7
	v_min_u32_e32 v1, 32, v1
	s_delay_alu instid0(VALU_DEP_1) | instskip(SKIP_1) | instid1(VALU_DEP_2)
	v_lshlrev_b64_e32 v[4:5], v1, v[6:7]
	v_sub_nc_u32_e32 v1, 32, v1
	v_min_u32_e32 v4, 1, v4
	s_delay_alu instid0(VALU_DEP_1) | instskip(NEXT) | instid1(VALU_DEP_1)
	v_or_b32_e32 v4, v5, v4
	v_cvt_f32_u32_e32 v4, v4
	s_delay_alu instid0(VALU_DEP_1) | instskip(NEXT) | instid1(VALU_DEP_1)
	v_ldexp_f32 v1, v4, v1
	v_cvt_f16_f32_e32 v1, v1
	global_store_b16 v[2:3], v1, off
.LBB31_264:
	s_mov_b32 s39, 0
.LBB31_265:
	s_delay_alu instid0(SALU_CYCLE_1)
	s_and_not1_b32 vcc_lo, exec_lo, s39
	s_cbranch_vccnz .LBB31_281
; %bb.266:
	s_cmp_lt_i32 s38, 2
	s_mov_b32 s39, -1
	s_cbranch_scc1 .LBB31_276
; %bb.267:
	s_cmp_lt_i32 s38, 3
	s_cbranch_scc1 .LBB31_273
; %bb.268:
	s_cmp_gt_i32 s38, 3
	s_cbranch_scc0 .LBB31_270
; %bb.269:
	s_mov_b32 s39, 0
	global_store_b64 v[2:3], v[6:7], off
.LBB31_270:
	s_and_not1_b32 vcc_lo, exec_lo, s39
	s_cbranch_vccnz .LBB31_272
; %bb.271:
	global_store_b32 v[2:3], v6, off
.LBB31_272:
	s_mov_b32 s39, 0
.LBB31_273:
	s_delay_alu instid0(SALU_CYCLE_1)
	s_and_not1_b32 vcc_lo, exec_lo, s39
	s_cbranch_vccnz .LBB31_275
; %bb.274:
	global_store_b16 v[2:3], v6, off
.LBB31_275:
	s_mov_b32 s39, 0
.LBB31_276:
	s_delay_alu instid0(SALU_CYCLE_1)
	s_and_not1_b32 vcc_lo, exec_lo, s39
	s_cbranch_vccnz .LBB31_281
; %bb.277:
	s_cmp_gt_i32 s38, 0
	s_mov_b32 s38, -1
	s_cbranch_scc0 .LBB31_279
; %bb.278:
	s_mov_b32 s38, 0
	global_store_b8 v[2:3], v6, off
.LBB31_279:
	s_and_not1_b32 vcc_lo, exec_lo, s38
	s_cbranch_vccnz .LBB31_281
; %bb.280:
	global_store_b8 v[2:3], v6, off
.LBB31_281:
	s_mov_b32 s40, -1
.LBB31_282:
	s_delay_alu instid0(SALU_CYCLE_1)
	s_and_not1_b32 vcc_lo, exec_lo, s40
	s_cbranch_vccnz .LBB31_391
; %bb.283:
	v_add_nc_u32_e32 v0, 0x80, v0
	s_mov_b32 s42, -1
	s_branch .LBB31_392
.LBB31_284:
	s_mov_b32 s25, -1
                                        ; implicit-def: $vgpr8_vgpr9
.LBB31_285:
	s_mov_b32 s40, 0
.LBB31_286:
	s_delay_alu instid0(SALU_CYCLE_1)
	s_and_b32 vcc_lo, exec_lo, s40
	s_cbranch_vccz .LBB31_290
; %bb.287:
	s_cmp_eq_u32 s38, 29
	s_cbranch_scc0 .LBB31_289
; %bb.288:
	global_load_b64 v[8:9], v[6:7], off
	s_mov_b32 s39, -1
	s_mov_b32 s25, 0
	s_branch .LBB31_290
.LBB31_289:
	s_mov_b32 s25, -1
                                        ; implicit-def: $vgpr8_vgpr9
.LBB31_290:
	s_mov_b32 s40, 0
.LBB31_291:
	s_delay_alu instid0(SALU_CYCLE_1)
	s_and_b32 vcc_lo, exec_lo, s40
	s_cbranch_vccz .LBB31_307
; %bb.292:
	s_cmp_lt_i32 s38, 27
	s_cbranch_scc1 .LBB31_295
; %bb.293:
	s_cmp_gt_i32 s38, 27
	s_cbranch_scc0 .LBB31_296
; %bb.294:
	s_wait_loadcnt 0x0
	global_load_b32 v8, v[6:7], off
	v_mov_b32_e32 v9, 0
	s_mov_b32 s39, 0
	s_branch .LBB31_297
.LBB31_295:
	s_mov_b32 s39, -1
                                        ; implicit-def: $vgpr8_vgpr9
	s_branch .LBB31_300
.LBB31_296:
	s_mov_b32 s39, -1
                                        ; implicit-def: $vgpr8_vgpr9
.LBB31_297:
	s_delay_alu instid0(SALU_CYCLE_1)
	s_and_not1_b32 vcc_lo, exec_lo, s39
	s_cbranch_vccnz .LBB31_299
; %bb.298:
	global_load_u16 v1, v[6:7], off
	s_mov_b32 s39, 0
	s_wait_loadcnt 0x1
	s_wait_xcnt 0x1
	v_mov_b32_e32 v9, s39
	s_wait_loadcnt 0x0
	v_and_b32_e32 v8, 0xffff, v1
.LBB31_299:
	s_mov_b32 s39, 0
.LBB31_300:
	s_delay_alu instid0(SALU_CYCLE_1)
	s_and_not1_b32 vcc_lo, exec_lo, s39
	s_cbranch_vccnz .LBB31_306
; %bb.301:
	global_load_u8 v1, v[6:7], off
	s_mov_b32 s40, 0
	s_mov_b32 s39, exec_lo
	s_wait_loadcnt 0x0
	v_cmpx_lt_i16_e32 0x7f, v1
	s_xor_b32 s39, exec_lo, s39
	s_cbranch_execz .LBB31_318
; %bb.302:
	v_cmp_ne_u16_e32 vcc_lo, 0x80, v1
	s_and_b32 s40, vcc_lo, exec_lo
	s_and_not1_saveexec_b32 s39, s39
	s_cbranch_execnz .LBB31_319
.LBB31_303:
	s_or_b32 exec_lo, exec_lo, s39
	v_mov_b64_e32 v[8:9], 0
	s_and_saveexec_b32 s39, s40
	s_cbranch_execz .LBB31_305
.LBB31_304:
	v_and_b32_e32 v3, 0xffff, v1
	s_delay_alu instid0(VALU_DEP_1) | instskip(SKIP_1) | instid1(VALU_DEP_2)
	v_and_b32_e32 v8, 7, v3
	v_bfe_u32 v11, v3, 3, 4
	v_clz_i32_u32_e32 v9, v8
	s_delay_alu instid0(VALU_DEP_2) | instskip(NEXT) | instid1(VALU_DEP_2)
	v_cmp_eq_u32_e32 vcc_lo, 0, v11
	v_min_u32_e32 v9, 32, v9
	s_delay_alu instid0(VALU_DEP_1) | instskip(NEXT) | instid1(VALU_DEP_1)
	v_subrev_nc_u32_e32 v10, 28, v9
	v_dual_lshlrev_b32 v3, v10, v3 :: v_dual_sub_nc_u32 v9, 29, v9
	s_delay_alu instid0(VALU_DEP_1) | instskip(NEXT) | instid1(VALU_DEP_1)
	v_dual_lshlrev_b32 v1, 24, v1 :: v_dual_bitop2_b32 v3, 7, v3 bitop3:0x40
	v_dual_cndmask_b32 v3, v8, v3, vcc_lo :: v_dual_cndmask_b32 v9, v11, v9, vcc_lo
	s_delay_alu instid0(VALU_DEP_2) | instskip(NEXT) | instid1(VALU_DEP_2)
	v_and_b32_e32 v1, 0x80000000, v1
	v_lshlrev_b32_e32 v3, 20, v3
	s_delay_alu instid0(VALU_DEP_3) | instskip(NEXT) | instid1(VALU_DEP_1)
	v_lshl_add_u32 v8, v9, 23, 0x3b800000
	v_or3_b32 v1, v1, v8, v3
	s_delay_alu instid0(VALU_DEP_1) | instskip(NEXT) | instid1(VALU_DEP_1)
	v_trunc_f32_e32 v1, v1
	v_mul_f32_e64 v3, 0x2f800000, |v1|
	v_ashrrev_i32_e32 v8, 31, v1
	s_delay_alu instid0(VALU_DEP_2) | instskip(NEXT) | instid1(VALU_DEP_1)
	v_floor_f32_e32 v3, v3
	v_fma_f32 v9, 0xcf800000, v3, |v1|
	v_cvt_u32_f32_e32 v1, v3
	s_delay_alu instid0(VALU_DEP_2) | instskip(NEXT) | instid1(VALU_DEP_2)
	v_cvt_u32_f32_e32 v3, v9
	v_dual_mov_b32 v9, v8 :: v_dual_bitop2_b32 v11, v1, v8 bitop3:0x14
	s_delay_alu instid0(VALU_DEP_2) | instskip(NEXT) | instid1(VALU_DEP_1)
	v_xor_b32_e32 v10, v3, v8
	v_sub_nc_u64_e32 v[8:9], v[10:11], v[8:9]
.LBB31_305:
	s_or_b32 exec_lo, exec_lo, s39
.LBB31_306:
	s_mov_b32 s39, -1
.LBB31_307:
	s_mov_b32 s40, 0
.LBB31_308:
	s_delay_alu instid0(SALU_CYCLE_1)
	s_and_b32 vcc_lo, exec_lo, s40
	s_cbranch_vccz .LBB31_341
; %bb.309:
	s_cmp_gt_i32 s38, 22
	s_cbranch_scc0 .LBB31_317
; %bb.310:
	s_cmp_lt_i32 s38, 24
	s_cbranch_scc1 .LBB31_320
; %bb.311:
	s_cmp_gt_i32 s38, 24
	s_cbranch_scc0 .LBB31_321
; %bb.312:
	global_load_u8 v1, v[6:7], off
	s_mov_b32 s40, 0
	s_mov_b32 s39, exec_lo
	s_wait_loadcnt 0x0
	v_cmpx_lt_i16_e32 0x7f, v1
	s_xor_b32 s39, exec_lo, s39
	s_cbranch_execz .LBB31_333
; %bb.313:
	v_cmp_ne_u16_e32 vcc_lo, 0x80, v1
	s_and_b32 s40, vcc_lo, exec_lo
	s_and_not1_saveexec_b32 s39, s39
	s_cbranch_execnz .LBB31_334
.LBB31_314:
	s_or_b32 exec_lo, exec_lo, s39
	v_mov_b64_e32 v[8:9], 0
	s_and_saveexec_b32 s39, s40
	s_cbranch_execz .LBB31_316
.LBB31_315:
	v_and_b32_e32 v3, 0xffff, v1
	s_delay_alu instid0(VALU_DEP_1) | instskip(SKIP_1) | instid1(VALU_DEP_2)
	v_and_b32_e32 v8, 3, v3
	v_bfe_u32 v11, v3, 2, 5
	v_clz_i32_u32_e32 v9, v8
	s_delay_alu instid0(VALU_DEP_2) | instskip(NEXT) | instid1(VALU_DEP_2)
	v_cmp_eq_u32_e32 vcc_lo, 0, v11
	v_min_u32_e32 v9, 32, v9
	s_delay_alu instid0(VALU_DEP_1) | instskip(NEXT) | instid1(VALU_DEP_1)
	v_subrev_nc_u32_e32 v10, 29, v9
	v_dual_lshlrev_b32 v3, v10, v3 :: v_dual_sub_nc_u32 v9, 30, v9
	s_delay_alu instid0(VALU_DEP_1) | instskip(NEXT) | instid1(VALU_DEP_1)
	v_dual_lshlrev_b32 v1, 24, v1 :: v_dual_bitop2_b32 v3, 3, v3 bitop3:0x40
	v_dual_cndmask_b32 v3, v8, v3, vcc_lo :: v_dual_cndmask_b32 v9, v11, v9, vcc_lo
	s_delay_alu instid0(VALU_DEP_2) | instskip(NEXT) | instid1(VALU_DEP_2)
	v_and_b32_e32 v1, 0x80000000, v1
	v_lshlrev_b32_e32 v3, 21, v3
	s_delay_alu instid0(VALU_DEP_3) | instskip(NEXT) | instid1(VALU_DEP_1)
	v_lshl_add_u32 v8, v9, 23, 0x37800000
	v_or3_b32 v1, v1, v8, v3
	s_delay_alu instid0(VALU_DEP_1) | instskip(NEXT) | instid1(VALU_DEP_1)
	v_trunc_f32_e32 v1, v1
	v_mul_f32_e64 v3, 0x2f800000, |v1|
	v_ashrrev_i32_e32 v8, 31, v1
	s_delay_alu instid0(VALU_DEP_2) | instskip(NEXT) | instid1(VALU_DEP_1)
	v_floor_f32_e32 v3, v3
	v_fma_f32 v9, 0xcf800000, v3, |v1|
	v_cvt_u32_f32_e32 v1, v3
	s_delay_alu instid0(VALU_DEP_2) | instskip(NEXT) | instid1(VALU_DEP_2)
	v_cvt_u32_f32_e32 v3, v9
	v_dual_mov_b32 v9, v8 :: v_dual_bitop2_b32 v11, v1, v8 bitop3:0x14
	s_delay_alu instid0(VALU_DEP_2) | instskip(NEXT) | instid1(VALU_DEP_1)
	v_xor_b32_e32 v10, v3, v8
	v_sub_nc_u64_e32 v[8:9], v[10:11], v[8:9]
.LBB31_316:
	s_or_b32 exec_lo, exec_lo, s39
	s_mov_b32 s39, 0
	s_branch .LBB31_322
.LBB31_317:
	s_mov_b32 s40, -1
                                        ; implicit-def: $vgpr8_vgpr9
	s_branch .LBB31_328
.LBB31_318:
	s_and_not1_saveexec_b32 s39, s39
	s_cbranch_execz .LBB31_303
.LBB31_319:
	v_cmp_ne_u16_e32 vcc_lo, 0, v1
	s_and_not1_b32 s40, s40, exec_lo
	s_and_b32 s42, vcc_lo, exec_lo
	s_delay_alu instid0(SALU_CYCLE_1)
	s_or_b32 s40, s40, s42
	s_or_b32 exec_lo, exec_lo, s39
	v_mov_b64_e32 v[8:9], 0
	s_and_saveexec_b32 s39, s40
	s_cbranch_execnz .LBB31_304
	s_branch .LBB31_305
.LBB31_320:
	s_mov_b32 s39, -1
                                        ; implicit-def: $vgpr8_vgpr9
	s_branch .LBB31_325
.LBB31_321:
	s_mov_b32 s39, -1
                                        ; implicit-def: $vgpr8_vgpr9
.LBB31_322:
	s_delay_alu instid0(SALU_CYCLE_1)
	s_and_b32 vcc_lo, exec_lo, s39
	s_cbranch_vccz .LBB31_324
; %bb.323:
	global_load_u8 v1, v[6:7], off
	s_wait_loadcnt 0x0
	v_lshlrev_b32_e32 v1, 24, v1
	s_delay_alu instid0(VALU_DEP_1) | instskip(NEXT) | instid1(VALU_DEP_1)
	v_and_b32_e32 v3, 0x7f000000, v1
	v_clz_i32_u32_e32 v8, v3
	v_cmp_ne_u32_e32 vcc_lo, 0, v3
	v_add_nc_u32_e32 v10, 0x1000000, v3
	s_delay_alu instid0(VALU_DEP_3) | instskip(NEXT) | instid1(VALU_DEP_1)
	v_min_u32_e32 v8, 32, v8
	v_sub_nc_u32_e64 v8, v8, 4 clamp
	s_delay_alu instid0(VALU_DEP_1) | instskip(NEXT) | instid1(VALU_DEP_1)
	v_dual_lshlrev_b32 v9, v8, v3 :: v_dual_lshlrev_b32 v8, 23, v8
	v_lshrrev_b32_e32 v9, 4, v9
	s_delay_alu instid0(VALU_DEP_1) | instskip(NEXT) | instid1(VALU_DEP_1)
	v_dual_sub_nc_u32 v8, v9, v8 :: v_dual_ashrrev_i32 v9, 8, v10
	v_add_nc_u32_e32 v8, 0x3c000000, v8
	s_delay_alu instid0(VALU_DEP_1) | instskip(NEXT) | instid1(VALU_DEP_1)
	v_and_or_b32 v8, 0x7f800000, v9, v8
	v_cndmask_b32_e32 v3, 0, v8, vcc_lo
	s_delay_alu instid0(VALU_DEP_1) | instskip(NEXT) | instid1(VALU_DEP_1)
	v_and_or_b32 v1, 0x80000000, v1, v3
	v_trunc_f32_e32 v1, v1
	s_delay_alu instid0(VALU_DEP_1) | instskip(SKIP_1) | instid1(VALU_DEP_2)
	v_mul_f32_e64 v3, 0x2f800000, |v1|
	v_ashrrev_i32_e32 v8, 31, v1
	v_floor_f32_e32 v3, v3
	s_delay_alu instid0(VALU_DEP_1) | instskip(SKIP_1) | instid1(VALU_DEP_2)
	v_fma_f32 v9, 0xcf800000, v3, |v1|
	v_cvt_u32_f32_e32 v1, v3
	v_cvt_u32_f32_e32 v3, v9
	s_delay_alu instid0(VALU_DEP_2) | instskip(NEXT) | instid1(VALU_DEP_2)
	v_dual_mov_b32 v9, v8 :: v_dual_bitop2_b32 v11, v1, v8 bitop3:0x14
	v_xor_b32_e32 v10, v3, v8
	s_delay_alu instid0(VALU_DEP_1)
	v_sub_nc_u64_e32 v[8:9], v[10:11], v[8:9]
.LBB31_324:
	s_mov_b32 s39, 0
.LBB31_325:
	s_delay_alu instid0(SALU_CYCLE_1)
	s_and_not1_b32 vcc_lo, exec_lo, s39
	s_cbranch_vccnz .LBB31_327
; %bb.326:
	global_load_u8 v1, v[6:7], off
	s_wait_loadcnt 0x0
	v_lshlrev_b32_e32 v3, 25, v1
	v_lshlrev_b16 v1, 8, v1
	s_delay_alu instid0(VALU_DEP_1) | instskip(NEXT) | instid1(VALU_DEP_3)
	v_and_or_b32 v9, 0x7f00, v1, 0.5
	v_lshrrev_b32_e32 v8, 4, v3
	v_bfe_i32 v1, v1, 0, 16
	s_delay_alu instid0(VALU_DEP_3) | instskip(NEXT) | instid1(VALU_DEP_3)
	v_add_f32_e32 v9, -0.5, v9
	v_or_b32_e32 v8, 0x70000000, v8
	s_delay_alu instid0(VALU_DEP_1) | instskip(SKIP_1) | instid1(VALU_DEP_2)
	v_mul_f32_e32 v8, 0x7800000, v8
	v_cmp_gt_u32_e32 vcc_lo, 0x8000000, v3
	v_cndmask_b32_e32 v3, v8, v9, vcc_lo
	s_delay_alu instid0(VALU_DEP_1) | instskip(NEXT) | instid1(VALU_DEP_1)
	v_and_or_b32 v1, 0x80000000, v1, v3
	v_trunc_f32_e32 v1, v1
	s_delay_alu instid0(VALU_DEP_1) | instskip(SKIP_1) | instid1(VALU_DEP_2)
	v_mul_f32_e64 v3, 0x2f800000, |v1|
	v_ashrrev_i32_e32 v8, 31, v1
	v_floor_f32_e32 v3, v3
	s_delay_alu instid0(VALU_DEP_1) | instskip(SKIP_1) | instid1(VALU_DEP_2)
	v_fma_f32 v9, 0xcf800000, v3, |v1|
	v_cvt_u32_f32_e32 v1, v3
	v_cvt_u32_f32_e32 v3, v9
	s_delay_alu instid0(VALU_DEP_2) | instskip(NEXT) | instid1(VALU_DEP_2)
	v_dual_mov_b32 v9, v8 :: v_dual_bitop2_b32 v11, v1, v8 bitop3:0x14
	v_xor_b32_e32 v10, v3, v8
	s_delay_alu instid0(VALU_DEP_1)
	v_sub_nc_u64_e32 v[8:9], v[10:11], v[8:9]
.LBB31_327:
	s_mov_b32 s40, 0
	s_mov_b32 s39, -1
.LBB31_328:
	s_and_not1_b32 vcc_lo, exec_lo, s40
	s_cbranch_vccnz .LBB31_341
; %bb.329:
	s_cmp_gt_i32 s38, 14
	s_cbranch_scc0 .LBB31_332
; %bb.330:
	s_cmp_eq_u32 s38, 15
	s_cbranch_scc0 .LBB31_335
; %bb.331:
	global_load_u16 v1, v[6:7], off
	s_mov_b32 s39, -1
	s_mov_b32 s25, 0
	s_wait_loadcnt 0x0
	v_lshlrev_b32_e32 v1, 16, v1
	s_delay_alu instid0(VALU_DEP_1) | instskip(NEXT) | instid1(VALU_DEP_1)
	v_trunc_f32_e32 v1, v1
	v_mul_f32_e64 v3, 0x2f800000, |v1|
	v_ashrrev_i32_e32 v8, 31, v1
	s_delay_alu instid0(VALU_DEP_2) | instskip(NEXT) | instid1(VALU_DEP_1)
	v_floor_f32_e32 v3, v3
	v_fma_f32 v9, 0xcf800000, v3, |v1|
	v_cvt_u32_f32_e32 v1, v3
	s_delay_alu instid0(VALU_DEP_2) | instskip(NEXT) | instid1(VALU_DEP_2)
	v_cvt_u32_f32_e32 v3, v9
	v_dual_mov_b32 v9, v8 :: v_dual_bitop2_b32 v11, v1, v8 bitop3:0x14
	s_delay_alu instid0(VALU_DEP_2) | instskip(NEXT) | instid1(VALU_DEP_1)
	v_xor_b32_e32 v10, v3, v8
	v_sub_nc_u64_e32 v[8:9], v[10:11], v[8:9]
	s_branch .LBB31_336
.LBB31_332:
	s_mov_b32 s40, -1
                                        ; implicit-def: $vgpr8_vgpr9
	s_branch .LBB31_337
.LBB31_333:
	s_and_not1_saveexec_b32 s39, s39
	s_cbranch_execz .LBB31_314
.LBB31_334:
	v_cmp_ne_u16_e32 vcc_lo, 0, v1
	s_and_not1_b32 s40, s40, exec_lo
	s_and_b32 s42, vcc_lo, exec_lo
	s_delay_alu instid0(SALU_CYCLE_1)
	s_or_b32 s40, s40, s42
	s_or_b32 exec_lo, exec_lo, s39
	v_mov_b64_e32 v[8:9], 0
	s_and_saveexec_b32 s39, s40
	s_cbranch_execnz .LBB31_315
	s_branch .LBB31_316
.LBB31_335:
	s_mov_b32 s25, -1
                                        ; implicit-def: $vgpr8_vgpr9
.LBB31_336:
	s_mov_b32 s40, 0
.LBB31_337:
	s_delay_alu instid0(SALU_CYCLE_1)
	s_and_b32 vcc_lo, exec_lo, s40
	s_cbranch_vccz .LBB31_341
; %bb.338:
	s_cmp_eq_u32 s38, 11
	s_cbranch_scc0 .LBB31_340
; %bb.339:
	global_load_u8 v1, v[6:7], off
	s_mov_b32 s25, 0
	s_mov_b32 s39, -1
	s_wait_loadcnt 0x1
	s_wait_xcnt 0x1
	v_mov_b32_e32 v9, s25
	s_wait_loadcnt 0x0
	v_cmp_ne_u16_e32 vcc_lo, 0, v1
	v_cndmask_b32_e64 v8, 0, 1, vcc_lo
	s_branch .LBB31_341
.LBB31_340:
	s_mov_b32 s25, -1
                                        ; implicit-def: $vgpr8_vgpr9
.LBB31_341:
	s_branch .LBB31_31
.LBB31_342:
	s_and_b32 s0, 0xffff, s0
	s_delay_alu instid0(SALU_CYCLE_1)
	s_cmp_lt_i32 s0, 5
	s_cbranch_scc1 .LBB31_347
; %bb.343:
	s_cmp_lt_i32 s0, 8
	s_cbranch_scc1 .LBB31_348
; %bb.344:
	;; [unrolled: 3-line block ×3, first 2 shown]
	s_cmp_gt_i32 s0, 9
	s_cbranch_scc0 .LBB31_350
; %bb.346:
	s_wait_loadcnt 0x0
	global_load_b64 v[8:9], v[6:7], off
	s_mov_b32 s38, 0
	s_wait_loadcnt 0x0
	v_trunc_f64_e32 v[8:9], v[8:9]
	s_delay_alu instid0(VALU_DEP_1) | instskip(NEXT) | instid1(VALU_DEP_1)
	v_ldexp_f64 v[10:11], v[8:9], 0xffffffe0
	v_floor_f64_e32 v[10:11], v[10:11]
	s_delay_alu instid0(VALU_DEP_1) | instskip(SKIP_1) | instid1(VALU_DEP_2)
	v_fmamk_f64 v[12:13], v[10:11], 0xc1f00000, v[8:9]
	v_cvt_i32_f64_e32 v9, v[10:11]
	v_cvt_u32_f64_e32 v8, v[12:13]
	s_branch .LBB31_351
.LBB31_347:
	s_mov_b32 s38, -1
                                        ; implicit-def: $vgpr8_vgpr9
	s_branch .LBB31_369
.LBB31_348:
	s_mov_b32 s38, -1
                                        ; implicit-def: $vgpr8_vgpr9
	s_branch .LBB31_357
.LBB31_349:
	s_mov_b32 s38, -1
                                        ; implicit-def: $vgpr8_vgpr9
	s_branch .LBB31_354
.LBB31_350:
	s_mov_b32 s38, -1
                                        ; implicit-def: $vgpr8_vgpr9
.LBB31_351:
	s_delay_alu instid0(SALU_CYCLE_1)
	s_and_not1_b32 vcc_lo, exec_lo, s38
	s_cbranch_vccnz .LBB31_353
; %bb.352:
	global_load_b32 v1, v[6:7], off
	s_wait_loadcnt 0x0
	v_trunc_f32_e32 v1, v1
	s_delay_alu instid0(VALU_DEP_1) | instskip(SKIP_1) | instid1(VALU_DEP_2)
	v_mul_f32_e64 v3, 0x2f800000, |v1|
	v_ashrrev_i32_e32 v8, 31, v1
	v_floor_f32_e32 v3, v3
	s_delay_alu instid0(VALU_DEP_1) | instskip(SKIP_1) | instid1(VALU_DEP_2)
	v_fma_f32 v9, 0xcf800000, v3, |v1|
	v_cvt_u32_f32_e32 v1, v3
	v_cvt_u32_f32_e32 v3, v9
	s_delay_alu instid0(VALU_DEP_2) | instskip(NEXT) | instid1(VALU_DEP_2)
	v_dual_mov_b32 v9, v8 :: v_dual_bitop2_b32 v11, v1, v8 bitop3:0x14
	v_xor_b32_e32 v10, v3, v8
	s_delay_alu instid0(VALU_DEP_1)
	v_sub_nc_u64_e32 v[8:9], v[10:11], v[8:9]
.LBB31_353:
	s_mov_b32 s38, 0
.LBB31_354:
	s_delay_alu instid0(SALU_CYCLE_1)
	s_and_not1_b32 vcc_lo, exec_lo, s38
	s_cbranch_vccnz .LBB31_356
; %bb.355:
	global_load_b32 v1, v[6:7], off
	s_wait_loadcnt 0x0
	v_cvt_f32_f16_e32 v1, v1
	s_delay_alu instid0(VALU_DEP_1) | instskip(NEXT) | instid1(VALU_DEP_1)
	v_cvt_i32_f32_e32 v8, v1
	v_ashrrev_i32_e32 v9, 31, v8
.LBB31_356:
	s_mov_b32 s38, 0
.LBB31_357:
	s_delay_alu instid0(SALU_CYCLE_1)
	s_and_not1_b32 vcc_lo, exec_lo, s38
	s_cbranch_vccnz .LBB31_368
; %bb.358:
	s_cmp_lt_i32 s0, 6
	s_cbranch_scc1 .LBB31_361
; %bb.359:
	s_cmp_gt_i32 s0, 6
	s_cbranch_scc0 .LBB31_362
; %bb.360:
	s_wait_loadcnt 0x0
	global_load_b64 v[8:9], v[6:7], off
	s_mov_b32 s38, 0
	s_wait_loadcnt 0x0
	v_trunc_f64_e32 v[8:9], v[8:9]
	s_delay_alu instid0(VALU_DEP_1) | instskip(NEXT) | instid1(VALU_DEP_1)
	v_ldexp_f64 v[10:11], v[8:9], 0xffffffe0
	v_floor_f64_e32 v[10:11], v[10:11]
	s_delay_alu instid0(VALU_DEP_1) | instskip(SKIP_1) | instid1(VALU_DEP_2)
	v_fmamk_f64 v[12:13], v[10:11], 0xc1f00000, v[8:9]
	v_cvt_i32_f64_e32 v9, v[10:11]
	v_cvt_u32_f64_e32 v8, v[12:13]
	s_branch .LBB31_363
.LBB31_361:
	s_mov_b32 s38, -1
                                        ; implicit-def: $vgpr8_vgpr9
	s_branch .LBB31_366
.LBB31_362:
	s_mov_b32 s38, -1
                                        ; implicit-def: $vgpr8_vgpr9
.LBB31_363:
	s_delay_alu instid0(SALU_CYCLE_1)
	s_and_not1_b32 vcc_lo, exec_lo, s38
	s_cbranch_vccnz .LBB31_365
; %bb.364:
	global_load_b32 v1, v[6:7], off
	s_wait_loadcnt 0x0
	v_trunc_f32_e32 v1, v1
	s_delay_alu instid0(VALU_DEP_1) | instskip(SKIP_1) | instid1(VALU_DEP_2)
	v_mul_f32_e64 v3, 0x2f800000, |v1|
	v_ashrrev_i32_e32 v8, 31, v1
	v_floor_f32_e32 v3, v3
	s_delay_alu instid0(VALU_DEP_1) | instskip(SKIP_1) | instid1(VALU_DEP_2)
	v_fma_f32 v9, 0xcf800000, v3, |v1|
	v_cvt_u32_f32_e32 v1, v3
	v_cvt_u32_f32_e32 v3, v9
	s_delay_alu instid0(VALU_DEP_2) | instskip(NEXT) | instid1(VALU_DEP_2)
	v_dual_mov_b32 v9, v8 :: v_dual_bitop2_b32 v11, v1, v8 bitop3:0x14
	v_xor_b32_e32 v10, v3, v8
	s_delay_alu instid0(VALU_DEP_1)
	v_sub_nc_u64_e32 v[8:9], v[10:11], v[8:9]
.LBB31_365:
	s_mov_b32 s38, 0
.LBB31_366:
	s_delay_alu instid0(SALU_CYCLE_1)
	s_and_not1_b32 vcc_lo, exec_lo, s38
	s_cbranch_vccnz .LBB31_368
; %bb.367:
	global_load_u16 v1, v[6:7], off
	s_wait_loadcnt 0x0
	v_cvt_f32_f16_e32 v1, v1
	s_delay_alu instid0(VALU_DEP_1) | instskip(NEXT) | instid1(VALU_DEP_1)
	v_cvt_i32_f32_e32 v8, v1
	v_ashrrev_i32_e32 v9, 31, v8
.LBB31_368:
	s_mov_b32 s38, 0
.LBB31_369:
	s_delay_alu instid0(SALU_CYCLE_1)
	s_and_not1_b32 vcc_lo, exec_lo, s38
	s_cbranch_vccnz .LBB31_389
; %bb.370:
	s_cmp_lt_i32 s0, 2
	s_cbranch_scc1 .LBB31_374
; %bb.371:
	s_cmp_lt_i32 s0, 3
	s_cbranch_scc1 .LBB31_375
; %bb.372:
	s_cmp_gt_i32 s0, 3
	s_cbranch_scc0 .LBB31_376
; %bb.373:
	s_wait_loadcnt 0x0
	global_load_b64 v[8:9], v[6:7], off
	s_mov_b32 s38, 0
	s_branch .LBB31_377
.LBB31_374:
	s_mov_b32 s38, -1
                                        ; implicit-def: $vgpr8_vgpr9
	s_branch .LBB31_383
.LBB31_375:
	s_mov_b32 s38, -1
                                        ; implicit-def: $vgpr8_vgpr9
	s_branch .LBB31_380
.LBB31_376:
	s_mov_b32 s38, -1
                                        ; implicit-def: $vgpr8_vgpr9
.LBB31_377:
	s_delay_alu instid0(SALU_CYCLE_1)
	s_and_not1_b32 vcc_lo, exec_lo, s38
	s_cbranch_vccnz .LBB31_379
; %bb.378:
	s_wait_loadcnt 0x0
	global_load_b32 v8, v[6:7], off
	s_wait_loadcnt 0x0
	v_ashrrev_i32_e32 v9, 31, v8
.LBB31_379:
	s_mov_b32 s38, 0
.LBB31_380:
	s_delay_alu instid0(SALU_CYCLE_1)
	s_and_not1_b32 vcc_lo, exec_lo, s38
	s_cbranch_vccnz .LBB31_382
; %bb.381:
	global_load_u16 v1, v[6:7], off
	s_wait_loadcnt 0x0
	v_bfe_i32 v8, v1, 0, 16
	s_delay_alu instid0(VALU_DEP_1)
	v_ashrrev_i32_e32 v9, 31, v8
.LBB31_382:
	s_mov_b32 s38, 0
.LBB31_383:
	s_delay_alu instid0(SALU_CYCLE_1)
	s_and_not1_b32 vcc_lo, exec_lo, s38
	s_cbranch_vccnz .LBB31_389
; %bb.384:
	s_cmp_gt_i32 s0, 0
	s_mov_b32 s0, 0
	s_cbranch_scc0 .LBB31_386
; %bb.385:
	global_load_i8 v1, v[6:7], off
	s_wait_loadcnt 0x0
	v_bfe_i32 v8, v1, 0, 16
	s_delay_alu instid0(VALU_DEP_1)
	v_ashrrev_i32_e32 v9, 31, v8
	s_branch .LBB31_387
.LBB31_386:
	s_mov_b32 s0, -1
                                        ; implicit-def: $vgpr8_vgpr9
.LBB31_387:
	s_delay_alu instid0(SALU_CYCLE_1)
	s_and_not1_b32 vcc_lo, exec_lo, s0
	s_cbranch_vccnz .LBB31_389
; %bb.388:
	global_load_u8 v1, v[6:7], off
	s_mov_b32 s0, 0
	s_wait_loadcnt 0x1
	s_wait_xcnt 0x1
	v_mov_b32_e32 v9, s0
	s_wait_loadcnt 0x0
	v_and_b32_e32 v8, 0xffff, v1
.LBB31_389:
	s_branch .LBB31_32
.LBB31_390:
	s_mov_b32 s0, 0
.LBB31_391:
	s_mov_b32 s42, 0
                                        ; implicit-def: $vgpr0
.LBB31_392:
	s_and_b32 s38, s0, exec_lo
	s_and_b32 s39, s25, exec_lo
	;; [unrolled: 1-line block ×3, first 2 shown]
	s_or_not1_b32 s25, s42, exec_lo
.LBB31_393:
	s_wait_xcnt 0x0
	s_or_b32 exec_lo, exec_lo, s41
	s_mov_b32 s43, 0
	s_mov_b32 s24, 0
                                        ; implicit-def: $sgpr0
                                        ; implicit-def: $vgpr8_vgpr9
                                        ; implicit-def: $vgpr6
                                        ; implicit-def: $vgpr2
                                        ; implicit-def: $vgpr4_vgpr5
	s_and_saveexec_b32 s41, s25
	s_cbranch_execz .LBB31_401
; %bb.394:
	s_mov_b32 s47, -1
	s_mov_b32 s42, s40
	s_mov_b32 s44, s39
	;; [unrolled: 1-line block ×3, first 2 shown]
	s_mov_b32 s45, exec_lo
	v_cmpx_gt_i32_e64 s36, v0
	s_cbranch_execz .LBB31_797
; %bb.395:
	s_and_not1_b32 vcc_lo, exec_lo, s29
	s_cbranch_vccnz .LBB31_404
; %bb.396:
	s_and_not1_b32 vcc_lo, exec_lo, s37
	s_cbranch_vccnz .LBB31_405
; %bb.397:
	v_dual_mov_b32 v2, 0 :: v_dual_mov_b32 v1, v0
	s_wait_loadcnt 0x0
	v_dual_mov_b32 v4, 0 :: v_dual_mov_b32 v6, 0
	s_add_co_i32 s0, s35, 1
	s_mov_b64 s[24:25], 0xffffffffffffffe8
	s_and_b32 s0, s0, 30
	s_add_nc_u64 s[24:25], s[2:3], s[24:25]
.LBB31_398:                             ; =>This Inner Loop Header: Depth=1
	s_clause 0x3
	s_load_b128 s[48:51], s[24:25], 0x1c
	s_load_b64 s[42:43], s[24:25], 0x2c
	s_load_b128 s[52:55], s[24:25], 0xdc
	s_load_b64 s[46:47], s[24:25], 0xec
	s_add_co_i32 s0, s0, -2
	s_wait_xcnt 0x0
	s_add_nc_u64 s[24:25], s[24:25], 24
	s_cmp_eq_u32 s0, 0
	s_wait_kmcnt 0x0
	v_mul_hi_u32 v3, s49, v1
	s_delay_alu instid0(VALU_DEP_1) | instskip(NEXT) | instid1(VALU_DEP_1)
	v_add_nc_u32_e32 v3, v1, v3
	v_lshrrev_b32_e32 v3, s50, v3
	s_delay_alu instid0(VALU_DEP_1) | instskip(SKIP_1) | instid1(VALU_DEP_1)
	v_mul_hi_u32 v5, s42, v3
	v_mul_lo_u32 v7, v3, s48
	v_dual_add_nc_u32 v5, v3, v5 :: v_dual_sub_nc_u32 v7, v1, v7
	s_delay_alu instid0(VALU_DEP_1) | instskip(NEXT) | instid1(VALU_DEP_2)
	v_lshrrev_b32_e32 v1, s43, v5
	v_mad_u32 v2, v7, s52, v2
	v_mad_u32 v6, v7, s54, v6
	;; [unrolled: 1-line block ×3, first 2 shown]
	s_delay_alu instid0(VALU_DEP_4) | instskip(NEXT) | instid1(VALU_DEP_1)
	v_mul_lo_u32 v5, v1, s51
	v_sub_nc_u32_e32 v3, v3, v5
	s_delay_alu instid0(VALU_DEP_1)
	v_mad_u32 v2, v3, s55, v2
	v_mad_u32 v6, v3, s47, v6
	;; [unrolled: 1-line block ×3, first 2 shown]
	s_cbranch_scc0 .LBB31_398
; %bb.399:
	s_bitcmp1_b32 s35, 0
	s_cselect_b32 s0, -1, 0
	s_delay_alu instid0(SALU_CYCLE_1)
	s_and_b32 vcc_lo, exec_lo, s0
	s_cbranch_vccnz .LBB31_406
; %bb.400:
	s_clause 0x1
	s_load_b96 s[48:50], s[24:25], 0x1c
	s_load_b96 s[52:54], s[24:25], 0xdc
	s_wait_kmcnt 0x0
	v_mul_hi_u32 v3, s49, v1
	s_delay_alu instid0(VALU_DEP_1) | instskip(NEXT) | instid1(VALU_DEP_1)
	v_add_nc_u32_e32 v3, v1, v3
	v_lshrrev_b32_e32 v3, s50, v3
	s_delay_alu instid0(VALU_DEP_1) | instskip(NEXT) | instid1(VALU_DEP_1)
	v_mul_lo_u32 v3, v3, s48
	v_sub_nc_u32_e32 v1, v1, v3
	s_delay_alu instid0(VALU_DEP_1)
	v_mad_u32 v2, v1, s52, v2
	v_mad_u32 v4, v1, s53, v4
	;; [unrolled: 1-line block ×3, first 2 shown]
	s_branch .LBB31_406
.LBB31_401:
	s_or_b32 exec_lo, exec_lo, s41
	s_mov_b32 s1, 0
	s_and_saveexec_b32 s6, s40
	s_cbranch_execnz .LBB31_1293
.LBB31_402:
	s_or_b32 exec_lo, exec_lo, s6
	s_and_saveexec_b32 s6, s19
	s_delay_alu instid0(SALU_CYCLE_1)
	s_xor_b32 s6, exec_lo, s6
	s_cbranch_execz .LBB31_1294
.LBB31_403:
	s_wait_loadcnt 0x0
	global_load_u8 v0, v[8:9], off
	s_mov_b32 s7, 0
	s_or_b32 s24, s24, exec_lo
	v_mov_b32_e32 v5, s7
	s_wait_loadcnt 0x0
	v_cmp_ne_u16_e32 vcc_lo, 0, v0
	v_cndmask_b32_e64 v4, 0, 1, vcc_lo
	s_wait_xcnt 0x0
	s_or_b32 exec_lo, exec_lo, s6
	s_and_saveexec_b32 s6, s43
	s_cbranch_execz .LBB31_1340
	s_branch .LBB31_1295
.LBB31_404:
                                        ; implicit-def: $vgpr6
                                        ; implicit-def: $vgpr4
                                        ; implicit-def: $vgpr2
	s_branch .LBB31_407
.LBB31_405:
	s_wait_loadcnt 0x0
	v_dual_mov_b32 v6, 0 :: v_dual_mov_b32 v4, 0
	v_mov_b32_e32 v2, 0
.LBB31_406:
	s_cbranch_execnz .LBB31_409
.LBB31_407:
	v_mov_b32_e32 v1, 0
	s_and_not1_b32 vcc_lo, exec_lo, s34
	s_delay_alu instid0(VALU_DEP_1) | instskip(NEXT) | instid1(VALU_DEP_1)
	v_mul_u64_e32 v[2:3], s[18:19], v[0:1]
	v_add_nc_u32_e32 v2, v0, v3
	s_wait_loadcnt 0x0
	s_delay_alu instid0(VALU_DEP_1) | instskip(NEXT) | instid1(VALU_DEP_1)
	v_lshrrev_b32_e32 v8, s10, v2
	v_mul_lo_u32 v2, v8, s8
	s_delay_alu instid0(VALU_DEP_1) | instskip(NEXT) | instid1(VALU_DEP_1)
	v_sub_nc_u32_e32 v3, v0, v2
	v_mul_lo_u32 v2, v3, s12
	v_mul_lo_u32 v6, v3, s14
	;; [unrolled: 1-line block ×3, first 2 shown]
	s_cbranch_vccnz .LBB31_409
; %bb.408:
	v_mov_b32_e32 v9, v1
	s_delay_alu instid0(VALU_DEP_1) | instskip(NEXT) | instid1(VALU_DEP_1)
	v_mul_u64_e32 v[10:11], s[22:23], v[8:9]
	v_add_nc_u32_e32 v1, v8, v11
	s_delay_alu instid0(VALU_DEP_1) | instskip(NEXT) | instid1(VALU_DEP_1)
	v_lshrrev_b32_e32 v1, s1, v1
	v_mul_lo_u32 v1, v1, s11
	s_delay_alu instid0(VALU_DEP_1) | instskip(NEXT) | instid1(VALU_DEP_1)
	v_sub_nc_u32_e32 v1, v8, v1
	v_mad_u32 v2, v1, s15, v2
	v_mad_u32 v4, v1, s20, v4
	;; [unrolled: 1-line block ×3, first 2 shown]
.LBB31_409:
	s_wait_loadcnt 0x0
	v_mov_b32_e32 v5, 0
	s_and_b32 s0, s33, 0xff
	s_delay_alu instid0(SALU_CYCLE_1) | instskip(NEXT) | instid1(VALU_DEP_1)
	s_cmp_lt_i32 s0, 11
	v_add_nc_u64_e32 v[8:9], s[6:7], v[4:5]
	s_cbranch_scc1 .LBB31_416
; %bb.410:
	s_and_b32 s25, 0xffff, s0
	s_delay_alu instid0(SALU_CYCLE_1)
	s_cmp_gt_i32 s25, 25
	s_cbranch_scc0 .LBB31_425
; %bb.411:
	s_cmp_gt_i32 s25, 28
	s_cbranch_scc0 .LBB31_427
; %bb.412:
	;; [unrolled: 3-line block ×4, first 2 shown]
	s_cmp_eq_u32 s25, 46
	s_mov_b32 s43, 0
	s_cbranch_scc0 .LBB31_435
; %bb.415:
	global_load_b32 v1, v[8:9], off
	s_mov_b32 s42, -1
	s_mov_b32 s24, 0
	s_wait_loadcnt 0x0
	v_lshlrev_b32_e32 v1, 16, v1
	s_delay_alu instid0(VALU_DEP_1) | instskip(NEXT) | instid1(VALU_DEP_1)
	v_trunc_f32_e32 v1, v1
	v_mul_f32_e64 v3, 0x2f800000, |v1|
	v_ashrrev_i32_e32 v4, 31, v1
	s_delay_alu instid0(VALU_DEP_2) | instskip(NEXT) | instid1(VALU_DEP_1)
	v_floor_f32_e32 v3, v3
	v_fma_f32 v5, 0xcf800000, v3, |v1|
	v_cvt_u32_f32_e32 v1, v3
	s_delay_alu instid0(VALU_DEP_2) | instskip(NEXT) | instid1(VALU_DEP_2)
	v_cvt_u32_f32_e32 v3, v5
	v_dual_mov_b32 v5, v4 :: v_dual_bitop2_b32 v11, v1, v4 bitop3:0x14
	s_delay_alu instid0(VALU_DEP_2) | instskip(NEXT) | instid1(VALU_DEP_1)
	v_xor_b32_e32 v10, v3, v4
	v_sub_nc_u64_e32 v[4:5], v[10:11], v[4:5]
	s_branch .LBB31_437
.LBB31_416:
	s_mov_b32 s42, 0
	s_mov_b32 s24, s40
                                        ; implicit-def: $vgpr4_vgpr5
	s_cbranch_execnz .LBB31_499
.LBB31_417:
	s_and_not1_b32 vcc_lo, exec_lo, s42
	s_cbranch_vccnz .LBB31_547
.LBB31_418:
	v_mov_b32_e32 v7, 0
	s_and_b32 s0, s9, 0xff
	s_delay_alu instid0(SALU_CYCLE_1) | instskip(NEXT) | instid1(VALU_DEP_1)
	s_cmp_lt_i32 s0, 11
	v_add_nc_u64_e32 v[6:7], s[16:17], v[6:7]
	s_cbranch_scc1 .LBB31_426
; %bb.419:
	s_and_b32 s42, 0xffff, s0
	s_delay_alu instid0(SALU_CYCLE_1)
	s_cmp_gt_i32 s42, 25
	s_cbranch_scc0 .LBB31_428
; %bb.420:
	s_cmp_gt_i32 s42, 28
	s_cbranch_scc0 .LBB31_430
; %bb.421:
	;; [unrolled: 3-line block ×4, first 2 shown]
	s_cmp_eq_u32 s42, 46
	s_mov_b32 s44, 0
	s_cbranch_scc0 .LBB31_550
; %bb.424:
	global_load_b32 v1, v[6:7], off
	s_mov_b32 s43, -1
	s_mov_b32 s25, 0
	s_wait_loadcnt 0x0
	v_lshlrev_b32_e32 v1, 16, v1
	s_delay_alu instid0(VALU_DEP_1) | instskip(NEXT) | instid1(VALU_DEP_1)
	v_trunc_f32_e32 v1, v1
	v_mul_f32_e64 v3, 0x2f800000, |v1|
	s_wait_xcnt 0x1
	v_ashrrev_i32_e32 v8, 31, v1
	s_delay_alu instid0(VALU_DEP_2) | instskip(NEXT) | instid1(VALU_DEP_1)
	v_floor_f32_e32 v3, v3
	v_fma_f32 v9, 0xcf800000, v3, |v1|
	v_cvt_u32_f32_e32 v1, v3
	s_delay_alu instid0(VALU_DEP_2) | instskip(NEXT) | instid1(VALU_DEP_2)
	v_cvt_u32_f32_e32 v3, v9
	v_dual_mov_b32 v9, v8 :: v_dual_bitop2_b32 v11, v1, v8 bitop3:0x14
	s_delay_alu instid0(VALU_DEP_2) | instskip(NEXT) | instid1(VALU_DEP_1)
	v_xor_b32_e32 v10, v3, v8
	v_sub_nc_u64_e32 v[8:9], v[10:11], v[8:9]
	s_branch .LBB31_552
.LBB31_425:
	s_mov_b32 s43, -1
	s_mov_b32 s42, 0
	s_mov_b32 s24, s40
                                        ; implicit-def: $vgpr4_vgpr5
	s_branch .LBB31_465
.LBB31_426:
	s_mov_b32 s42, -1
	s_mov_b32 s43, 0
	s_mov_b32 s25, s39
                                        ; implicit-def: $vgpr8_vgpr9
	s_branch .LBB31_613
.LBB31_427:
	s_mov_b32 s43, -1
	s_mov_b32 s42, 0
	s_mov_b32 s24, s40
                                        ; implicit-def: $vgpr4_vgpr5
	s_branch .LBB31_448
.LBB31_428:
	s_mov_b32 s44, -1
	s_mov_b32 s43, 0
	s_mov_b32 s25, s39
                                        ; implicit-def: $vgpr8_vgpr9
	s_branch .LBB31_579
.LBB31_429:
	s_mov_b32 s43, -1
	s_mov_b32 s42, 0
	s_mov_b32 s24, s40
                                        ; implicit-def: $vgpr4_vgpr5
	s_branch .LBB31_443
.LBB31_430:
	s_mov_b32 s44, -1
	s_mov_b32 s43, 0
	s_mov_b32 s25, s39
                                        ; implicit-def: $vgpr8_vgpr9
	s_branch .LBB31_562
.LBB31_431:
	s_mov_b32 s43, -1
	s_mov_b32 s42, 0
	s_mov_b32 s24, s40
	s_branch .LBB31_436
.LBB31_432:
	s_mov_b32 s44, -1
	s_mov_b32 s43, 0
	s_mov_b32 s25, s39
                                        ; implicit-def: $vgpr8_vgpr9
	s_branch .LBB31_557
.LBB31_433:
	s_and_not1_saveexec_b32 s43, s43
	s_cbranch_execz .LBB31_195
.LBB31_434:
	v_add_f32_e32 v1, 0x46000000, v4
	s_and_not1_b32 s42, s42, exec_lo
	s_delay_alu instid0(VALU_DEP_1) | instskip(NEXT) | instid1(VALU_DEP_1)
	v_and_b32_e32 v1, 0xff, v1
	v_cmp_ne_u32_e32 vcc_lo, 0, v1
	s_and_b32 s44, vcc_lo, exec_lo
	s_delay_alu instid0(SALU_CYCLE_1)
	s_or_b32 s42, s42, s44
	s_or_b32 exec_lo, exec_lo, s43
	v_mov_b32_e32 v5, 0
	s_and_saveexec_b32 s43, s42
	s_cbranch_execnz .LBB31_196
	s_branch .LBB31_197
.LBB31_435:
	s_mov_b32 s24, -1
	s_mov_b32 s42, 0
.LBB31_436:
                                        ; implicit-def: $vgpr4_vgpr5
.LBB31_437:
	s_and_b32 vcc_lo, exec_lo, s43
	s_cbranch_vccz .LBB31_442
; %bb.438:
	s_cmp_eq_u32 s25, 44
	s_cbranch_scc0 .LBB31_441
; %bb.439:
	global_load_u8 v1, v[8:9], off
	s_mov_b32 s24, 0
	s_mov_b32 s42, -1
	s_wait_loadcnt 0x0
	v_lshlrev_b32_e32 v3, 23, v1
	v_cmp_ne_u32_e32 vcc_lo, 0, v1
	s_delay_alu instid0(VALU_DEP_2) | instskip(NEXT) | instid1(VALU_DEP_1)
	v_trunc_f32_e32 v3, v3
	v_mul_f32_e64 v4, 0x2f800000, |v3|
	s_delay_alu instid0(VALU_DEP_1) | instskip(SKIP_1) | instid1(VALU_DEP_2)
	v_floor_f32_e32 v5, v4
	v_ashrrev_i32_e32 v4, 31, v3
	v_fma_f32 v7, 0xcf800000, v5, |v3|
	v_cvt_u32_f32_e32 v3, v5
	s_delay_alu instid0(VALU_DEP_3) | instskip(NEXT) | instid1(VALU_DEP_3)
	v_mov_b32_e32 v5, v4
	v_cvt_u32_f32_e32 v7, v7
	s_delay_alu instid0(VALU_DEP_3) | instskip(NEXT) | instid1(VALU_DEP_2)
	v_xor_b32_e32 v11, v3, v4
	v_xor_b32_e32 v10, v7, v4
	s_delay_alu instid0(VALU_DEP_1) | instskip(NEXT) | instid1(VALU_DEP_1)
	v_sub_nc_u64_e32 v[4:5], v[10:11], v[4:5]
	v_dual_cndmask_b32 v5, 0, v5 :: v_dual_cndmask_b32 v4, 0, v4
	s_branch .LBB31_442
.LBB31_440:
	s_mov_b32 s44, -1
	s_mov_b32 s43, 0
	s_mov_b32 s25, s39
	s_branch .LBB31_551
.LBB31_441:
	s_mov_b32 s24, -1
                                        ; implicit-def: $vgpr4_vgpr5
.LBB31_442:
	s_mov_b32 s43, 0
.LBB31_443:
	s_delay_alu instid0(SALU_CYCLE_1)
	s_and_b32 vcc_lo, exec_lo, s43
	s_cbranch_vccz .LBB31_447
; %bb.444:
	s_cmp_eq_u32 s25, 29
	s_cbranch_scc0 .LBB31_446
; %bb.445:
	global_load_b64 v[4:5], v[8:9], off
	s_mov_b32 s42, -1
	s_mov_b32 s24, 0
	s_branch .LBB31_447
.LBB31_446:
	s_mov_b32 s24, -1
                                        ; implicit-def: $vgpr4_vgpr5
.LBB31_447:
	s_mov_b32 s43, 0
.LBB31_448:
	s_delay_alu instid0(SALU_CYCLE_1)
	s_and_b32 vcc_lo, exec_lo, s43
	s_cbranch_vccz .LBB31_464
; %bb.449:
	s_cmp_lt_i32 s25, 27
	s_cbranch_scc1 .LBB31_452
; %bb.450:
	s_cmp_gt_i32 s25, 27
	s_cbranch_scc0 .LBB31_453
; %bb.451:
	s_wait_loadcnt 0x0
	global_load_b32 v4, v[8:9], off
	v_mov_b32_e32 v5, 0
	s_mov_b32 s42, 0
	s_branch .LBB31_454
.LBB31_452:
	s_mov_b32 s42, -1
                                        ; implicit-def: $vgpr4_vgpr5
	s_branch .LBB31_457
.LBB31_453:
	s_mov_b32 s42, -1
                                        ; implicit-def: $vgpr4_vgpr5
.LBB31_454:
	s_delay_alu instid0(SALU_CYCLE_1)
	s_and_not1_b32 vcc_lo, exec_lo, s42
	s_cbranch_vccnz .LBB31_456
; %bb.455:
	global_load_u16 v1, v[8:9], off
	s_mov_b32 s42, 0
	s_wait_loadcnt 0x1
	v_mov_b32_e32 v5, s42
	s_wait_loadcnt 0x0
	v_and_b32_e32 v4, 0xffff, v1
.LBB31_456:
	s_mov_b32 s42, 0
.LBB31_457:
	s_delay_alu instid0(SALU_CYCLE_1)
	s_and_not1_b32 vcc_lo, exec_lo, s42
	s_cbranch_vccnz .LBB31_463
; %bb.458:
	global_load_u8 v1, v[8:9], off
	s_mov_b32 s43, 0
	s_mov_b32 s42, exec_lo
	s_wait_loadcnt 0x0
	v_cmpx_lt_i16_e32 0x7f, v1
	s_xor_b32 s42, exec_lo, s42
	s_cbranch_execz .LBB31_475
; %bb.459:
	v_cmp_ne_u16_e32 vcc_lo, 0x80, v1
	s_and_b32 s43, vcc_lo, exec_lo
	s_and_not1_saveexec_b32 s42, s42
	s_cbranch_execnz .LBB31_476
.LBB31_460:
	s_or_b32 exec_lo, exec_lo, s42
	v_mov_b64_e32 v[4:5], 0
	s_and_saveexec_b32 s42, s43
	s_cbranch_execz .LBB31_462
.LBB31_461:
	v_and_b32_e32 v3, 0xffff, v1
	s_delay_alu instid0(VALU_DEP_1) | instskip(SKIP_1) | instid1(VALU_DEP_2)
	v_and_b32_e32 v4, 7, v3
	v_bfe_u32 v10, v3, 3, 4
	v_clz_i32_u32_e32 v5, v4
	s_delay_alu instid0(VALU_DEP_2) | instskip(NEXT) | instid1(VALU_DEP_2)
	v_cmp_eq_u32_e32 vcc_lo, 0, v10
	v_min_u32_e32 v5, 32, v5
	s_delay_alu instid0(VALU_DEP_1) | instskip(NEXT) | instid1(VALU_DEP_1)
	v_subrev_nc_u32_e32 v7, 28, v5
	v_dual_lshlrev_b32 v3, v7, v3 :: v_dual_sub_nc_u32 v5, 29, v5
	s_delay_alu instid0(VALU_DEP_1) | instskip(NEXT) | instid1(VALU_DEP_1)
	v_dual_lshlrev_b32 v1, 24, v1 :: v_dual_bitop2_b32 v3, 7, v3 bitop3:0x40
	v_dual_cndmask_b32 v3, v4, v3, vcc_lo :: v_dual_cndmask_b32 v5, v10, v5, vcc_lo
	s_delay_alu instid0(VALU_DEP_2) | instskip(NEXT) | instid1(VALU_DEP_2)
	v_and_b32_e32 v1, 0x80000000, v1
	v_lshlrev_b32_e32 v3, 20, v3
	s_delay_alu instid0(VALU_DEP_3) | instskip(NEXT) | instid1(VALU_DEP_1)
	v_lshl_add_u32 v4, v5, 23, 0x3b800000
	v_or3_b32 v1, v1, v4, v3
	s_delay_alu instid0(VALU_DEP_1) | instskip(NEXT) | instid1(VALU_DEP_1)
	v_trunc_f32_e32 v1, v1
	v_mul_f32_e64 v3, 0x2f800000, |v1|
	v_ashrrev_i32_e32 v4, 31, v1
	s_delay_alu instid0(VALU_DEP_2) | instskip(NEXT) | instid1(VALU_DEP_1)
	v_floor_f32_e32 v3, v3
	v_fma_f32 v5, 0xcf800000, v3, |v1|
	v_cvt_u32_f32_e32 v1, v3
	s_delay_alu instid0(VALU_DEP_2) | instskip(NEXT) | instid1(VALU_DEP_2)
	v_cvt_u32_f32_e32 v3, v5
	v_dual_mov_b32 v5, v4 :: v_dual_bitop2_b32 v11, v1, v4 bitop3:0x14
	s_delay_alu instid0(VALU_DEP_2) | instskip(NEXT) | instid1(VALU_DEP_1)
	v_xor_b32_e32 v10, v3, v4
	v_sub_nc_u64_e32 v[4:5], v[10:11], v[4:5]
.LBB31_462:
	s_or_b32 exec_lo, exec_lo, s42
.LBB31_463:
	s_mov_b32 s42, -1
.LBB31_464:
	s_mov_b32 s43, 0
.LBB31_465:
	s_delay_alu instid0(SALU_CYCLE_1)
	s_and_b32 vcc_lo, exec_lo, s43
	s_cbranch_vccz .LBB31_498
; %bb.466:
	s_cmp_gt_i32 s25, 22
	s_cbranch_scc0 .LBB31_474
; %bb.467:
	s_cmp_lt_i32 s25, 24
	s_cbranch_scc1 .LBB31_477
; %bb.468:
	s_cmp_gt_i32 s25, 24
	s_cbranch_scc0 .LBB31_478
; %bb.469:
	global_load_u8 v1, v[8:9], off
	s_mov_b32 s43, 0
	s_mov_b32 s42, exec_lo
	s_wait_loadcnt 0x0
	v_cmpx_lt_i16_e32 0x7f, v1
	s_xor_b32 s42, exec_lo, s42
	s_cbranch_execz .LBB31_490
; %bb.470:
	v_cmp_ne_u16_e32 vcc_lo, 0x80, v1
	s_and_b32 s43, vcc_lo, exec_lo
	s_and_not1_saveexec_b32 s42, s42
	s_cbranch_execnz .LBB31_491
.LBB31_471:
	s_or_b32 exec_lo, exec_lo, s42
	v_mov_b64_e32 v[4:5], 0
	s_and_saveexec_b32 s42, s43
	s_cbranch_execz .LBB31_473
.LBB31_472:
	v_and_b32_e32 v3, 0xffff, v1
	s_delay_alu instid0(VALU_DEP_1) | instskip(SKIP_1) | instid1(VALU_DEP_2)
	v_and_b32_e32 v4, 3, v3
	v_bfe_u32 v10, v3, 2, 5
	v_clz_i32_u32_e32 v5, v4
	s_delay_alu instid0(VALU_DEP_2) | instskip(NEXT) | instid1(VALU_DEP_2)
	v_cmp_eq_u32_e32 vcc_lo, 0, v10
	v_min_u32_e32 v5, 32, v5
	s_delay_alu instid0(VALU_DEP_1) | instskip(NEXT) | instid1(VALU_DEP_1)
	v_subrev_nc_u32_e32 v7, 29, v5
	v_dual_lshlrev_b32 v3, v7, v3 :: v_dual_sub_nc_u32 v5, 30, v5
	s_delay_alu instid0(VALU_DEP_1) | instskip(NEXT) | instid1(VALU_DEP_1)
	v_dual_lshlrev_b32 v1, 24, v1 :: v_dual_bitop2_b32 v3, 3, v3 bitop3:0x40
	v_dual_cndmask_b32 v3, v4, v3, vcc_lo :: v_dual_cndmask_b32 v5, v10, v5, vcc_lo
	s_delay_alu instid0(VALU_DEP_2) | instskip(NEXT) | instid1(VALU_DEP_2)
	v_and_b32_e32 v1, 0x80000000, v1
	v_lshlrev_b32_e32 v3, 21, v3
	s_delay_alu instid0(VALU_DEP_3) | instskip(NEXT) | instid1(VALU_DEP_1)
	v_lshl_add_u32 v4, v5, 23, 0x37800000
	v_or3_b32 v1, v1, v4, v3
	s_delay_alu instid0(VALU_DEP_1) | instskip(NEXT) | instid1(VALU_DEP_1)
	v_trunc_f32_e32 v1, v1
	v_mul_f32_e64 v3, 0x2f800000, |v1|
	v_ashrrev_i32_e32 v4, 31, v1
	s_delay_alu instid0(VALU_DEP_2) | instskip(NEXT) | instid1(VALU_DEP_1)
	v_floor_f32_e32 v3, v3
	v_fma_f32 v5, 0xcf800000, v3, |v1|
	v_cvt_u32_f32_e32 v1, v3
	s_delay_alu instid0(VALU_DEP_2) | instskip(NEXT) | instid1(VALU_DEP_2)
	v_cvt_u32_f32_e32 v3, v5
	v_dual_mov_b32 v5, v4 :: v_dual_bitop2_b32 v11, v1, v4 bitop3:0x14
	s_delay_alu instid0(VALU_DEP_2) | instskip(NEXT) | instid1(VALU_DEP_1)
	v_xor_b32_e32 v10, v3, v4
	v_sub_nc_u64_e32 v[4:5], v[10:11], v[4:5]
.LBB31_473:
	s_or_b32 exec_lo, exec_lo, s42
	s_mov_b32 s42, 0
	s_branch .LBB31_479
.LBB31_474:
	s_mov_b32 s43, -1
                                        ; implicit-def: $vgpr4_vgpr5
	s_branch .LBB31_485
.LBB31_475:
	s_and_not1_saveexec_b32 s42, s42
	s_cbranch_execz .LBB31_460
.LBB31_476:
	v_cmp_ne_u16_e32 vcc_lo, 0, v1
	s_and_not1_b32 s43, s43, exec_lo
	s_and_b32 s44, vcc_lo, exec_lo
	s_delay_alu instid0(SALU_CYCLE_1)
	s_or_b32 s43, s43, s44
	s_or_b32 exec_lo, exec_lo, s42
	v_mov_b64_e32 v[4:5], 0
	s_and_saveexec_b32 s42, s43
	s_cbranch_execnz .LBB31_461
	s_branch .LBB31_462
.LBB31_477:
	s_mov_b32 s42, -1
                                        ; implicit-def: $vgpr4_vgpr5
	s_branch .LBB31_482
.LBB31_478:
	s_mov_b32 s42, -1
                                        ; implicit-def: $vgpr4_vgpr5
.LBB31_479:
	s_delay_alu instid0(SALU_CYCLE_1)
	s_and_b32 vcc_lo, exec_lo, s42
	s_cbranch_vccz .LBB31_481
; %bb.480:
	global_load_u8 v1, v[8:9], off
	s_wait_loadcnt 0x0
	v_lshlrev_b32_e32 v1, 24, v1
	s_delay_alu instid0(VALU_DEP_1) | instskip(NEXT) | instid1(VALU_DEP_1)
	v_and_b32_e32 v3, 0x7f000000, v1
	v_clz_i32_u32_e32 v4, v3
	v_add_nc_u32_e32 v7, 0x1000000, v3
	v_cmp_ne_u32_e32 vcc_lo, 0, v3
	s_delay_alu instid0(VALU_DEP_3) | instskip(NEXT) | instid1(VALU_DEP_1)
	v_min_u32_e32 v4, 32, v4
	v_sub_nc_u32_e64 v4, v4, 4 clamp
	s_delay_alu instid0(VALU_DEP_1) | instskip(NEXT) | instid1(VALU_DEP_1)
	v_dual_lshlrev_b32 v5, v4, v3 :: v_dual_lshlrev_b32 v4, 23, v4
	v_lshrrev_b32_e32 v5, 4, v5
	s_delay_alu instid0(VALU_DEP_1) | instskip(NEXT) | instid1(VALU_DEP_1)
	v_dual_sub_nc_u32 v4, v5, v4 :: v_dual_ashrrev_i32 v5, 8, v7
	v_add_nc_u32_e32 v4, 0x3c000000, v4
	s_delay_alu instid0(VALU_DEP_1) | instskip(NEXT) | instid1(VALU_DEP_1)
	v_and_or_b32 v4, 0x7f800000, v5, v4
	v_cndmask_b32_e32 v3, 0, v4, vcc_lo
	s_delay_alu instid0(VALU_DEP_1) | instskip(NEXT) | instid1(VALU_DEP_1)
	v_and_or_b32 v1, 0x80000000, v1, v3
	v_trunc_f32_e32 v1, v1
	s_delay_alu instid0(VALU_DEP_1) | instskip(SKIP_1) | instid1(VALU_DEP_2)
	v_mul_f32_e64 v3, 0x2f800000, |v1|
	v_ashrrev_i32_e32 v4, 31, v1
	v_floor_f32_e32 v3, v3
	s_delay_alu instid0(VALU_DEP_1) | instskip(SKIP_1) | instid1(VALU_DEP_2)
	v_fma_f32 v5, 0xcf800000, v3, |v1|
	v_cvt_u32_f32_e32 v1, v3
	v_cvt_u32_f32_e32 v3, v5
	s_delay_alu instid0(VALU_DEP_2) | instskip(NEXT) | instid1(VALU_DEP_2)
	v_dual_mov_b32 v5, v4 :: v_dual_bitop2_b32 v11, v1, v4 bitop3:0x14
	v_xor_b32_e32 v10, v3, v4
	s_delay_alu instid0(VALU_DEP_1)
	v_sub_nc_u64_e32 v[4:5], v[10:11], v[4:5]
.LBB31_481:
	s_mov_b32 s42, 0
.LBB31_482:
	s_delay_alu instid0(SALU_CYCLE_1)
	s_and_not1_b32 vcc_lo, exec_lo, s42
	s_cbranch_vccnz .LBB31_484
; %bb.483:
	global_load_u8 v1, v[8:9], off
	s_wait_loadcnt 0x0
	v_lshlrev_b32_e32 v3, 25, v1
	v_lshlrev_b16 v1, 8, v1
	s_delay_alu instid0(VALU_DEP_1) | instskip(NEXT) | instid1(VALU_DEP_3)
	v_and_or_b32 v5, 0x7f00, v1, 0.5
	v_lshrrev_b32_e32 v4, 4, v3
	v_bfe_i32 v1, v1, 0, 16
	s_delay_alu instid0(VALU_DEP_3) | instskip(NEXT) | instid1(VALU_DEP_3)
	v_add_f32_e32 v5, -0.5, v5
	v_or_b32_e32 v4, 0x70000000, v4
	s_delay_alu instid0(VALU_DEP_1) | instskip(SKIP_1) | instid1(VALU_DEP_2)
	v_mul_f32_e32 v4, 0x7800000, v4
	v_cmp_gt_u32_e32 vcc_lo, 0x8000000, v3
	v_cndmask_b32_e32 v3, v4, v5, vcc_lo
	s_delay_alu instid0(VALU_DEP_1) | instskip(NEXT) | instid1(VALU_DEP_1)
	v_and_or_b32 v1, 0x80000000, v1, v3
	v_trunc_f32_e32 v1, v1
	s_delay_alu instid0(VALU_DEP_1) | instskip(SKIP_1) | instid1(VALU_DEP_2)
	v_mul_f32_e64 v3, 0x2f800000, |v1|
	v_ashrrev_i32_e32 v4, 31, v1
	v_floor_f32_e32 v3, v3
	s_delay_alu instid0(VALU_DEP_1) | instskip(SKIP_1) | instid1(VALU_DEP_2)
	v_fma_f32 v5, 0xcf800000, v3, |v1|
	v_cvt_u32_f32_e32 v1, v3
	v_cvt_u32_f32_e32 v3, v5
	s_delay_alu instid0(VALU_DEP_2) | instskip(NEXT) | instid1(VALU_DEP_2)
	v_dual_mov_b32 v5, v4 :: v_dual_bitop2_b32 v11, v1, v4 bitop3:0x14
	v_xor_b32_e32 v10, v3, v4
	s_delay_alu instid0(VALU_DEP_1)
	v_sub_nc_u64_e32 v[4:5], v[10:11], v[4:5]
.LBB31_484:
	s_mov_b32 s43, 0
	s_mov_b32 s42, -1
.LBB31_485:
	s_and_not1_b32 vcc_lo, exec_lo, s43
	s_cbranch_vccnz .LBB31_498
; %bb.486:
	s_cmp_gt_i32 s25, 14
	s_cbranch_scc0 .LBB31_489
; %bb.487:
	s_cmp_eq_u32 s25, 15
	s_cbranch_scc0 .LBB31_492
; %bb.488:
	global_load_u16 v1, v[8:9], off
	s_mov_b32 s42, -1
	s_mov_b32 s24, 0
	s_wait_loadcnt 0x0
	v_lshlrev_b32_e32 v1, 16, v1
	s_delay_alu instid0(VALU_DEP_1) | instskip(NEXT) | instid1(VALU_DEP_1)
	v_trunc_f32_e32 v1, v1
	v_mul_f32_e64 v3, 0x2f800000, |v1|
	v_ashrrev_i32_e32 v4, 31, v1
	s_delay_alu instid0(VALU_DEP_2) | instskip(NEXT) | instid1(VALU_DEP_1)
	v_floor_f32_e32 v3, v3
	v_fma_f32 v5, 0xcf800000, v3, |v1|
	v_cvt_u32_f32_e32 v1, v3
	s_delay_alu instid0(VALU_DEP_2) | instskip(NEXT) | instid1(VALU_DEP_2)
	v_cvt_u32_f32_e32 v3, v5
	v_dual_mov_b32 v5, v4 :: v_dual_bitop2_b32 v11, v1, v4 bitop3:0x14
	s_delay_alu instid0(VALU_DEP_2) | instskip(NEXT) | instid1(VALU_DEP_1)
	v_xor_b32_e32 v10, v3, v4
	v_sub_nc_u64_e32 v[4:5], v[10:11], v[4:5]
	s_branch .LBB31_493
.LBB31_489:
	s_mov_b32 s43, -1
                                        ; implicit-def: $vgpr4_vgpr5
	s_branch .LBB31_494
.LBB31_490:
	s_and_not1_saveexec_b32 s42, s42
	s_cbranch_execz .LBB31_471
.LBB31_491:
	v_cmp_ne_u16_e32 vcc_lo, 0, v1
	s_and_not1_b32 s43, s43, exec_lo
	s_and_b32 s44, vcc_lo, exec_lo
	s_delay_alu instid0(SALU_CYCLE_1)
	s_or_b32 s43, s43, s44
	s_or_b32 exec_lo, exec_lo, s42
	v_mov_b64_e32 v[4:5], 0
	s_and_saveexec_b32 s42, s43
	s_cbranch_execnz .LBB31_472
	s_branch .LBB31_473
.LBB31_492:
	s_mov_b32 s24, -1
                                        ; implicit-def: $vgpr4_vgpr5
.LBB31_493:
	s_mov_b32 s43, 0
.LBB31_494:
	s_delay_alu instid0(SALU_CYCLE_1)
	s_and_b32 vcc_lo, exec_lo, s43
	s_cbranch_vccz .LBB31_498
; %bb.495:
	s_cmp_eq_u32 s25, 11
	s_cbranch_scc0 .LBB31_497
; %bb.496:
	global_load_u8 v1, v[8:9], off
	s_mov_b32 s24, 0
	s_mov_b32 s42, -1
	s_wait_loadcnt 0x1
	v_mov_b32_e32 v5, s24
	s_wait_loadcnt 0x0
	v_cmp_ne_u16_e32 vcc_lo, 0, v1
	v_cndmask_b32_e64 v4, 0, 1, vcc_lo
	s_branch .LBB31_498
.LBB31_497:
	s_mov_b32 s24, -1
                                        ; implicit-def: $vgpr4_vgpr5
.LBB31_498:
	s_branch .LBB31_417
.LBB31_499:
	s_and_b32 s0, 0xffff, s0
	s_delay_alu instid0(SALU_CYCLE_1)
	s_cmp_lt_i32 s0, 5
	s_cbranch_scc1 .LBB31_504
; %bb.500:
	s_cmp_lt_i32 s0, 8
	s_cbranch_scc1 .LBB31_505
; %bb.501:
	;; [unrolled: 3-line block ×3, first 2 shown]
	s_cmp_gt_i32 s0, 9
	s_cbranch_scc0 .LBB31_507
; %bb.503:
	s_wait_loadcnt 0x0
	global_load_b64 v[4:5], v[8:9], off
	s_mov_b32 s25, 0
	s_wait_loadcnt 0x0
	v_trunc_f64_e32 v[4:5], v[4:5]
	s_delay_alu instid0(VALU_DEP_1) | instskip(NEXT) | instid1(VALU_DEP_1)
	v_ldexp_f64 v[10:11], v[4:5], 0xffffffe0
	v_floor_f64_e32 v[10:11], v[10:11]
	s_delay_alu instid0(VALU_DEP_1) | instskip(SKIP_1) | instid1(VALU_DEP_2)
	v_fmamk_f64 v[12:13], v[10:11], 0xc1f00000, v[4:5]
	v_cvt_i32_f64_e32 v5, v[10:11]
	v_cvt_u32_f64_e32 v4, v[12:13]
	s_branch .LBB31_508
.LBB31_504:
	s_mov_b32 s25, -1
                                        ; implicit-def: $vgpr4_vgpr5
	s_branch .LBB31_526
.LBB31_505:
	s_mov_b32 s25, -1
                                        ; implicit-def: $vgpr4_vgpr5
	s_branch .LBB31_514
.LBB31_506:
	s_mov_b32 s25, -1
                                        ; implicit-def: $vgpr4_vgpr5
	s_branch .LBB31_511
.LBB31_507:
	s_mov_b32 s25, -1
                                        ; implicit-def: $vgpr4_vgpr5
.LBB31_508:
	s_delay_alu instid0(SALU_CYCLE_1)
	s_and_not1_b32 vcc_lo, exec_lo, s25
	s_cbranch_vccnz .LBB31_510
; %bb.509:
	global_load_b32 v1, v[8:9], off
	s_wait_loadcnt 0x0
	v_trunc_f32_e32 v1, v1
	s_delay_alu instid0(VALU_DEP_1) | instskip(SKIP_1) | instid1(VALU_DEP_2)
	v_mul_f32_e64 v3, 0x2f800000, |v1|
	v_ashrrev_i32_e32 v4, 31, v1
	v_floor_f32_e32 v3, v3
	s_delay_alu instid0(VALU_DEP_1) | instskip(SKIP_1) | instid1(VALU_DEP_2)
	v_fma_f32 v5, 0xcf800000, v3, |v1|
	v_cvt_u32_f32_e32 v1, v3
	v_cvt_u32_f32_e32 v3, v5
	s_delay_alu instid0(VALU_DEP_2) | instskip(NEXT) | instid1(VALU_DEP_2)
	v_dual_mov_b32 v5, v4 :: v_dual_bitop2_b32 v11, v1, v4 bitop3:0x14
	v_xor_b32_e32 v10, v3, v4
	s_delay_alu instid0(VALU_DEP_1)
	v_sub_nc_u64_e32 v[4:5], v[10:11], v[4:5]
.LBB31_510:
	s_mov_b32 s25, 0
.LBB31_511:
	s_delay_alu instid0(SALU_CYCLE_1)
	s_and_not1_b32 vcc_lo, exec_lo, s25
	s_cbranch_vccnz .LBB31_513
; %bb.512:
	global_load_b32 v1, v[8:9], off
	s_wait_loadcnt 0x0
	v_cvt_f32_f16_e32 v1, v1
	s_delay_alu instid0(VALU_DEP_1) | instskip(NEXT) | instid1(VALU_DEP_1)
	v_cvt_i32_f32_e32 v4, v1
	v_ashrrev_i32_e32 v5, 31, v4
.LBB31_513:
	s_mov_b32 s25, 0
.LBB31_514:
	s_delay_alu instid0(SALU_CYCLE_1)
	s_and_not1_b32 vcc_lo, exec_lo, s25
	s_cbranch_vccnz .LBB31_525
; %bb.515:
	s_cmp_lt_i32 s0, 6
	s_cbranch_scc1 .LBB31_518
; %bb.516:
	s_cmp_gt_i32 s0, 6
	s_cbranch_scc0 .LBB31_519
; %bb.517:
	s_wait_loadcnt 0x0
	global_load_b64 v[4:5], v[8:9], off
	s_mov_b32 s25, 0
	s_wait_loadcnt 0x0
	v_trunc_f64_e32 v[4:5], v[4:5]
	s_delay_alu instid0(VALU_DEP_1) | instskip(NEXT) | instid1(VALU_DEP_1)
	v_ldexp_f64 v[10:11], v[4:5], 0xffffffe0
	v_floor_f64_e32 v[10:11], v[10:11]
	s_delay_alu instid0(VALU_DEP_1) | instskip(SKIP_1) | instid1(VALU_DEP_2)
	v_fmamk_f64 v[12:13], v[10:11], 0xc1f00000, v[4:5]
	v_cvt_i32_f64_e32 v5, v[10:11]
	v_cvt_u32_f64_e32 v4, v[12:13]
	s_branch .LBB31_520
.LBB31_518:
	s_mov_b32 s25, -1
                                        ; implicit-def: $vgpr4_vgpr5
	s_branch .LBB31_523
.LBB31_519:
	s_mov_b32 s25, -1
                                        ; implicit-def: $vgpr4_vgpr5
.LBB31_520:
	s_delay_alu instid0(SALU_CYCLE_1)
	s_and_not1_b32 vcc_lo, exec_lo, s25
	s_cbranch_vccnz .LBB31_522
; %bb.521:
	global_load_b32 v1, v[8:9], off
	s_wait_loadcnt 0x0
	v_trunc_f32_e32 v1, v1
	s_delay_alu instid0(VALU_DEP_1) | instskip(SKIP_1) | instid1(VALU_DEP_2)
	v_mul_f32_e64 v3, 0x2f800000, |v1|
	v_ashrrev_i32_e32 v4, 31, v1
	v_floor_f32_e32 v3, v3
	s_delay_alu instid0(VALU_DEP_1) | instskip(SKIP_1) | instid1(VALU_DEP_2)
	v_fma_f32 v5, 0xcf800000, v3, |v1|
	v_cvt_u32_f32_e32 v1, v3
	v_cvt_u32_f32_e32 v3, v5
	s_delay_alu instid0(VALU_DEP_2) | instskip(NEXT) | instid1(VALU_DEP_2)
	v_dual_mov_b32 v5, v4 :: v_dual_bitop2_b32 v11, v1, v4 bitop3:0x14
	v_xor_b32_e32 v10, v3, v4
	s_delay_alu instid0(VALU_DEP_1)
	v_sub_nc_u64_e32 v[4:5], v[10:11], v[4:5]
.LBB31_522:
	s_mov_b32 s25, 0
.LBB31_523:
	s_delay_alu instid0(SALU_CYCLE_1)
	s_and_not1_b32 vcc_lo, exec_lo, s25
	s_cbranch_vccnz .LBB31_525
; %bb.524:
	global_load_u16 v1, v[8:9], off
	s_wait_loadcnt 0x0
	v_cvt_f32_f16_e32 v1, v1
	s_delay_alu instid0(VALU_DEP_1) | instskip(NEXT) | instid1(VALU_DEP_1)
	v_cvt_i32_f32_e32 v4, v1
	v_ashrrev_i32_e32 v5, 31, v4
.LBB31_525:
	s_mov_b32 s25, 0
.LBB31_526:
	s_delay_alu instid0(SALU_CYCLE_1)
	s_and_not1_b32 vcc_lo, exec_lo, s25
	s_cbranch_vccnz .LBB31_546
; %bb.527:
	s_cmp_lt_i32 s0, 2
	s_cbranch_scc1 .LBB31_531
; %bb.528:
	s_cmp_lt_i32 s0, 3
	s_cbranch_scc1 .LBB31_532
; %bb.529:
	s_cmp_gt_i32 s0, 3
	s_cbranch_scc0 .LBB31_533
; %bb.530:
	s_wait_loadcnt 0x0
	global_load_b64 v[4:5], v[8:9], off
	s_mov_b32 s25, 0
	s_branch .LBB31_534
.LBB31_531:
	s_mov_b32 s25, -1
                                        ; implicit-def: $vgpr4_vgpr5
	s_branch .LBB31_540
.LBB31_532:
	s_mov_b32 s25, -1
                                        ; implicit-def: $vgpr4_vgpr5
	s_branch .LBB31_537
.LBB31_533:
	s_mov_b32 s25, -1
                                        ; implicit-def: $vgpr4_vgpr5
.LBB31_534:
	s_delay_alu instid0(SALU_CYCLE_1)
	s_and_not1_b32 vcc_lo, exec_lo, s25
	s_cbranch_vccnz .LBB31_536
; %bb.535:
	s_wait_loadcnt 0x0
	global_load_b32 v4, v[8:9], off
	s_wait_loadcnt 0x0
	v_ashrrev_i32_e32 v5, 31, v4
.LBB31_536:
	s_mov_b32 s25, 0
.LBB31_537:
	s_delay_alu instid0(SALU_CYCLE_1)
	s_and_not1_b32 vcc_lo, exec_lo, s25
	s_cbranch_vccnz .LBB31_539
; %bb.538:
	global_load_u16 v1, v[8:9], off
	s_wait_loadcnt 0x0
	v_bfe_i32 v4, v1, 0, 16
	s_delay_alu instid0(VALU_DEP_1)
	v_ashrrev_i32_e32 v5, 31, v4
.LBB31_539:
	s_mov_b32 s25, 0
.LBB31_540:
	s_delay_alu instid0(SALU_CYCLE_1)
	s_and_not1_b32 vcc_lo, exec_lo, s25
	s_cbranch_vccnz .LBB31_546
; %bb.541:
	s_cmp_gt_i32 s0, 0
	s_mov_b32 s0, 0
	s_cbranch_scc0 .LBB31_543
; %bb.542:
	global_load_i8 v1, v[8:9], off
	s_wait_loadcnt 0x0
	v_bfe_i32 v4, v1, 0, 16
	s_delay_alu instid0(VALU_DEP_1)
	v_ashrrev_i32_e32 v5, 31, v4
	s_branch .LBB31_544
.LBB31_543:
	s_mov_b32 s0, -1
                                        ; implicit-def: $vgpr4_vgpr5
.LBB31_544:
	s_delay_alu instid0(SALU_CYCLE_1)
	s_and_not1_b32 vcc_lo, exec_lo, s0
	s_cbranch_vccnz .LBB31_546
; %bb.545:
	global_load_u8 v1, v[8:9], off
	s_mov_b32 s0, 0
	s_wait_loadcnt 0x1
	v_mov_b32_e32 v5, s0
	s_wait_loadcnt 0x0
	v_and_b32_e32 v4, 0xffff, v1
.LBB31_546:
	s_branch .LBB31_418
.LBB31_547:
	s_mov_b32 s46, 0
	s_mov_b32 s0, s38
	;; [unrolled: 1-line block ×3, first 2 shown]
	s_branch .LBB31_795
.LBB31_548:
	s_and_not1_saveexec_b32 s43, s43
	s_cbranch_execz .LBB31_208
.LBB31_549:
	v_add_f32_e32 v1, 0x42800000, v4
	s_and_not1_b32 s42, s42, exec_lo
	s_delay_alu instid0(VALU_DEP_1) | instskip(NEXT) | instid1(VALU_DEP_1)
	v_and_b32_e32 v1, 0xff, v1
	v_cmp_ne_u32_e32 vcc_lo, 0, v1
	s_and_b32 s44, vcc_lo, exec_lo
	s_delay_alu instid0(SALU_CYCLE_1)
	s_or_b32 s42, s42, s44
	s_or_b32 exec_lo, exec_lo, s43
	v_mov_b32_e32 v5, 0
	s_and_saveexec_b32 s43, s42
	s_cbranch_execnz .LBB31_209
	s_branch .LBB31_210
.LBB31_550:
	s_mov_b32 s25, -1
	s_mov_b32 s43, 0
.LBB31_551:
                                        ; implicit-def: $vgpr8_vgpr9
.LBB31_552:
	s_and_b32 vcc_lo, exec_lo, s44
	s_cbranch_vccz .LBB31_556
; %bb.553:
	s_cmp_eq_u32 s42, 44
	s_cbranch_scc0 .LBB31_555
; %bb.554:
	global_load_u8 v1, v[6:7], off
	s_mov_b32 s25, 0
	s_mov_b32 s43, -1
	s_wait_loadcnt 0x0
	v_lshlrev_b32_e32 v3, 23, v1
	v_cmp_ne_u32_e32 vcc_lo, 0, v1
	s_delay_alu instid0(VALU_DEP_2) | instskip(SKIP_1) | instid1(VALU_DEP_1)
	v_trunc_f32_e32 v3, v3
	s_wait_xcnt 0x1
	v_mul_f32_e64 v8, 0x2f800000, |v3|
	s_delay_alu instid0(VALU_DEP_1) | instskip(SKIP_1) | instid1(VALU_DEP_2)
	v_floor_f32_e32 v9, v8
	v_ashrrev_i32_e32 v8, 31, v3
	v_fma_f32 v10, 0xcf800000, v9, |v3|
	v_cvt_u32_f32_e32 v3, v9
	s_delay_alu instid0(VALU_DEP_3) | instskip(NEXT) | instid1(VALU_DEP_3)
	v_mov_b32_e32 v9, v8
	v_cvt_u32_f32_e32 v10, v10
	s_delay_alu instid0(VALU_DEP_3) | instskip(NEXT) | instid1(VALU_DEP_2)
	v_xor_b32_e32 v11, v3, v8
	v_xor_b32_e32 v10, v10, v8
	s_delay_alu instid0(VALU_DEP_1) | instskip(NEXT) | instid1(VALU_DEP_1)
	v_sub_nc_u64_e32 v[8:9], v[10:11], v[8:9]
	v_dual_cndmask_b32 v9, 0, v9 :: v_dual_cndmask_b32 v8, 0, v8
	s_branch .LBB31_556
.LBB31_555:
	s_mov_b32 s25, -1
                                        ; implicit-def: $vgpr8_vgpr9
.LBB31_556:
	s_mov_b32 s44, 0
.LBB31_557:
	s_delay_alu instid0(SALU_CYCLE_1)
	s_and_b32 vcc_lo, exec_lo, s44
	s_cbranch_vccz .LBB31_561
; %bb.558:
	s_cmp_eq_u32 s42, 29
	s_cbranch_scc0 .LBB31_560
; %bb.559:
	global_load_b64 v[8:9], v[6:7], off
	s_mov_b32 s43, -1
	s_mov_b32 s25, 0
	s_branch .LBB31_561
.LBB31_560:
	s_mov_b32 s25, -1
                                        ; implicit-def: $vgpr8_vgpr9
.LBB31_561:
	s_mov_b32 s44, 0
.LBB31_562:
	s_delay_alu instid0(SALU_CYCLE_1)
	s_and_b32 vcc_lo, exec_lo, s44
	s_cbranch_vccz .LBB31_578
; %bb.563:
	s_cmp_lt_i32 s42, 27
	s_cbranch_scc1 .LBB31_566
; %bb.564:
	s_cmp_gt_i32 s42, 27
	s_cbranch_scc0 .LBB31_567
; %bb.565:
	s_wait_loadcnt 0x0
	global_load_b32 v8, v[6:7], off
	v_mov_b32_e32 v9, 0
	s_mov_b32 s43, 0
	s_branch .LBB31_568
.LBB31_566:
	s_mov_b32 s43, -1
                                        ; implicit-def: $vgpr8_vgpr9
	s_branch .LBB31_571
.LBB31_567:
	s_mov_b32 s43, -1
                                        ; implicit-def: $vgpr8_vgpr9
.LBB31_568:
	s_delay_alu instid0(SALU_CYCLE_1)
	s_and_not1_b32 vcc_lo, exec_lo, s43
	s_cbranch_vccnz .LBB31_570
; %bb.569:
	global_load_u16 v1, v[6:7], off
	s_mov_b32 s43, 0
	s_wait_loadcnt 0x1
	s_wait_xcnt 0x1
	v_mov_b32_e32 v9, s43
	s_wait_loadcnt 0x0
	v_and_b32_e32 v8, 0xffff, v1
.LBB31_570:
	s_mov_b32 s43, 0
.LBB31_571:
	s_delay_alu instid0(SALU_CYCLE_1)
	s_and_not1_b32 vcc_lo, exec_lo, s43
	s_cbranch_vccnz .LBB31_577
; %bb.572:
	global_load_u8 v1, v[6:7], off
	s_mov_b32 s44, 0
	s_mov_b32 s43, exec_lo
	s_wait_loadcnt 0x0
	v_cmpx_lt_i16_e32 0x7f, v1
	s_xor_b32 s43, exec_lo, s43
	s_cbranch_execz .LBB31_589
; %bb.573:
	v_cmp_ne_u16_e32 vcc_lo, 0x80, v1
	s_and_b32 s44, vcc_lo, exec_lo
	s_and_not1_saveexec_b32 s43, s43
	s_cbranch_execnz .LBB31_590
.LBB31_574:
	s_or_b32 exec_lo, exec_lo, s43
	v_mov_b64_e32 v[8:9], 0
	s_and_saveexec_b32 s43, s44
	s_cbranch_execz .LBB31_576
.LBB31_575:
	v_and_b32_e32 v3, 0xffff, v1
	s_delay_alu instid0(VALU_DEP_1) | instskip(SKIP_1) | instid1(VALU_DEP_2)
	v_and_b32_e32 v8, 7, v3
	v_bfe_u32 v11, v3, 3, 4
	v_clz_i32_u32_e32 v9, v8
	s_delay_alu instid0(VALU_DEP_2) | instskip(NEXT) | instid1(VALU_DEP_2)
	v_cmp_eq_u32_e32 vcc_lo, 0, v11
	v_min_u32_e32 v9, 32, v9
	s_delay_alu instid0(VALU_DEP_1) | instskip(NEXT) | instid1(VALU_DEP_1)
	v_subrev_nc_u32_e32 v10, 28, v9
	v_dual_lshlrev_b32 v3, v10, v3 :: v_dual_sub_nc_u32 v9, 29, v9
	s_delay_alu instid0(VALU_DEP_1) | instskip(NEXT) | instid1(VALU_DEP_1)
	v_dual_lshlrev_b32 v1, 24, v1 :: v_dual_bitop2_b32 v3, 7, v3 bitop3:0x40
	v_dual_cndmask_b32 v3, v8, v3, vcc_lo :: v_dual_cndmask_b32 v9, v11, v9, vcc_lo
	s_delay_alu instid0(VALU_DEP_2) | instskip(NEXT) | instid1(VALU_DEP_2)
	v_and_b32_e32 v1, 0x80000000, v1
	v_lshlrev_b32_e32 v3, 20, v3
	s_delay_alu instid0(VALU_DEP_3) | instskip(NEXT) | instid1(VALU_DEP_1)
	v_lshl_add_u32 v8, v9, 23, 0x3b800000
	v_or3_b32 v1, v1, v8, v3
	s_delay_alu instid0(VALU_DEP_1) | instskip(NEXT) | instid1(VALU_DEP_1)
	v_trunc_f32_e32 v1, v1
	v_mul_f32_e64 v3, 0x2f800000, |v1|
	v_ashrrev_i32_e32 v8, 31, v1
	s_delay_alu instid0(VALU_DEP_2) | instskip(NEXT) | instid1(VALU_DEP_1)
	v_floor_f32_e32 v3, v3
	v_fma_f32 v9, 0xcf800000, v3, |v1|
	v_cvt_u32_f32_e32 v1, v3
	s_delay_alu instid0(VALU_DEP_2) | instskip(NEXT) | instid1(VALU_DEP_2)
	v_cvt_u32_f32_e32 v3, v9
	v_dual_mov_b32 v9, v8 :: v_dual_bitop2_b32 v11, v1, v8 bitop3:0x14
	s_delay_alu instid0(VALU_DEP_2) | instskip(NEXT) | instid1(VALU_DEP_1)
	v_xor_b32_e32 v10, v3, v8
	v_sub_nc_u64_e32 v[8:9], v[10:11], v[8:9]
.LBB31_576:
	s_or_b32 exec_lo, exec_lo, s43
.LBB31_577:
	s_mov_b32 s43, -1
.LBB31_578:
	s_mov_b32 s44, 0
.LBB31_579:
	s_delay_alu instid0(SALU_CYCLE_1)
	s_and_b32 vcc_lo, exec_lo, s44
	s_cbranch_vccz .LBB31_612
; %bb.580:
	s_cmp_gt_i32 s42, 22
	s_cbranch_scc0 .LBB31_588
; %bb.581:
	s_cmp_lt_i32 s42, 24
	s_cbranch_scc1 .LBB31_591
; %bb.582:
	s_cmp_gt_i32 s42, 24
	s_cbranch_scc0 .LBB31_592
; %bb.583:
	global_load_u8 v1, v[6:7], off
	s_mov_b32 s44, 0
	s_mov_b32 s43, exec_lo
	s_wait_loadcnt 0x0
	v_cmpx_lt_i16_e32 0x7f, v1
	s_xor_b32 s43, exec_lo, s43
	s_cbranch_execz .LBB31_604
; %bb.584:
	v_cmp_ne_u16_e32 vcc_lo, 0x80, v1
	s_and_b32 s44, vcc_lo, exec_lo
	s_and_not1_saveexec_b32 s43, s43
	s_cbranch_execnz .LBB31_605
.LBB31_585:
	s_or_b32 exec_lo, exec_lo, s43
	v_mov_b64_e32 v[8:9], 0
	s_and_saveexec_b32 s43, s44
	s_cbranch_execz .LBB31_587
.LBB31_586:
	v_and_b32_e32 v3, 0xffff, v1
	s_delay_alu instid0(VALU_DEP_1) | instskip(SKIP_1) | instid1(VALU_DEP_2)
	v_and_b32_e32 v8, 3, v3
	v_bfe_u32 v11, v3, 2, 5
	v_clz_i32_u32_e32 v9, v8
	s_delay_alu instid0(VALU_DEP_2) | instskip(NEXT) | instid1(VALU_DEP_2)
	v_cmp_eq_u32_e32 vcc_lo, 0, v11
	v_min_u32_e32 v9, 32, v9
	s_delay_alu instid0(VALU_DEP_1) | instskip(NEXT) | instid1(VALU_DEP_1)
	v_subrev_nc_u32_e32 v10, 29, v9
	v_dual_lshlrev_b32 v3, v10, v3 :: v_dual_sub_nc_u32 v9, 30, v9
	s_delay_alu instid0(VALU_DEP_1) | instskip(NEXT) | instid1(VALU_DEP_1)
	v_dual_lshlrev_b32 v1, 24, v1 :: v_dual_bitop2_b32 v3, 3, v3 bitop3:0x40
	v_dual_cndmask_b32 v3, v8, v3, vcc_lo :: v_dual_cndmask_b32 v9, v11, v9, vcc_lo
	s_delay_alu instid0(VALU_DEP_2) | instskip(NEXT) | instid1(VALU_DEP_2)
	v_and_b32_e32 v1, 0x80000000, v1
	v_lshlrev_b32_e32 v3, 21, v3
	s_delay_alu instid0(VALU_DEP_3) | instskip(NEXT) | instid1(VALU_DEP_1)
	v_lshl_add_u32 v8, v9, 23, 0x37800000
	v_or3_b32 v1, v1, v8, v3
	s_delay_alu instid0(VALU_DEP_1) | instskip(NEXT) | instid1(VALU_DEP_1)
	v_trunc_f32_e32 v1, v1
	v_mul_f32_e64 v3, 0x2f800000, |v1|
	v_ashrrev_i32_e32 v8, 31, v1
	s_delay_alu instid0(VALU_DEP_2) | instskip(NEXT) | instid1(VALU_DEP_1)
	v_floor_f32_e32 v3, v3
	v_fma_f32 v9, 0xcf800000, v3, |v1|
	v_cvt_u32_f32_e32 v1, v3
	s_delay_alu instid0(VALU_DEP_2) | instskip(NEXT) | instid1(VALU_DEP_2)
	v_cvt_u32_f32_e32 v3, v9
	v_dual_mov_b32 v9, v8 :: v_dual_bitop2_b32 v11, v1, v8 bitop3:0x14
	s_delay_alu instid0(VALU_DEP_2) | instskip(NEXT) | instid1(VALU_DEP_1)
	v_xor_b32_e32 v10, v3, v8
	v_sub_nc_u64_e32 v[8:9], v[10:11], v[8:9]
.LBB31_587:
	s_or_b32 exec_lo, exec_lo, s43
	s_mov_b32 s43, 0
	s_branch .LBB31_593
.LBB31_588:
	s_mov_b32 s44, -1
                                        ; implicit-def: $vgpr8_vgpr9
	s_branch .LBB31_599
.LBB31_589:
	s_and_not1_saveexec_b32 s43, s43
	s_cbranch_execz .LBB31_574
.LBB31_590:
	v_cmp_ne_u16_e32 vcc_lo, 0, v1
	s_and_not1_b32 s44, s44, exec_lo
	s_and_b32 s46, vcc_lo, exec_lo
	s_delay_alu instid0(SALU_CYCLE_1)
	s_or_b32 s44, s44, s46
	s_or_b32 exec_lo, exec_lo, s43
	v_mov_b64_e32 v[8:9], 0
	s_and_saveexec_b32 s43, s44
	s_cbranch_execnz .LBB31_575
	s_branch .LBB31_576
.LBB31_591:
	s_mov_b32 s43, -1
                                        ; implicit-def: $vgpr8_vgpr9
	s_branch .LBB31_596
.LBB31_592:
	s_mov_b32 s43, -1
                                        ; implicit-def: $vgpr8_vgpr9
.LBB31_593:
	s_delay_alu instid0(SALU_CYCLE_1)
	s_and_b32 vcc_lo, exec_lo, s43
	s_cbranch_vccz .LBB31_595
; %bb.594:
	global_load_u8 v1, v[6:7], off
	s_wait_loadcnt 0x0
	v_lshlrev_b32_e32 v1, 24, v1
	s_delay_alu instid0(VALU_DEP_1) | instskip(SKIP_1) | instid1(VALU_DEP_1)
	v_and_b32_e32 v3, 0x7f000000, v1
	s_wait_xcnt 0x1
	v_clz_i32_u32_e32 v8, v3
	v_cmp_ne_u32_e32 vcc_lo, 0, v3
	v_add_nc_u32_e32 v10, 0x1000000, v3
	s_delay_alu instid0(VALU_DEP_3) | instskip(NEXT) | instid1(VALU_DEP_1)
	v_min_u32_e32 v8, 32, v8
	v_sub_nc_u32_e64 v8, v8, 4 clamp
	s_delay_alu instid0(VALU_DEP_1) | instskip(NEXT) | instid1(VALU_DEP_1)
	v_dual_lshlrev_b32 v9, v8, v3 :: v_dual_lshlrev_b32 v8, 23, v8
	v_lshrrev_b32_e32 v9, 4, v9
	s_delay_alu instid0(VALU_DEP_1) | instskip(NEXT) | instid1(VALU_DEP_1)
	v_dual_sub_nc_u32 v8, v9, v8 :: v_dual_ashrrev_i32 v9, 8, v10
	v_add_nc_u32_e32 v8, 0x3c000000, v8
	s_delay_alu instid0(VALU_DEP_1) | instskip(NEXT) | instid1(VALU_DEP_1)
	v_and_or_b32 v8, 0x7f800000, v9, v8
	v_cndmask_b32_e32 v3, 0, v8, vcc_lo
	s_delay_alu instid0(VALU_DEP_1) | instskip(NEXT) | instid1(VALU_DEP_1)
	v_and_or_b32 v1, 0x80000000, v1, v3
	v_trunc_f32_e32 v1, v1
	s_delay_alu instid0(VALU_DEP_1) | instskip(SKIP_1) | instid1(VALU_DEP_2)
	v_mul_f32_e64 v3, 0x2f800000, |v1|
	v_ashrrev_i32_e32 v8, 31, v1
	v_floor_f32_e32 v3, v3
	s_delay_alu instid0(VALU_DEP_1) | instskip(SKIP_1) | instid1(VALU_DEP_2)
	v_fma_f32 v9, 0xcf800000, v3, |v1|
	v_cvt_u32_f32_e32 v1, v3
	v_cvt_u32_f32_e32 v3, v9
	s_delay_alu instid0(VALU_DEP_2) | instskip(NEXT) | instid1(VALU_DEP_2)
	v_dual_mov_b32 v9, v8 :: v_dual_bitop2_b32 v11, v1, v8 bitop3:0x14
	v_xor_b32_e32 v10, v3, v8
	s_delay_alu instid0(VALU_DEP_1)
	v_sub_nc_u64_e32 v[8:9], v[10:11], v[8:9]
.LBB31_595:
	s_mov_b32 s43, 0
.LBB31_596:
	s_delay_alu instid0(SALU_CYCLE_1)
	s_and_not1_b32 vcc_lo, exec_lo, s43
	s_cbranch_vccnz .LBB31_598
; %bb.597:
	global_load_u8 v1, v[6:7], off
	s_wait_loadcnt 0x0
	v_lshlrev_b32_e32 v3, 25, v1
	v_lshlrev_b16 v1, 8, v1
	s_wait_xcnt 0x1
	s_delay_alu instid0(VALU_DEP_1) | instskip(NEXT) | instid1(VALU_DEP_3)
	v_and_or_b32 v9, 0x7f00, v1, 0.5
	v_lshrrev_b32_e32 v8, 4, v3
	v_bfe_i32 v1, v1, 0, 16
	s_delay_alu instid0(VALU_DEP_3) | instskip(NEXT) | instid1(VALU_DEP_3)
	v_add_f32_e32 v9, -0.5, v9
	v_or_b32_e32 v8, 0x70000000, v8
	s_delay_alu instid0(VALU_DEP_1) | instskip(SKIP_1) | instid1(VALU_DEP_2)
	v_mul_f32_e32 v8, 0x7800000, v8
	v_cmp_gt_u32_e32 vcc_lo, 0x8000000, v3
	v_cndmask_b32_e32 v3, v8, v9, vcc_lo
	s_delay_alu instid0(VALU_DEP_1) | instskip(NEXT) | instid1(VALU_DEP_1)
	v_and_or_b32 v1, 0x80000000, v1, v3
	v_trunc_f32_e32 v1, v1
	s_delay_alu instid0(VALU_DEP_1) | instskip(SKIP_1) | instid1(VALU_DEP_2)
	v_mul_f32_e64 v3, 0x2f800000, |v1|
	v_ashrrev_i32_e32 v8, 31, v1
	v_floor_f32_e32 v3, v3
	s_delay_alu instid0(VALU_DEP_1) | instskip(SKIP_1) | instid1(VALU_DEP_2)
	v_fma_f32 v9, 0xcf800000, v3, |v1|
	v_cvt_u32_f32_e32 v1, v3
	v_cvt_u32_f32_e32 v3, v9
	s_delay_alu instid0(VALU_DEP_2) | instskip(NEXT) | instid1(VALU_DEP_2)
	v_dual_mov_b32 v9, v8 :: v_dual_bitop2_b32 v11, v1, v8 bitop3:0x14
	v_xor_b32_e32 v10, v3, v8
	s_delay_alu instid0(VALU_DEP_1)
	v_sub_nc_u64_e32 v[8:9], v[10:11], v[8:9]
.LBB31_598:
	s_mov_b32 s44, 0
	s_mov_b32 s43, -1
.LBB31_599:
	s_and_not1_b32 vcc_lo, exec_lo, s44
	s_cbranch_vccnz .LBB31_612
; %bb.600:
	s_cmp_gt_i32 s42, 14
	s_cbranch_scc0 .LBB31_603
; %bb.601:
	s_cmp_eq_u32 s42, 15
	s_cbranch_scc0 .LBB31_606
; %bb.602:
	global_load_u16 v1, v[6:7], off
	s_mov_b32 s43, -1
	s_mov_b32 s25, 0
	s_wait_loadcnt 0x0
	v_lshlrev_b32_e32 v1, 16, v1
	s_delay_alu instid0(VALU_DEP_1) | instskip(NEXT) | instid1(VALU_DEP_1)
	v_trunc_f32_e32 v1, v1
	v_mul_f32_e64 v3, 0x2f800000, |v1|
	s_wait_xcnt 0x1
	v_ashrrev_i32_e32 v8, 31, v1
	s_delay_alu instid0(VALU_DEP_2) | instskip(NEXT) | instid1(VALU_DEP_1)
	v_floor_f32_e32 v3, v3
	v_fma_f32 v9, 0xcf800000, v3, |v1|
	v_cvt_u32_f32_e32 v1, v3
	s_delay_alu instid0(VALU_DEP_2) | instskip(NEXT) | instid1(VALU_DEP_2)
	v_cvt_u32_f32_e32 v3, v9
	v_dual_mov_b32 v9, v8 :: v_dual_bitop2_b32 v11, v1, v8 bitop3:0x14
	s_delay_alu instid0(VALU_DEP_2) | instskip(NEXT) | instid1(VALU_DEP_1)
	v_xor_b32_e32 v10, v3, v8
	v_sub_nc_u64_e32 v[8:9], v[10:11], v[8:9]
	s_branch .LBB31_607
.LBB31_603:
	s_mov_b32 s44, -1
                                        ; implicit-def: $vgpr8_vgpr9
	s_branch .LBB31_608
.LBB31_604:
	s_and_not1_saveexec_b32 s43, s43
	s_cbranch_execz .LBB31_585
.LBB31_605:
	v_cmp_ne_u16_e32 vcc_lo, 0, v1
	s_and_not1_b32 s44, s44, exec_lo
	s_and_b32 s46, vcc_lo, exec_lo
	s_delay_alu instid0(SALU_CYCLE_1)
	s_or_b32 s44, s44, s46
	s_or_b32 exec_lo, exec_lo, s43
	v_mov_b64_e32 v[8:9], 0
	s_and_saveexec_b32 s43, s44
	s_cbranch_execnz .LBB31_586
	s_branch .LBB31_587
.LBB31_606:
	s_mov_b32 s25, -1
                                        ; implicit-def: $vgpr8_vgpr9
.LBB31_607:
	s_mov_b32 s44, 0
.LBB31_608:
	s_delay_alu instid0(SALU_CYCLE_1)
	s_and_b32 vcc_lo, exec_lo, s44
	s_cbranch_vccz .LBB31_612
; %bb.609:
	s_cmp_eq_u32 s42, 11
	s_cbranch_scc0 .LBB31_611
; %bb.610:
	global_load_u8 v1, v[6:7], off
	s_mov_b32 s25, 0
	s_mov_b32 s43, -1
	s_wait_loadcnt 0x1
	s_wait_xcnt 0x1
	v_mov_b32_e32 v9, s25
	s_wait_loadcnt 0x0
	v_cmp_ne_u16_e32 vcc_lo, 0, v1
	v_cndmask_b32_e64 v8, 0, 1, vcc_lo
	s_branch .LBB31_612
.LBB31_611:
	s_mov_b32 s25, -1
                                        ; implicit-def: $vgpr8_vgpr9
.LBB31_612:
	s_mov_b32 s42, 0
.LBB31_613:
	s_delay_alu instid0(SALU_CYCLE_1)
	s_and_b32 vcc_lo, exec_lo, s42
	s_cbranch_vccz .LBB31_662
; %bb.614:
	s_and_b32 s0, 0xffff, s0
	s_delay_alu instid0(SALU_CYCLE_1)
	s_cmp_lt_i32 s0, 5
	s_cbranch_scc1 .LBB31_619
; %bb.615:
	s_cmp_lt_i32 s0, 8
	s_cbranch_scc1 .LBB31_620
; %bb.616:
	;; [unrolled: 3-line block ×3, first 2 shown]
	s_cmp_gt_i32 s0, 9
	s_cbranch_scc0 .LBB31_622
; %bb.618:
	s_wait_loadcnt 0x0
	global_load_b64 v[8:9], v[6:7], off
	s_mov_b32 s42, 0
	s_wait_loadcnt 0x0
	v_trunc_f64_e32 v[8:9], v[8:9]
	s_delay_alu instid0(VALU_DEP_1) | instskip(NEXT) | instid1(VALU_DEP_1)
	v_ldexp_f64 v[10:11], v[8:9], 0xffffffe0
	v_floor_f64_e32 v[10:11], v[10:11]
	s_delay_alu instid0(VALU_DEP_1) | instskip(SKIP_1) | instid1(VALU_DEP_2)
	v_fmamk_f64 v[12:13], v[10:11], 0xc1f00000, v[8:9]
	v_cvt_i32_f64_e32 v9, v[10:11]
	v_cvt_u32_f64_e32 v8, v[12:13]
	s_branch .LBB31_623
.LBB31_619:
	s_mov_b32 s42, -1
                                        ; implicit-def: $vgpr8_vgpr9
	s_branch .LBB31_641
.LBB31_620:
	s_mov_b32 s42, -1
                                        ; implicit-def: $vgpr8_vgpr9
	s_branch .LBB31_629
.LBB31_621:
	s_mov_b32 s42, -1
                                        ; implicit-def: $vgpr8_vgpr9
	s_branch .LBB31_626
.LBB31_622:
	s_mov_b32 s42, -1
                                        ; implicit-def: $vgpr8_vgpr9
.LBB31_623:
	s_delay_alu instid0(SALU_CYCLE_1)
	s_and_not1_b32 vcc_lo, exec_lo, s42
	s_cbranch_vccnz .LBB31_625
; %bb.624:
	global_load_b32 v1, v[6:7], off
	s_wait_loadcnt 0x0
	v_trunc_f32_e32 v1, v1
	s_delay_alu instid0(VALU_DEP_1) | instskip(SKIP_2) | instid1(VALU_DEP_2)
	v_mul_f32_e64 v3, 0x2f800000, |v1|
	s_wait_xcnt 0x1
	v_ashrrev_i32_e32 v8, 31, v1
	v_floor_f32_e32 v3, v3
	s_delay_alu instid0(VALU_DEP_1) | instskip(SKIP_1) | instid1(VALU_DEP_2)
	v_fma_f32 v9, 0xcf800000, v3, |v1|
	v_cvt_u32_f32_e32 v1, v3
	v_cvt_u32_f32_e32 v3, v9
	s_delay_alu instid0(VALU_DEP_2) | instskip(NEXT) | instid1(VALU_DEP_2)
	v_dual_mov_b32 v9, v8 :: v_dual_bitop2_b32 v11, v1, v8 bitop3:0x14
	v_xor_b32_e32 v10, v3, v8
	s_delay_alu instid0(VALU_DEP_1)
	v_sub_nc_u64_e32 v[8:9], v[10:11], v[8:9]
.LBB31_625:
	s_mov_b32 s42, 0
.LBB31_626:
	s_delay_alu instid0(SALU_CYCLE_1)
	s_and_not1_b32 vcc_lo, exec_lo, s42
	s_cbranch_vccnz .LBB31_628
; %bb.627:
	global_load_b32 v1, v[6:7], off
	s_wait_loadcnt 0x0
	v_cvt_f32_f16_e32 v1, v1
	s_wait_xcnt 0x1
	s_delay_alu instid0(VALU_DEP_1) | instskip(NEXT) | instid1(VALU_DEP_1)
	v_cvt_i32_f32_e32 v8, v1
	v_ashrrev_i32_e32 v9, 31, v8
.LBB31_628:
	s_mov_b32 s42, 0
.LBB31_629:
	s_delay_alu instid0(SALU_CYCLE_1)
	s_and_not1_b32 vcc_lo, exec_lo, s42
	s_cbranch_vccnz .LBB31_640
; %bb.630:
	s_cmp_lt_i32 s0, 6
	s_cbranch_scc1 .LBB31_633
; %bb.631:
	s_cmp_gt_i32 s0, 6
	s_cbranch_scc0 .LBB31_634
; %bb.632:
	s_wait_loadcnt 0x0
	global_load_b64 v[8:9], v[6:7], off
	s_mov_b32 s42, 0
	s_wait_loadcnt 0x0
	v_trunc_f64_e32 v[8:9], v[8:9]
	s_delay_alu instid0(VALU_DEP_1) | instskip(NEXT) | instid1(VALU_DEP_1)
	v_ldexp_f64 v[10:11], v[8:9], 0xffffffe0
	v_floor_f64_e32 v[10:11], v[10:11]
	s_delay_alu instid0(VALU_DEP_1) | instskip(SKIP_1) | instid1(VALU_DEP_2)
	v_fmamk_f64 v[12:13], v[10:11], 0xc1f00000, v[8:9]
	v_cvt_i32_f64_e32 v9, v[10:11]
	v_cvt_u32_f64_e32 v8, v[12:13]
	s_branch .LBB31_635
.LBB31_633:
	s_mov_b32 s42, -1
                                        ; implicit-def: $vgpr8_vgpr9
	s_branch .LBB31_638
.LBB31_634:
	s_mov_b32 s42, -1
                                        ; implicit-def: $vgpr8_vgpr9
.LBB31_635:
	s_delay_alu instid0(SALU_CYCLE_1)
	s_and_not1_b32 vcc_lo, exec_lo, s42
	s_cbranch_vccnz .LBB31_637
; %bb.636:
	global_load_b32 v1, v[6:7], off
	s_wait_loadcnt 0x0
	v_trunc_f32_e32 v1, v1
	s_delay_alu instid0(VALU_DEP_1) | instskip(SKIP_2) | instid1(VALU_DEP_2)
	v_mul_f32_e64 v3, 0x2f800000, |v1|
	s_wait_xcnt 0x1
	v_ashrrev_i32_e32 v8, 31, v1
	v_floor_f32_e32 v3, v3
	s_delay_alu instid0(VALU_DEP_1) | instskip(SKIP_1) | instid1(VALU_DEP_2)
	v_fma_f32 v9, 0xcf800000, v3, |v1|
	v_cvt_u32_f32_e32 v1, v3
	v_cvt_u32_f32_e32 v3, v9
	s_delay_alu instid0(VALU_DEP_2) | instskip(NEXT) | instid1(VALU_DEP_2)
	v_dual_mov_b32 v9, v8 :: v_dual_bitop2_b32 v11, v1, v8 bitop3:0x14
	v_xor_b32_e32 v10, v3, v8
	s_delay_alu instid0(VALU_DEP_1)
	v_sub_nc_u64_e32 v[8:9], v[10:11], v[8:9]
.LBB31_637:
	s_mov_b32 s42, 0
.LBB31_638:
	s_delay_alu instid0(SALU_CYCLE_1)
	s_and_not1_b32 vcc_lo, exec_lo, s42
	s_cbranch_vccnz .LBB31_640
; %bb.639:
	global_load_u16 v1, v[6:7], off
	s_wait_loadcnt 0x0
	v_cvt_f32_f16_e32 v1, v1
	s_wait_xcnt 0x1
	s_delay_alu instid0(VALU_DEP_1) | instskip(NEXT) | instid1(VALU_DEP_1)
	v_cvt_i32_f32_e32 v8, v1
	v_ashrrev_i32_e32 v9, 31, v8
.LBB31_640:
	s_mov_b32 s42, 0
.LBB31_641:
	s_delay_alu instid0(SALU_CYCLE_1)
	s_and_not1_b32 vcc_lo, exec_lo, s42
	s_cbranch_vccnz .LBB31_661
; %bb.642:
	s_cmp_lt_i32 s0, 2
	s_cbranch_scc1 .LBB31_646
; %bb.643:
	s_cmp_lt_i32 s0, 3
	s_cbranch_scc1 .LBB31_647
; %bb.644:
	s_cmp_gt_i32 s0, 3
	s_cbranch_scc0 .LBB31_648
; %bb.645:
	s_wait_loadcnt 0x0
	global_load_b64 v[8:9], v[6:7], off
	s_mov_b32 s42, 0
	s_branch .LBB31_649
.LBB31_646:
	s_mov_b32 s42, -1
                                        ; implicit-def: $vgpr8_vgpr9
	s_branch .LBB31_655
.LBB31_647:
	s_mov_b32 s42, -1
                                        ; implicit-def: $vgpr8_vgpr9
	s_branch .LBB31_652
.LBB31_648:
	s_mov_b32 s42, -1
                                        ; implicit-def: $vgpr8_vgpr9
.LBB31_649:
	s_delay_alu instid0(SALU_CYCLE_1)
	s_and_not1_b32 vcc_lo, exec_lo, s42
	s_cbranch_vccnz .LBB31_651
; %bb.650:
	s_wait_loadcnt 0x0
	global_load_b32 v8, v[6:7], off
	s_wait_loadcnt 0x0
	v_ashrrev_i32_e32 v9, 31, v8
.LBB31_651:
	s_mov_b32 s42, 0
.LBB31_652:
	s_delay_alu instid0(SALU_CYCLE_1)
	s_and_not1_b32 vcc_lo, exec_lo, s42
	s_cbranch_vccnz .LBB31_654
; %bb.653:
	global_load_u16 v1, v[6:7], off
	s_wait_loadcnt 0x0
	s_wait_xcnt 0x1
	v_bfe_i32 v8, v1, 0, 16
	s_delay_alu instid0(VALU_DEP_1)
	v_ashrrev_i32_e32 v9, 31, v8
.LBB31_654:
	s_mov_b32 s42, 0
.LBB31_655:
	s_delay_alu instid0(SALU_CYCLE_1)
	s_and_not1_b32 vcc_lo, exec_lo, s42
	s_cbranch_vccnz .LBB31_661
; %bb.656:
	s_cmp_gt_i32 s0, 0
	s_mov_b32 s0, 0
	s_cbranch_scc0 .LBB31_658
; %bb.657:
	global_load_i8 v1, v[6:7], off
	s_wait_loadcnt 0x0
	s_wait_xcnt 0x1
	v_bfe_i32 v8, v1, 0, 16
	s_delay_alu instid0(VALU_DEP_1)
	v_ashrrev_i32_e32 v9, 31, v8
	s_branch .LBB31_659
.LBB31_658:
	s_mov_b32 s0, -1
                                        ; implicit-def: $vgpr8_vgpr9
.LBB31_659:
	s_delay_alu instid0(SALU_CYCLE_1)
	s_and_not1_b32 vcc_lo, exec_lo, s0
	s_cbranch_vccnz .LBB31_661
; %bb.660:
	global_load_u8 v1, v[6:7], off
	s_mov_b32 s0, 0
	s_wait_loadcnt 0x1
	s_wait_xcnt 0x1
	v_mov_b32_e32 v9, s0
	s_wait_loadcnt 0x0
	v_and_b32_e32 v8, 0xffff, v1
.LBB31_661:
	s_mov_b32 s43, -1
.LBB31_662:
	s_delay_alu instid0(SALU_CYCLE_1)
	s_and_not1_b32 vcc_lo, exec_lo, s43
	s_cbranch_vccnz .LBB31_670
; %bb.663:
	s_wait_loadcnt 0x0
	s_delay_alu instid0(VALU_DEP_1) | instskip(SKIP_1) | instid1(VALU_DEP_1)
	v_sub_nc_u64_e32 v[6:7], 0, v[8:9]
	s_mov_b32 s42, exec_lo
	v_max_i64 v[6:7], v[8:9], v[6:7]
	v_cmpx_ne_u64_e32 0, v[4:5]
	s_cbranch_execz .LBB31_672
; %bb.664:
	v_sub_nc_u64_e32 v[8:9], 0, v[4:5]
	s_mov_b32 s43, 0
	s_delay_alu instid0(VALU_DEP_1)
	v_max_i64 v[10:11], v[4:5], v[8:9]
	v_mov_b32_e32 v4, 0
	s_branch .LBB31_666
.LBB31_665:                             ;   in Loop: Header=BB31_666 Depth=1
	s_or_b32 exec_lo, exec_lo, s0
	s_delay_alu instid0(VALU_DEP_1) | instskip(SKIP_2) | instid1(SALU_CYCLE_1)
	v_cmp_eq_u64_e32 vcc_lo, 0, v[10:11]
	v_mov_b64_e32 v[6:7], v[8:9]
	s_or_b32 s43, vcc_lo, s43
	s_and_not1_b32 exec_lo, exec_lo, s43
	s_cbranch_execz .LBB31_671
.LBB31_666:                             ; =>This Inner Loop Header: Depth=1
	s_delay_alu instid0(VALU_DEP_2) | instskip(SKIP_1) | instid1(VALU_DEP_1)
	v_mov_b64_e32 v[8:9], v[10:11]
                                        ; implicit-def: $vgpr10_vgpr11
	s_mov_b32 s0, exec_lo
	v_or_b32_e32 v5, v7, v9
	s_delay_alu instid0(VALU_DEP_1)
	v_cmpx_ne_u64_e32 0, v[4:5]
	s_xor_b32 s44, exec_lo, s0
	s_cbranch_execz .LBB31_668
; %bb.667:                              ;   in Loop: Header=BB31_666 Depth=1
	s_delay_alu instid0(VALU_DEP_3) | instskip(SKIP_4) | instid1(VALU_DEP_4)
	v_cvt_f32_u32_e32 v1, v8
	v_cvt_f32_u32_e32 v3, v9
	v_sub_nc_u64_e32 v[12:13], 0, v[8:9]
	v_dual_mov_b32 v11, v4 :: v_dual_mov_b32 v19, v4
	v_mov_b32_e32 v21, v4
	v_fmac_f32_e32 v1, 0x4f800000, v3
	s_delay_alu instid0(VALU_DEP_1) | instskip(SKIP_1) | instid1(TRANS32_DEP_1)
	v_rcp_f32_e32 v1, v1
	v_nop
	v_mul_f32_e32 v1, 0x5f7ffffc, v1
	s_delay_alu instid0(VALU_DEP_1) | instskip(NEXT) | instid1(VALU_DEP_1)
	v_mul_f32_e32 v3, 0x2f800000, v1
	v_trunc_f32_e32 v3, v3
	s_delay_alu instid0(VALU_DEP_1) | instskip(SKIP_1) | instid1(VALU_DEP_2)
	v_fmac_f32_e32 v1, 0xcf800000, v3
	v_cvt_u32_f32_e32 v15, v3
	v_cvt_u32_f32_e32 v10, v1
	s_delay_alu instid0(VALU_DEP_1) | instskip(NEXT) | instid1(VALU_DEP_1)
	v_dual_mov_b32 v20, v15 :: v_dual_mov_b32 v14, v10
	v_mul_u64_e32 v[16:17], v[12:13], v[14:15]
	s_delay_alu instid0(VALU_DEP_1) | instskip(NEXT) | instid1(VALU_DEP_1)
	v_dual_mov_b32 v18, v17 :: v_dual_mov_b32 v17, v4
	v_mul_u64_e32 v[22:23], v[10:11], v[18:19]
	s_delay_alu instid0(VALU_DEP_2) | instskip(SKIP_2) | instid1(VALU_DEP_1)
	v_mul_u64_e32 v[24:25], v[20:21], v[16:17]
	v_mul_u64_e32 v[18:19], v[20:21], v[18:19]
	v_mul_hi_u32 v16, v10, v16
	v_add_nc_u64_e32 v[16:17], v[16:17], v[22:23]
	s_delay_alu instid0(VALU_DEP_1) | instskip(NEXT) | instid1(VALU_DEP_2)
	v_add_co_u32 v1, vcc_lo, v16, v24
	v_add_co_ci_u32_e32 v20, vcc_lo, v17, v25, vcc_lo
	v_add_co_ci_u32_e32 v19, vcc_lo, 0, v19, vcc_lo
	s_delay_alu instid0(VALU_DEP_1) | instskip(NEXT) | instid1(VALU_DEP_1)
	v_add_nc_u64_e32 v[16:17], v[20:21], v[18:19]
	v_add_co_u32 v10, vcc_lo, v10, v16
	s_delay_alu instid0(VALU_DEP_1) | instskip(SKIP_1) | instid1(VALU_DEP_2)
	v_add_co_ci_u32_e64 v14, null, v15, v17, vcc_lo
	v_dual_mov_b32 v17, v4 :: v_dual_mov_b32 v15, v4
	v_mov_b32_e32 v11, v14
	s_delay_alu instid0(VALU_DEP_1) | instskip(NEXT) | instid1(VALU_DEP_1)
	v_mul_u64_e32 v[12:13], v[12:13], v[10:11]
	v_dual_mov_b32 v11, v4 :: v_dual_mov_b32 v16, v13
	s_delay_alu instid0(VALU_DEP_2) | instskip(SKIP_1) | instid1(VALU_DEP_3)
	v_dual_mov_b32 v20, v12 :: v_dual_mov_b32 v13, v4
	v_mul_hi_u32 v12, v10, v12
	v_mul_u64_e32 v[18:19], v[10:11], v[16:17]
	s_delay_alu instid0(VALU_DEP_3) | instskip(SKIP_1) | instid1(VALU_DEP_3)
	v_mul_u64_e32 v[20:21], v[14:15], v[20:21]
	v_mul_u64_e32 v[16:17], v[14:15], v[16:17]
	v_add_nc_u64_e32 v[12:13], v[12:13], v[18:19]
	v_mov_b32_e32 v19, v4
	s_delay_alu instid0(VALU_DEP_2) | instskip(NEXT) | instid1(VALU_DEP_3)
	v_add_co_u32 v1, vcc_lo, v12, v20
	v_add_co_ci_u32_e32 v18, vcc_lo, v13, v21, vcc_lo
	v_add_co_ci_u32_e32 v17, vcc_lo, 0, v17, vcc_lo
	s_delay_alu instid0(VALU_DEP_1) | instskip(SKIP_1) | instid1(VALU_DEP_2)
	v_add_nc_u64_e32 v[12:13], v[18:19], v[16:17]
	v_dual_mov_b32 v16, v6 :: v_dual_mov_b32 v17, v4
	v_add_co_u32 v12, vcc_lo, v10, v12
	s_delay_alu instid0(VALU_DEP_1) | instskip(SKIP_1) | instid1(VALU_DEP_2)
	v_add_co_ci_u32_e64 v10, null, v14, v13, vcc_lo
	v_dual_mov_b32 v14, v7 :: v_dual_mov_b32 v13, v4
	v_mul_u64_e32 v[16:17], v[16:17], v[10:11]
	s_delay_alu instid0(VALU_DEP_2) | instskip(NEXT) | instid1(VALU_DEP_3)
	v_mul_u64_e32 v[10:11], v[14:15], v[10:11]
	v_mul_u64_e32 v[18:19], v[14:15], v[12:13]
	v_mul_hi_u32 v12, v6, v12
	s_delay_alu instid0(VALU_DEP_1) | instskip(NEXT) | instid1(VALU_DEP_1)
	v_add_nc_u64_e32 v[12:13], v[12:13], v[16:17]
	v_add_co_u32 v1, vcc_lo, v12, v18
	s_delay_alu instid0(VALU_DEP_2) | instskip(SKIP_1) | instid1(VALU_DEP_1)
	v_add_co_ci_u32_e32 v14, vcc_lo, v13, v19, vcc_lo
	v_add_co_ci_u32_e32 v11, vcc_lo, 0, v11, vcc_lo
	v_add_nc_u64_e32 v[10:11], v[14:15], v[10:11]
	s_delay_alu instid0(VALU_DEP_1) | instskip(NEXT) | instid1(VALU_DEP_1)
	v_mul_u64_e32 v[10:11], v[8:9], v[10:11]
	v_sub_nc_u32_e32 v1, v7, v11
	s_delay_alu instid0(VALU_DEP_2) | instskip(NEXT) | instid1(VALU_DEP_1)
	v_sub_co_u32 v3, vcc_lo, v6, v10
	v_sub_co_ci_u32_e64 v5, null, v7, v11, vcc_lo
	s_delay_alu instid0(VALU_DEP_3) | instskip(NEXT) | instid1(VALU_DEP_3)
	v_sub_co_ci_u32_e64 v1, null, v1, v9, vcc_lo
	v_sub_co_u32 v6, vcc_lo, v3, v8
	v_cmp_ge_u32_e64 s0, v3, v8
	s_delay_alu instid0(VALU_DEP_3) | instskip(SKIP_1) | instid1(VALU_DEP_3)
	v_subrev_co_ci_u32_e64 v7, null, 0, v1, vcc_lo
	v_sub_co_ci_u32_e64 v1, null, v1, v9, vcc_lo
	v_cndmask_b32_e64 v10, 0, -1, s0
	v_cmp_ge_u32_e64 s0, v6, v8
	v_cmp_ge_u32_e32 vcc_lo, v5, v9
	s_delay_alu instid0(VALU_DEP_2) | instskip(SKIP_3) | instid1(VALU_DEP_3)
	v_cndmask_b32_e64 v11, 0, -1, s0
	v_cmp_ge_u32_e64 s0, v7, v9
	v_cndmask_b32_e64 v13, 0, -1, vcc_lo
	v_cmp_eq_u32_e32 vcc_lo, v7, v9
	v_cndmask_b32_e64 v12, 0, -1, s0
	v_cmp_eq_u32_e64 s0, v5, v9
	s_delay_alu instid0(VALU_DEP_1) | instskip(SKIP_1) | instid1(VALU_DEP_1)
	v_dual_cndmask_b32 v11, v12, v11, vcc_lo :: v_dual_cndmask_b32 v10, v13, v10, s0
	v_sub_co_u32 v12, vcc_lo, v6, v8
	v_subrev_co_ci_u32_e64 v1, null, 0, v1, vcc_lo
	s_delay_alu instid0(VALU_DEP_3) | instskip(NEXT) | instid1(VALU_DEP_2)
	v_cmp_ne_u32_e32 vcc_lo, 0, v11
	v_dual_cndmask_b32 v1, v7, v1 :: v_dual_cndmask_b32 v6, v6, v12
	v_cmp_ne_u32_e32 vcc_lo, 0, v10
	s_delay_alu instid0(VALU_DEP_2)
	v_dual_cndmask_b32 v11, v5, v1 :: v_dual_cndmask_b32 v10, v3, v6
                                        ; implicit-def: $vgpr6_vgpr7
.LBB31_668:                             ;   in Loop: Header=BB31_666 Depth=1
	s_and_not1_saveexec_b32 s0, s44
	s_cbranch_execz .LBB31_665
; %bb.669:                              ;   in Loop: Header=BB31_666 Depth=1
	v_cvt_f32_u32_e32 v1, v8
	v_dual_sub_nc_u32 v3, 0, v8 :: v_dual_mov_b32 v11, v4
	s_delay_alu instid0(VALU_DEP_2) | instskip(SKIP_1) | instid1(TRANS32_DEP_1)
	v_rcp_iflag_f32_e32 v1, v1
	v_nop
	v_mul_f32_e32 v1, 0x4f7ffffe, v1
	s_delay_alu instid0(VALU_DEP_1) | instskip(NEXT) | instid1(VALU_DEP_1)
	v_cvt_u32_f32_e32 v1, v1
	v_mul_lo_u32 v3, v3, v1
	s_delay_alu instid0(VALU_DEP_1) | instskip(NEXT) | instid1(VALU_DEP_1)
	v_mul_hi_u32 v3, v1, v3
	v_add_nc_u32_e32 v1, v1, v3
	s_delay_alu instid0(VALU_DEP_1) | instskip(NEXT) | instid1(VALU_DEP_1)
	v_mul_hi_u32 v1, v6, v1
	v_mul_lo_u32 v1, v1, v8
	s_delay_alu instid0(VALU_DEP_1) | instskip(NEXT) | instid1(VALU_DEP_1)
	v_sub_nc_u32_e32 v1, v6, v1
	v_sub_nc_u32_e32 v3, v1, v8
	v_cmp_ge_u32_e32 vcc_lo, v1, v8
	s_delay_alu instid0(VALU_DEP_2) | instskip(NEXT) | instid1(VALU_DEP_1)
	v_cndmask_b32_e32 v1, v1, v3, vcc_lo
	v_sub_nc_u32_e32 v3, v1, v8
	v_cmp_ge_u32_e32 vcc_lo, v1, v8
	s_delay_alu instid0(VALU_DEP_2)
	v_cndmask_b32_e32 v10, v1, v3, vcc_lo
	s_branch .LBB31_665
.LBB31_670:
	s_mov_b32 s46, 0
	s_mov_b32 s0, s38
	s_branch .LBB31_795
.LBB31_671:
	s_or_b32 exec_lo, exec_lo, s43
	v_mov_b64_e32 v[6:7], v[8:9]
.LBB31_672:
	s_or_b32 exec_lo, exec_lo, s42
	v_mov_b32_e32 v3, 0
	s_and_b32 s42, s31, 0xff
	s_delay_alu instid0(SALU_CYCLE_1) | instskip(NEXT) | instid1(VALU_DEP_1)
	s_cmp_lt_i32 s42, 11
	v_add_nc_u64_e32 v[2:3], s[4:5], v[2:3]
	s_cbranch_scc1 .LBB31_679
; %bb.673:
	s_and_b32 s43, 0xffff, s42
	s_delay_alu instid0(SALU_CYCLE_1)
	s_cmp_gt_i32 s43, 25
	s_cbranch_scc0 .LBB31_680
; %bb.674:
	s_cmp_gt_i32 s43, 28
	s_cbranch_scc0 .LBB31_681
; %bb.675:
	;; [unrolled: 3-line block ×4, first 2 shown]
	s_mov_b32 s46, 0
	s_mov_b32 s0, -1
	s_cmp_eq_u32 s43, 46
	s_mov_b32 s44, 0
	s_cbranch_scc0 .LBB31_684
; %bb.678:
	s_delay_alu instid0(VALU_DEP_3) | instskip(SKIP_2) | instid1(VALU_DEP_1)
	v_clz_i32_u32_e32 v1, v7
	s_mov_b32 s44, -1
	s_mov_b32 s0, 0
	v_min_u32_e32 v1, 32, v1
	s_delay_alu instid0(VALU_DEP_1) | instskip(SKIP_1) | instid1(VALU_DEP_2)
	v_lshlrev_b64_e32 v[4:5], v1, v[6:7]
	v_sub_nc_u32_e32 v1, 32, v1
	v_min_u32_e32 v4, 1, v4
	s_delay_alu instid0(VALU_DEP_1) | instskip(NEXT) | instid1(VALU_DEP_1)
	v_or_b32_e32 v4, v5, v4
	v_cvt_f32_u32_e32 v4, v4
	s_delay_alu instid0(VALU_DEP_1) | instskip(NEXT) | instid1(VALU_DEP_1)
	v_ldexp_f32 v1, v4, v1
	v_bfe_u32 v4, v1, 16, 1
	s_delay_alu instid0(VALU_DEP_1) | instskip(NEXT) | instid1(VALU_DEP_1)
	v_add3_u32 v1, v1, v4, 0x7fff
	v_lshrrev_b32_e32 v1, 16, v1
	global_store_b32 v[2:3], v1, off
	s_branch .LBB31_684
.LBB31_679:
	s_mov_b32 s43, -1
	s_mov_b32 s44, 0
	s_mov_b32 s0, s38
	s_branch .LBB31_753
.LBB31_680:
	s_mov_b32 s46, -1
	s_mov_b32 s44, 0
	s_mov_b32 s0, s38
	s_branch .LBB31_711
.LBB31_681:
	s_mov_b32 s46, -1
	s_mov_b32 s44, 0
	s_mov_b32 s0, s38
	s_branch .LBB31_694
.LBB31_682:
	s_mov_b32 s46, -1
	s_mov_b32 s44, 0
	s_mov_b32 s0, s38
	s_branch .LBB31_690
.LBB31_683:
	s_mov_b32 s46, -1
	s_mov_b32 s44, 0
	s_mov_b32 s0, s38
.LBB31_684:
	s_and_b32 vcc_lo, exec_lo, s46
	s_cbranch_vccz .LBB31_689
; %bb.685:
	s_cmp_eq_u32 s43, 44
	s_mov_b32 s0, -1
	s_cbranch_scc0 .LBB31_689
; %bb.686:
	s_wait_xcnt 0x0
	s_delay_alu instid0(VALU_DEP_3) | instskip(SKIP_1) | instid1(VALU_DEP_1)
	v_clz_i32_u32_e32 v1, v7
	s_mov_b32 s44, exec_lo
	v_min_u32_e32 v1, 32, v1
	s_delay_alu instid0(VALU_DEP_1) | instskip(SKIP_1) | instid1(VALU_DEP_2)
	v_lshlrev_b64_e32 v[4:5], v1, v[6:7]
	v_sub_nc_u32_e32 v1, 32, v1
	v_min_u32_e32 v4, 1, v4
	s_delay_alu instid0(VALU_DEP_1) | instskip(NEXT) | instid1(VALU_DEP_1)
	v_or_b32_e32 v4, v5, v4
	v_cvt_f32_u32_e32 v4, v4
	s_delay_alu instid0(VALU_DEP_1) | instskip(NEXT) | instid1(VALU_DEP_1)
	v_ldexp_f32 v5, v4, v1
	v_dual_mov_b32 v4, 0xff :: v_dual_lshrrev_b32 v1, 23, v5
	s_delay_alu instid0(VALU_DEP_1)
	v_cmpx_ne_u32_e32 0xff, v1
; %bb.687:
	v_and_b32_e32 v4, 0x400000, v5
	v_and_or_b32 v5, 0x3fffff, v5, v1
	s_delay_alu instid0(VALU_DEP_2) | instskip(NEXT) | instid1(VALU_DEP_2)
	v_cmp_ne_u32_e32 vcc_lo, 0, v4
	v_cmp_ne_u32_e64 s0, 0, v5
	s_and_b32 s0, vcc_lo, s0
	s_delay_alu instid0(SALU_CYCLE_1) | instskip(NEXT) | instid1(VALU_DEP_1)
	v_cndmask_b32_e64 v4, 0, 1, s0
	v_add_nc_u32_e32 v4, v1, v4
; %bb.688:
	s_or_b32 exec_lo, exec_lo, s44
	s_mov_b32 s44, -1
	s_mov_b32 s0, 0
	global_store_b8 v[2:3], v4, off
.LBB31_689:
	s_mov_b32 s46, 0
.LBB31_690:
	s_delay_alu instid0(SALU_CYCLE_1)
	s_and_b32 vcc_lo, exec_lo, s46
	s_cbranch_vccz .LBB31_693
; %bb.691:
	s_cmp_eq_u32 s43, 29
	s_mov_b32 s0, -1
	s_cbranch_scc0 .LBB31_693
; %bb.692:
	s_mov_b32 s44, -1
	s_mov_b32 s0, 0
	global_store_b64 v[2:3], v[6:7], off
.LBB31_693:
	s_mov_b32 s46, 0
.LBB31_694:
	s_delay_alu instid0(SALU_CYCLE_1)
	s_and_b32 vcc_lo, exec_lo, s46
	s_cbranch_vccz .LBB31_710
; %bb.695:
	s_cmp_lt_i32 s43, 27
	s_mov_b32 s44, -1
	s_cbranch_scc1 .LBB31_701
; %bb.696:
	s_cmp_gt_i32 s43, 27
	s_cbranch_scc0 .LBB31_698
; %bb.697:
	s_mov_b32 s44, 0
	global_store_b32 v[2:3], v6, off
.LBB31_698:
	s_and_not1_b32 vcc_lo, exec_lo, s44
	s_cbranch_vccnz .LBB31_700
; %bb.699:
	global_store_b16 v[2:3], v6, off
.LBB31_700:
	s_mov_b32 s44, 0
.LBB31_701:
	s_delay_alu instid0(SALU_CYCLE_1)
	s_and_not1_b32 vcc_lo, exec_lo, s44
	s_cbranch_vccnz .LBB31_709
; %bb.702:
	s_wait_xcnt 0x0
	s_delay_alu instid0(VALU_DEP_3) | instskip(SKIP_1) | instid1(VALU_DEP_1)
	v_clz_i32_u32_e32 v1, v7
	s_mov_b32 s44, exec_lo
	v_min_u32_e32 v1, 32, v1
	s_delay_alu instid0(VALU_DEP_1) | instskip(SKIP_1) | instid1(VALU_DEP_2)
	v_lshlrev_b64_e32 v[4:5], v1, v[6:7]
	v_sub_nc_u32_e32 v1, 32, v1
	v_min_u32_e32 v4, 1, v4
	s_delay_alu instid0(VALU_DEP_1) | instskip(SKIP_1) | instid1(VALU_DEP_2)
	v_or_b32_e32 v4, v5, v4
	v_mov_b32_e32 v5, 0x80
	v_cvt_f32_u32_e32 v4, v4
	s_delay_alu instid0(VALU_DEP_1) | instskip(NEXT) | instid1(VALU_DEP_1)
	v_ldexp_f32 v4, v4, v1
	v_cmpx_gt_u32_e32 0x43800000, v4
	s_cbranch_execz .LBB31_708
; %bb.703:
	s_mov_b32 s46, 0
	s_mov_b32 s47, exec_lo
                                        ; implicit-def: $vgpr1
	v_cmpx_lt_u32_e32 0x3bffffff, v4
	s_xor_b32 s47, exec_lo, s47
	s_cbranch_execz .LBB31_823
; %bb.704:
	v_bfe_u32 v1, v4, 20, 1
	s_mov_b32 s46, exec_lo
	s_delay_alu instid0(VALU_DEP_1) | instskip(NEXT) | instid1(VALU_DEP_1)
	v_add3_u32 v1, v4, v1, 0x487ffff
                                        ; implicit-def: $vgpr4
	v_lshrrev_b32_e32 v1, 20, v1
	s_and_not1_saveexec_b32 s47, s47
	s_cbranch_execnz .LBB31_824
.LBB31_705:
	s_or_b32 exec_lo, exec_lo, s47
	v_mov_b32_e32 v5, 0
	s_and_saveexec_b32 s47, s46
.LBB31_706:
	v_mov_b32_e32 v5, v1
.LBB31_707:
	s_or_b32 exec_lo, exec_lo, s47
.LBB31_708:
	s_delay_alu instid0(SALU_CYCLE_1)
	s_or_b32 exec_lo, exec_lo, s44
	global_store_b8 v[2:3], v5, off
.LBB31_709:
	s_mov_b32 s44, -1
.LBB31_710:
	s_mov_b32 s46, 0
.LBB31_711:
	s_delay_alu instid0(SALU_CYCLE_1)
	s_and_b32 vcc_lo, exec_lo, s46
	s_cbranch_vccz .LBB31_752
; %bb.712:
	s_cmp_gt_i32 s43, 22
	s_mov_b32 s46, -1
	s_cbranch_scc0 .LBB31_744
; %bb.713:
	s_cmp_lt_i32 s43, 24
	s_mov_b32 s44, -1
	s_cbranch_scc1 .LBB31_733
; %bb.714:
	s_cmp_gt_i32 s43, 24
	s_cbranch_scc0 .LBB31_722
; %bb.715:
	s_wait_xcnt 0x0
	s_delay_alu instid0(VALU_DEP_3) | instskip(SKIP_1) | instid1(VALU_DEP_1)
	v_clz_i32_u32_e32 v1, v7
	s_mov_b32 s44, exec_lo
	v_min_u32_e32 v1, 32, v1
	s_delay_alu instid0(VALU_DEP_1) | instskip(SKIP_1) | instid1(VALU_DEP_2)
	v_lshlrev_b64_e32 v[4:5], v1, v[6:7]
	v_sub_nc_u32_e32 v1, 32, v1
	v_min_u32_e32 v4, 1, v4
	s_delay_alu instid0(VALU_DEP_1) | instskip(SKIP_1) | instid1(VALU_DEP_2)
	v_or_b32_e32 v4, v5, v4
	v_mov_b32_e32 v5, 0x80
	v_cvt_f32_u32_e32 v4, v4
	s_delay_alu instid0(VALU_DEP_1) | instskip(NEXT) | instid1(VALU_DEP_1)
	v_ldexp_f32 v4, v4, v1
	v_cmpx_gt_u32_e32 0x47800000, v4
	s_cbranch_execz .LBB31_721
; %bb.716:
	s_mov_b32 s46, 0
	s_mov_b32 s47, exec_lo
                                        ; implicit-def: $vgpr1
	v_cmpx_lt_u32_e32 0x37ffffff, v4
	s_xor_b32 s47, exec_lo, s47
	s_cbranch_execz .LBB31_951
; %bb.717:
	v_bfe_u32 v1, v4, 21, 1
	s_mov_b32 s46, exec_lo
	s_delay_alu instid0(VALU_DEP_1) | instskip(NEXT) | instid1(VALU_DEP_1)
	v_add3_u32 v1, v4, v1, 0x88fffff
                                        ; implicit-def: $vgpr4
	v_lshrrev_b32_e32 v1, 21, v1
	s_and_not1_saveexec_b32 s47, s47
	s_cbranch_execnz .LBB31_952
.LBB31_718:
	s_or_b32 exec_lo, exec_lo, s47
	v_mov_b32_e32 v5, 0
	s_and_saveexec_b32 s47, s46
.LBB31_719:
	v_mov_b32_e32 v5, v1
.LBB31_720:
	s_or_b32 exec_lo, exec_lo, s47
.LBB31_721:
	s_delay_alu instid0(SALU_CYCLE_1)
	s_or_b32 exec_lo, exec_lo, s44
	s_mov_b32 s44, 0
	global_store_b8 v[2:3], v5, off
.LBB31_722:
	s_and_b32 vcc_lo, exec_lo, s44
	s_cbranch_vccz .LBB31_732
; %bb.723:
	s_wait_xcnt 0x0
	s_delay_alu instid0(VALU_DEP_3) | instskip(SKIP_1) | instid1(VALU_DEP_1)
	v_clz_i32_u32_e32 v1, v7
	s_mov_b32 s44, exec_lo
	v_min_u32_e32 v1, 32, v1
	s_delay_alu instid0(VALU_DEP_1) | instskip(SKIP_1) | instid1(VALU_DEP_2)
	v_lshlrev_b64_e32 v[4:5], v1, v[6:7]
	v_sub_nc_u32_e32 v1, 32, v1
	v_min_u32_e32 v4, 1, v4
	s_delay_alu instid0(VALU_DEP_1) | instskip(NEXT) | instid1(VALU_DEP_1)
	v_or_b32_e32 v4, v5, v4
	v_cvt_f32_u32_e32 v4, v4
	s_delay_alu instid0(VALU_DEP_1) | instskip(NEXT) | instid1(VALU_DEP_1)
	v_ldexp_f32 v4, v4, v1
                                        ; implicit-def: $vgpr1
	v_cmpx_gt_u32_e32 0x43f00000, v4
	s_xor_b32 s44, exec_lo, s44
	s_cbranch_execz .LBB31_729
; %bb.724:
	s_mov_b32 s46, exec_lo
                                        ; implicit-def: $vgpr1
	v_cmpx_lt_u32_e32 0x3c7fffff, v4
	s_xor_b32 s46, exec_lo, s46
; %bb.725:
	v_bfe_u32 v1, v4, 20, 1
	s_delay_alu instid0(VALU_DEP_1) | instskip(NEXT) | instid1(VALU_DEP_1)
	v_add3_u32 v1, v4, v1, 0x407ffff
	v_and_b32_e32 v4, 0xff00000, v1
	v_lshrrev_b32_e32 v1, 20, v1
	s_delay_alu instid0(VALU_DEP_2) | instskip(NEXT) | instid1(VALU_DEP_2)
	v_cmp_ne_u32_e32 vcc_lo, 0x7f00000, v4
                                        ; implicit-def: $vgpr4
	v_cndmask_b32_e32 v1, 0x7e, v1, vcc_lo
; %bb.726:
	s_and_not1_saveexec_b32 s46, s46
; %bb.727:
	v_add_f32_e32 v1, 0x46800000, v4
; %bb.728:
	s_or_b32 exec_lo, exec_lo, s46
                                        ; implicit-def: $vgpr4
.LBB31_729:
	s_and_not1_saveexec_b32 s44, s44
; %bb.730:
	v_mov_b32_e32 v1, 0x7f
	v_cmp_lt_u32_e32 vcc_lo, 0x7f800000, v4
	s_delay_alu instid0(VALU_DEP_2)
	v_cndmask_b32_e32 v1, 0x7e, v1, vcc_lo
; %bb.731:
	s_or_b32 exec_lo, exec_lo, s44
	global_store_b8 v[2:3], v1, off
.LBB31_732:
	s_mov_b32 s44, 0
.LBB31_733:
	s_delay_alu instid0(SALU_CYCLE_1)
	s_and_not1_b32 vcc_lo, exec_lo, s44
	s_cbranch_vccnz .LBB31_743
; %bb.734:
	s_wait_xcnt 0x0
	s_delay_alu instid0(VALU_DEP_3) | instskip(SKIP_1) | instid1(VALU_DEP_1)
	v_clz_i32_u32_e32 v1, v7
	s_mov_b32 s44, exec_lo
	v_min_u32_e32 v1, 32, v1
	s_delay_alu instid0(VALU_DEP_1) | instskip(SKIP_1) | instid1(VALU_DEP_2)
	v_lshlrev_b64_e32 v[4:5], v1, v[6:7]
	v_sub_nc_u32_e32 v1, 32, v1
	v_min_u32_e32 v4, 1, v4
	s_delay_alu instid0(VALU_DEP_1) | instskip(NEXT) | instid1(VALU_DEP_1)
	v_or_b32_e32 v4, v5, v4
	v_cvt_f32_u32_e32 v4, v4
	s_delay_alu instid0(VALU_DEP_1) | instskip(NEXT) | instid1(VALU_DEP_1)
	v_ldexp_f32 v4, v4, v1
                                        ; implicit-def: $vgpr1
	v_cmpx_gt_u32_e32 0x47800000, v4
	s_xor_b32 s44, exec_lo, s44
	s_cbranch_execz .LBB31_740
; %bb.735:
	s_mov_b32 s46, exec_lo
                                        ; implicit-def: $vgpr1
	v_cmpx_lt_u32_e32 0x387fffff, v4
	s_xor_b32 s46, exec_lo, s46
; %bb.736:
	v_bfe_u32 v1, v4, 21, 1
	s_delay_alu instid0(VALU_DEP_1) | instskip(NEXT) | instid1(VALU_DEP_1)
	v_add3_u32 v1, v4, v1, 0x80fffff
                                        ; implicit-def: $vgpr4
	v_lshrrev_b32_e32 v1, 21, v1
; %bb.737:
	s_and_not1_saveexec_b32 s46, s46
; %bb.738:
	v_add_f32_e32 v1, 0x43000000, v4
; %bb.739:
	s_or_b32 exec_lo, exec_lo, s46
                                        ; implicit-def: $vgpr4
.LBB31_740:
	s_and_not1_saveexec_b32 s44, s44
; %bb.741:
	v_mov_b32_e32 v1, 0x7f
	v_cmp_lt_u32_e32 vcc_lo, 0x7f800000, v4
	s_delay_alu instid0(VALU_DEP_2)
	v_cndmask_b32_e32 v1, 0x7c, v1, vcc_lo
; %bb.742:
	s_or_b32 exec_lo, exec_lo, s44
	global_store_b8 v[2:3], v1, off
.LBB31_743:
	s_mov_b32 s46, 0
	s_mov_b32 s44, -1
.LBB31_744:
	s_and_not1_b32 vcc_lo, exec_lo, s46
	s_cbranch_vccnz .LBB31_752
; %bb.745:
	s_cmp_gt_i32 s43, 14
	s_mov_b32 s46, -1
	s_cbranch_scc0 .LBB31_749
; %bb.746:
	s_cmp_eq_u32 s43, 15
	s_mov_b32 s0, -1
	s_cbranch_scc0 .LBB31_748
; %bb.747:
	s_wait_xcnt 0x0
	s_delay_alu instid0(VALU_DEP_3) | instskip(SKIP_2) | instid1(VALU_DEP_1)
	v_clz_i32_u32_e32 v1, v7
	s_mov_b32 s44, -1
	s_mov_b32 s0, 0
	v_min_u32_e32 v1, 32, v1
	s_delay_alu instid0(VALU_DEP_1) | instskip(SKIP_1) | instid1(VALU_DEP_2)
	v_lshlrev_b64_e32 v[4:5], v1, v[6:7]
	v_sub_nc_u32_e32 v1, 32, v1
	v_min_u32_e32 v4, 1, v4
	s_delay_alu instid0(VALU_DEP_1) | instskip(NEXT) | instid1(VALU_DEP_1)
	v_or_b32_e32 v4, v5, v4
	v_cvt_f32_u32_e32 v4, v4
	s_delay_alu instid0(VALU_DEP_1) | instskip(NEXT) | instid1(VALU_DEP_1)
	v_ldexp_f32 v1, v4, v1
	v_bfe_u32 v4, v1, 16, 1
	s_delay_alu instid0(VALU_DEP_1)
	v_add3_u32 v1, v1, v4, 0x7fff
	global_store_d16_hi_b16 v[2:3], v1, off
.LBB31_748:
	s_mov_b32 s46, 0
.LBB31_749:
	s_delay_alu instid0(SALU_CYCLE_1)
	s_and_b32 vcc_lo, exec_lo, s46
	s_cbranch_vccz .LBB31_752
; %bb.750:
	s_cmp_eq_u32 s43, 11
	s_mov_b32 s0, -1
	s_cbranch_scc0 .LBB31_752
; %bb.751:
	s_delay_alu instid0(VALU_DEP_3)
	v_cmp_ne_u64_e32 vcc_lo, 0, v[6:7]
	s_mov_b32 s44, -1
	s_mov_b32 s0, 0
	s_wait_xcnt 0x0
	v_cndmask_b32_e64 v1, 0, 1, vcc_lo
	global_store_b8 v[2:3], v1, off
.LBB31_752:
	s_mov_b32 s43, 0
.LBB31_753:
	s_delay_alu instid0(SALU_CYCLE_1)
	s_and_b32 vcc_lo, exec_lo, s43
	s_cbranch_vccz .LBB31_792
; %bb.754:
	s_and_b32 s42, 0xffff, s42
	s_mov_b32 s43, -1
	s_cmp_lt_i32 s42, 5
	s_cbranch_scc1 .LBB31_775
; %bb.755:
	s_cmp_lt_i32 s42, 8
	s_cbranch_scc1 .LBB31_765
; %bb.756:
	;; [unrolled: 3-line block ×3, first 2 shown]
	s_cmp_gt_i32 s42, 9
	s_cbranch_scc0 .LBB31_759
; %bb.758:
	s_wait_xcnt 0x0
	s_delay_alu instid0(VALU_DEP_3) | instskip(NEXT) | instid1(VALU_DEP_4)
	v_cvt_f64_u32_e32 v[4:5], v7
	v_cvt_f64_u32_e32 v[8:9], v6
	s_mov_b32 s43, 0
	v_mov_b32_e32 v10, 0
	s_delay_alu instid0(VALU_DEP_1) | instskip(NEXT) | instid1(VALU_DEP_4)
	v_mov_b32_e32 v11, v10
	v_ldexp_f64 v[4:5], v[4:5], 32
	s_delay_alu instid0(VALU_DEP_1)
	v_add_f64_e32 v[8:9], v[4:5], v[8:9]
	global_store_b128 v[2:3], v[8:11], off
.LBB31_759:
	s_and_not1_b32 vcc_lo, exec_lo, s43
	s_cbranch_vccnz .LBB31_761
; %bb.760:
	s_wait_xcnt 0x0
	s_delay_alu instid0(VALU_DEP_3) | instskip(NEXT) | instid1(VALU_DEP_1)
	v_clz_i32_u32_e32 v1, v7
	v_min_u32_e32 v1, 32, v1
	s_delay_alu instid0(VALU_DEP_1) | instskip(SKIP_1) | instid1(VALU_DEP_2)
	v_lshlrev_b64_e32 v[4:5], v1, v[6:7]
	v_sub_nc_u32_e32 v1, 32, v1
	v_min_u32_e32 v4, 1, v4
	s_delay_alu instid0(VALU_DEP_1) | instskip(NEXT) | instid1(VALU_DEP_1)
	v_dual_mov_b32 v5, 0 :: v_dual_bitop2_b32 v4, v5, v4 bitop3:0x54
	v_cvt_f32_u32_e32 v4, v4
	s_delay_alu instid0(VALU_DEP_1)
	v_ldexp_f32 v4, v4, v1
	global_store_b64 v[2:3], v[4:5], off
.LBB31_761:
	s_mov_b32 s43, 0
.LBB31_762:
	s_delay_alu instid0(SALU_CYCLE_1)
	s_and_not1_b32 vcc_lo, exec_lo, s43
	s_cbranch_vccnz .LBB31_764
; %bb.763:
	s_wait_xcnt 0x0
	s_delay_alu instid0(VALU_DEP_3) | instskip(NEXT) | instid1(VALU_DEP_1)
	v_clz_i32_u32_e32 v1, v7
	v_min_u32_e32 v1, 32, v1
	s_delay_alu instid0(VALU_DEP_1) | instskip(SKIP_1) | instid1(VALU_DEP_2)
	v_lshlrev_b64_e32 v[4:5], v1, v[6:7]
	v_sub_nc_u32_e32 v1, 32, v1
	v_min_u32_e32 v4, 1, v4
	s_delay_alu instid0(VALU_DEP_1) | instskip(NEXT) | instid1(VALU_DEP_1)
	v_or_b32_e32 v4, v5, v4
	v_cvt_f32_u32_e32 v4, v4
	s_delay_alu instid0(VALU_DEP_1) | instskip(NEXT) | instid1(VALU_DEP_1)
	v_ldexp_f32 v1, v4, v1
	v_cvt_f16_f32_e32 v1, v1
	s_delay_alu instid0(VALU_DEP_1)
	v_and_b32_e32 v1, 0xffff, v1
	global_store_b32 v[2:3], v1, off
.LBB31_764:
	s_mov_b32 s43, 0
.LBB31_765:
	s_delay_alu instid0(SALU_CYCLE_1)
	s_and_not1_b32 vcc_lo, exec_lo, s43
	s_cbranch_vccnz .LBB31_774
; %bb.766:
	s_cmp_lt_i32 s42, 6
	s_mov_b32 s43, -1
	s_cbranch_scc1 .LBB31_772
; %bb.767:
	s_cmp_gt_i32 s42, 6
	s_cbranch_scc0 .LBB31_769
; %bb.768:
	s_wait_xcnt 0x0
	s_delay_alu instid0(VALU_DEP_3) | instskip(NEXT) | instid1(VALU_DEP_4)
	v_cvt_f64_u32_e32 v[4:5], v7
	v_cvt_f64_u32_e32 v[8:9], v6
	s_mov_b32 s43, 0
	s_delay_alu instid0(VALU_DEP_2) | instskip(NEXT) | instid1(VALU_DEP_1)
	v_ldexp_f64 v[4:5], v[4:5], 32
	v_add_f64_e32 v[4:5], v[4:5], v[8:9]
	global_store_b64 v[2:3], v[4:5], off
.LBB31_769:
	s_and_not1_b32 vcc_lo, exec_lo, s43
	s_cbranch_vccnz .LBB31_771
; %bb.770:
	s_wait_xcnt 0x0
	s_delay_alu instid0(VALU_DEP_3) | instskip(NEXT) | instid1(VALU_DEP_1)
	v_clz_i32_u32_e32 v1, v7
	v_min_u32_e32 v1, 32, v1
	s_delay_alu instid0(VALU_DEP_1) | instskip(SKIP_1) | instid1(VALU_DEP_2)
	v_lshlrev_b64_e32 v[4:5], v1, v[6:7]
	v_sub_nc_u32_e32 v1, 32, v1
	v_min_u32_e32 v4, 1, v4
	s_delay_alu instid0(VALU_DEP_1) | instskip(NEXT) | instid1(VALU_DEP_1)
	v_or_b32_e32 v4, v5, v4
	v_cvt_f32_u32_e32 v4, v4
	s_delay_alu instid0(VALU_DEP_1)
	v_ldexp_f32 v1, v4, v1
	global_store_b32 v[2:3], v1, off
.LBB31_771:
	s_mov_b32 s43, 0
.LBB31_772:
	s_delay_alu instid0(SALU_CYCLE_1)
	s_and_not1_b32 vcc_lo, exec_lo, s43
	s_cbranch_vccnz .LBB31_774
; %bb.773:
	s_wait_xcnt 0x0
	s_delay_alu instid0(VALU_DEP_3) | instskip(NEXT) | instid1(VALU_DEP_1)
	v_clz_i32_u32_e32 v1, v7
	v_min_u32_e32 v1, 32, v1
	s_delay_alu instid0(VALU_DEP_1) | instskip(SKIP_1) | instid1(VALU_DEP_2)
	v_lshlrev_b64_e32 v[4:5], v1, v[6:7]
	v_sub_nc_u32_e32 v1, 32, v1
	v_min_u32_e32 v4, 1, v4
	s_delay_alu instid0(VALU_DEP_1) | instskip(NEXT) | instid1(VALU_DEP_1)
	v_or_b32_e32 v4, v5, v4
	v_cvt_f32_u32_e32 v4, v4
	s_delay_alu instid0(VALU_DEP_1) | instskip(NEXT) | instid1(VALU_DEP_1)
	v_ldexp_f32 v1, v4, v1
	v_cvt_f16_f32_e32 v1, v1
	global_store_b16 v[2:3], v1, off
.LBB31_774:
	s_mov_b32 s43, 0
.LBB31_775:
	s_delay_alu instid0(SALU_CYCLE_1)
	s_and_not1_b32 vcc_lo, exec_lo, s43
	s_cbranch_vccnz .LBB31_791
; %bb.776:
	s_cmp_lt_i32 s42, 2
	s_mov_b32 s43, -1
	s_cbranch_scc1 .LBB31_786
; %bb.777:
	s_cmp_lt_i32 s42, 3
	s_cbranch_scc1 .LBB31_783
; %bb.778:
	s_cmp_gt_i32 s42, 3
	s_cbranch_scc0 .LBB31_780
; %bb.779:
	s_mov_b32 s43, 0
	global_store_b64 v[2:3], v[6:7], off
.LBB31_780:
	s_and_not1_b32 vcc_lo, exec_lo, s43
	s_cbranch_vccnz .LBB31_782
; %bb.781:
	global_store_b32 v[2:3], v6, off
.LBB31_782:
	s_mov_b32 s43, 0
.LBB31_783:
	s_delay_alu instid0(SALU_CYCLE_1)
	s_and_not1_b32 vcc_lo, exec_lo, s43
	s_cbranch_vccnz .LBB31_785
; %bb.784:
	global_store_b16 v[2:3], v6, off
.LBB31_785:
	s_mov_b32 s43, 0
.LBB31_786:
	s_delay_alu instid0(SALU_CYCLE_1)
	s_and_not1_b32 vcc_lo, exec_lo, s43
	s_cbranch_vccnz .LBB31_791
; %bb.787:
	s_cmp_gt_i32 s42, 0
	s_mov_b32 s42, -1
	s_cbranch_scc0 .LBB31_789
; %bb.788:
	s_mov_b32 s42, 0
	global_store_b8 v[2:3], v6, off
.LBB31_789:
	s_and_not1_b32 vcc_lo, exec_lo, s42
	s_cbranch_vccnz .LBB31_791
; %bb.790:
	global_store_b8 v[2:3], v6, off
.LBB31_791:
	s_mov_b32 s44, -1
.LBB31_792:
	s_delay_alu instid0(SALU_CYCLE_1)
	s_and_not1_b32 vcc_lo, exec_lo, s44
	s_cbranch_vccnz .LBB31_794
; %bb.793:
	v_add_nc_u32_e32 v0, 0x80, v0
	s_mov_b32 s46, -1
	s_branch .LBB31_796
.LBB31_794:
	s_mov_b32 s46, 0
.LBB31_795:
                                        ; implicit-def: $vgpr0
.LBB31_796:
	s_and_not1_b32 s42, s38, exec_lo
	s_and_b32 s0, s0, exec_lo
	s_and_b32 s25, s25, exec_lo
	s_or_b32 s43, s42, s0
	s_and_not1_b32 s0, s39, exec_lo
	s_and_not1_b32 s42, s40, exec_lo
	s_and_b32 s24, s24, exec_lo
	s_or_b32 s44, s0, s25
	s_or_b32 s42, s42, s24
	s_or_not1_b32 s47, s46, exec_lo
.LBB31_797:
	s_wait_xcnt 0x0
	s_or_b32 exec_lo, exec_lo, s45
	s_mov_b32 s25, 0
	s_mov_b32 s46, 0
	;; [unrolled: 1-line block ×3, first 2 shown]
                                        ; implicit-def: $sgpr0
                                        ; implicit-def: $vgpr8_vgpr9
                                        ; implicit-def: $vgpr6
                                        ; implicit-def: $vgpr2
                                        ; implicit-def: $vgpr4_vgpr5
	s_and_saveexec_b32 s45, s47
	s_cbranch_execz .LBB31_1292
; %bb.798:
	s_mov_b32 s51, -1
	s_mov_b32 s47, s42
	s_mov_b32 s49, s44
	;; [unrolled: 1-line block ×3, first 2 shown]
	s_mov_b32 s46, exec_lo
	v_cmpx_gt_i32_e64 s36, v0
	s_cbranch_execz .LBB31_1200
; %bb.799:
	s_and_not1_b32 vcc_lo, exec_lo, s29
	s_cbranch_vccnz .LBB31_805
; %bb.800:
	s_and_not1_b32 vcc_lo, exec_lo, s37
	s_cbranch_vccnz .LBB31_806
; %bb.801:
	v_dual_mov_b32 v2, 0 :: v_dual_mov_b32 v1, v0
	s_wait_loadcnt 0x0
	v_dual_mov_b32 v4, 0 :: v_dual_mov_b32 v6, 0
	s_add_co_i32 s0, s35, 1
	s_mov_b64 s[24:25], 0xffffffffffffffe8
	s_and_b32 s0, s0, 30
	s_add_nc_u64 s[24:25], s[2:3], s[24:25]
.LBB31_802:                             ; =>This Inner Loop Header: Depth=1
	s_clause 0x1
	s_load_b128 s[48:51], s[24:25], 0x1c
	s_load_b64 s[56:57], s[24:25], 0x2c
	s_add_co_i32 s0, s0, -2
	s_delay_alu instid0(SALU_CYCLE_1) | instskip(SKIP_2) | instid1(VALU_DEP_1)
	s_cmp_eq_u32 s0, 0
	s_wait_kmcnt 0x0
	v_mul_hi_u32 v3, s49, v1
	v_add_nc_u32_e32 v3, v1, v3
	s_delay_alu instid0(VALU_DEP_1) | instskip(NEXT) | instid1(VALU_DEP_1)
	v_lshrrev_b32_e32 v3, s50, v3
	v_mul_hi_u32 v5, s56, v3
	v_mul_lo_u32 v7, v3, s48
	s_clause 0x1
	s_load_b128 s[52:55], s[24:25], 0xdc
	s_load_b64 s[48:49], s[24:25], 0xec
	s_wait_xcnt 0x0
	s_add_nc_u64 s[24:25], s[24:25], 24
	s_delay_alu instid0(VALU_DEP_1) | instskip(NEXT) | instid1(VALU_DEP_1)
	v_dual_add_nc_u32 v5, v3, v5 :: v_dual_sub_nc_u32 v7, v1, v7
	v_lshrrev_b32_e32 v1, s57, v5
	s_wait_kmcnt 0x0
	s_delay_alu instid0(VALU_DEP_2) | instskip(NEXT) | instid1(VALU_DEP_2)
	v_mad_u32 v2, v7, s52, v2
	v_mul_lo_u32 v5, v1, s51
	v_mad_u32 v6, v7, s54, v6
	v_mad_u32 v4, v7, s53, v4
	s_delay_alu instid0(VALU_DEP_3) | instskip(NEXT) | instid1(VALU_DEP_1)
	v_sub_nc_u32_e32 v3, v3, v5
	v_mad_u32 v2, v3, s55, v2
	s_delay_alu instid0(VALU_DEP_4) | instskip(NEXT) | instid1(VALU_DEP_4)
	v_mad_u32 v6, v3, s49, v6
	v_mad_u32 v4, v3, s48, v4
	s_cbranch_scc0 .LBB31_802
; %bb.803:
	s_bitcmp1_b32 s35, 0
	s_cselect_b32 s0, -1, 0
	s_delay_alu instid0(SALU_CYCLE_1)
	s_and_b32 vcc_lo, exec_lo, s0
	s_cbranch_vccnz .LBB31_807
; %bb.804:
	s_clause 0x1
	s_load_b96 s[48:50], s[24:25], 0x1c
	s_load_b96 s[52:54], s[24:25], 0xdc
	s_wait_kmcnt 0x0
	v_mul_hi_u32 v3, s49, v1
	s_delay_alu instid0(VALU_DEP_1) | instskip(NEXT) | instid1(VALU_DEP_1)
	v_add_nc_u32_e32 v3, v1, v3
	v_lshrrev_b32_e32 v3, s50, v3
	s_delay_alu instid0(VALU_DEP_1) | instskip(NEXT) | instid1(VALU_DEP_1)
	v_mul_lo_u32 v3, v3, s48
	v_sub_nc_u32_e32 v1, v1, v3
	s_delay_alu instid0(VALU_DEP_1)
	v_mad_u32 v2, v1, s52, v2
	v_mad_u32 v4, v1, s53, v4
	;; [unrolled: 1-line block ×3, first 2 shown]
	s_branch .LBB31_807
.LBB31_805:
	s_mov_b32 s0, -1
                                        ; implicit-def: $vgpr6
                                        ; implicit-def: $vgpr4
                                        ; implicit-def: $vgpr2
	s_branch .LBB31_808
.LBB31_806:
	s_wait_loadcnt 0x0
	v_dual_mov_b32 v6, 0 :: v_dual_mov_b32 v4, 0
	v_mov_b32_e32 v2, 0
.LBB31_807:
	s_mov_b32 s0, 0
.LBB31_808:
	s_delay_alu instid0(SALU_CYCLE_1)
	s_and_not1_b32 vcc_lo, exec_lo, s0
	s_cbranch_vccnz .LBB31_811
; %bb.809:
	v_mov_b32_e32 v1, 0
	s_and_not1_b32 vcc_lo, exec_lo, s34
	s_delay_alu instid0(VALU_DEP_1) | instskip(NEXT) | instid1(VALU_DEP_1)
	v_mul_u64_e32 v[2:3], s[18:19], v[0:1]
	v_add_nc_u32_e32 v2, v0, v3
	s_wait_loadcnt 0x0
	s_delay_alu instid0(VALU_DEP_1) | instskip(NEXT) | instid1(VALU_DEP_1)
	v_lshrrev_b32_e32 v8, s10, v2
	v_mul_lo_u32 v2, v8, s8
	s_delay_alu instid0(VALU_DEP_1) | instskip(NEXT) | instid1(VALU_DEP_1)
	v_sub_nc_u32_e32 v3, v0, v2
	v_mul_lo_u32 v2, v3, s12
	v_mul_lo_u32 v6, v3, s14
	;; [unrolled: 1-line block ×3, first 2 shown]
	s_cbranch_vccnz .LBB31_811
; %bb.810:
	v_mov_b32_e32 v9, v1
	s_delay_alu instid0(VALU_DEP_1) | instskip(NEXT) | instid1(VALU_DEP_1)
	v_mul_u64_e32 v[10:11], s[22:23], v[8:9]
	v_add_nc_u32_e32 v1, v8, v11
	s_delay_alu instid0(VALU_DEP_1) | instskip(NEXT) | instid1(VALU_DEP_1)
	v_lshrrev_b32_e32 v1, s1, v1
	v_mul_lo_u32 v1, v1, s11
	s_delay_alu instid0(VALU_DEP_1) | instskip(NEXT) | instid1(VALU_DEP_1)
	v_sub_nc_u32_e32 v1, v8, v1
	v_mad_u32 v2, v1, s15, v2
	v_mad_u32 v4, v1, s20, v4
	;; [unrolled: 1-line block ×3, first 2 shown]
.LBB31_811:
	s_wait_loadcnt 0x0
	v_mov_b32_e32 v5, 0
	s_and_b32 s0, s33, 0xff
	s_delay_alu instid0(SALU_CYCLE_1) | instskip(NEXT) | instid1(VALU_DEP_1)
	s_cmp_lt_i32 s0, 11
	v_add_nc_u64_e32 v[8:9], s[6:7], v[4:5]
	s_cbranch_scc1 .LBB31_818
; %bb.812:
	s_and_b32 s25, 0xffff, s0
	s_delay_alu instid0(SALU_CYCLE_1)
	s_cmp_gt_i32 s25, 25
	s_cbranch_scc0 .LBB31_819
; %bb.813:
	s_cmp_gt_i32 s25, 28
	s_cbranch_scc0 .LBB31_820
; %bb.814:
	s_cmp_gt_i32 s25, 43
	s_cbranch_scc0 .LBB31_821
; %bb.815:
	s_cmp_gt_i32 s25, 45
	s_cbranch_scc0 .LBB31_822
; %bb.816:
	s_cmp_eq_u32 s25, 46
	s_mov_b32 s48, 0
	s_cbranch_scc0 .LBB31_825
; %bb.817:
	global_load_b32 v1, v[8:9], off
	s_mov_b32 s47, -1
	s_mov_b32 s24, 0
	s_wait_loadcnt 0x0
	v_lshlrev_b32_e32 v1, 16, v1
	s_delay_alu instid0(VALU_DEP_1) | instskip(NEXT) | instid1(VALU_DEP_1)
	v_trunc_f32_e32 v1, v1
	v_mul_f32_e64 v3, 0x2f800000, |v1|
	v_ashrrev_i32_e32 v4, 31, v1
	s_delay_alu instid0(VALU_DEP_2) | instskip(NEXT) | instid1(VALU_DEP_1)
	v_floor_f32_e32 v3, v3
	v_fma_f32 v5, 0xcf800000, v3, |v1|
	v_cvt_u32_f32_e32 v1, v3
	s_delay_alu instid0(VALU_DEP_2) | instskip(NEXT) | instid1(VALU_DEP_2)
	v_cvt_u32_f32_e32 v3, v5
	v_dual_mov_b32 v5, v4 :: v_dual_bitop2_b32 v11, v1, v4 bitop3:0x14
	s_delay_alu instid0(VALU_DEP_2) | instskip(NEXT) | instid1(VALU_DEP_1)
	v_xor_b32_e32 v10, v3, v4
	v_sub_nc_u64_e32 v[4:5], v[10:11], v[4:5]
	s_branch .LBB31_827
.LBB31_818:
	s_mov_b32 s25, -1
	s_mov_b32 s47, 0
	s_mov_b32 s24, s42
                                        ; implicit-def: $vgpr4_vgpr5
	s_branch .LBB31_888
.LBB31_819:
	s_mov_b32 s48, -1
	s_mov_b32 s47, 0
	s_mov_b32 s24, s42
                                        ; implicit-def: $vgpr4_vgpr5
	s_branch .LBB31_854
.LBB31_820:
	s_mov_b32 s48, -1
	s_mov_b32 s47, 0
	s_mov_b32 s24, s42
                                        ; implicit-def: $vgpr4_vgpr5
	s_branch .LBB31_837
.LBB31_821:
	s_mov_b32 s48, -1
	s_mov_b32 s47, 0
	s_mov_b32 s24, s42
                                        ; implicit-def: $vgpr4_vgpr5
	s_branch .LBB31_832
.LBB31_822:
	s_mov_b32 s48, -1
	s_mov_b32 s47, 0
	s_mov_b32 s24, s42
	s_branch .LBB31_826
.LBB31_823:
	s_and_not1_saveexec_b32 s47, s47
	s_cbranch_execz .LBB31_705
.LBB31_824:
	v_add_f32_e32 v1, 0x46000000, v4
	s_and_not1_b32 s46, s46, exec_lo
	s_delay_alu instid0(VALU_DEP_1) | instskip(NEXT) | instid1(VALU_DEP_1)
	v_and_b32_e32 v1, 0xff, v1
	v_cmp_ne_u32_e32 vcc_lo, 0, v1
	s_and_b32 s48, vcc_lo, exec_lo
	s_delay_alu instid0(SALU_CYCLE_1)
	s_or_b32 s46, s46, s48
	s_or_b32 exec_lo, exec_lo, s47
	v_mov_b32_e32 v5, 0
	s_and_saveexec_b32 s47, s46
	s_cbranch_execnz .LBB31_706
	s_branch .LBB31_707
.LBB31_825:
	s_mov_b32 s24, -1
	s_mov_b32 s47, 0
.LBB31_826:
                                        ; implicit-def: $vgpr4_vgpr5
.LBB31_827:
	s_and_b32 vcc_lo, exec_lo, s48
	s_cbranch_vccz .LBB31_831
; %bb.828:
	s_cmp_eq_u32 s25, 44
	s_cbranch_scc0 .LBB31_830
; %bb.829:
	global_load_u8 v1, v[8:9], off
	s_mov_b32 s24, 0
	s_mov_b32 s47, -1
	s_wait_loadcnt 0x0
	v_lshlrev_b32_e32 v3, 23, v1
	v_cmp_ne_u32_e32 vcc_lo, 0, v1
	s_delay_alu instid0(VALU_DEP_2) | instskip(NEXT) | instid1(VALU_DEP_1)
	v_trunc_f32_e32 v3, v3
	v_mul_f32_e64 v4, 0x2f800000, |v3|
	s_delay_alu instid0(VALU_DEP_1) | instskip(SKIP_1) | instid1(VALU_DEP_2)
	v_floor_f32_e32 v5, v4
	v_ashrrev_i32_e32 v4, 31, v3
	v_fma_f32 v7, 0xcf800000, v5, |v3|
	v_cvt_u32_f32_e32 v3, v5
	s_delay_alu instid0(VALU_DEP_3) | instskip(NEXT) | instid1(VALU_DEP_3)
	v_mov_b32_e32 v5, v4
	v_cvt_u32_f32_e32 v7, v7
	s_delay_alu instid0(VALU_DEP_3) | instskip(NEXT) | instid1(VALU_DEP_2)
	v_xor_b32_e32 v11, v3, v4
	v_xor_b32_e32 v10, v7, v4
	s_delay_alu instid0(VALU_DEP_1) | instskip(NEXT) | instid1(VALU_DEP_1)
	v_sub_nc_u64_e32 v[4:5], v[10:11], v[4:5]
	v_dual_cndmask_b32 v5, 0, v5 :: v_dual_cndmask_b32 v4, 0, v4
	s_branch .LBB31_831
.LBB31_830:
	s_mov_b32 s24, -1
                                        ; implicit-def: $vgpr4_vgpr5
.LBB31_831:
	s_mov_b32 s48, 0
.LBB31_832:
	s_delay_alu instid0(SALU_CYCLE_1)
	s_and_b32 vcc_lo, exec_lo, s48
	s_cbranch_vccz .LBB31_836
; %bb.833:
	s_cmp_eq_u32 s25, 29
	s_cbranch_scc0 .LBB31_835
; %bb.834:
	global_load_b64 v[4:5], v[8:9], off
	s_mov_b32 s47, -1
	s_mov_b32 s24, 0
	s_branch .LBB31_836
.LBB31_835:
	s_mov_b32 s24, -1
                                        ; implicit-def: $vgpr4_vgpr5
.LBB31_836:
	s_mov_b32 s48, 0
.LBB31_837:
	s_delay_alu instid0(SALU_CYCLE_1)
	s_and_b32 vcc_lo, exec_lo, s48
	s_cbranch_vccz .LBB31_853
; %bb.838:
	s_cmp_lt_i32 s25, 27
	s_cbranch_scc1 .LBB31_841
; %bb.839:
	s_cmp_gt_i32 s25, 27
	s_cbranch_scc0 .LBB31_842
; %bb.840:
	s_wait_loadcnt 0x0
	global_load_b32 v4, v[8:9], off
	v_mov_b32_e32 v5, 0
	s_mov_b32 s47, 0
	s_branch .LBB31_843
.LBB31_841:
	s_mov_b32 s47, -1
                                        ; implicit-def: $vgpr4_vgpr5
	s_branch .LBB31_846
.LBB31_842:
	s_mov_b32 s47, -1
                                        ; implicit-def: $vgpr4_vgpr5
.LBB31_843:
	s_delay_alu instid0(SALU_CYCLE_1)
	s_and_not1_b32 vcc_lo, exec_lo, s47
	s_cbranch_vccnz .LBB31_845
; %bb.844:
	global_load_u16 v1, v[8:9], off
	s_mov_b32 s47, 0
	s_wait_loadcnt 0x1
	v_mov_b32_e32 v5, s47
	s_wait_loadcnt 0x0
	v_and_b32_e32 v4, 0xffff, v1
.LBB31_845:
	s_mov_b32 s47, 0
.LBB31_846:
	s_delay_alu instid0(SALU_CYCLE_1)
	s_and_not1_b32 vcc_lo, exec_lo, s47
	s_cbranch_vccnz .LBB31_852
; %bb.847:
	global_load_u8 v1, v[8:9], off
	s_mov_b32 s48, 0
	s_mov_b32 s47, exec_lo
	s_wait_loadcnt 0x0
	v_cmpx_lt_i16_e32 0x7f, v1
	s_xor_b32 s47, exec_lo, s47
	s_cbranch_execz .LBB31_864
; %bb.848:
	v_cmp_ne_u16_e32 vcc_lo, 0x80, v1
	s_and_b32 s48, vcc_lo, exec_lo
	s_and_not1_saveexec_b32 s47, s47
	s_cbranch_execnz .LBB31_865
.LBB31_849:
	s_or_b32 exec_lo, exec_lo, s47
	v_mov_b64_e32 v[4:5], 0
	s_and_saveexec_b32 s47, s48
	s_cbranch_execz .LBB31_851
.LBB31_850:
	v_and_b32_e32 v3, 0xffff, v1
	s_delay_alu instid0(VALU_DEP_1) | instskip(SKIP_1) | instid1(VALU_DEP_2)
	v_and_b32_e32 v4, 7, v3
	v_bfe_u32 v10, v3, 3, 4
	v_clz_i32_u32_e32 v5, v4
	s_delay_alu instid0(VALU_DEP_2) | instskip(NEXT) | instid1(VALU_DEP_2)
	v_cmp_eq_u32_e32 vcc_lo, 0, v10
	v_min_u32_e32 v5, 32, v5
	s_delay_alu instid0(VALU_DEP_1) | instskip(NEXT) | instid1(VALU_DEP_1)
	v_subrev_nc_u32_e32 v7, 28, v5
	v_dual_lshlrev_b32 v3, v7, v3 :: v_dual_sub_nc_u32 v5, 29, v5
	s_delay_alu instid0(VALU_DEP_1) | instskip(NEXT) | instid1(VALU_DEP_1)
	v_dual_lshlrev_b32 v1, 24, v1 :: v_dual_bitop2_b32 v3, 7, v3 bitop3:0x40
	v_dual_cndmask_b32 v3, v4, v3, vcc_lo :: v_dual_cndmask_b32 v5, v10, v5, vcc_lo
	s_delay_alu instid0(VALU_DEP_2) | instskip(NEXT) | instid1(VALU_DEP_2)
	v_and_b32_e32 v1, 0x80000000, v1
	v_lshlrev_b32_e32 v3, 20, v3
	s_delay_alu instid0(VALU_DEP_3) | instskip(NEXT) | instid1(VALU_DEP_1)
	v_lshl_add_u32 v4, v5, 23, 0x3b800000
	v_or3_b32 v1, v1, v4, v3
	s_delay_alu instid0(VALU_DEP_1) | instskip(NEXT) | instid1(VALU_DEP_1)
	v_trunc_f32_e32 v1, v1
	v_mul_f32_e64 v3, 0x2f800000, |v1|
	v_ashrrev_i32_e32 v4, 31, v1
	s_delay_alu instid0(VALU_DEP_2) | instskip(NEXT) | instid1(VALU_DEP_1)
	v_floor_f32_e32 v3, v3
	v_fma_f32 v5, 0xcf800000, v3, |v1|
	v_cvt_u32_f32_e32 v1, v3
	s_delay_alu instid0(VALU_DEP_2) | instskip(NEXT) | instid1(VALU_DEP_2)
	v_cvt_u32_f32_e32 v3, v5
	v_dual_mov_b32 v5, v4 :: v_dual_bitop2_b32 v11, v1, v4 bitop3:0x14
	s_delay_alu instid0(VALU_DEP_2) | instskip(NEXT) | instid1(VALU_DEP_1)
	v_xor_b32_e32 v10, v3, v4
	v_sub_nc_u64_e32 v[4:5], v[10:11], v[4:5]
.LBB31_851:
	s_or_b32 exec_lo, exec_lo, s47
.LBB31_852:
	s_mov_b32 s47, -1
.LBB31_853:
	s_mov_b32 s48, 0
.LBB31_854:
	s_delay_alu instid0(SALU_CYCLE_1)
	s_and_b32 vcc_lo, exec_lo, s48
	s_cbranch_vccz .LBB31_887
; %bb.855:
	s_cmp_gt_i32 s25, 22
	s_cbranch_scc0 .LBB31_863
; %bb.856:
	s_cmp_lt_i32 s25, 24
	s_cbranch_scc1 .LBB31_866
; %bb.857:
	s_cmp_gt_i32 s25, 24
	s_cbranch_scc0 .LBB31_867
; %bb.858:
	global_load_u8 v1, v[8:9], off
	s_mov_b32 s48, 0
	s_mov_b32 s47, exec_lo
	s_wait_loadcnt 0x0
	v_cmpx_lt_i16_e32 0x7f, v1
	s_xor_b32 s47, exec_lo, s47
	s_cbranch_execz .LBB31_879
; %bb.859:
	v_cmp_ne_u16_e32 vcc_lo, 0x80, v1
	s_and_b32 s48, vcc_lo, exec_lo
	s_and_not1_saveexec_b32 s47, s47
	s_cbranch_execnz .LBB31_880
.LBB31_860:
	s_or_b32 exec_lo, exec_lo, s47
	v_mov_b64_e32 v[4:5], 0
	s_and_saveexec_b32 s47, s48
	s_cbranch_execz .LBB31_862
.LBB31_861:
	v_and_b32_e32 v3, 0xffff, v1
	s_delay_alu instid0(VALU_DEP_1) | instskip(SKIP_1) | instid1(VALU_DEP_2)
	v_and_b32_e32 v4, 3, v3
	v_bfe_u32 v10, v3, 2, 5
	v_clz_i32_u32_e32 v5, v4
	s_delay_alu instid0(VALU_DEP_2) | instskip(NEXT) | instid1(VALU_DEP_2)
	v_cmp_eq_u32_e32 vcc_lo, 0, v10
	v_min_u32_e32 v5, 32, v5
	s_delay_alu instid0(VALU_DEP_1) | instskip(NEXT) | instid1(VALU_DEP_1)
	v_subrev_nc_u32_e32 v7, 29, v5
	v_dual_lshlrev_b32 v3, v7, v3 :: v_dual_sub_nc_u32 v5, 30, v5
	s_delay_alu instid0(VALU_DEP_1) | instskip(NEXT) | instid1(VALU_DEP_1)
	v_dual_lshlrev_b32 v1, 24, v1 :: v_dual_bitop2_b32 v3, 3, v3 bitop3:0x40
	v_dual_cndmask_b32 v3, v4, v3, vcc_lo :: v_dual_cndmask_b32 v5, v10, v5, vcc_lo
	s_delay_alu instid0(VALU_DEP_2) | instskip(NEXT) | instid1(VALU_DEP_2)
	v_and_b32_e32 v1, 0x80000000, v1
	v_lshlrev_b32_e32 v3, 21, v3
	s_delay_alu instid0(VALU_DEP_3) | instskip(NEXT) | instid1(VALU_DEP_1)
	v_lshl_add_u32 v4, v5, 23, 0x37800000
	v_or3_b32 v1, v1, v4, v3
	s_delay_alu instid0(VALU_DEP_1) | instskip(NEXT) | instid1(VALU_DEP_1)
	v_trunc_f32_e32 v1, v1
	v_mul_f32_e64 v3, 0x2f800000, |v1|
	v_ashrrev_i32_e32 v4, 31, v1
	s_delay_alu instid0(VALU_DEP_2) | instskip(NEXT) | instid1(VALU_DEP_1)
	v_floor_f32_e32 v3, v3
	v_fma_f32 v5, 0xcf800000, v3, |v1|
	v_cvt_u32_f32_e32 v1, v3
	s_delay_alu instid0(VALU_DEP_2) | instskip(NEXT) | instid1(VALU_DEP_2)
	v_cvt_u32_f32_e32 v3, v5
	v_dual_mov_b32 v5, v4 :: v_dual_bitop2_b32 v11, v1, v4 bitop3:0x14
	s_delay_alu instid0(VALU_DEP_2) | instskip(NEXT) | instid1(VALU_DEP_1)
	v_xor_b32_e32 v10, v3, v4
	v_sub_nc_u64_e32 v[4:5], v[10:11], v[4:5]
.LBB31_862:
	s_or_b32 exec_lo, exec_lo, s47
	s_mov_b32 s47, 0
	s_branch .LBB31_868
.LBB31_863:
	s_mov_b32 s48, -1
                                        ; implicit-def: $vgpr4_vgpr5
	s_branch .LBB31_874
.LBB31_864:
	s_and_not1_saveexec_b32 s47, s47
	s_cbranch_execz .LBB31_849
.LBB31_865:
	v_cmp_ne_u16_e32 vcc_lo, 0, v1
	s_and_not1_b32 s48, s48, exec_lo
	s_and_b32 s49, vcc_lo, exec_lo
	s_delay_alu instid0(SALU_CYCLE_1)
	s_or_b32 s48, s48, s49
	s_or_b32 exec_lo, exec_lo, s47
	v_mov_b64_e32 v[4:5], 0
	s_and_saveexec_b32 s47, s48
	s_cbranch_execnz .LBB31_850
	s_branch .LBB31_851
.LBB31_866:
	s_mov_b32 s47, -1
                                        ; implicit-def: $vgpr4_vgpr5
	s_branch .LBB31_871
.LBB31_867:
	s_mov_b32 s47, -1
                                        ; implicit-def: $vgpr4_vgpr5
.LBB31_868:
	s_delay_alu instid0(SALU_CYCLE_1)
	s_and_b32 vcc_lo, exec_lo, s47
	s_cbranch_vccz .LBB31_870
; %bb.869:
	global_load_u8 v1, v[8:9], off
	s_wait_loadcnt 0x0
	v_lshlrev_b32_e32 v1, 24, v1
	s_delay_alu instid0(VALU_DEP_1) | instskip(NEXT) | instid1(VALU_DEP_1)
	v_and_b32_e32 v3, 0x7f000000, v1
	v_clz_i32_u32_e32 v4, v3
	v_add_nc_u32_e32 v7, 0x1000000, v3
	v_cmp_ne_u32_e32 vcc_lo, 0, v3
	s_delay_alu instid0(VALU_DEP_3) | instskip(NEXT) | instid1(VALU_DEP_1)
	v_min_u32_e32 v4, 32, v4
	v_sub_nc_u32_e64 v4, v4, 4 clamp
	s_delay_alu instid0(VALU_DEP_1) | instskip(NEXT) | instid1(VALU_DEP_1)
	v_dual_lshlrev_b32 v5, v4, v3 :: v_dual_lshlrev_b32 v4, 23, v4
	v_lshrrev_b32_e32 v5, 4, v5
	s_delay_alu instid0(VALU_DEP_1) | instskip(NEXT) | instid1(VALU_DEP_1)
	v_dual_sub_nc_u32 v4, v5, v4 :: v_dual_ashrrev_i32 v5, 8, v7
	v_add_nc_u32_e32 v4, 0x3c000000, v4
	s_delay_alu instid0(VALU_DEP_1) | instskip(NEXT) | instid1(VALU_DEP_1)
	v_and_or_b32 v4, 0x7f800000, v5, v4
	v_cndmask_b32_e32 v3, 0, v4, vcc_lo
	s_delay_alu instid0(VALU_DEP_1) | instskip(NEXT) | instid1(VALU_DEP_1)
	v_and_or_b32 v1, 0x80000000, v1, v3
	v_trunc_f32_e32 v1, v1
	s_delay_alu instid0(VALU_DEP_1) | instskip(SKIP_1) | instid1(VALU_DEP_2)
	v_mul_f32_e64 v3, 0x2f800000, |v1|
	v_ashrrev_i32_e32 v4, 31, v1
	v_floor_f32_e32 v3, v3
	s_delay_alu instid0(VALU_DEP_1) | instskip(SKIP_1) | instid1(VALU_DEP_2)
	v_fma_f32 v5, 0xcf800000, v3, |v1|
	v_cvt_u32_f32_e32 v1, v3
	v_cvt_u32_f32_e32 v3, v5
	s_delay_alu instid0(VALU_DEP_2) | instskip(NEXT) | instid1(VALU_DEP_2)
	v_dual_mov_b32 v5, v4 :: v_dual_bitop2_b32 v11, v1, v4 bitop3:0x14
	v_xor_b32_e32 v10, v3, v4
	s_delay_alu instid0(VALU_DEP_1)
	v_sub_nc_u64_e32 v[4:5], v[10:11], v[4:5]
.LBB31_870:
	s_mov_b32 s47, 0
.LBB31_871:
	s_delay_alu instid0(SALU_CYCLE_1)
	s_and_not1_b32 vcc_lo, exec_lo, s47
	s_cbranch_vccnz .LBB31_873
; %bb.872:
	global_load_u8 v1, v[8:9], off
	s_wait_loadcnt 0x0
	v_lshlrev_b32_e32 v3, 25, v1
	v_lshlrev_b16 v1, 8, v1
	s_delay_alu instid0(VALU_DEP_1) | instskip(NEXT) | instid1(VALU_DEP_3)
	v_and_or_b32 v5, 0x7f00, v1, 0.5
	v_lshrrev_b32_e32 v4, 4, v3
	v_bfe_i32 v1, v1, 0, 16
	s_delay_alu instid0(VALU_DEP_3) | instskip(NEXT) | instid1(VALU_DEP_3)
	v_add_f32_e32 v5, -0.5, v5
	v_or_b32_e32 v4, 0x70000000, v4
	s_delay_alu instid0(VALU_DEP_1) | instskip(SKIP_1) | instid1(VALU_DEP_2)
	v_mul_f32_e32 v4, 0x7800000, v4
	v_cmp_gt_u32_e32 vcc_lo, 0x8000000, v3
	v_cndmask_b32_e32 v3, v4, v5, vcc_lo
	s_delay_alu instid0(VALU_DEP_1) | instskip(NEXT) | instid1(VALU_DEP_1)
	v_and_or_b32 v1, 0x80000000, v1, v3
	v_trunc_f32_e32 v1, v1
	s_delay_alu instid0(VALU_DEP_1) | instskip(SKIP_1) | instid1(VALU_DEP_2)
	v_mul_f32_e64 v3, 0x2f800000, |v1|
	v_ashrrev_i32_e32 v4, 31, v1
	v_floor_f32_e32 v3, v3
	s_delay_alu instid0(VALU_DEP_1) | instskip(SKIP_1) | instid1(VALU_DEP_2)
	v_fma_f32 v5, 0xcf800000, v3, |v1|
	v_cvt_u32_f32_e32 v1, v3
	v_cvt_u32_f32_e32 v3, v5
	s_delay_alu instid0(VALU_DEP_2) | instskip(NEXT) | instid1(VALU_DEP_2)
	v_dual_mov_b32 v5, v4 :: v_dual_bitop2_b32 v11, v1, v4 bitop3:0x14
	v_xor_b32_e32 v10, v3, v4
	s_delay_alu instid0(VALU_DEP_1)
	v_sub_nc_u64_e32 v[4:5], v[10:11], v[4:5]
.LBB31_873:
	s_mov_b32 s48, 0
	s_mov_b32 s47, -1
.LBB31_874:
	s_and_not1_b32 vcc_lo, exec_lo, s48
	s_cbranch_vccnz .LBB31_887
; %bb.875:
	s_cmp_gt_i32 s25, 14
	s_cbranch_scc0 .LBB31_878
; %bb.876:
	s_cmp_eq_u32 s25, 15
	s_cbranch_scc0 .LBB31_881
; %bb.877:
	global_load_u16 v1, v[8:9], off
	s_mov_b32 s47, -1
	s_mov_b32 s24, 0
	s_wait_loadcnt 0x0
	v_lshlrev_b32_e32 v1, 16, v1
	s_delay_alu instid0(VALU_DEP_1) | instskip(NEXT) | instid1(VALU_DEP_1)
	v_trunc_f32_e32 v1, v1
	v_mul_f32_e64 v3, 0x2f800000, |v1|
	v_ashrrev_i32_e32 v4, 31, v1
	s_delay_alu instid0(VALU_DEP_2) | instskip(NEXT) | instid1(VALU_DEP_1)
	v_floor_f32_e32 v3, v3
	v_fma_f32 v5, 0xcf800000, v3, |v1|
	v_cvt_u32_f32_e32 v1, v3
	s_delay_alu instid0(VALU_DEP_2) | instskip(NEXT) | instid1(VALU_DEP_2)
	v_cvt_u32_f32_e32 v3, v5
	v_dual_mov_b32 v5, v4 :: v_dual_bitop2_b32 v11, v1, v4 bitop3:0x14
	s_delay_alu instid0(VALU_DEP_2) | instskip(NEXT) | instid1(VALU_DEP_1)
	v_xor_b32_e32 v10, v3, v4
	v_sub_nc_u64_e32 v[4:5], v[10:11], v[4:5]
	s_branch .LBB31_882
.LBB31_878:
	s_mov_b32 s48, -1
                                        ; implicit-def: $vgpr4_vgpr5
	s_branch .LBB31_883
.LBB31_879:
	s_and_not1_saveexec_b32 s47, s47
	s_cbranch_execz .LBB31_860
.LBB31_880:
	v_cmp_ne_u16_e32 vcc_lo, 0, v1
	s_and_not1_b32 s48, s48, exec_lo
	s_and_b32 s49, vcc_lo, exec_lo
	s_delay_alu instid0(SALU_CYCLE_1)
	s_or_b32 s48, s48, s49
	s_or_b32 exec_lo, exec_lo, s47
	v_mov_b64_e32 v[4:5], 0
	s_and_saveexec_b32 s47, s48
	s_cbranch_execnz .LBB31_861
	s_branch .LBB31_862
.LBB31_881:
	s_mov_b32 s24, -1
                                        ; implicit-def: $vgpr4_vgpr5
.LBB31_882:
	s_mov_b32 s48, 0
.LBB31_883:
	s_delay_alu instid0(SALU_CYCLE_1)
	s_and_b32 vcc_lo, exec_lo, s48
	s_cbranch_vccz .LBB31_887
; %bb.884:
	s_cmp_eq_u32 s25, 11
	s_cbranch_scc0 .LBB31_886
; %bb.885:
	global_load_u8 v1, v[8:9], off
	s_mov_b32 s24, 0
	s_mov_b32 s47, -1
	s_wait_loadcnt 0x1
	v_mov_b32_e32 v5, s24
	s_wait_loadcnt 0x0
	v_cmp_ne_u16_e32 vcc_lo, 0, v1
	v_cndmask_b32_e64 v4, 0, 1, vcc_lo
	s_branch .LBB31_887
.LBB31_886:
	s_mov_b32 s24, -1
                                        ; implicit-def: $vgpr4_vgpr5
.LBB31_887:
	s_mov_b32 s25, 0
.LBB31_888:
	s_delay_alu instid0(SALU_CYCLE_1)
	s_and_b32 vcc_lo, exec_lo, s25
	s_cbranch_vccz .LBB31_937
; %bb.889:
	s_and_b32 s0, 0xffff, s0
	s_delay_alu instid0(SALU_CYCLE_1)
	s_cmp_lt_i32 s0, 5
	s_cbranch_scc1 .LBB31_894
; %bb.890:
	s_cmp_lt_i32 s0, 8
	s_cbranch_scc1 .LBB31_895
; %bb.891:
	;; [unrolled: 3-line block ×3, first 2 shown]
	s_cmp_gt_i32 s0, 9
	s_cbranch_scc0 .LBB31_897
; %bb.893:
	s_wait_loadcnt 0x0
	global_load_b64 v[4:5], v[8:9], off
	s_mov_b32 s25, 0
	s_wait_loadcnt 0x0
	v_trunc_f64_e32 v[4:5], v[4:5]
	s_delay_alu instid0(VALU_DEP_1) | instskip(NEXT) | instid1(VALU_DEP_1)
	v_ldexp_f64 v[10:11], v[4:5], 0xffffffe0
	v_floor_f64_e32 v[10:11], v[10:11]
	s_delay_alu instid0(VALU_DEP_1) | instskip(SKIP_1) | instid1(VALU_DEP_2)
	v_fmamk_f64 v[12:13], v[10:11], 0xc1f00000, v[4:5]
	v_cvt_i32_f64_e32 v5, v[10:11]
	v_cvt_u32_f64_e32 v4, v[12:13]
	s_branch .LBB31_898
.LBB31_894:
	s_mov_b32 s25, -1
                                        ; implicit-def: $vgpr4_vgpr5
	s_branch .LBB31_916
.LBB31_895:
	s_mov_b32 s25, -1
                                        ; implicit-def: $vgpr4_vgpr5
	s_branch .LBB31_904
.LBB31_896:
	s_mov_b32 s25, -1
                                        ; implicit-def: $vgpr4_vgpr5
	s_branch .LBB31_901
.LBB31_897:
	s_mov_b32 s25, -1
                                        ; implicit-def: $vgpr4_vgpr5
.LBB31_898:
	s_delay_alu instid0(SALU_CYCLE_1)
	s_and_not1_b32 vcc_lo, exec_lo, s25
	s_cbranch_vccnz .LBB31_900
; %bb.899:
	global_load_b32 v1, v[8:9], off
	s_wait_loadcnt 0x0
	v_trunc_f32_e32 v1, v1
	s_delay_alu instid0(VALU_DEP_1) | instskip(SKIP_1) | instid1(VALU_DEP_2)
	v_mul_f32_e64 v3, 0x2f800000, |v1|
	v_ashrrev_i32_e32 v4, 31, v1
	v_floor_f32_e32 v3, v3
	s_delay_alu instid0(VALU_DEP_1) | instskip(SKIP_1) | instid1(VALU_DEP_2)
	v_fma_f32 v5, 0xcf800000, v3, |v1|
	v_cvt_u32_f32_e32 v1, v3
	v_cvt_u32_f32_e32 v3, v5
	s_delay_alu instid0(VALU_DEP_2) | instskip(NEXT) | instid1(VALU_DEP_2)
	v_dual_mov_b32 v5, v4 :: v_dual_bitop2_b32 v11, v1, v4 bitop3:0x14
	v_xor_b32_e32 v10, v3, v4
	s_delay_alu instid0(VALU_DEP_1)
	v_sub_nc_u64_e32 v[4:5], v[10:11], v[4:5]
.LBB31_900:
	s_mov_b32 s25, 0
.LBB31_901:
	s_delay_alu instid0(SALU_CYCLE_1)
	s_and_not1_b32 vcc_lo, exec_lo, s25
	s_cbranch_vccnz .LBB31_903
; %bb.902:
	global_load_b32 v1, v[8:9], off
	s_wait_loadcnt 0x0
	v_cvt_f32_f16_e32 v1, v1
	s_delay_alu instid0(VALU_DEP_1) | instskip(NEXT) | instid1(VALU_DEP_1)
	v_cvt_i32_f32_e32 v4, v1
	v_ashrrev_i32_e32 v5, 31, v4
.LBB31_903:
	s_mov_b32 s25, 0
.LBB31_904:
	s_delay_alu instid0(SALU_CYCLE_1)
	s_and_not1_b32 vcc_lo, exec_lo, s25
	s_cbranch_vccnz .LBB31_915
; %bb.905:
	s_cmp_lt_i32 s0, 6
	s_cbranch_scc1 .LBB31_908
; %bb.906:
	s_cmp_gt_i32 s0, 6
	s_cbranch_scc0 .LBB31_909
; %bb.907:
	s_wait_loadcnt 0x0
	global_load_b64 v[4:5], v[8:9], off
	s_mov_b32 s25, 0
	s_wait_loadcnt 0x0
	v_trunc_f64_e32 v[4:5], v[4:5]
	s_delay_alu instid0(VALU_DEP_1) | instskip(NEXT) | instid1(VALU_DEP_1)
	v_ldexp_f64 v[10:11], v[4:5], 0xffffffe0
	v_floor_f64_e32 v[10:11], v[10:11]
	s_delay_alu instid0(VALU_DEP_1) | instskip(SKIP_1) | instid1(VALU_DEP_2)
	v_fmamk_f64 v[12:13], v[10:11], 0xc1f00000, v[4:5]
	v_cvt_i32_f64_e32 v5, v[10:11]
	v_cvt_u32_f64_e32 v4, v[12:13]
	s_branch .LBB31_910
.LBB31_908:
	s_mov_b32 s25, -1
                                        ; implicit-def: $vgpr4_vgpr5
	s_branch .LBB31_913
.LBB31_909:
	s_mov_b32 s25, -1
                                        ; implicit-def: $vgpr4_vgpr5
.LBB31_910:
	s_delay_alu instid0(SALU_CYCLE_1)
	s_and_not1_b32 vcc_lo, exec_lo, s25
	s_cbranch_vccnz .LBB31_912
; %bb.911:
	global_load_b32 v1, v[8:9], off
	s_wait_loadcnt 0x0
	v_trunc_f32_e32 v1, v1
	s_delay_alu instid0(VALU_DEP_1) | instskip(SKIP_1) | instid1(VALU_DEP_2)
	v_mul_f32_e64 v3, 0x2f800000, |v1|
	v_ashrrev_i32_e32 v4, 31, v1
	v_floor_f32_e32 v3, v3
	s_delay_alu instid0(VALU_DEP_1) | instskip(SKIP_1) | instid1(VALU_DEP_2)
	v_fma_f32 v5, 0xcf800000, v3, |v1|
	v_cvt_u32_f32_e32 v1, v3
	v_cvt_u32_f32_e32 v3, v5
	s_delay_alu instid0(VALU_DEP_2) | instskip(NEXT) | instid1(VALU_DEP_2)
	v_dual_mov_b32 v5, v4 :: v_dual_bitop2_b32 v11, v1, v4 bitop3:0x14
	v_xor_b32_e32 v10, v3, v4
	s_delay_alu instid0(VALU_DEP_1)
	v_sub_nc_u64_e32 v[4:5], v[10:11], v[4:5]
.LBB31_912:
	s_mov_b32 s25, 0
.LBB31_913:
	s_delay_alu instid0(SALU_CYCLE_1)
	s_and_not1_b32 vcc_lo, exec_lo, s25
	s_cbranch_vccnz .LBB31_915
; %bb.914:
	global_load_u16 v1, v[8:9], off
	s_wait_loadcnt 0x0
	v_cvt_f32_f16_e32 v1, v1
	s_delay_alu instid0(VALU_DEP_1) | instskip(NEXT) | instid1(VALU_DEP_1)
	v_cvt_i32_f32_e32 v4, v1
	v_ashrrev_i32_e32 v5, 31, v4
.LBB31_915:
	s_mov_b32 s25, 0
.LBB31_916:
	s_delay_alu instid0(SALU_CYCLE_1)
	s_and_not1_b32 vcc_lo, exec_lo, s25
	s_cbranch_vccnz .LBB31_936
; %bb.917:
	s_cmp_lt_i32 s0, 2
	s_cbranch_scc1 .LBB31_921
; %bb.918:
	s_cmp_lt_i32 s0, 3
	s_cbranch_scc1 .LBB31_922
; %bb.919:
	s_cmp_gt_i32 s0, 3
	s_cbranch_scc0 .LBB31_923
; %bb.920:
	s_wait_loadcnt 0x0
	global_load_b64 v[4:5], v[8:9], off
	s_mov_b32 s25, 0
	s_branch .LBB31_924
.LBB31_921:
	s_mov_b32 s25, -1
                                        ; implicit-def: $vgpr4_vgpr5
	s_branch .LBB31_930
.LBB31_922:
	s_mov_b32 s25, -1
                                        ; implicit-def: $vgpr4_vgpr5
	s_branch .LBB31_927
.LBB31_923:
	s_mov_b32 s25, -1
                                        ; implicit-def: $vgpr4_vgpr5
.LBB31_924:
	s_delay_alu instid0(SALU_CYCLE_1)
	s_and_not1_b32 vcc_lo, exec_lo, s25
	s_cbranch_vccnz .LBB31_926
; %bb.925:
	s_wait_loadcnt 0x0
	global_load_b32 v4, v[8:9], off
	s_wait_loadcnt 0x0
	v_ashrrev_i32_e32 v5, 31, v4
.LBB31_926:
	s_mov_b32 s25, 0
.LBB31_927:
	s_delay_alu instid0(SALU_CYCLE_1)
	s_and_not1_b32 vcc_lo, exec_lo, s25
	s_cbranch_vccnz .LBB31_929
; %bb.928:
	global_load_u16 v1, v[8:9], off
	s_wait_loadcnt 0x0
	v_bfe_i32 v4, v1, 0, 16
	s_delay_alu instid0(VALU_DEP_1)
	v_ashrrev_i32_e32 v5, 31, v4
.LBB31_929:
	s_mov_b32 s25, 0
.LBB31_930:
	s_delay_alu instid0(SALU_CYCLE_1)
	s_and_not1_b32 vcc_lo, exec_lo, s25
	s_cbranch_vccnz .LBB31_936
; %bb.931:
	s_cmp_gt_i32 s0, 0
	s_mov_b32 s0, 0
	s_cbranch_scc0 .LBB31_933
; %bb.932:
	global_load_i8 v1, v[8:9], off
	s_wait_loadcnt 0x0
	v_bfe_i32 v4, v1, 0, 16
	s_delay_alu instid0(VALU_DEP_1)
	v_ashrrev_i32_e32 v5, 31, v4
	s_branch .LBB31_934
.LBB31_933:
	s_mov_b32 s0, -1
                                        ; implicit-def: $vgpr4_vgpr5
.LBB31_934:
	s_delay_alu instid0(SALU_CYCLE_1)
	s_and_not1_b32 vcc_lo, exec_lo, s0
	s_cbranch_vccnz .LBB31_936
; %bb.935:
	global_load_u8 v1, v[8:9], off
	s_mov_b32 s0, 0
	s_wait_loadcnt 0x1
	v_mov_b32_e32 v5, s0
	s_wait_loadcnt 0x0
	v_and_b32_e32 v4, 0xffff, v1
.LBB31_936:
	s_mov_b32 s47, -1
.LBB31_937:
	s_delay_alu instid0(SALU_CYCLE_1)
	s_and_not1_b32 vcc_lo, exec_lo, s47
	s_cbranch_vccnz .LBB31_945
; %bb.938:
	v_mov_b32_e32 v7, 0
	s_and_b32 s0, s9, 0xff
	s_delay_alu instid0(SALU_CYCLE_1) | instskip(NEXT) | instid1(VALU_DEP_1)
	s_cmp_lt_i32 s0, 11
	v_add_nc_u64_e32 v[6:7], s[16:17], v[6:7]
	s_cbranch_scc1 .LBB31_946
; %bb.939:
	s_and_b32 s47, 0xffff, s0
	s_delay_alu instid0(SALU_CYCLE_1)
	s_cmp_gt_i32 s47, 25
	s_cbranch_scc0 .LBB31_947
; %bb.940:
	s_cmp_gt_i32 s47, 28
	s_cbranch_scc0 .LBB31_948
; %bb.941:
	;; [unrolled: 3-line block ×4, first 2 shown]
	s_cmp_eq_u32 s47, 46
	s_mov_b32 s49, 0
	s_cbranch_scc0 .LBB31_953
; %bb.944:
	global_load_b32 v1, v[6:7], off
	s_mov_b32 s48, -1
	s_mov_b32 s25, 0
	s_wait_loadcnt 0x0
	v_lshlrev_b32_e32 v1, 16, v1
	s_delay_alu instid0(VALU_DEP_1) | instskip(NEXT) | instid1(VALU_DEP_1)
	v_trunc_f32_e32 v1, v1
	v_mul_f32_e64 v3, 0x2f800000, |v1|
	s_wait_xcnt 0x1
	v_ashrrev_i32_e32 v8, 31, v1
	s_delay_alu instid0(VALU_DEP_2) | instskip(NEXT) | instid1(VALU_DEP_1)
	v_floor_f32_e32 v3, v3
	v_fma_f32 v9, 0xcf800000, v3, |v1|
	v_cvt_u32_f32_e32 v1, v3
	s_delay_alu instid0(VALU_DEP_2) | instskip(NEXT) | instid1(VALU_DEP_2)
	v_cvt_u32_f32_e32 v3, v9
	v_dual_mov_b32 v9, v8 :: v_dual_bitop2_b32 v11, v1, v8 bitop3:0x14
	s_delay_alu instid0(VALU_DEP_2) | instskip(NEXT) | instid1(VALU_DEP_1)
	v_xor_b32_e32 v10, v3, v8
	v_sub_nc_u64_e32 v[8:9], v[10:11], v[8:9]
	s_branch .LBB31_955
.LBB31_945:
	s_mov_b32 s50, 0
	s_mov_b32 s0, s43
	;; [unrolled: 1-line block ×3, first 2 shown]
	s_branch .LBB31_1198
.LBB31_946:
	s_mov_b32 s47, -1
	s_mov_b32 s48, 0
	s_mov_b32 s25, s44
                                        ; implicit-def: $vgpr8_vgpr9
	s_branch .LBB31_1016
.LBB31_947:
	s_mov_b32 s49, -1
	s_mov_b32 s48, 0
	s_mov_b32 s25, s44
                                        ; implicit-def: $vgpr8_vgpr9
	s_branch .LBB31_982
.LBB31_948:
	s_mov_b32 s49, -1
	s_mov_b32 s48, 0
	s_mov_b32 s25, s44
                                        ; implicit-def: $vgpr8_vgpr9
	s_branch .LBB31_965
.LBB31_949:
	s_mov_b32 s49, -1
	s_mov_b32 s48, 0
	s_mov_b32 s25, s44
                                        ; implicit-def: $vgpr8_vgpr9
	s_branch .LBB31_960
.LBB31_950:
	s_mov_b32 s49, -1
	s_mov_b32 s48, 0
	s_mov_b32 s25, s44
	s_branch .LBB31_954
.LBB31_951:
	s_and_not1_saveexec_b32 s47, s47
	s_cbranch_execz .LBB31_718
.LBB31_952:
	v_add_f32_e32 v1, 0x42800000, v4
	s_and_not1_b32 s46, s46, exec_lo
	s_delay_alu instid0(VALU_DEP_1) | instskip(NEXT) | instid1(VALU_DEP_1)
	v_and_b32_e32 v1, 0xff, v1
	v_cmp_ne_u32_e32 vcc_lo, 0, v1
	s_and_b32 s48, vcc_lo, exec_lo
	s_delay_alu instid0(SALU_CYCLE_1)
	s_or_b32 s46, s46, s48
	s_or_b32 exec_lo, exec_lo, s47
	v_mov_b32_e32 v5, 0
	s_and_saveexec_b32 s47, s46
	s_cbranch_execnz .LBB31_719
	s_branch .LBB31_720
.LBB31_953:
	s_mov_b32 s25, -1
	s_mov_b32 s48, 0
.LBB31_954:
                                        ; implicit-def: $vgpr8_vgpr9
.LBB31_955:
	s_and_b32 vcc_lo, exec_lo, s49
	s_cbranch_vccz .LBB31_959
; %bb.956:
	s_cmp_eq_u32 s47, 44
	s_cbranch_scc0 .LBB31_958
; %bb.957:
	global_load_u8 v1, v[6:7], off
	s_mov_b32 s25, 0
	s_mov_b32 s48, -1
	s_wait_loadcnt 0x0
	v_lshlrev_b32_e32 v3, 23, v1
	v_cmp_ne_u32_e32 vcc_lo, 0, v1
	s_delay_alu instid0(VALU_DEP_2) | instskip(SKIP_1) | instid1(VALU_DEP_1)
	v_trunc_f32_e32 v3, v3
	s_wait_xcnt 0x1
	v_mul_f32_e64 v8, 0x2f800000, |v3|
	s_delay_alu instid0(VALU_DEP_1) | instskip(SKIP_1) | instid1(VALU_DEP_2)
	v_floor_f32_e32 v9, v8
	v_ashrrev_i32_e32 v8, 31, v3
	v_fma_f32 v10, 0xcf800000, v9, |v3|
	v_cvt_u32_f32_e32 v3, v9
	s_delay_alu instid0(VALU_DEP_3) | instskip(NEXT) | instid1(VALU_DEP_3)
	v_mov_b32_e32 v9, v8
	v_cvt_u32_f32_e32 v10, v10
	s_delay_alu instid0(VALU_DEP_3) | instskip(NEXT) | instid1(VALU_DEP_2)
	v_xor_b32_e32 v11, v3, v8
	v_xor_b32_e32 v10, v10, v8
	s_delay_alu instid0(VALU_DEP_1) | instskip(NEXT) | instid1(VALU_DEP_1)
	v_sub_nc_u64_e32 v[8:9], v[10:11], v[8:9]
	v_dual_cndmask_b32 v9, 0, v9 :: v_dual_cndmask_b32 v8, 0, v8
	s_branch .LBB31_959
.LBB31_958:
	s_mov_b32 s25, -1
                                        ; implicit-def: $vgpr8_vgpr9
.LBB31_959:
	s_mov_b32 s49, 0
.LBB31_960:
	s_delay_alu instid0(SALU_CYCLE_1)
	s_and_b32 vcc_lo, exec_lo, s49
	s_cbranch_vccz .LBB31_964
; %bb.961:
	s_cmp_eq_u32 s47, 29
	s_cbranch_scc0 .LBB31_963
; %bb.962:
	global_load_b64 v[8:9], v[6:7], off
	s_mov_b32 s48, -1
	s_mov_b32 s25, 0
	s_branch .LBB31_964
.LBB31_963:
	s_mov_b32 s25, -1
                                        ; implicit-def: $vgpr8_vgpr9
.LBB31_964:
	s_mov_b32 s49, 0
.LBB31_965:
	s_delay_alu instid0(SALU_CYCLE_1)
	s_and_b32 vcc_lo, exec_lo, s49
	s_cbranch_vccz .LBB31_981
; %bb.966:
	s_cmp_lt_i32 s47, 27
	s_cbranch_scc1 .LBB31_969
; %bb.967:
	s_cmp_gt_i32 s47, 27
	s_cbranch_scc0 .LBB31_970
; %bb.968:
	s_wait_loadcnt 0x0
	global_load_b32 v8, v[6:7], off
	v_mov_b32_e32 v9, 0
	s_mov_b32 s48, 0
	s_branch .LBB31_971
.LBB31_969:
	s_mov_b32 s48, -1
                                        ; implicit-def: $vgpr8_vgpr9
	s_branch .LBB31_974
.LBB31_970:
	s_mov_b32 s48, -1
                                        ; implicit-def: $vgpr8_vgpr9
.LBB31_971:
	s_delay_alu instid0(SALU_CYCLE_1)
	s_and_not1_b32 vcc_lo, exec_lo, s48
	s_cbranch_vccnz .LBB31_973
; %bb.972:
	global_load_u16 v1, v[6:7], off
	s_mov_b32 s48, 0
	s_wait_loadcnt 0x1
	s_wait_xcnt 0x1
	v_mov_b32_e32 v9, s48
	s_wait_loadcnt 0x0
	v_and_b32_e32 v8, 0xffff, v1
.LBB31_973:
	s_mov_b32 s48, 0
.LBB31_974:
	s_delay_alu instid0(SALU_CYCLE_1)
	s_and_not1_b32 vcc_lo, exec_lo, s48
	s_cbranch_vccnz .LBB31_980
; %bb.975:
	global_load_u8 v1, v[6:7], off
	s_mov_b32 s49, 0
	s_mov_b32 s48, exec_lo
	s_wait_loadcnt 0x0
	v_cmpx_lt_i16_e32 0x7f, v1
	s_xor_b32 s48, exec_lo, s48
	s_cbranch_execz .LBB31_992
; %bb.976:
	v_cmp_ne_u16_e32 vcc_lo, 0x80, v1
	s_and_b32 s49, vcc_lo, exec_lo
	s_and_not1_saveexec_b32 s48, s48
	s_cbranch_execnz .LBB31_993
.LBB31_977:
	s_or_b32 exec_lo, exec_lo, s48
	v_mov_b64_e32 v[8:9], 0
	s_and_saveexec_b32 s48, s49
	s_cbranch_execz .LBB31_979
.LBB31_978:
	v_and_b32_e32 v3, 0xffff, v1
	s_delay_alu instid0(VALU_DEP_1) | instskip(SKIP_1) | instid1(VALU_DEP_2)
	v_and_b32_e32 v8, 7, v3
	v_bfe_u32 v11, v3, 3, 4
	v_clz_i32_u32_e32 v9, v8
	s_delay_alu instid0(VALU_DEP_2) | instskip(NEXT) | instid1(VALU_DEP_2)
	v_cmp_eq_u32_e32 vcc_lo, 0, v11
	v_min_u32_e32 v9, 32, v9
	s_delay_alu instid0(VALU_DEP_1) | instskip(NEXT) | instid1(VALU_DEP_1)
	v_subrev_nc_u32_e32 v10, 28, v9
	v_dual_lshlrev_b32 v3, v10, v3 :: v_dual_sub_nc_u32 v9, 29, v9
	s_delay_alu instid0(VALU_DEP_1) | instskip(NEXT) | instid1(VALU_DEP_1)
	v_dual_lshlrev_b32 v1, 24, v1 :: v_dual_bitop2_b32 v3, 7, v3 bitop3:0x40
	v_dual_cndmask_b32 v3, v8, v3, vcc_lo :: v_dual_cndmask_b32 v9, v11, v9, vcc_lo
	s_delay_alu instid0(VALU_DEP_2) | instskip(NEXT) | instid1(VALU_DEP_2)
	v_and_b32_e32 v1, 0x80000000, v1
	v_lshlrev_b32_e32 v3, 20, v3
	s_delay_alu instid0(VALU_DEP_3) | instskip(NEXT) | instid1(VALU_DEP_1)
	v_lshl_add_u32 v8, v9, 23, 0x3b800000
	v_or3_b32 v1, v1, v8, v3
	s_delay_alu instid0(VALU_DEP_1) | instskip(NEXT) | instid1(VALU_DEP_1)
	v_trunc_f32_e32 v1, v1
	v_mul_f32_e64 v3, 0x2f800000, |v1|
	v_ashrrev_i32_e32 v8, 31, v1
	s_delay_alu instid0(VALU_DEP_2) | instskip(NEXT) | instid1(VALU_DEP_1)
	v_floor_f32_e32 v3, v3
	v_fma_f32 v9, 0xcf800000, v3, |v1|
	v_cvt_u32_f32_e32 v1, v3
	s_delay_alu instid0(VALU_DEP_2) | instskip(NEXT) | instid1(VALU_DEP_2)
	v_cvt_u32_f32_e32 v3, v9
	v_dual_mov_b32 v9, v8 :: v_dual_bitop2_b32 v11, v1, v8 bitop3:0x14
	s_delay_alu instid0(VALU_DEP_2) | instskip(NEXT) | instid1(VALU_DEP_1)
	v_xor_b32_e32 v10, v3, v8
	v_sub_nc_u64_e32 v[8:9], v[10:11], v[8:9]
.LBB31_979:
	s_or_b32 exec_lo, exec_lo, s48
.LBB31_980:
	s_mov_b32 s48, -1
.LBB31_981:
	s_mov_b32 s49, 0
.LBB31_982:
	s_delay_alu instid0(SALU_CYCLE_1)
	s_and_b32 vcc_lo, exec_lo, s49
	s_cbranch_vccz .LBB31_1015
; %bb.983:
	s_cmp_gt_i32 s47, 22
	s_cbranch_scc0 .LBB31_991
; %bb.984:
	s_cmp_lt_i32 s47, 24
	s_cbranch_scc1 .LBB31_994
; %bb.985:
	s_cmp_gt_i32 s47, 24
	s_cbranch_scc0 .LBB31_995
; %bb.986:
	global_load_u8 v1, v[6:7], off
	s_mov_b32 s49, 0
	s_mov_b32 s48, exec_lo
	s_wait_loadcnt 0x0
	v_cmpx_lt_i16_e32 0x7f, v1
	s_xor_b32 s48, exec_lo, s48
	s_cbranch_execz .LBB31_1007
; %bb.987:
	v_cmp_ne_u16_e32 vcc_lo, 0x80, v1
	s_and_b32 s49, vcc_lo, exec_lo
	s_and_not1_saveexec_b32 s48, s48
	s_cbranch_execnz .LBB31_1008
.LBB31_988:
	s_or_b32 exec_lo, exec_lo, s48
	v_mov_b64_e32 v[8:9], 0
	s_and_saveexec_b32 s48, s49
	s_cbranch_execz .LBB31_990
.LBB31_989:
	v_and_b32_e32 v3, 0xffff, v1
	s_delay_alu instid0(VALU_DEP_1) | instskip(SKIP_1) | instid1(VALU_DEP_2)
	v_and_b32_e32 v8, 3, v3
	v_bfe_u32 v11, v3, 2, 5
	v_clz_i32_u32_e32 v9, v8
	s_delay_alu instid0(VALU_DEP_2) | instskip(NEXT) | instid1(VALU_DEP_2)
	v_cmp_eq_u32_e32 vcc_lo, 0, v11
	v_min_u32_e32 v9, 32, v9
	s_delay_alu instid0(VALU_DEP_1) | instskip(NEXT) | instid1(VALU_DEP_1)
	v_subrev_nc_u32_e32 v10, 29, v9
	v_dual_lshlrev_b32 v3, v10, v3 :: v_dual_sub_nc_u32 v9, 30, v9
	s_delay_alu instid0(VALU_DEP_1) | instskip(NEXT) | instid1(VALU_DEP_1)
	v_dual_lshlrev_b32 v1, 24, v1 :: v_dual_bitop2_b32 v3, 3, v3 bitop3:0x40
	v_dual_cndmask_b32 v3, v8, v3, vcc_lo :: v_dual_cndmask_b32 v9, v11, v9, vcc_lo
	s_delay_alu instid0(VALU_DEP_2) | instskip(NEXT) | instid1(VALU_DEP_2)
	v_and_b32_e32 v1, 0x80000000, v1
	v_lshlrev_b32_e32 v3, 21, v3
	s_delay_alu instid0(VALU_DEP_3) | instskip(NEXT) | instid1(VALU_DEP_1)
	v_lshl_add_u32 v8, v9, 23, 0x37800000
	v_or3_b32 v1, v1, v8, v3
	s_delay_alu instid0(VALU_DEP_1) | instskip(NEXT) | instid1(VALU_DEP_1)
	v_trunc_f32_e32 v1, v1
	v_mul_f32_e64 v3, 0x2f800000, |v1|
	v_ashrrev_i32_e32 v8, 31, v1
	s_delay_alu instid0(VALU_DEP_2) | instskip(NEXT) | instid1(VALU_DEP_1)
	v_floor_f32_e32 v3, v3
	v_fma_f32 v9, 0xcf800000, v3, |v1|
	v_cvt_u32_f32_e32 v1, v3
	s_delay_alu instid0(VALU_DEP_2) | instskip(NEXT) | instid1(VALU_DEP_2)
	v_cvt_u32_f32_e32 v3, v9
	v_dual_mov_b32 v9, v8 :: v_dual_bitop2_b32 v11, v1, v8 bitop3:0x14
	s_delay_alu instid0(VALU_DEP_2) | instskip(NEXT) | instid1(VALU_DEP_1)
	v_xor_b32_e32 v10, v3, v8
	v_sub_nc_u64_e32 v[8:9], v[10:11], v[8:9]
.LBB31_990:
	s_or_b32 exec_lo, exec_lo, s48
	s_mov_b32 s48, 0
	s_branch .LBB31_996
.LBB31_991:
	s_mov_b32 s49, -1
                                        ; implicit-def: $vgpr8_vgpr9
	s_branch .LBB31_1002
.LBB31_992:
	s_and_not1_saveexec_b32 s48, s48
	s_cbranch_execz .LBB31_977
.LBB31_993:
	v_cmp_ne_u16_e32 vcc_lo, 0, v1
	s_and_not1_b32 s49, s49, exec_lo
	s_and_b32 s50, vcc_lo, exec_lo
	s_delay_alu instid0(SALU_CYCLE_1)
	s_or_b32 s49, s49, s50
	s_or_b32 exec_lo, exec_lo, s48
	v_mov_b64_e32 v[8:9], 0
	s_and_saveexec_b32 s48, s49
	s_cbranch_execnz .LBB31_978
	s_branch .LBB31_979
.LBB31_994:
	s_mov_b32 s48, -1
                                        ; implicit-def: $vgpr8_vgpr9
	s_branch .LBB31_999
.LBB31_995:
	s_mov_b32 s48, -1
                                        ; implicit-def: $vgpr8_vgpr9
.LBB31_996:
	s_delay_alu instid0(SALU_CYCLE_1)
	s_and_b32 vcc_lo, exec_lo, s48
	s_cbranch_vccz .LBB31_998
; %bb.997:
	global_load_u8 v1, v[6:7], off
	s_wait_loadcnt 0x0
	v_lshlrev_b32_e32 v1, 24, v1
	s_delay_alu instid0(VALU_DEP_1) | instskip(SKIP_1) | instid1(VALU_DEP_1)
	v_and_b32_e32 v3, 0x7f000000, v1
	s_wait_xcnt 0x1
	v_clz_i32_u32_e32 v8, v3
	v_cmp_ne_u32_e32 vcc_lo, 0, v3
	v_add_nc_u32_e32 v10, 0x1000000, v3
	s_delay_alu instid0(VALU_DEP_3) | instskip(NEXT) | instid1(VALU_DEP_1)
	v_min_u32_e32 v8, 32, v8
	v_sub_nc_u32_e64 v8, v8, 4 clamp
	s_delay_alu instid0(VALU_DEP_1) | instskip(NEXT) | instid1(VALU_DEP_1)
	v_dual_lshlrev_b32 v9, v8, v3 :: v_dual_lshlrev_b32 v8, 23, v8
	v_lshrrev_b32_e32 v9, 4, v9
	s_delay_alu instid0(VALU_DEP_1) | instskip(NEXT) | instid1(VALU_DEP_1)
	v_dual_sub_nc_u32 v8, v9, v8 :: v_dual_ashrrev_i32 v9, 8, v10
	v_add_nc_u32_e32 v8, 0x3c000000, v8
	s_delay_alu instid0(VALU_DEP_1) | instskip(NEXT) | instid1(VALU_DEP_1)
	v_and_or_b32 v8, 0x7f800000, v9, v8
	v_cndmask_b32_e32 v3, 0, v8, vcc_lo
	s_delay_alu instid0(VALU_DEP_1) | instskip(NEXT) | instid1(VALU_DEP_1)
	v_and_or_b32 v1, 0x80000000, v1, v3
	v_trunc_f32_e32 v1, v1
	s_delay_alu instid0(VALU_DEP_1) | instskip(SKIP_1) | instid1(VALU_DEP_2)
	v_mul_f32_e64 v3, 0x2f800000, |v1|
	v_ashrrev_i32_e32 v8, 31, v1
	v_floor_f32_e32 v3, v3
	s_delay_alu instid0(VALU_DEP_1) | instskip(SKIP_1) | instid1(VALU_DEP_2)
	v_fma_f32 v9, 0xcf800000, v3, |v1|
	v_cvt_u32_f32_e32 v1, v3
	v_cvt_u32_f32_e32 v3, v9
	s_delay_alu instid0(VALU_DEP_2) | instskip(NEXT) | instid1(VALU_DEP_2)
	v_dual_mov_b32 v9, v8 :: v_dual_bitop2_b32 v11, v1, v8 bitop3:0x14
	v_xor_b32_e32 v10, v3, v8
	s_delay_alu instid0(VALU_DEP_1)
	v_sub_nc_u64_e32 v[8:9], v[10:11], v[8:9]
.LBB31_998:
	s_mov_b32 s48, 0
.LBB31_999:
	s_delay_alu instid0(SALU_CYCLE_1)
	s_and_not1_b32 vcc_lo, exec_lo, s48
	s_cbranch_vccnz .LBB31_1001
; %bb.1000:
	global_load_u8 v1, v[6:7], off
	s_wait_loadcnt 0x0
	v_lshlrev_b32_e32 v3, 25, v1
	v_lshlrev_b16 v1, 8, v1
	s_wait_xcnt 0x1
	s_delay_alu instid0(VALU_DEP_1) | instskip(NEXT) | instid1(VALU_DEP_3)
	v_and_or_b32 v9, 0x7f00, v1, 0.5
	v_lshrrev_b32_e32 v8, 4, v3
	v_bfe_i32 v1, v1, 0, 16
	s_delay_alu instid0(VALU_DEP_3) | instskip(NEXT) | instid1(VALU_DEP_3)
	v_add_f32_e32 v9, -0.5, v9
	v_or_b32_e32 v8, 0x70000000, v8
	s_delay_alu instid0(VALU_DEP_1) | instskip(SKIP_1) | instid1(VALU_DEP_2)
	v_mul_f32_e32 v8, 0x7800000, v8
	v_cmp_gt_u32_e32 vcc_lo, 0x8000000, v3
	v_cndmask_b32_e32 v3, v8, v9, vcc_lo
	s_delay_alu instid0(VALU_DEP_1) | instskip(NEXT) | instid1(VALU_DEP_1)
	v_and_or_b32 v1, 0x80000000, v1, v3
	v_trunc_f32_e32 v1, v1
	s_delay_alu instid0(VALU_DEP_1) | instskip(SKIP_1) | instid1(VALU_DEP_2)
	v_mul_f32_e64 v3, 0x2f800000, |v1|
	v_ashrrev_i32_e32 v8, 31, v1
	v_floor_f32_e32 v3, v3
	s_delay_alu instid0(VALU_DEP_1) | instskip(SKIP_1) | instid1(VALU_DEP_2)
	v_fma_f32 v9, 0xcf800000, v3, |v1|
	v_cvt_u32_f32_e32 v1, v3
	v_cvt_u32_f32_e32 v3, v9
	s_delay_alu instid0(VALU_DEP_2) | instskip(NEXT) | instid1(VALU_DEP_2)
	v_dual_mov_b32 v9, v8 :: v_dual_bitop2_b32 v11, v1, v8 bitop3:0x14
	v_xor_b32_e32 v10, v3, v8
	s_delay_alu instid0(VALU_DEP_1)
	v_sub_nc_u64_e32 v[8:9], v[10:11], v[8:9]
.LBB31_1001:
	s_mov_b32 s49, 0
	s_mov_b32 s48, -1
.LBB31_1002:
	s_and_not1_b32 vcc_lo, exec_lo, s49
	s_cbranch_vccnz .LBB31_1015
; %bb.1003:
	s_cmp_gt_i32 s47, 14
	s_cbranch_scc0 .LBB31_1006
; %bb.1004:
	s_cmp_eq_u32 s47, 15
	s_cbranch_scc0 .LBB31_1009
; %bb.1005:
	global_load_u16 v1, v[6:7], off
	s_mov_b32 s48, -1
	s_mov_b32 s25, 0
	s_wait_loadcnt 0x0
	v_lshlrev_b32_e32 v1, 16, v1
	s_delay_alu instid0(VALU_DEP_1) | instskip(NEXT) | instid1(VALU_DEP_1)
	v_trunc_f32_e32 v1, v1
	v_mul_f32_e64 v3, 0x2f800000, |v1|
	s_wait_xcnt 0x1
	v_ashrrev_i32_e32 v8, 31, v1
	s_delay_alu instid0(VALU_DEP_2) | instskip(NEXT) | instid1(VALU_DEP_1)
	v_floor_f32_e32 v3, v3
	v_fma_f32 v9, 0xcf800000, v3, |v1|
	v_cvt_u32_f32_e32 v1, v3
	s_delay_alu instid0(VALU_DEP_2) | instskip(NEXT) | instid1(VALU_DEP_2)
	v_cvt_u32_f32_e32 v3, v9
	v_dual_mov_b32 v9, v8 :: v_dual_bitop2_b32 v11, v1, v8 bitop3:0x14
	s_delay_alu instid0(VALU_DEP_2) | instskip(NEXT) | instid1(VALU_DEP_1)
	v_xor_b32_e32 v10, v3, v8
	v_sub_nc_u64_e32 v[8:9], v[10:11], v[8:9]
	s_branch .LBB31_1010
.LBB31_1006:
	s_mov_b32 s49, -1
                                        ; implicit-def: $vgpr8_vgpr9
	s_branch .LBB31_1011
.LBB31_1007:
	s_and_not1_saveexec_b32 s48, s48
	s_cbranch_execz .LBB31_988
.LBB31_1008:
	v_cmp_ne_u16_e32 vcc_lo, 0, v1
	s_and_not1_b32 s49, s49, exec_lo
	s_and_b32 s50, vcc_lo, exec_lo
	s_delay_alu instid0(SALU_CYCLE_1)
	s_or_b32 s49, s49, s50
	s_or_b32 exec_lo, exec_lo, s48
	v_mov_b64_e32 v[8:9], 0
	s_and_saveexec_b32 s48, s49
	s_cbranch_execnz .LBB31_989
	s_branch .LBB31_990
.LBB31_1009:
	s_mov_b32 s25, -1
                                        ; implicit-def: $vgpr8_vgpr9
.LBB31_1010:
	s_mov_b32 s49, 0
.LBB31_1011:
	s_delay_alu instid0(SALU_CYCLE_1)
	s_and_b32 vcc_lo, exec_lo, s49
	s_cbranch_vccz .LBB31_1015
; %bb.1012:
	s_cmp_eq_u32 s47, 11
	s_cbranch_scc0 .LBB31_1014
; %bb.1013:
	global_load_u8 v1, v[6:7], off
	s_mov_b32 s25, 0
	s_mov_b32 s48, -1
	s_wait_loadcnt 0x1
	s_wait_xcnt 0x1
	v_mov_b32_e32 v9, s25
	s_wait_loadcnt 0x0
	v_cmp_ne_u16_e32 vcc_lo, 0, v1
	v_cndmask_b32_e64 v8, 0, 1, vcc_lo
	s_branch .LBB31_1015
.LBB31_1014:
	s_mov_b32 s25, -1
                                        ; implicit-def: $vgpr8_vgpr9
.LBB31_1015:
	s_mov_b32 s47, 0
.LBB31_1016:
	s_delay_alu instid0(SALU_CYCLE_1)
	s_and_b32 vcc_lo, exec_lo, s47
	s_cbranch_vccz .LBB31_1065
; %bb.1017:
	s_and_b32 s0, 0xffff, s0
	s_delay_alu instid0(SALU_CYCLE_1)
	s_cmp_lt_i32 s0, 5
	s_cbranch_scc1 .LBB31_1022
; %bb.1018:
	s_cmp_lt_i32 s0, 8
	s_cbranch_scc1 .LBB31_1023
; %bb.1019:
	;; [unrolled: 3-line block ×3, first 2 shown]
	s_cmp_gt_i32 s0, 9
	s_cbranch_scc0 .LBB31_1025
; %bb.1021:
	s_wait_loadcnt 0x0
	global_load_b64 v[8:9], v[6:7], off
	s_mov_b32 s47, 0
	s_wait_loadcnt 0x0
	v_trunc_f64_e32 v[8:9], v[8:9]
	s_delay_alu instid0(VALU_DEP_1) | instskip(NEXT) | instid1(VALU_DEP_1)
	v_ldexp_f64 v[10:11], v[8:9], 0xffffffe0
	v_floor_f64_e32 v[10:11], v[10:11]
	s_delay_alu instid0(VALU_DEP_1) | instskip(SKIP_1) | instid1(VALU_DEP_2)
	v_fmamk_f64 v[12:13], v[10:11], 0xc1f00000, v[8:9]
	v_cvt_i32_f64_e32 v9, v[10:11]
	v_cvt_u32_f64_e32 v8, v[12:13]
	s_branch .LBB31_1026
.LBB31_1022:
	s_mov_b32 s47, -1
                                        ; implicit-def: $vgpr8_vgpr9
	s_branch .LBB31_1044
.LBB31_1023:
	s_mov_b32 s47, -1
                                        ; implicit-def: $vgpr8_vgpr9
	s_branch .LBB31_1032
.LBB31_1024:
	s_mov_b32 s47, -1
                                        ; implicit-def: $vgpr8_vgpr9
	s_branch .LBB31_1029
.LBB31_1025:
	s_mov_b32 s47, -1
                                        ; implicit-def: $vgpr8_vgpr9
.LBB31_1026:
	s_delay_alu instid0(SALU_CYCLE_1)
	s_and_not1_b32 vcc_lo, exec_lo, s47
	s_cbranch_vccnz .LBB31_1028
; %bb.1027:
	global_load_b32 v1, v[6:7], off
	s_wait_loadcnt 0x0
	v_trunc_f32_e32 v1, v1
	s_delay_alu instid0(VALU_DEP_1) | instskip(SKIP_2) | instid1(VALU_DEP_2)
	v_mul_f32_e64 v3, 0x2f800000, |v1|
	s_wait_xcnt 0x1
	v_ashrrev_i32_e32 v8, 31, v1
	v_floor_f32_e32 v3, v3
	s_delay_alu instid0(VALU_DEP_1) | instskip(SKIP_1) | instid1(VALU_DEP_2)
	v_fma_f32 v9, 0xcf800000, v3, |v1|
	v_cvt_u32_f32_e32 v1, v3
	v_cvt_u32_f32_e32 v3, v9
	s_delay_alu instid0(VALU_DEP_2) | instskip(NEXT) | instid1(VALU_DEP_2)
	v_dual_mov_b32 v9, v8 :: v_dual_bitop2_b32 v11, v1, v8 bitop3:0x14
	v_xor_b32_e32 v10, v3, v8
	s_delay_alu instid0(VALU_DEP_1)
	v_sub_nc_u64_e32 v[8:9], v[10:11], v[8:9]
.LBB31_1028:
	s_mov_b32 s47, 0
.LBB31_1029:
	s_delay_alu instid0(SALU_CYCLE_1)
	s_and_not1_b32 vcc_lo, exec_lo, s47
	s_cbranch_vccnz .LBB31_1031
; %bb.1030:
	global_load_b32 v1, v[6:7], off
	s_wait_loadcnt 0x0
	v_cvt_f32_f16_e32 v1, v1
	s_wait_xcnt 0x1
	s_delay_alu instid0(VALU_DEP_1) | instskip(NEXT) | instid1(VALU_DEP_1)
	v_cvt_i32_f32_e32 v8, v1
	v_ashrrev_i32_e32 v9, 31, v8
.LBB31_1031:
	s_mov_b32 s47, 0
.LBB31_1032:
	s_delay_alu instid0(SALU_CYCLE_1)
	s_and_not1_b32 vcc_lo, exec_lo, s47
	s_cbranch_vccnz .LBB31_1043
; %bb.1033:
	s_cmp_lt_i32 s0, 6
	s_cbranch_scc1 .LBB31_1036
; %bb.1034:
	s_cmp_gt_i32 s0, 6
	s_cbranch_scc0 .LBB31_1037
; %bb.1035:
	s_wait_loadcnt 0x0
	global_load_b64 v[8:9], v[6:7], off
	s_mov_b32 s47, 0
	s_wait_loadcnt 0x0
	v_trunc_f64_e32 v[8:9], v[8:9]
	s_delay_alu instid0(VALU_DEP_1) | instskip(NEXT) | instid1(VALU_DEP_1)
	v_ldexp_f64 v[10:11], v[8:9], 0xffffffe0
	v_floor_f64_e32 v[10:11], v[10:11]
	s_delay_alu instid0(VALU_DEP_1) | instskip(SKIP_1) | instid1(VALU_DEP_2)
	v_fmamk_f64 v[12:13], v[10:11], 0xc1f00000, v[8:9]
	v_cvt_i32_f64_e32 v9, v[10:11]
	v_cvt_u32_f64_e32 v8, v[12:13]
	s_branch .LBB31_1038
.LBB31_1036:
	s_mov_b32 s47, -1
                                        ; implicit-def: $vgpr8_vgpr9
	s_branch .LBB31_1041
.LBB31_1037:
	s_mov_b32 s47, -1
                                        ; implicit-def: $vgpr8_vgpr9
.LBB31_1038:
	s_delay_alu instid0(SALU_CYCLE_1)
	s_and_not1_b32 vcc_lo, exec_lo, s47
	s_cbranch_vccnz .LBB31_1040
; %bb.1039:
	global_load_b32 v1, v[6:7], off
	s_wait_loadcnt 0x0
	v_trunc_f32_e32 v1, v1
	s_delay_alu instid0(VALU_DEP_1) | instskip(SKIP_2) | instid1(VALU_DEP_2)
	v_mul_f32_e64 v3, 0x2f800000, |v1|
	s_wait_xcnt 0x1
	v_ashrrev_i32_e32 v8, 31, v1
	v_floor_f32_e32 v3, v3
	s_delay_alu instid0(VALU_DEP_1) | instskip(SKIP_1) | instid1(VALU_DEP_2)
	v_fma_f32 v9, 0xcf800000, v3, |v1|
	v_cvt_u32_f32_e32 v1, v3
	v_cvt_u32_f32_e32 v3, v9
	s_delay_alu instid0(VALU_DEP_2) | instskip(NEXT) | instid1(VALU_DEP_2)
	v_dual_mov_b32 v9, v8 :: v_dual_bitop2_b32 v11, v1, v8 bitop3:0x14
	v_xor_b32_e32 v10, v3, v8
	s_delay_alu instid0(VALU_DEP_1)
	v_sub_nc_u64_e32 v[8:9], v[10:11], v[8:9]
.LBB31_1040:
	s_mov_b32 s47, 0
.LBB31_1041:
	s_delay_alu instid0(SALU_CYCLE_1)
	s_and_not1_b32 vcc_lo, exec_lo, s47
	s_cbranch_vccnz .LBB31_1043
; %bb.1042:
	global_load_u16 v1, v[6:7], off
	s_wait_loadcnt 0x0
	v_cvt_f32_f16_e32 v1, v1
	s_wait_xcnt 0x1
	s_delay_alu instid0(VALU_DEP_1) | instskip(NEXT) | instid1(VALU_DEP_1)
	v_cvt_i32_f32_e32 v8, v1
	v_ashrrev_i32_e32 v9, 31, v8
.LBB31_1043:
	s_mov_b32 s47, 0
.LBB31_1044:
	s_delay_alu instid0(SALU_CYCLE_1)
	s_and_not1_b32 vcc_lo, exec_lo, s47
	s_cbranch_vccnz .LBB31_1064
; %bb.1045:
	s_cmp_lt_i32 s0, 2
	s_cbranch_scc1 .LBB31_1049
; %bb.1046:
	s_cmp_lt_i32 s0, 3
	s_cbranch_scc1 .LBB31_1050
; %bb.1047:
	s_cmp_gt_i32 s0, 3
	s_cbranch_scc0 .LBB31_1051
; %bb.1048:
	s_wait_loadcnt 0x0
	global_load_b64 v[8:9], v[6:7], off
	s_mov_b32 s47, 0
	s_branch .LBB31_1052
.LBB31_1049:
	s_mov_b32 s47, -1
                                        ; implicit-def: $vgpr8_vgpr9
	s_branch .LBB31_1058
.LBB31_1050:
	s_mov_b32 s47, -1
                                        ; implicit-def: $vgpr8_vgpr9
	s_branch .LBB31_1055
.LBB31_1051:
	s_mov_b32 s47, -1
                                        ; implicit-def: $vgpr8_vgpr9
.LBB31_1052:
	s_delay_alu instid0(SALU_CYCLE_1)
	s_and_not1_b32 vcc_lo, exec_lo, s47
	s_cbranch_vccnz .LBB31_1054
; %bb.1053:
	s_wait_loadcnt 0x0
	global_load_b32 v8, v[6:7], off
	s_wait_loadcnt 0x0
	v_ashrrev_i32_e32 v9, 31, v8
.LBB31_1054:
	s_mov_b32 s47, 0
.LBB31_1055:
	s_delay_alu instid0(SALU_CYCLE_1)
	s_and_not1_b32 vcc_lo, exec_lo, s47
	s_cbranch_vccnz .LBB31_1057
; %bb.1056:
	global_load_u16 v1, v[6:7], off
	s_wait_loadcnt 0x0
	s_wait_xcnt 0x1
	v_bfe_i32 v8, v1, 0, 16
	s_delay_alu instid0(VALU_DEP_1)
	v_ashrrev_i32_e32 v9, 31, v8
.LBB31_1057:
	s_mov_b32 s47, 0
.LBB31_1058:
	s_delay_alu instid0(SALU_CYCLE_1)
	s_and_not1_b32 vcc_lo, exec_lo, s47
	s_cbranch_vccnz .LBB31_1064
; %bb.1059:
	s_cmp_gt_i32 s0, 0
	s_mov_b32 s0, 0
	s_cbranch_scc0 .LBB31_1061
; %bb.1060:
	global_load_i8 v1, v[6:7], off
	s_wait_loadcnt 0x0
	s_wait_xcnt 0x1
	v_bfe_i32 v8, v1, 0, 16
	s_delay_alu instid0(VALU_DEP_1)
	v_ashrrev_i32_e32 v9, 31, v8
	s_branch .LBB31_1062
.LBB31_1061:
	s_mov_b32 s0, -1
                                        ; implicit-def: $vgpr8_vgpr9
.LBB31_1062:
	s_delay_alu instid0(SALU_CYCLE_1)
	s_and_not1_b32 vcc_lo, exec_lo, s0
	s_cbranch_vccnz .LBB31_1064
; %bb.1063:
	global_load_u8 v1, v[6:7], off
	s_mov_b32 s0, 0
	s_wait_loadcnt 0x1
	s_wait_xcnt 0x1
	v_mov_b32_e32 v9, s0
	s_wait_loadcnt 0x0
	v_and_b32_e32 v8, 0xffff, v1
.LBB31_1064:
	s_mov_b32 s48, -1
.LBB31_1065:
	s_delay_alu instid0(SALU_CYCLE_1)
	s_and_not1_b32 vcc_lo, exec_lo, s48
	s_cbranch_vccnz .LBB31_1073
; %bb.1066:
	s_wait_loadcnt 0x0
	s_delay_alu instid0(VALU_DEP_1) | instskip(SKIP_1) | instid1(VALU_DEP_1)
	v_sub_nc_u64_e32 v[6:7], 0, v[8:9]
	s_mov_b32 s47, exec_lo
	v_max_i64 v[6:7], v[8:9], v[6:7]
	v_cmpx_ne_u64_e32 0, v[4:5]
	s_cbranch_execz .LBB31_1075
; %bb.1067:
	v_sub_nc_u64_e32 v[8:9], 0, v[4:5]
	s_mov_b32 s48, 0
	s_delay_alu instid0(VALU_DEP_1)
	v_max_i64 v[10:11], v[4:5], v[8:9]
	v_mov_b32_e32 v4, 0
	s_branch .LBB31_1069
.LBB31_1068:                            ;   in Loop: Header=BB31_1069 Depth=1
	s_or_b32 exec_lo, exec_lo, s0
	s_delay_alu instid0(VALU_DEP_1) | instskip(SKIP_2) | instid1(SALU_CYCLE_1)
	v_cmp_eq_u64_e32 vcc_lo, 0, v[10:11]
	v_mov_b64_e32 v[6:7], v[8:9]
	s_or_b32 s48, vcc_lo, s48
	s_and_not1_b32 exec_lo, exec_lo, s48
	s_cbranch_execz .LBB31_1074
.LBB31_1069:                            ; =>This Inner Loop Header: Depth=1
	s_delay_alu instid0(VALU_DEP_2) | instskip(SKIP_1) | instid1(VALU_DEP_1)
	v_mov_b64_e32 v[8:9], v[10:11]
                                        ; implicit-def: $vgpr10_vgpr11
	s_mov_b32 s0, exec_lo
	v_or_b32_e32 v5, v7, v9
	s_delay_alu instid0(VALU_DEP_1)
	v_cmpx_ne_u64_e32 0, v[4:5]
	s_xor_b32 s49, exec_lo, s0
	s_cbranch_execz .LBB31_1071
; %bb.1070:                             ;   in Loop: Header=BB31_1069 Depth=1
	s_delay_alu instid0(VALU_DEP_3) | instskip(SKIP_4) | instid1(VALU_DEP_4)
	v_cvt_f32_u32_e32 v1, v8
	v_cvt_f32_u32_e32 v3, v9
	v_sub_nc_u64_e32 v[12:13], 0, v[8:9]
	v_dual_mov_b32 v11, v4 :: v_dual_mov_b32 v19, v4
	v_mov_b32_e32 v21, v4
	v_fmac_f32_e32 v1, 0x4f800000, v3
	s_delay_alu instid0(VALU_DEP_1) | instskip(SKIP_1) | instid1(TRANS32_DEP_1)
	v_rcp_f32_e32 v1, v1
	v_nop
	v_mul_f32_e32 v1, 0x5f7ffffc, v1
	s_delay_alu instid0(VALU_DEP_1) | instskip(NEXT) | instid1(VALU_DEP_1)
	v_mul_f32_e32 v3, 0x2f800000, v1
	v_trunc_f32_e32 v3, v3
	s_delay_alu instid0(VALU_DEP_1) | instskip(SKIP_1) | instid1(VALU_DEP_2)
	v_fmac_f32_e32 v1, 0xcf800000, v3
	v_cvt_u32_f32_e32 v15, v3
	v_cvt_u32_f32_e32 v10, v1
	s_delay_alu instid0(VALU_DEP_1) | instskip(NEXT) | instid1(VALU_DEP_1)
	v_dual_mov_b32 v20, v15 :: v_dual_mov_b32 v14, v10
	v_mul_u64_e32 v[16:17], v[12:13], v[14:15]
	s_delay_alu instid0(VALU_DEP_1) | instskip(NEXT) | instid1(VALU_DEP_1)
	v_dual_mov_b32 v18, v17 :: v_dual_mov_b32 v17, v4
	v_mul_u64_e32 v[22:23], v[10:11], v[18:19]
	s_delay_alu instid0(VALU_DEP_2) | instskip(SKIP_2) | instid1(VALU_DEP_1)
	v_mul_u64_e32 v[24:25], v[20:21], v[16:17]
	v_mul_u64_e32 v[18:19], v[20:21], v[18:19]
	v_mul_hi_u32 v16, v10, v16
	v_add_nc_u64_e32 v[16:17], v[16:17], v[22:23]
	s_delay_alu instid0(VALU_DEP_1) | instskip(NEXT) | instid1(VALU_DEP_2)
	v_add_co_u32 v1, vcc_lo, v16, v24
	v_add_co_ci_u32_e32 v20, vcc_lo, v17, v25, vcc_lo
	v_add_co_ci_u32_e32 v19, vcc_lo, 0, v19, vcc_lo
	s_delay_alu instid0(VALU_DEP_1) | instskip(NEXT) | instid1(VALU_DEP_1)
	v_add_nc_u64_e32 v[16:17], v[20:21], v[18:19]
	v_add_co_u32 v10, vcc_lo, v10, v16
	s_delay_alu instid0(VALU_DEP_1) | instskip(SKIP_1) | instid1(VALU_DEP_2)
	v_add_co_ci_u32_e64 v14, null, v15, v17, vcc_lo
	v_dual_mov_b32 v17, v4 :: v_dual_mov_b32 v15, v4
	v_mov_b32_e32 v11, v14
	s_delay_alu instid0(VALU_DEP_1) | instskip(NEXT) | instid1(VALU_DEP_1)
	v_mul_u64_e32 v[12:13], v[12:13], v[10:11]
	v_dual_mov_b32 v11, v4 :: v_dual_mov_b32 v16, v13
	s_delay_alu instid0(VALU_DEP_2) | instskip(SKIP_1) | instid1(VALU_DEP_3)
	v_dual_mov_b32 v20, v12 :: v_dual_mov_b32 v13, v4
	v_mul_hi_u32 v12, v10, v12
	v_mul_u64_e32 v[18:19], v[10:11], v[16:17]
	s_delay_alu instid0(VALU_DEP_3) | instskip(SKIP_1) | instid1(VALU_DEP_3)
	v_mul_u64_e32 v[20:21], v[14:15], v[20:21]
	v_mul_u64_e32 v[16:17], v[14:15], v[16:17]
	v_add_nc_u64_e32 v[12:13], v[12:13], v[18:19]
	v_mov_b32_e32 v19, v4
	s_delay_alu instid0(VALU_DEP_2) | instskip(NEXT) | instid1(VALU_DEP_3)
	v_add_co_u32 v1, vcc_lo, v12, v20
	v_add_co_ci_u32_e32 v18, vcc_lo, v13, v21, vcc_lo
	v_add_co_ci_u32_e32 v17, vcc_lo, 0, v17, vcc_lo
	s_delay_alu instid0(VALU_DEP_1) | instskip(SKIP_1) | instid1(VALU_DEP_2)
	v_add_nc_u64_e32 v[12:13], v[18:19], v[16:17]
	v_dual_mov_b32 v16, v6 :: v_dual_mov_b32 v17, v4
	v_add_co_u32 v12, vcc_lo, v10, v12
	s_delay_alu instid0(VALU_DEP_1) | instskip(SKIP_1) | instid1(VALU_DEP_2)
	v_add_co_ci_u32_e64 v10, null, v14, v13, vcc_lo
	v_dual_mov_b32 v14, v7 :: v_dual_mov_b32 v13, v4
	v_mul_u64_e32 v[16:17], v[16:17], v[10:11]
	s_delay_alu instid0(VALU_DEP_2) | instskip(NEXT) | instid1(VALU_DEP_3)
	v_mul_u64_e32 v[10:11], v[14:15], v[10:11]
	v_mul_u64_e32 v[18:19], v[14:15], v[12:13]
	v_mul_hi_u32 v12, v6, v12
	s_delay_alu instid0(VALU_DEP_1) | instskip(NEXT) | instid1(VALU_DEP_1)
	v_add_nc_u64_e32 v[12:13], v[12:13], v[16:17]
	v_add_co_u32 v1, vcc_lo, v12, v18
	s_delay_alu instid0(VALU_DEP_2) | instskip(SKIP_1) | instid1(VALU_DEP_1)
	v_add_co_ci_u32_e32 v14, vcc_lo, v13, v19, vcc_lo
	v_add_co_ci_u32_e32 v11, vcc_lo, 0, v11, vcc_lo
	v_add_nc_u64_e32 v[10:11], v[14:15], v[10:11]
	s_delay_alu instid0(VALU_DEP_1) | instskip(NEXT) | instid1(VALU_DEP_1)
	v_mul_u64_e32 v[10:11], v[8:9], v[10:11]
	v_sub_nc_u32_e32 v1, v7, v11
	s_delay_alu instid0(VALU_DEP_2) | instskip(NEXT) | instid1(VALU_DEP_1)
	v_sub_co_u32 v3, vcc_lo, v6, v10
	v_sub_co_ci_u32_e64 v5, null, v7, v11, vcc_lo
	s_delay_alu instid0(VALU_DEP_3) | instskip(NEXT) | instid1(VALU_DEP_3)
	v_sub_co_ci_u32_e64 v1, null, v1, v9, vcc_lo
	v_sub_co_u32 v6, vcc_lo, v3, v8
	v_cmp_ge_u32_e64 s0, v3, v8
	s_delay_alu instid0(VALU_DEP_3) | instskip(SKIP_1) | instid1(VALU_DEP_3)
	v_subrev_co_ci_u32_e64 v7, null, 0, v1, vcc_lo
	v_sub_co_ci_u32_e64 v1, null, v1, v9, vcc_lo
	v_cndmask_b32_e64 v10, 0, -1, s0
	v_cmp_ge_u32_e64 s0, v6, v8
	v_cmp_ge_u32_e32 vcc_lo, v5, v9
	s_delay_alu instid0(VALU_DEP_2) | instskip(SKIP_3) | instid1(VALU_DEP_3)
	v_cndmask_b32_e64 v11, 0, -1, s0
	v_cmp_ge_u32_e64 s0, v7, v9
	v_cndmask_b32_e64 v13, 0, -1, vcc_lo
	v_cmp_eq_u32_e32 vcc_lo, v7, v9
	v_cndmask_b32_e64 v12, 0, -1, s0
	v_cmp_eq_u32_e64 s0, v5, v9
	s_delay_alu instid0(VALU_DEP_1) | instskip(SKIP_1) | instid1(VALU_DEP_1)
	v_dual_cndmask_b32 v11, v12, v11, vcc_lo :: v_dual_cndmask_b32 v10, v13, v10, s0
	v_sub_co_u32 v12, vcc_lo, v6, v8
	v_subrev_co_ci_u32_e64 v1, null, 0, v1, vcc_lo
	s_delay_alu instid0(VALU_DEP_3) | instskip(NEXT) | instid1(VALU_DEP_2)
	v_cmp_ne_u32_e32 vcc_lo, 0, v11
	v_dual_cndmask_b32 v1, v7, v1 :: v_dual_cndmask_b32 v6, v6, v12
	v_cmp_ne_u32_e32 vcc_lo, 0, v10
	s_delay_alu instid0(VALU_DEP_2)
	v_dual_cndmask_b32 v11, v5, v1 :: v_dual_cndmask_b32 v10, v3, v6
                                        ; implicit-def: $vgpr6_vgpr7
.LBB31_1071:                            ;   in Loop: Header=BB31_1069 Depth=1
	s_and_not1_saveexec_b32 s0, s49
	s_cbranch_execz .LBB31_1068
; %bb.1072:                             ;   in Loop: Header=BB31_1069 Depth=1
	v_cvt_f32_u32_e32 v1, v8
	v_dual_sub_nc_u32 v3, 0, v8 :: v_dual_mov_b32 v11, v4
	s_delay_alu instid0(VALU_DEP_2) | instskip(SKIP_1) | instid1(TRANS32_DEP_1)
	v_rcp_iflag_f32_e32 v1, v1
	v_nop
	v_mul_f32_e32 v1, 0x4f7ffffe, v1
	s_delay_alu instid0(VALU_DEP_1) | instskip(NEXT) | instid1(VALU_DEP_1)
	v_cvt_u32_f32_e32 v1, v1
	v_mul_lo_u32 v3, v3, v1
	s_delay_alu instid0(VALU_DEP_1) | instskip(NEXT) | instid1(VALU_DEP_1)
	v_mul_hi_u32 v3, v1, v3
	v_add_nc_u32_e32 v1, v1, v3
	s_delay_alu instid0(VALU_DEP_1) | instskip(NEXT) | instid1(VALU_DEP_1)
	v_mul_hi_u32 v1, v6, v1
	v_mul_lo_u32 v1, v1, v8
	s_delay_alu instid0(VALU_DEP_1) | instskip(NEXT) | instid1(VALU_DEP_1)
	v_sub_nc_u32_e32 v1, v6, v1
	v_sub_nc_u32_e32 v3, v1, v8
	v_cmp_ge_u32_e32 vcc_lo, v1, v8
	s_delay_alu instid0(VALU_DEP_2) | instskip(NEXT) | instid1(VALU_DEP_1)
	v_cndmask_b32_e32 v1, v1, v3, vcc_lo
	v_sub_nc_u32_e32 v3, v1, v8
	v_cmp_ge_u32_e32 vcc_lo, v1, v8
	s_delay_alu instid0(VALU_DEP_2)
	v_cndmask_b32_e32 v10, v1, v3, vcc_lo
	s_branch .LBB31_1068
.LBB31_1073:
	s_mov_b32 s50, 0
	s_mov_b32 s0, s43
	s_branch .LBB31_1198
.LBB31_1074:
	s_or_b32 exec_lo, exec_lo, s48
	v_mov_b64_e32 v[6:7], v[8:9]
.LBB31_1075:
	s_or_b32 exec_lo, exec_lo, s47
	v_mov_b32_e32 v3, 0
	s_and_b32 s47, s31, 0xff
	s_delay_alu instid0(SALU_CYCLE_1) | instskip(NEXT) | instid1(VALU_DEP_1)
	s_cmp_lt_i32 s47, 11
	v_add_nc_u64_e32 v[2:3], s[4:5], v[2:3]
	s_cbranch_scc1 .LBB31_1082
; %bb.1076:
	s_and_b32 s48, 0xffff, s47
	s_delay_alu instid0(SALU_CYCLE_1)
	s_cmp_gt_i32 s48, 25
	s_cbranch_scc0 .LBB31_1083
; %bb.1077:
	s_cmp_gt_i32 s48, 28
	s_cbranch_scc0 .LBB31_1084
; %bb.1078:
	;; [unrolled: 3-line block ×4, first 2 shown]
	s_mov_b32 s50, 0
	s_mov_b32 s0, -1
	s_cmp_eq_u32 s48, 46
	s_mov_b32 s49, 0
	s_cbranch_scc0 .LBB31_1087
; %bb.1081:
	s_delay_alu instid0(VALU_DEP_3) | instskip(SKIP_2) | instid1(VALU_DEP_1)
	v_clz_i32_u32_e32 v1, v7
	s_mov_b32 s49, -1
	s_mov_b32 s0, 0
	v_min_u32_e32 v1, 32, v1
	s_delay_alu instid0(VALU_DEP_1) | instskip(SKIP_1) | instid1(VALU_DEP_2)
	v_lshlrev_b64_e32 v[4:5], v1, v[6:7]
	v_sub_nc_u32_e32 v1, 32, v1
	v_min_u32_e32 v4, 1, v4
	s_delay_alu instid0(VALU_DEP_1) | instskip(NEXT) | instid1(VALU_DEP_1)
	v_or_b32_e32 v4, v5, v4
	v_cvt_f32_u32_e32 v4, v4
	s_delay_alu instid0(VALU_DEP_1) | instskip(NEXT) | instid1(VALU_DEP_1)
	v_ldexp_f32 v1, v4, v1
	v_bfe_u32 v4, v1, 16, 1
	s_delay_alu instid0(VALU_DEP_1) | instskip(NEXT) | instid1(VALU_DEP_1)
	v_add3_u32 v1, v1, v4, 0x7fff
	v_lshrrev_b32_e32 v1, 16, v1
	global_store_b32 v[2:3], v1, off
	s_branch .LBB31_1087
.LBB31_1082:
	s_mov_b32 s48, -1
	s_mov_b32 s49, 0
	s_mov_b32 s0, s43
	s_branch .LBB31_1156
.LBB31_1083:
	s_mov_b32 s50, -1
	s_mov_b32 s49, 0
	s_mov_b32 s0, s43
	s_branch .LBB31_1114
.LBB31_1084:
	s_mov_b32 s50, -1
	s_mov_b32 s49, 0
	s_mov_b32 s0, s43
	s_branch .LBB31_1097
.LBB31_1085:
	s_mov_b32 s50, -1
	s_mov_b32 s49, 0
	s_mov_b32 s0, s43
	s_branch .LBB31_1093
.LBB31_1086:
	s_mov_b32 s50, -1
	s_mov_b32 s49, 0
	s_mov_b32 s0, s43
.LBB31_1087:
	s_and_b32 vcc_lo, exec_lo, s50
	s_cbranch_vccz .LBB31_1092
; %bb.1088:
	s_cmp_eq_u32 s48, 44
	s_mov_b32 s0, -1
	s_cbranch_scc0 .LBB31_1092
; %bb.1089:
	s_wait_xcnt 0x0
	s_delay_alu instid0(VALU_DEP_3) | instskip(SKIP_1) | instid1(VALU_DEP_1)
	v_clz_i32_u32_e32 v1, v7
	s_mov_b32 s49, exec_lo
	v_min_u32_e32 v1, 32, v1
	s_delay_alu instid0(VALU_DEP_1) | instskip(SKIP_1) | instid1(VALU_DEP_2)
	v_lshlrev_b64_e32 v[4:5], v1, v[6:7]
	v_sub_nc_u32_e32 v1, 32, v1
	v_min_u32_e32 v4, 1, v4
	s_delay_alu instid0(VALU_DEP_1) | instskip(NEXT) | instid1(VALU_DEP_1)
	v_or_b32_e32 v4, v5, v4
	v_cvt_f32_u32_e32 v4, v4
	s_delay_alu instid0(VALU_DEP_1) | instskip(NEXT) | instid1(VALU_DEP_1)
	v_ldexp_f32 v5, v4, v1
	v_dual_mov_b32 v4, 0xff :: v_dual_lshrrev_b32 v1, 23, v5
	s_delay_alu instid0(VALU_DEP_1)
	v_cmpx_ne_u32_e32 0xff, v1
; %bb.1090:
	v_and_b32_e32 v4, 0x400000, v5
	v_and_or_b32 v5, 0x3fffff, v5, v1
	s_delay_alu instid0(VALU_DEP_2) | instskip(NEXT) | instid1(VALU_DEP_2)
	v_cmp_ne_u32_e32 vcc_lo, 0, v4
	v_cmp_ne_u32_e64 s0, 0, v5
	s_and_b32 s0, vcc_lo, s0
	s_delay_alu instid0(SALU_CYCLE_1) | instskip(NEXT) | instid1(VALU_DEP_1)
	v_cndmask_b32_e64 v4, 0, 1, s0
	v_add_nc_u32_e32 v4, v1, v4
; %bb.1091:
	s_or_b32 exec_lo, exec_lo, s49
	s_mov_b32 s49, -1
	s_mov_b32 s0, 0
	global_store_b8 v[2:3], v4, off
.LBB31_1092:
	s_mov_b32 s50, 0
.LBB31_1093:
	s_delay_alu instid0(SALU_CYCLE_1)
	s_and_b32 vcc_lo, exec_lo, s50
	s_cbranch_vccz .LBB31_1096
; %bb.1094:
	s_cmp_eq_u32 s48, 29
	s_mov_b32 s0, -1
	s_cbranch_scc0 .LBB31_1096
; %bb.1095:
	s_mov_b32 s49, -1
	s_mov_b32 s0, 0
	global_store_b64 v[2:3], v[6:7], off
.LBB31_1096:
	s_mov_b32 s50, 0
.LBB31_1097:
	s_delay_alu instid0(SALU_CYCLE_1)
	s_and_b32 vcc_lo, exec_lo, s50
	s_cbranch_vccz .LBB31_1113
; %bb.1098:
	s_cmp_lt_i32 s48, 27
	s_mov_b32 s49, -1
	s_cbranch_scc1 .LBB31_1104
; %bb.1099:
	s_cmp_gt_i32 s48, 27
	s_cbranch_scc0 .LBB31_1101
; %bb.1100:
	s_mov_b32 s49, 0
	global_store_b32 v[2:3], v6, off
.LBB31_1101:
	s_and_not1_b32 vcc_lo, exec_lo, s49
	s_cbranch_vccnz .LBB31_1103
; %bb.1102:
	global_store_b16 v[2:3], v6, off
.LBB31_1103:
	s_mov_b32 s49, 0
.LBB31_1104:
	s_delay_alu instid0(SALU_CYCLE_1)
	s_and_not1_b32 vcc_lo, exec_lo, s49
	s_cbranch_vccnz .LBB31_1112
; %bb.1105:
	s_wait_xcnt 0x0
	s_delay_alu instid0(VALU_DEP_3) | instskip(SKIP_1) | instid1(VALU_DEP_1)
	v_clz_i32_u32_e32 v1, v7
	s_mov_b32 s49, exec_lo
	v_min_u32_e32 v1, 32, v1
	s_delay_alu instid0(VALU_DEP_1) | instskip(SKIP_1) | instid1(VALU_DEP_2)
	v_lshlrev_b64_e32 v[4:5], v1, v[6:7]
	v_sub_nc_u32_e32 v1, 32, v1
	v_min_u32_e32 v4, 1, v4
	s_delay_alu instid0(VALU_DEP_1) | instskip(SKIP_1) | instid1(VALU_DEP_2)
	v_or_b32_e32 v4, v5, v4
	v_mov_b32_e32 v5, 0x80
	v_cvt_f32_u32_e32 v4, v4
	s_delay_alu instid0(VALU_DEP_1) | instskip(NEXT) | instid1(VALU_DEP_1)
	v_ldexp_f32 v4, v4, v1
	v_cmpx_gt_u32_e32 0x43800000, v4
	s_cbranch_execz .LBB31_1111
; %bb.1106:
	s_mov_b32 s50, 0
	s_mov_b32 s51, exec_lo
                                        ; implicit-def: $vgpr1
	v_cmpx_lt_u32_e32 0x3bffffff, v4
	s_xor_b32 s51, exec_lo, s51
	s_cbranch_execz .LBB31_1226
; %bb.1107:
	v_bfe_u32 v1, v4, 20, 1
	s_mov_b32 s50, exec_lo
	s_delay_alu instid0(VALU_DEP_1) | instskip(NEXT) | instid1(VALU_DEP_1)
	v_add3_u32 v1, v4, v1, 0x487ffff
                                        ; implicit-def: $vgpr4
	v_lshrrev_b32_e32 v1, 20, v1
	s_and_not1_saveexec_b32 s51, s51
	s_cbranch_execnz .LBB31_1227
.LBB31_1108:
	s_or_b32 exec_lo, exec_lo, s51
	v_mov_b32_e32 v5, 0
	s_and_saveexec_b32 s51, s50
.LBB31_1109:
	v_mov_b32_e32 v5, v1
.LBB31_1110:
	s_or_b32 exec_lo, exec_lo, s51
.LBB31_1111:
	s_delay_alu instid0(SALU_CYCLE_1)
	s_or_b32 exec_lo, exec_lo, s49
	global_store_b8 v[2:3], v5, off
.LBB31_1112:
	s_mov_b32 s49, -1
.LBB31_1113:
	s_mov_b32 s50, 0
.LBB31_1114:
	s_delay_alu instid0(SALU_CYCLE_1)
	s_and_b32 vcc_lo, exec_lo, s50
	s_cbranch_vccz .LBB31_1155
; %bb.1115:
	s_cmp_gt_i32 s48, 22
	s_mov_b32 s50, -1
	s_cbranch_scc0 .LBB31_1147
; %bb.1116:
	s_cmp_lt_i32 s48, 24
	s_mov_b32 s49, -1
	s_cbranch_scc1 .LBB31_1136
; %bb.1117:
	s_cmp_gt_i32 s48, 24
	s_cbranch_scc0 .LBB31_1125
; %bb.1118:
	s_wait_xcnt 0x0
	s_delay_alu instid0(VALU_DEP_3) | instskip(SKIP_1) | instid1(VALU_DEP_1)
	v_clz_i32_u32_e32 v1, v7
	s_mov_b32 s49, exec_lo
	v_min_u32_e32 v1, 32, v1
	s_delay_alu instid0(VALU_DEP_1) | instskip(SKIP_1) | instid1(VALU_DEP_2)
	v_lshlrev_b64_e32 v[4:5], v1, v[6:7]
	v_sub_nc_u32_e32 v1, 32, v1
	v_min_u32_e32 v4, 1, v4
	s_delay_alu instid0(VALU_DEP_1) | instskip(SKIP_1) | instid1(VALU_DEP_2)
	v_or_b32_e32 v4, v5, v4
	v_mov_b32_e32 v5, 0x80
	v_cvt_f32_u32_e32 v4, v4
	s_delay_alu instid0(VALU_DEP_1) | instskip(NEXT) | instid1(VALU_DEP_1)
	v_ldexp_f32 v4, v4, v1
	v_cmpx_gt_u32_e32 0x47800000, v4
	s_cbranch_execz .LBB31_1124
; %bb.1119:
	s_mov_b32 s50, 0
	s_mov_b32 s51, exec_lo
                                        ; implicit-def: $vgpr1
	v_cmpx_lt_u32_e32 0x37ffffff, v4
	s_xor_b32 s51, exec_lo, s51
	s_cbranch_execz .LBB31_2293
; %bb.1120:
	v_bfe_u32 v1, v4, 21, 1
	s_mov_b32 s50, exec_lo
	s_delay_alu instid0(VALU_DEP_1) | instskip(NEXT) | instid1(VALU_DEP_1)
	v_add3_u32 v1, v4, v1, 0x88fffff
                                        ; implicit-def: $vgpr4
	v_lshrrev_b32_e32 v1, 21, v1
	s_and_not1_saveexec_b32 s51, s51
	s_cbranch_execnz .LBB31_2294
.LBB31_1121:
	s_or_b32 exec_lo, exec_lo, s51
	v_mov_b32_e32 v5, 0
	s_and_saveexec_b32 s51, s50
.LBB31_1122:
	v_mov_b32_e32 v5, v1
.LBB31_1123:
	s_or_b32 exec_lo, exec_lo, s51
.LBB31_1124:
	s_delay_alu instid0(SALU_CYCLE_1)
	s_or_b32 exec_lo, exec_lo, s49
	s_mov_b32 s49, 0
	global_store_b8 v[2:3], v5, off
.LBB31_1125:
	s_and_b32 vcc_lo, exec_lo, s49
	s_cbranch_vccz .LBB31_1135
; %bb.1126:
	s_wait_xcnt 0x0
	s_delay_alu instid0(VALU_DEP_3) | instskip(SKIP_1) | instid1(VALU_DEP_1)
	v_clz_i32_u32_e32 v1, v7
	s_mov_b32 s49, exec_lo
	v_min_u32_e32 v1, 32, v1
	s_delay_alu instid0(VALU_DEP_1) | instskip(SKIP_1) | instid1(VALU_DEP_2)
	v_lshlrev_b64_e32 v[4:5], v1, v[6:7]
	v_sub_nc_u32_e32 v1, 32, v1
	v_min_u32_e32 v4, 1, v4
	s_delay_alu instid0(VALU_DEP_1) | instskip(NEXT) | instid1(VALU_DEP_1)
	v_or_b32_e32 v4, v5, v4
	v_cvt_f32_u32_e32 v4, v4
	s_delay_alu instid0(VALU_DEP_1) | instskip(NEXT) | instid1(VALU_DEP_1)
	v_ldexp_f32 v4, v4, v1
                                        ; implicit-def: $vgpr1
	v_cmpx_gt_u32_e32 0x43f00000, v4
	s_xor_b32 s49, exec_lo, s49
	s_cbranch_execz .LBB31_1132
; %bb.1127:
	s_mov_b32 s50, exec_lo
                                        ; implicit-def: $vgpr1
	v_cmpx_lt_u32_e32 0x3c7fffff, v4
	s_xor_b32 s50, exec_lo, s50
; %bb.1128:
	v_bfe_u32 v1, v4, 20, 1
	s_delay_alu instid0(VALU_DEP_1) | instskip(NEXT) | instid1(VALU_DEP_1)
	v_add3_u32 v1, v4, v1, 0x407ffff
	v_and_b32_e32 v4, 0xff00000, v1
	v_lshrrev_b32_e32 v1, 20, v1
	s_delay_alu instid0(VALU_DEP_2) | instskip(NEXT) | instid1(VALU_DEP_2)
	v_cmp_ne_u32_e32 vcc_lo, 0x7f00000, v4
                                        ; implicit-def: $vgpr4
	v_cndmask_b32_e32 v1, 0x7e, v1, vcc_lo
; %bb.1129:
	s_and_not1_saveexec_b32 s50, s50
; %bb.1130:
	v_add_f32_e32 v1, 0x46800000, v4
; %bb.1131:
	s_or_b32 exec_lo, exec_lo, s50
                                        ; implicit-def: $vgpr4
.LBB31_1132:
	s_and_not1_saveexec_b32 s49, s49
; %bb.1133:
	v_mov_b32_e32 v1, 0x7f
	v_cmp_lt_u32_e32 vcc_lo, 0x7f800000, v4
	s_delay_alu instid0(VALU_DEP_2)
	v_cndmask_b32_e32 v1, 0x7e, v1, vcc_lo
; %bb.1134:
	s_or_b32 exec_lo, exec_lo, s49
	global_store_b8 v[2:3], v1, off
.LBB31_1135:
	s_mov_b32 s49, 0
.LBB31_1136:
	s_delay_alu instid0(SALU_CYCLE_1)
	s_and_not1_b32 vcc_lo, exec_lo, s49
	s_cbranch_vccnz .LBB31_1146
; %bb.1137:
	s_wait_xcnt 0x0
	s_delay_alu instid0(VALU_DEP_3) | instskip(SKIP_1) | instid1(VALU_DEP_1)
	v_clz_i32_u32_e32 v1, v7
	s_mov_b32 s49, exec_lo
	v_min_u32_e32 v1, 32, v1
	s_delay_alu instid0(VALU_DEP_1) | instskip(SKIP_1) | instid1(VALU_DEP_2)
	v_lshlrev_b64_e32 v[4:5], v1, v[6:7]
	v_sub_nc_u32_e32 v1, 32, v1
	v_min_u32_e32 v4, 1, v4
	s_delay_alu instid0(VALU_DEP_1) | instskip(NEXT) | instid1(VALU_DEP_1)
	v_or_b32_e32 v4, v5, v4
	v_cvt_f32_u32_e32 v4, v4
	s_delay_alu instid0(VALU_DEP_1) | instskip(NEXT) | instid1(VALU_DEP_1)
	v_ldexp_f32 v4, v4, v1
                                        ; implicit-def: $vgpr1
	v_cmpx_gt_u32_e32 0x47800000, v4
	s_xor_b32 s49, exec_lo, s49
	s_cbranch_execz .LBB31_1143
; %bb.1138:
	s_mov_b32 s50, exec_lo
                                        ; implicit-def: $vgpr1
	v_cmpx_lt_u32_e32 0x387fffff, v4
	s_xor_b32 s50, exec_lo, s50
; %bb.1139:
	v_bfe_u32 v1, v4, 21, 1
	s_delay_alu instid0(VALU_DEP_1) | instskip(NEXT) | instid1(VALU_DEP_1)
	v_add3_u32 v1, v4, v1, 0x80fffff
                                        ; implicit-def: $vgpr4
	v_lshrrev_b32_e32 v1, 21, v1
; %bb.1140:
	s_and_not1_saveexec_b32 s50, s50
; %bb.1141:
	v_add_f32_e32 v1, 0x43000000, v4
; %bb.1142:
	s_or_b32 exec_lo, exec_lo, s50
                                        ; implicit-def: $vgpr4
.LBB31_1143:
	s_and_not1_saveexec_b32 s49, s49
; %bb.1144:
	v_mov_b32_e32 v1, 0x7f
	v_cmp_lt_u32_e32 vcc_lo, 0x7f800000, v4
	s_delay_alu instid0(VALU_DEP_2)
	v_cndmask_b32_e32 v1, 0x7c, v1, vcc_lo
; %bb.1145:
	s_or_b32 exec_lo, exec_lo, s49
	global_store_b8 v[2:3], v1, off
.LBB31_1146:
	s_mov_b32 s50, 0
	s_mov_b32 s49, -1
.LBB31_1147:
	s_and_not1_b32 vcc_lo, exec_lo, s50
	s_cbranch_vccnz .LBB31_1155
; %bb.1148:
	s_cmp_gt_i32 s48, 14
	s_mov_b32 s50, -1
	s_cbranch_scc0 .LBB31_1152
; %bb.1149:
	s_cmp_eq_u32 s48, 15
	s_mov_b32 s0, -1
	s_cbranch_scc0 .LBB31_1151
; %bb.1150:
	s_wait_xcnt 0x0
	s_delay_alu instid0(VALU_DEP_3) | instskip(SKIP_2) | instid1(VALU_DEP_1)
	v_clz_i32_u32_e32 v1, v7
	s_mov_b32 s49, -1
	s_mov_b32 s0, 0
	v_min_u32_e32 v1, 32, v1
	s_delay_alu instid0(VALU_DEP_1) | instskip(SKIP_1) | instid1(VALU_DEP_2)
	v_lshlrev_b64_e32 v[4:5], v1, v[6:7]
	v_sub_nc_u32_e32 v1, 32, v1
	v_min_u32_e32 v4, 1, v4
	s_delay_alu instid0(VALU_DEP_1) | instskip(NEXT) | instid1(VALU_DEP_1)
	v_or_b32_e32 v4, v5, v4
	v_cvt_f32_u32_e32 v4, v4
	s_delay_alu instid0(VALU_DEP_1) | instskip(NEXT) | instid1(VALU_DEP_1)
	v_ldexp_f32 v1, v4, v1
	v_bfe_u32 v4, v1, 16, 1
	s_delay_alu instid0(VALU_DEP_1)
	v_add3_u32 v1, v1, v4, 0x7fff
	global_store_d16_hi_b16 v[2:3], v1, off
.LBB31_1151:
	s_mov_b32 s50, 0
.LBB31_1152:
	s_delay_alu instid0(SALU_CYCLE_1)
	s_and_b32 vcc_lo, exec_lo, s50
	s_cbranch_vccz .LBB31_1155
; %bb.1153:
	s_cmp_eq_u32 s48, 11
	s_mov_b32 s0, -1
	s_cbranch_scc0 .LBB31_1155
; %bb.1154:
	s_delay_alu instid0(VALU_DEP_3)
	v_cmp_ne_u64_e32 vcc_lo, 0, v[6:7]
	s_mov_b32 s49, -1
	s_mov_b32 s0, 0
	s_wait_xcnt 0x0
	v_cndmask_b32_e64 v1, 0, 1, vcc_lo
	global_store_b8 v[2:3], v1, off
.LBB31_1155:
	s_mov_b32 s48, 0
.LBB31_1156:
	s_delay_alu instid0(SALU_CYCLE_1)
	s_and_b32 vcc_lo, exec_lo, s48
	s_cbranch_vccz .LBB31_1195
; %bb.1157:
	s_and_b32 s47, 0xffff, s47
	s_mov_b32 s48, -1
	s_cmp_lt_i32 s47, 5
	s_cbranch_scc1 .LBB31_1178
; %bb.1158:
	s_cmp_lt_i32 s47, 8
	s_cbranch_scc1 .LBB31_1168
; %bb.1159:
	;; [unrolled: 3-line block ×3, first 2 shown]
	s_cmp_gt_i32 s47, 9
	s_cbranch_scc0 .LBB31_1162
; %bb.1161:
	s_wait_xcnt 0x0
	s_delay_alu instid0(VALU_DEP_3) | instskip(NEXT) | instid1(VALU_DEP_4)
	v_cvt_f64_u32_e32 v[4:5], v7
	v_cvt_f64_u32_e32 v[8:9], v6
	s_mov_b32 s48, 0
	v_mov_b32_e32 v10, 0
	s_delay_alu instid0(VALU_DEP_1) | instskip(NEXT) | instid1(VALU_DEP_4)
	v_mov_b32_e32 v11, v10
	v_ldexp_f64 v[4:5], v[4:5], 32
	s_delay_alu instid0(VALU_DEP_1)
	v_add_f64_e32 v[8:9], v[4:5], v[8:9]
	global_store_b128 v[2:3], v[8:11], off
.LBB31_1162:
	s_and_not1_b32 vcc_lo, exec_lo, s48
	s_cbranch_vccnz .LBB31_1164
; %bb.1163:
	s_wait_xcnt 0x0
	s_delay_alu instid0(VALU_DEP_3) | instskip(NEXT) | instid1(VALU_DEP_1)
	v_clz_i32_u32_e32 v1, v7
	v_min_u32_e32 v1, 32, v1
	s_delay_alu instid0(VALU_DEP_1) | instskip(SKIP_1) | instid1(VALU_DEP_2)
	v_lshlrev_b64_e32 v[4:5], v1, v[6:7]
	v_sub_nc_u32_e32 v1, 32, v1
	v_min_u32_e32 v4, 1, v4
	s_delay_alu instid0(VALU_DEP_1) | instskip(NEXT) | instid1(VALU_DEP_1)
	v_dual_mov_b32 v5, 0 :: v_dual_bitop2_b32 v4, v5, v4 bitop3:0x54
	v_cvt_f32_u32_e32 v4, v4
	s_delay_alu instid0(VALU_DEP_1)
	v_ldexp_f32 v4, v4, v1
	global_store_b64 v[2:3], v[4:5], off
.LBB31_1164:
	s_mov_b32 s48, 0
.LBB31_1165:
	s_delay_alu instid0(SALU_CYCLE_1)
	s_and_not1_b32 vcc_lo, exec_lo, s48
	s_cbranch_vccnz .LBB31_1167
; %bb.1166:
	s_wait_xcnt 0x0
	s_delay_alu instid0(VALU_DEP_3) | instskip(NEXT) | instid1(VALU_DEP_1)
	v_clz_i32_u32_e32 v1, v7
	v_min_u32_e32 v1, 32, v1
	s_delay_alu instid0(VALU_DEP_1) | instskip(SKIP_1) | instid1(VALU_DEP_2)
	v_lshlrev_b64_e32 v[4:5], v1, v[6:7]
	v_sub_nc_u32_e32 v1, 32, v1
	v_min_u32_e32 v4, 1, v4
	s_delay_alu instid0(VALU_DEP_1) | instskip(NEXT) | instid1(VALU_DEP_1)
	v_or_b32_e32 v4, v5, v4
	v_cvt_f32_u32_e32 v4, v4
	s_delay_alu instid0(VALU_DEP_1) | instskip(NEXT) | instid1(VALU_DEP_1)
	v_ldexp_f32 v1, v4, v1
	v_cvt_f16_f32_e32 v1, v1
	s_delay_alu instid0(VALU_DEP_1)
	v_and_b32_e32 v1, 0xffff, v1
	global_store_b32 v[2:3], v1, off
.LBB31_1167:
	s_mov_b32 s48, 0
.LBB31_1168:
	s_delay_alu instid0(SALU_CYCLE_1)
	s_and_not1_b32 vcc_lo, exec_lo, s48
	s_cbranch_vccnz .LBB31_1177
; %bb.1169:
	s_cmp_lt_i32 s47, 6
	s_mov_b32 s48, -1
	s_cbranch_scc1 .LBB31_1175
; %bb.1170:
	s_cmp_gt_i32 s47, 6
	s_cbranch_scc0 .LBB31_1172
; %bb.1171:
	s_wait_xcnt 0x0
	s_delay_alu instid0(VALU_DEP_3) | instskip(NEXT) | instid1(VALU_DEP_4)
	v_cvt_f64_u32_e32 v[4:5], v7
	v_cvt_f64_u32_e32 v[8:9], v6
	s_mov_b32 s48, 0
	s_delay_alu instid0(VALU_DEP_2) | instskip(NEXT) | instid1(VALU_DEP_1)
	v_ldexp_f64 v[4:5], v[4:5], 32
	v_add_f64_e32 v[4:5], v[4:5], v[8:9]
	global_store_b64 v[2:3], v[4:5], off
.LBB31_1172:
	s_and_not1_b32 vcc_lo, exec_lo, s48
	s_cbranch_vccnz .LBB31_1174
; %bb.1173:
	s_wait_xcnt 0x0
	s_delay_alu instid0(VALU_DEP_3) | instskip(NEXT) | instid1(VALU_DEP_1)
	v_clz_i32_u32_e32 v1, v7
	v_min_u32_e32 v1, 32, v1
	s_delay_alu instid0(VALU_DEP_1) | instskip(SKIP_1) | instid1(VALU_DEP_2)
	v_lshlrev_b64_e32 v[4:5], v1, v[6:7]
	v_sub_nc_u32_e32 v1, 32, v1
	v_min_u32_e32 v4, 1, v4
	s_delay_alu instid0(VALU_DEP_1) | instskip(NEXT) | instid1(VALU_DEP_1)
	v_or_b32_e32 v4, v5, v4
	v_cvt_f32_u32_e32 v4, v4
	s_delay_alu instid0(VALU_DEP_1)
	v_ldexp_f32 v1, v4, v1
	global_store_b32 v[2:3], v1, off
.LBB31_1174:
	s_mov_b32 s48, 0
.LBB31_1175:
	s_delay_alu instid0(SALU_CYCLE_1)
	s_and_not1_b32 vcc_lo, exec_lo, s48
	s_cbranch_vccnz .LBB31_1177
; %bb.1176:
	s_wait_xcnt 0x0
	s_delay_alu instid0(VALU_DEP_3) | instskip(NEXT) | instid1(VALU_DEP_1)
	v_clz_i32_u32_e32 v1, v7
	v_min_u32_e32 v1, 32, v1
	s_delay_alu instid0(VALU_DEP_1) | instskip(SKIP_1) | instid1(VALU_DEP_2)
	v_lshlrev_b64_e32 v[4:5], v1, v[6:7]
	v_sub_nc_u32_e32 v1, 32, v1
	v_min_u32_e32 v4, 1, v4
	s_delay_alu instid0(VALU_DEP_1) | instskip(NEXT) | instid1(VALU_DEP_1)
	v_or_b32_e32 v4, v5, v4
	v_cvt_f32_u32_e32 v4, v4
	s_delay_alu instid0(VALU_DEP_1) | instskip(NEXT) | instid1(VALU_DEP_1)
	v_ldexp_f32 v1, v4, v1
	v_cvt_f16_f32_e32 v1, v1
	global_store_b16 v[2:3], v1, off
.LBB31_1177:
	s_mov_b32 s48, 0
.LBB31_1178:
	s_delay_alu instid0(SALU_CYCLE_1)
	s_and_not1_b32 vcc_lo, exec_lo, s48
	s_cbranch_vccnz .LBB31_1194
; %bb.1179:
	s_cmp_lt_i32 s47, 2
	s_mov_b32 s48, -1
	s_cbranch_scc1 .LBB31_1189
; %bb.1180:
	s_cmp_lt_i32 s47, 3
	s_cbranch_scc1 .LBB31_1186
; %bb.1181:
	s_cmp_gt_i32 s47, 3
	s_cbranch_scc0 .LBB31_1183
; %bb.1182:
	s_mov_b32 s48, 0
	global_store_b64 v[2:3], v[6:7], off
.LBB31_1183:
	s_and_not1_b32 vcc_lo, exec_lo, s48
	s_cbranch_vccnz .LBB31_1185
; %bb.1184:
	global_store_b32 v[2:3], v6, off
.LBB31_1185:
	s_mov_b32 s48, 0
.LBB31_1186:
	s_delay_alu instid0(SALU_CYCLE_1)
	s_and_not1_b32 vcc_lo, exec_lo, s48
	s_cbranch_vccnz .LBB31_1188
; %bb.1187:
	global_store_b16 v[2:3], v6, off
.LBB31_1188:
	s_mov_b32 s48, 0
.LBB31_1189:
	s_delay_alu instid0(SALU_CYCLE_1)
	s_and_not1_b32 vcc_lo, exec_lo, s48
	s_cbranch_vccnz .LBB31_1194
; %bb.1190:
	s_cmp_gt_i32 s47, 0
	s_mov_b32 s47, -1
	s_cbranch_scc0 .LBB31_1192
; %bb.1191:
	s_mov_b32 s47, 0
	global_store_b8 v[2:3], v6, off
.LBB31_1192:
	s_and_not1_b32 vcc_lo, exec_lo, s47
	s_cbranch_vccnz .LBB31_1194
; %bb.1193:
	global_store_b8 v[2:3], v6, off
.LBB31_1194:
	s_mov_b32 s49, -1
.LBB31_1195:
	s_delay_alu instid0(SALU_CYCLE_1)
	s_and_not1_b32 vcc_lo, exec_lo, s49
	s_cbranch_vccnz .LBB31_1197
; %bb.1196:
	v_add_nc_u32_e32 v0, 0x80, v0
	s_mov_b32 s50, -1
	s_branch .LBB31_1199
.LBB31_1197:
	s_mov_b32 s50, 0
.LBB31_1198:
                                        ; implicit-def: $vgpr0
.LBB31_1199:
	s_and_not1_b32 s47, s43, exec_lo
	s_and_b32 s0, s0, exec_lo
	s_and_b32 s25, s25, exec_lo
	s_or_b32 s48, s47, s0
	s_and_not1_b32 s0, s44, exec_lo
	s_and_not1_b32 s47, s42, exec_lo
	s_and_b32 s24, s24, exec_lo
	s_or_b32 s49, s0, s25
	s_or_b32 s47, s47, s24
	s_or_not1_b32 s51, s50, exec_lo
.LBB31_1200:
	s_wait_xcnt 0x0
	s_or_b32 exec_lo, exec_lo, s46
	s_mov_b32 s25, 0
	s_mov_b32 s50, 0
	;; [unrolled: 1-line block ×3, first 2 shown]
                                        ; implicit-def: $sgpr0
                                        ; implicit-def: $vgpr8_vgpr9
                                        ; implicit-def: $vgpr6
                                        ; implicit-def: $vgpr2
                                        ; implicit-def: $vgpr4_vgpr5
	s_and_saveexec_b32 s46, s51
	s_cbranch_execz .LBB31_1291
; %bb.1201:
	v_cmp_gt_i32_e32 vcc_lo, s36, v0
	s_mov_b32 s51, s47
                                        ; implicit-def: $sgpr0
                                        ; implicit-def: $vgpr8_vgpr9
                                        ; implicit-def: $vgpr6
                                        ; implicit-def: $vgpr2
                                        ; implicit-def: $vgpr4_vgpr5
	s_and_saveexec_b32 s36, vcc_lo
	s_cbranch_execz .LBB31_1290
; %bb.1202:
	s_and_not1_b32 vcc_lo, exec_lo, s29
	s_cbranch_vccnz .LBB31_1208
; %bb.1203:
	s_and_not1_b32 vcc_lo, exec_lo, s37
	s_cbranch_vccnz .LBB31_1209
; %bb.1204:
	v_dual_mov_b32 v2, 0 :: v_dual_mov_b32 v1, v0
	s_wait_loadcnt 0x0
	v_dual_mov_b32 v4, 0 :: v_dual_mov_b32 v6, 0
	s_add_co_i32 s0, s35, 1
	s_mov_b64 s[24:25], 0xffffffffffffffe8
	s_and_b32 s0, s0, 30
	s_add_nc_u64 s[24:25], s[2:3], s[24:25]
.LBB31_1205:                            ; =>This Inner Loop Header: Depth=1
	s_clause 0x1
	s_load_b128 s[52:55], s[24:25], 0x1c
	s_load_b64 s[50:51], s[24:25], 0x2c
	s_add_co_i32 s0, s0, -2
	s_delay_alu instid0(SALU_CYCLE_1) | instskip(SKIP_2) | instid1(VALU_DEP_1)
	s_cmp_eq_u32 s0, 0
	s_wait_kmcnt 0x0
	v_mul_hi_u32 v3, s53, v1
	v_add_nc_u32_e32 v3, v1, v3
	s_delay_alu instid0(VALU_DEP_1) | instskip(NEXT) | instid1(VALU_DEP_1)
	v_lshrrev_b32_e32 v3, s54, v3
	v_mul_hi_u32 v5, s50, v3
	v_mul_lo_u32 v7, v3, s52
	s_clause 0x1
	s_load_b128 s[56:59], s[24:25], 0xdc
	s_load_b64 s[52:53], s[24:25], 0xec
	s_wait_xcnt 0x0
	s_add_nc_u64 s[24:25], s[24:25], 24
	s_delay_alu instid0(VALU_DEP_1) | instskip(NEXT) | instid1(VALU_DEP_1)
	v_dual_add_nc_u32 v5, v3, v5 :: v_dual_sub_nc_u32 v7, v1, v7
	v_lshrrev_b32_e32 v1, s51, v5
	s_wait_kmcnt 0x0
	s_delay_alu instid0(VALU_DEP_2) | instskip(NEXT) | instid1(VALU_DEP_2)
	v_mad_u32 v2, v7, s56, v2
	v_mul_lo_u32 v5, v1, s55
	v_mad_u32 v6, v7, s58, v6
	v_mad_u32 v4, v7, s57, v4
	s_delay_alu instid0(VALU_DEP_3) | instskip(NEXT) | instid1(VALU_DEP_1)
	v_sub_nc_u32_e32 v3, v3, v5
	v_mad_u32 v2, v3, s59, v2
	s_delay_alu instid0(VALU_DEP_4) | instskip(NEXT) | instid1(VALU_DEP_4)
	v_mad_u32 v6, v3, s53, v6
	v_mad_u32 v4, v3, s52, v4
	s_cbranch_scc0 .LBB31_1205
; %bb.1206:
	s_bitcmp1_b32 s35, 0
	s_cselect_b32 s0, -1, 0
	s_delay_alu instid0(SALU_CYCLE_1)
	s_and_b32 vcc_lo, exec_lo, s0
	s_cbranch_vccnz .LBB31_1210
; %bb.1207:
	s_clause 0x1
	s_load_b96 s[52:54], s[24:25], 0x1c
	s_load_b96 s[56:58], s[24:25], 0xdc
	s_wait_kmcnt 0x0
	v_mul_hi_u32 v3, s53, v1
	s_delay_alu instid0(VALU_DEP_1) | instskip(NEXT) | instid1(VALU_DEP_1)
	v_add_nc_u32_e32 v3, v1, v3
	v_lshrrev_b32_e32 v3, s54, v3
	s_delay_alu instid0(VALU_DEP_1) | instskip(NEXT) | instid1(VALU_DEP_1)
	v_mul_lo_u32 v3, v3, s52
	v_sub_nc_u32_e32 v1, v1, v3
	s_delay_alu instid0(VALU_DEP_1)
	v_mad_u32 v2, v1, s56, v2
	v_mad_u32 v4, v1, s57, v4
	v_mad_u32 v6, v1, s58, v6
	s_branch .LBB31_1210
.LBB31_1208:
	s_mov_b32 s0, -1
                                        ; implicit-def: $vgpr6
                                        ; implicit-def: $vgpr4
                                        ; implicit-def: $vgpr2
	s_branch .LBB31_1211
.LBB31_1209:
	s_wait_loadcnt 0x0
	v_dual_mov_b32 v6, 0 :: v_dual_mov_b32 v4, 0
	v_mov_b32_e32 v2, 0
.LBB31_1210:
	s_mov_b32 s0, 0
.LBB31_1211:
	s_delay_alu instid0(SALU_CYCLE_1)
	s_and_not1_b32 vcc_lo, exec_lo, s0
	s_cbranch_vccnz .LBB31_1214
; %bb.1212:
	v_mov_b32_e32 v1, 0
	s_and_not1_b32 vcc_lo, exec_lo, s34
	s_delay_alu instid0(VALU_DEP_1) | instskip(NEXT) | instid1(VALU_DEP_1)
	v_mul_u64_e32 v[2:3], s[18:19], v[0:1]
	v_add_nc_u32_e32 v2, v0, v3
	s_wait_loadcnt 0x0
	s_delay_alu instid0(VALU_DEP_1) | instskip(NEXT) | instid1(VALU_DEP_1)
	v_lshrrev_b32_e32 v8, s10, v2
	v_mul_lo_u32 v2, v8, s8
	s_delay_alu instid0(VALU_DEP_1) | instskip(NEXT) | instid1(VALU_DEP_1)
	v_sub_nc_u32_e32 v0, v0, v2
	v_mul_lo_u32 v2, v0, s12
	v_mul_lo_u32 v6, v0, s14
	;; [unrolled: 1-line block ×3, first 2 shown]
	s_cbranch_vccnz .LBB31_1214
; %bb.1213:
	v_mov_b32_e32 v9, v1
	s_delay_alu instid0(VALU_DEP_1) | instskip(NEXT) | instid1(VALU_DEP_1)
	v_mul_u64_e32 v[0:1], s[22:23], v[8:9]
	v_add_nc_u32_e32 v0, v8, v1
	s_delay_alu instid0(VALU_DEP_1) | instskip(NEXT) | instid1(VALU_DEP_1)
	v_lshrrev_b32_e32 v0, s1, v0
	v_mul_lo_u32 v0, v0, s11
	s_delay_alu instid0(VALU_DEP_1) | instskip(NEXT) | instid1(VALU_DEP_1)
	v_sub_nc_u32_e32 v0, v8, v0
	v_mad_u32 v2, v0, s15, v2
	v_mad_u32 v4, v0, s20, v4
	;; [unrolled: 1-line block ×3, first 2 shown]
.LBB31_1214:
	s_wait_loadcnt 0x0
	v_mov_b32_e32 v5, 0
	s_and_b32 s0, s33, 0xff
	s_delay_alu instid0(SALU_CYCLE_1) | instskip(NEXT) | instid1(VALU_DEP_1)
	s_cmp_lt_i32 s0, 11
	v_add_nc_u64_e32 v[8:9], s[6:7], v[4:5]
	s_cbranch_scc1 .LBB31_1221
; %bb.1215:
	s_and_b32 s1, 0xffff, s0
	s_mov_b32 s7, 0
	s_cmp_gt_i32 s1, 25
	s_cbranch_scc0 .LBB31_1222
; %bb.1216:
	s_cmp_gt_i32 s1, 28
	s_cbranch_scc0 .LBB31_1223
; %bb.1217:
	;; [unrolled: 3-line block ×4, first 2 shown]
	s_cmp_eq_u32 s1, 46
	s_mov_b32 s10, 0
	s_cbranch_scc0 .LBB31_1228
; %bb.1220:
	global_load_b32 v0, v[8:9], off
	s_mov_b32 s6, 0
	s_mov_b32 s8, -1
	s_wait_loadcnt 0x0
	v_lshlrev_b32_e32 v0, 16, v0
	s_delay_alu instid0(VALU_DEP_1) | instskip(NEXT) | instid1(VALU_DEP_1)
	v_trunc_f32_e32 v0, v0
	v_mul_f32_e64 v1, 0x2f800000, |v0|
	s_delay_alu instid0(VALU_DEP_1) | instskip(NEXT) | instid1(VALU_DEP_1)
	v_floor_f32_e32 v1, v1
	v_fma_f32 v3, 0xcf800000, v1, |v0|
	v_ashrrev_i32_e32 v0, 31, v0
	v_cvt_u32_f32_e32 v4, v1
	s_delay_alu instid0(VALU_DEP_3) | instskip(NEXT) | instid1(VALU_DEP_3)
	v_cvt_u32_f32_e32 v3, v3
	v_mov_b32_e32 v1, v0
	s_delay_alu instid0(VALU_DEP_3) | instskip(NEXT) | instid1(VALU_DEP_3)
	v_xor_b32_e32 v5, v4, v0
	v_xor_b32_e32 v4, v3, v0
	s_delay_alu instid0(VALU_DEP_1)
	v_sub_nc_u64_e32 v[4:5], v[4:5], v[0:1]
	s_branch .LBB31_1230
.LBB31_1221:
	s_mov_b32 s1, -1
	s_mov_b32 s8, 0
	s_mov_b32 s7, 0
	;; [unrolled: 1-line block ×3, first 2 shown]
                                        ; implicit-def: $vgpr4_vgpr5
	s_branch .LBB31_1289
.LBB31_1222:
	s_mov_b32 s10, -1
	s_mov_b32 s8, 0
	s_mov_b32 s6, s47
                                        ; implicit-def: $vgpr4_vgpr5
	s_branch .LBB31_1257
.LBB31_1223:
	s_mov_b32 s10, -1
	s_mov_b32 s8, 0
	s_mov_b32 s6, s47
                                        ; implicit-def: $vgpr4_vgpr5
	s_branch .LBB31_1240
.LBB31_1224:
	s_mov_b32 s10, -1
	s_mov_b32 s8, 0
	s_mov_b32 s6, s47
                                        ; implicit-def: $vgpr4_vgpr5
	s_branch .LBB31_1235
.LBB31_1225:
	s_mov_b32 s10, -1
	s_mov_b32 s8, 0
	s_mov_b32 s6, s47
	s_branch .LBB31_1229
.LBB31_1226:
	s_and_not1_saveexec_b32 s51, s51
	s_cbranch_execz .LBB31_1108
.LBB31_1227:
	v_add_f32_e32 v1, 0x46000000, v4
	s_and_not1_b32 s50, s50, exec_lo
	s_delay_alu instid0(VALU_DEP_1) | instskip(NEXT) | instid1(VALU_DEP_1)
	v_and_b32_e32 v1, 0xff, v1
	v_cmp_ne_u32_e32 vcc_lo, 0, v1
	s_and_b32 s52, vcc_lo, exec_lo
	s_delay_alu instid0(SALU_CYCLE_1)
	s_or_b32 s50, s50, s52
	s_or_b32 exec_lo, exec_lo, s51
	v_mov_b32_e32 v5, 0
	s_and_saveexec_b32 s51, s50
	s_cbranch_execnz .LBB31_1109
	s_branch .LBB31_1110
.LBB31_1228:
	s_mov_b32 s6, -1
	s_mov_b32 s8, 0
.LBB31_1229:
                                        ; implicit-def: $vgpr4_vgpr5
.LBB31_1230:
	s_and_b32 vcc_lo, exec_lo, s10
	s_cbranch_vccz .LBB31_1234
; %bb.1231:
	s_cmp_eq_u32 s1, 44
	s_cbranch_scc0 .LBB31_1233
; %bb.1232:
	global_load_u8 v3, v[8:9], off
	s_mov_b32 s6, 0
	s_mov_b32 s8, -1
	s_wait_loadcnt 0x0
	v_cmp_ne_u32_e32 vcc_lo, 0, v3
	v_lshlrev_b32_e32 v0, 23, v3
	s_delay_alu instid0(VALU_DEP_1) | instskip(NEXT) | instid1(VALU_DEP_1)
	v_trunc_f32_e32 v0, v0
	v_mul_f32_e64 v1, 0x2f800000, |v0|
	s_delay_alu instid0(VALU_DEP_1) | instskip(NEXT) | instid1(VALU_DEP_1)
	v_floor_f32_e32 v1, v1
	v_fma_f32 v4, 0xcf800000, v1, |v0|
	v_ashrrev_i32_e32 v0, 31, v0
	v_cvt_u32_f32_e32 v5, v1
	s_delay_alu instid0(VALU_DEP_3) | instskip(NEXT) | instid1(VALU_DEP_2)
	v_cvt_u32_f32_e32 v4, v4
	v_dual_mov_b32 v1, v0 :: v_dual_bitop2_b32 v5, v5, v0 bitop3:0x14
	s_delay_alu instid0(VALU_DEP_2) | instskip(NEXT) | instid1(VALU_DEP_1)
	v_xor_b32_e32 v4, v4, v0
	v_sub_nc_u64_e32 v[0:1], v[4:5], v[0:1]
	s_delay_alu instid0(VALU_DEP_1)
	v_dual_cndmask_b32 v5, 0, v1 :: v_dual_cndmask_b32 v4, 0, v0
	s_branch .LBB31_1234
.LBB31_1233:
	s_mov_b32 s6, -1
                                        ; implicit-def: $vgpr4_vgpr5
.LBB31_1234:
	s_mov_b32 s10, 0
.LBB31_1235:
	s_delay_alu instid0(SALU_CYCLE_1)
	s_and_b32 vcc_lo, exec_lo, s10
	s_cbranch_vccz .LBB31_1239
; %bb.1236:
	s_cmp_eq_u32 s1, 29
	s_cbranch_scc0 .LBB31_1238
; %bb.1237:
	global_load_b64 v[4:5], v[8:9], off
	s_mov_b32 s6, 0
	s_mov_b32 s8, -1
	s_branch .LBB31_1239
.LBB31_1238:
	s_mov_b32 s6, -1
                                        ; implicit-def: $vgpr4_vgpr5
.LBB31_1239:
	s_mov_b32 s10, 0
.LBB31_1240:
	s_delay_alu instid0(SALU_CYCLE_1)
	s_and_b32 vcc_lo, exec_lo, s10
	s_cbranch_vccz .LBB31_1256
; %bb.1241:
	s_cmp_lt_i32 s1, 27
	s_cbranch_scc1 .LBB31_1244
; %bb.1242:
	s_cmp_gt_i32 s1, 27
	s_cbranch_scc0 .LBB31_1245
; %bb.1243:
	s_wait_loadcnt 0x0
	global_load_b32 v4, v[8:9], off
	v_mov_b32_e32 v5, 0
	s_mov_b32 s8, 0
	s_branch .LBB31_1246
.LBB31_1244:
	s_mov_b32 s8, -1
                                        ; implicit-def: $vgpr4_vgpr5
	s_branch .LBB31_1249
.LBB31_1245:
	s_mov_b32 s8, -1
                                        ; implicit-def: $vgpr4_vgpr5
.LBB31_1246:
	s_delay_alu instid0(SALU_CYCLE_1)
	s_and_not1_b32 vcc_lo, exec_lo, s8
	s_cbranch_vccnz .LBB31_1248
; %bb.1247:
	global_load_u16 v0, v[8:9], off
	s_mov_b32 s8, 0
	s_wait_loadcnt 0x1
	v_mov_b32_e32 v5, s8
	s_wait_loadcnt 0x0
	v_and_b32_e32 v4, 0xffff, v0
.LBB31_1248:
	s_mov_b32 s8, 0
.LBB31_1249:
	s_delay_alu instid0(SALU_CYCLE_1)
	s_and_not1_b32 vcc_lo, exec_lo, s8
	s_cbranch_vccnz .LBB31_1255
; %bb.1250:
	global_load_u8 v0, v[8:9], off
	s_mov_b32 s10, 0
	s_mov_b32 s8, exec_lo
	s_wait_loadcnt 0x0
	v_cmpx_lt_i16_e32 0x7f, v0
	s_xor_b32 s8, exec_lo, s8
	s_cbranch_execz .LBB31_1267
; %bb.1251:
	v_cmp_ne_u16_e32 vcc_lo, 0x80, v0
	s_and_b32 s10, vcc_lo, exec_lo
	s_and_not1_saveexec_b32 s8, s8
	s_cbranch_execnz .LBB31_1268
.LBB31_1252:
	s_or_b32 exec_lo, exec_lo, s8
	v_mov_b64_e32 v[4:5], 0
	s_and_saveexec_b32 s8, s10
	s_cbranch_execz .LBB31_1254
.LBB31_1253:
	v_and_b32_e32 v1, 0xffff, v0
	s_delay_alu instid0(VALU_DEP_1) | instskip(SKIP_1) | instid1(VALU_DEP_2)
	v_and_b32_e32 v3, 7, v1
	v_bfe_u32 v7, v1, 3, 4
	v_clz_i32_u32_e32 v4, v3
	s_delay_alu instid0(VALU_DEP_2) | instskip(NEXT) | instid1(VALU_DEP_2)
	v_cmp_eq_u32_e32 vcc_lo, 0, v7
	v_min_u32_e32 v4, 32, v4
	s_delay_alu instid0(VALU_DEP_1) | instskip(NEXT) | instid1(VALU_DEP_1)
	v_subrev_nc_u32_e32 v5, 28, v4
	v_dual_lshlrev_b32 v1, v5, v1 :: v_dual_sub_nc_u32 v4, 29, v4
	s_delay_alu instid0(VALU_DEP_1) | instskip(NEXT) | instid1(VALU_DEP_1)
	v_dual_lshlrev_b32 v0, 24, v0 :: v_dual_bitop2_b32 v1, 7, v1 bitop3:0x40
	v_cndmask_b32_e32 v1, v3, v1, vcc_lo
	s_delay_alu instid0(VALU_DEP_3) | instskip(NEXT) | instid1(VALU_DEP_3)
	v_cndmask_b32_e32 v4, v7, v4, vcc_lo
	v_and_b32_e32 v0, 0x80000000, v0
	s_delay_alu instid0(VALU_DEP_3) | instskip(NEXT) | instid1(VALU_DEP_3)
	v_lshlrev_b32_e32 v1, 20, v1
	v_lshl_add_u32 v3, v4, 23, 0x3b800000
	s_delay_alu instid0(VALU_DEP_1) | instskip(NEXT) | instid1(VALU_DEP_1)
	v_or3_b32 v0, v0, v3, v1
	v_trunc_f32_e32 v0, v0
	s_delay_alu instid0(VALU_DEP_1) | instskip(NEXT) | instid1(VALU_DEP_1)
	v_mul_f32_e64 v1, 0x2f800000, |v0|
	v_floor_f32_e32 v1, v1
	s_delay_alu instid0(VALU_DEP_1) | instskip(SKIP_2) | instid1(VALU_DEP_3)
	v_fma_f32 v3, 0xcf800000, v1, |v0|
	v_ashrrev_i32_e32 v0, 31, v0
	v_cvt_u32_f32_e32 v4, v1
	v_cvt_u32_f32_e32 v3, v3
	s_delay_alu instid0(VALU_DEP_3) | instskip(NEXT) | instid1(VALU_DEP_3)
	v_mov_b32_e32 v1, v0
	v_xor_b32_e32 v5, v4, v0
	s_delay_alu instid0(VALU_DEP_3) | instskip(NEXT) | instid1(VALU_DEP_1)
	v_xor_b32_e32 v4, v3, v0
	v_sub_nc_u64_e32 v[4:5], v[4:5], v[0:1]
.LBB31_1254:
	s_or_b32 exec_lo, exec_lo, s8
.LBB31_1255:
	s_mov_b32 s8, -1
.LBB31_1256:
	s_mov_b32 s10, 0
.LBB31_1257:
	s_delay_alu instid0(SALU_CYCLE_1)
	s_and_b32 vcc_lo, exec_lo, s10
	s_cbranch_vccz .LBB31_1288
; %bb.1258:
	s_cmp_gt_i32 s1, 22
	s_cbranch_scc0 .LBB31_1266
; %bb.1259:
	s_cmp_lt_i32 s1, 24
	s_cbranch_scc1 .LBB31_1269
; %bb.1260:
	s_cmp_gt_i32 s1, 24
	s_cbranch_scc0 .LBB31_1270
; %bb.1261:
	global_load_u8 v0, v[8:9], off
	s_mov_b32 s8, 0
	s_mov_b32 s7, exec_lo
	s_wait_loadcnt 0x0
	v_cmpx_lt_i16_e32 0x7f, v0
	s_xor_b32 s7, exec_lo, s7
	s_cbranch_execz .LBB31_1282
; %bb.1262:
	v_cmp_ne_u16_e32 vcc_lo, 0x80, v0
	s_and_b32 s8, vcc_lo, exec_lo
	s_and_not1_saveexec_b32 s7, s7
	s_cbranch_execnz .LBB31_1283
.LBB31_1263:
	s_or_b32 exec_lo, exec_lo, s7
	v_mov_b64_e32 v[4:5], 0
	s_and_saveexec_b32 s7, s8
	s_cbranch_execz .LBB31_1265
.LBB31_1264:
	v_and_b32_e32 v1, 0xffff, v0
	s_delay_alu instid0(VALU_DEP_1) | instskip(SKIP_1) | instid1(VALU_DEP_2)
	v_and_b32_e32 v3, 3, v1
	v_bfe_u32 v7, v1, 2, 5
	v_clz_i32_u32_e32 v4, v3
	s_delay_alu instid0(VALU_DEP_2) | instskip(NEXT) | instid1(VALU_DEP_2)
	v_cmp_eq_u32_e32 vcc_lo, 0, v7
	v_min_u32_e32 v4, 32, v4
	s_delay_alu instid0(VALU_DEP_1) | instskip(NEXT) | instid1(VALU_DEP_1)
	v_subrev_nc_u32_e32 v5, 29, v4
	v_dual_lshlrev_b32 v1, v5, v1 :: v_dual_sub_nc_u32 v4, 30, v4
	s_delay_alu instid0(VALU_DEP_1) | instskip(NEXT) | instid1(VALU_DEP_1)
	v_dual_lshlrev_b32 v0, 24, v0 :: v_dual_bitop2_b32 v1, 3, v1 bitop3:0x40
	v_cndmask_b32_e32 v1, v3, v1, vcc_lo
	s_delay_alu instid0(VALU_DEP_3) | instskip(NEXT) | instid1(VALU_DEP_3)
	v_cndmask_b32_e32 v4, v7, v4, vcc_lo
	v_and_b32_e32 v0, 0x80000000, v0
	s_delay_alu instid0(VALU_DEP_3) | instskip(NEXT) | instid1(VALU_DEP_3)
	v_lshlrev_b32_e32 v1, 21, v1
	v_lshl_add_u32 v3, v4, 23, 0x37800000
	s_delay_alu instid0(VALU_DEP_1) | instskip(NEXT) | instid1(VALU_DEP_1)
	v_or3_b32 v0, v0, v3, v1
	v_trunc_f32_e32 v0, v0
	s_delay_alu instid0(VALU_DEP_1) | instskip(NEXT) | instid1(VALU_DEP_1)
	v_mul_f32_e64 v1, 0x2f800000, |v0|
	v_floor_f32_e32 v1, v1
	s_delay_alu instid0(VALU_DEP_1) | instskip(SKIP_2) | instid1(VALU_DEP_3)
	v_fma_f32 v3, 0xcf800000, v1, |v0|
	v_ashrrev_i32_e32 v0, 31, v0
	v_cvt_u32_f32_e32 v4, v1
	v_cvt_u32_f32_e32 v3, v3
	s_delay_alu instid0(VALU_DEP_3) | instskip(NEXT) | instid1(VALU_DEP_3)
	v_mov_b32_e32 v1, v0
	v_xor_b32_e32 v5, v4, v0
	s_delay_alu instid0(VALU_DEP_3) | instskip(NEXT) | instid1(VALU_DEP_1)
	v_xor_b32_e32 v4, v3, v0
	v_sub_nc_u64_e32 v[4:5], v[4:5], v[0:1]
.LBB31_1265:
	s_or_b32 exec_lo, exec_lo, s7
	s_mov_b32 s7, 0
	s_branch .LBB31_1271
.LBB31_1266:
	s_mov_b32 s7, -1
                                        ; implicit-def: $vgpr4_vgpr5
	s_branch .LBB31_1277
.LBB31_1267:
	s_and_not1_saveexec_b32 s8, s8
	s_cbranch_execz .LBB31_1252
.LBB31_1268:
	v_cmp_ne_u16_e32 vcc_lo, 0, v0
	s_and_not1_b32 s10, s10, exec_lo
	s_and_b32 s11, vcc_lo, exec_lo
	s_delay_alu instid0(SALU_CYCLE_1)
	s_or_b32 s10, s10, s11
	s_or_b32 exec_lo, exec_lo, s8
	v_mov_b64_e32 v[4:5], 0
	s_and_saveexec_b32 s8, s10
	s_cbranch_execnz .LBB31_1253
	s_branch .LBB31_1254
.LBB31_1269:
	s_mov_b32 s7, -1
                                        ; implicit-def: $vgpr4_vgpr5
	s_branch .LBB31_1274
.LBB31_1270:
	s_mov_b32 s7, -1
                                        ; implicit-def: $vgpr4_vgpr5
.LBB31_1271:
	s_delay_alu instid0(SALU_CYCLE_1)
	s_and_b32 vcc_lo, exec_lo, s7
	s_cbranch_vccz .LBB31_1273
; %bb.1272:
	global_load_u8 v0, v[8:9], off
	s_wait_loadcnt 0x0
	v_lshlrev_b32_e32 v0, 24, v0
	s_delay_alu instid0(VALU_DEP_1) | instskip(NEXT) | instid1(VALU_DEP_1)
	v_and_b32_e32 v1, 0x7f000000, v0
	v_clz_i32_u32_e32 v3, v1
	v_add_nc_u32_e32 v5, 0x1000000, v1
	v_cmp_ne_u32_e32 vcc_lo, 0, v1
	s_delay_alu instid0(VALU_DEP_3) | instskip(NEXT) | instid1(VALU_DEP_1)
	v_min_u32_e32 v3, 32, v3
	v_sub_nc_u32_e64 v3, v3, 4 clamp
	s_delay_alu instid0(VALU_DEP_1) | instskip(NEXT) | instid1(VALU_DEP_1)
	v_dual_lshlrev_b32 v4, v3, v1 :: v_dual_lshlrev_b32 v3, 23, v3
	v_lshrrev_b32_e32 v4, 4, v4
	s_delay_alu instid0(VALU_DEP_1) | instskip(NEXT) | instid1(VALU_DEP_1)
	v_dual_sub_nc_u32 v3, v4, v3 :: v_dual_ashrrev_i32 v4, 8, v5
	v_add_nc_u32_e32 v3, 0x3c000000, v3
	s_delay_alu instid0(VALU_DEP_1) | instskip(NEXT) | instid1(VALU_DEP_1)
	v_and_or_b32 v3, 0x7f800000, v4, v3
	v_cndmask_b32_e32 v1, 0, v3, vcc_lo
	s_delay_alu instid0(VALU_DEP_1) | instskip(NEXT) | instid1(VALU_DEP_1)
	v_and_or_b32 v0, 0x80000000, v0, v1
	v_trunc_f32_e32 v0, v0
	s_delay_alu instid0(VALU_DEP_1) | instskip(NEXT) | instid1(VALU_DEP_1)
	v_mul_f32_e64 v1, 0x2f800000, |v0|
	v_floor_f32_e32 v1, v1
	s_delay_alu instid0(VALU_DEP_1) | instskip(SKIP_2) | instid1(VALU_DEP_3)
	v_fma_f32 v3, 0xcf800000, v1, |v0|
	v_ashrrev_i32_e32 v0, 31, v0
	v_cvt_u32_f32_e32 v4, v1
	v_cvt_u32_f32_e32 v3, v3
	s_delay_alu instid0(VALU_DEP_3) | instskip(NEXT) | instid1(VALU_DEP_3)
	v_mov_b32_e32 v1, v0
	v_xor_b32_e32 v5, v4, v0
	s_delay_alu instid0(VALU_DEP_3) | instskip(NEXT) | instid1(VALU_DEP_1)
	v_xor_b32_e32 v4, v3, v0
	v_sub_nc_u64_e32 v[4:5], v[4:5], v[0:1]
.LBB31_1273:
	s_mov_b32 s7, 0
.LBB31_1274:
	s_delay_alu instid0(SALU_CYCLE_1)
	s_and_not1_b32 vcc_lo, exec_lo, s7
	s_cbranch_vccnz .LBB31_1276
; %bb.1275:
	global_load_u8 v0, v[8:9], off
	s_wait_loadcnt 0x0
	v_lshlrev_b32_e32 v1, 25, v0
	v_lshlrev_b16 v0, 8, v0
	s_delay_alu instid0(VALU_DEP_2) | instskip(NEXT) | instid1(VALU_DEP_2)
	v_cmp_gt_u32_e32 vcc_lo, 0x8000000, v1
	v_and_or_b32 v4, 0x7f00, v0, 0.5
	v_lshrrev_b32_e32 v3, 4, v1
	v_bfe_i32 v0, v0, 0, 16
	s_delay_alu instid0(VALU_DEP_3) | instskip(NEXT) | instid1(VALU_DEP_3)
	v_add_f32_e32 v4, -0.5, v4
	v_or_b32_e32 v3, 0x70000000, v3
	s_delay_alu instid0(VALU_DEP_1) | instskip(NEXT) | instid1(VALU_DEP_1)
	v_mul_f32_e32 v3, 0x7800000, v3
	v_cndmask_b32_e32 v1, v3, v4, vcc_lo
	s_delay_alu instid0(VALU_DEP_1) | instskip(NEXT) | instid1(VALU_DEP_1)
	v_and_or_b32 v0, 0x80000000, v0, v1
	v_trunc_f32_e32 v0, v0
	s_delay_alu instid0(VALU_DEP_1) | instskip(NEXT) | instid1(VALU_DEP_1)
	v_mul_f32_e64 v1, 0x2f800000, |v0|
	v_floor_f32_e32 v1, v1
	s_delay_alu instid0(VALU_DEP_1) | instskip(SKIP_2) | instid1(VALU_DEP_3)
	v_fma_f32 v3, 0xcf800000, v1, |v0|
	v_ashrrev_i32_e32 v0, 31, v0
	v_cvt_u32_f32_e32 v4, v1
	v_cvt_u32_f32_e32 v3, v3
	s_delay_alu instid0(VALU_DEP_3) | instskip(NEXT) | instid1(VALU_DEP_3)
	v_mov_b32_e32 v1, v0
	v_xor_b32_e32 v5, v4, v0
	s_delay_alu instid0(VALU_DEP_3) | instskip(NEXT) | instid1(VALU_DEP_1)
	v_xor_b32_e32 v4, v3, v0
	v_sub_nc_u64_e32 v[4:5], v[4:5], v[0:1]
.LBB31_1276:
	s_mov_b32 s7, 0
	s_mov_b32 s8, -1
.LBB31_1277:
	s_and_not1_b32 vcc_lo, exec_lo, s7
	s_mov_b32 s7, 0
	s_cbranch_vccnz .LBB31_1288
; %bb.1278:
	s_cmp_gt_i32 s1, 14
	s_cbranch_scc0 .LBB31_1281
; %bb.1279:
	s_cmp_eq_u32 s1, 15
	s_cbranch_scc0 .LBB31_1284
; %bb.1280:
	global_load_u16 v0, v[8:9], off
	s_mov_b32 s6, 0
	s_mov_b32 s8, -1
	s_wait_loadcnt 0x0
	v_lshlrev_b32_e32 v0, 16, v0
	s_delay_alu instid0(VALU_DEP_1) | instskip(NEXT) | instid1(VALU_DEP_1)
	v_trunc_f32_e32 v0, v0
	v_mul_f32_e64 v1, 0x2f800000, |v0|
	s_delay_alu instid0(VALU_DEP_1) | instskip(NEXT) | instid1(VALU_DEP_1)
	v_floor_f32_e32 v1, v1
	v_fma_f32 v3, 0xcf800000, v1, |v0|
	v_ashrrev_i32_e32 v0, 31, v0
	v_cvt_u32_f32_e32 v4, v1
	s_delay_alu instid0(VALU_DEP_3) | instskip(NEXT) | instid1(VALU_DEP_3)
	v_cvt_u32_f32_e32 v3, v3
	v_mov_b32_e32 v1, v0
	s_delay_alu instid0(VALU_DEP_3) | instskip(NEXT) | instid1(VALU_DEP_3)
	v_xor_b32_e32 v5, v4, v0
	v_xor_b32_e32 v4, v3, v0
	s_delay_alu instid0(VALU_DEP_1)
	v_sub_nc_u64_e32 v[4:5], v[4:5], v[0:1]
	s_branch .LBB31_1286
.LBB31_1281:
	s_mov_b32 s7, -1
	s_branch .LBB31_1285
.LBB31_1282:
	s_and_not1_saveexec_b32 s7, s7
	s_cbranch_execz .LBB31_1263
.LBB31_1283:
	v_cmp_ne_u16_e32 vcc_lo, 0, v0
	s_and_not1_b32 s8, s8, exec_lo
	s_and_b32 s10, vcc_lo, exec_lo
	s_delay_alu instid0(SALU_CYCLE_1)
	s_or_b32 s8, s8, s10
	s_or_b32 exec_lo, exec_lo, s7
	v_mov_b64_e32 v[4:5], 0
	s_and_saveexec_b32 s7, s8
	s_cbranch_execnz .LBB31_1264
	s_branch .LBB31_1265
.LBB31_1284:
	s_mov_b32 s6, -1
.LBB31_1285:
                                        ; implicit-def: $vgpr4_vgpr5
.LBB31_1286:
	s_and_b32 vcc_lo, exec_lo, s7
	s_mov_b32 s7, 0
	s_cbranch_vccz .LBB31_1288
; %bb.1287:
	s_cmp_lg_u32 s1, 11
	s_mov_b32 s7, -1
	s_cselect_b32 s1, -1, 0
	s_and_not1_b32 s6, s6, exec_lo
	s_and_b32 s1, s1, exec_lo
	s_delay_alu instid0(SALU_CYCLE_1)
	s_or_b32 s6, s6, s1
.LBB31_1288:
	s_mov_b32 s1, 0
.LBB31_1289:
	s_delay_alu instid0(SALU_CYCLE_1)
	s_and_b32 s50, s1, exec_lo
	s_and_not1_b32 s1, s47, exec_lo
	s_and_b32 s6, s6, exec_lo
	s_and_b32 s24, s8, exec_lo
	;; [unrolled: 1-line block ×3, first 2 shown]
	s_or_b32 s51, s1, s6
.LBB31_1290:
	s_wait_xcnt 0x0
	s_or_b32 exec_lo, exec_lo, s36
	s_delay_alu instid0(SALU_CYCLE_1)
	s_and_not1_b32 s1, s47, exec_lo
	s_and_b32 s6, s51, exec_lo
	s_and_b32 s24, s24, exec_lo
	;; [unrolled: 1-line block ×4, first 2 shown]
	s_or_b32 s47, s1, s6
.LBB31_1291:
	s_or_b32 exec_lo, exec_lo, s46
	s_delay_alu instid0(SALU_CYCLE_1)
	s_and_not1_b32 s1, s43, exec_lo
	s_and_b32 s6, s48, exec_lo
	s_and_not1_b32 s7, s44, exec_lo
	s_and_b32 s8, s49, exec_lo
	s_or_b32 s43, s1, s6
	s_and_not1_b32 s1, s42, exec_lo
	s_and_b32 s6, s47, exec_lo
	s_or_b32 s44, s7, s8
	s_and_b32 s24, s24, exec_lo
	s_and_b32 s46, s50, exec_lo
	;; [unrolled: 1-line block ×3, first 2 shown]
	s_or_b32 s42, s1, s6
.LBB31_1292:
	s_or_b32 exec_lo, exec_lo, s45
	s_delay_alu instid0(SALU_CYCLE_1)
	s_and_not1_b32 s1, s38, exec_lo
	s_and_b32 s6, s43, exec_lo
	s_and_not1_b32 s7, s39, exec_lo
	s_and_b32 s8, s44, exec_lo
	s_or_b32 s38, s1, s6
	s_and_not1_b32 s1, s40, exec_lo
	s_and_b32 s6, s42, exec_lo
	s_or_b32 s39, s7, s8
	s_and_b32 s24, s24, exec_lo
	s_and_b32 s43, s46, exec_lo
	;; [unrolled: 1-line block ×3, first 2 shown]
	s_or_b32 s40, s1, s6
	s_or_b32 exec_lo, exec_lo, s41
	s_mov_b32 s1, 0
	s_and_saveexec_b32 s6, s40
	s_cbranch_execz .LBB31_402
.LBB31_1293:
	s_mov_b32 s1, exec_lo
	s_and_not1_b32 s19, s19, exec_lo
	s_trap 2
	s_or_b32 exec_lo, exec_lo, s6
	s_and_saveexec_b32 s6, s19
	s_delay_alu instid0(SALU_CYCLE_1)
	s_xor_b32 s6, exec_lo, s6
	s_cbranch_execnz .LBB31_403
.LBB31_1294:
	s_or_b32 exec_lo, exec_lo, s6
	s_and_saveexec_b32 s6, s43
	s_cbranch_execz .LBB31_1340
.LBB31_1295:
	s_sext_i32_i16 s7, s0
	s_delay_alu instid0(SALU_CYCLE_1)
	s_cmp_lt_i32 s7, 5
	s_cbranch_scc1 .LBB31_1300
; %bb.1296:
	s_cmp_lt_i32 s7, 8
	s_cbranch_scc1 .LBB31_1301
; %bb.1297:
	;; [unrolled: 3-line block ×3, first 2 shown]
	s_cmp_gt_i32 s7, 9
	s_cbranch_scc0 .LBB31_1303
; %bb.1299:
	s_wait_loadcnt 0x0
	global_load_b64 v[0:1], v[8:9], off
	s_mov_b32 s7, 0
	s_wait_loadcnt 0x0
	v_trunc_f64_e32 v[0:1], v[0:1]
	s_delay_alu instid0(VALU_DEP_1) | instskip(NEXT) | instid1(VALU_DEP_1)
	v_ldexp_f64 v[4:5], v[0:1], 0xffffffe0
	v_floor_f64_e32 v[4:5], v[4:5]
	s_delay_alu instid0(VALU_DEP_1) | instskip(SKIP_1) | instid1(VALU_DEP_2)
	v_fmamk_f64 v[0:1], v[4:5], 0xc1f00000, v[0:1]
	v_cvt_i32_f64_e32 v5, v[4:5]
	v_cvt_u32_f64_e32 v4, v[0:1]
	s_branch .LBB31_1304
.LBB31_1300:
                                        ; implicit-def: $vgpr4_vgpr5
	s_branch .LBB31_1321
.LBB31_1301:
                                        ; implicit-def: $vgpr4_vgpr5
	s_branch .LBB31_1310
.LBB31_1302:
	s_mov_b32 s7, -1
                                        ; implicit-def: $vgpr4_vgpr5
	s_branch .LBB31_1307
.LBB31_1303:
	s_mov_b32 s7, -1
                                        ; implicit-def: $vgpr4_vgpr5
.LBB31_1304:
	s_delay_alu instid0(SALU_CYCLE_1)
	s_and_not1_b32 vcc_lo, exec_lo, s7
	s_cbranch_vccnz .LBB31_1306
; %bb.1305:
	s_wait_loadcnt 0x0
	global_load_b32 v0, v[8:9], off
	s_wait_loadcnt 0x0
	v_trunc_f32_e32 v0, v0
	s_delay_alu instid0(VALU_DEP_1) | instskip(NEXT) | instid1(VALU_DEP_1)
	v_mul_f32_e64 v1, 0x2f800000, |v0|
	v_floor_f32_e32 v1, v1
	s_delay_alu instid0(VALU_DEP_1) | instskip(SKIP_2) | instid1(VALU_DEP_3)
	v_fma_f32 v3, 0xcf800000, v1, |v0|
	v_ashrrev_i32_e32 v0, 31, v0
	v_cvt_u32_f32_e32 v4, v1
	v_cvt_u32_f32_e32 v3, v3
	s_delay_alu instid0(VALU_DEP_3) | instskip(NEXT) | instid1(VALU_DEP_3)
	v_mov_b32_e32 v1, v0
	v_xor_b32_e32 v5, v4, v0
	s_delay_alu instid0(VALU_DEP_3) | instskip(NEXT) | instid1(VALU_DEP_1)
	v_xor_b32_e32 v4, v3, v0
	v_sub_nc_u64_e32 v[4:5], v[4:5], v[0:1]
.LBB31_1306:
	s_mov_b32 s7, 0
.LBB31_1307:
	s_delay_alu instid0(SALU_CYCLE_1)
	s_and_not1_b32 vcc_lo, exec_lo, s7
	s_cbranch_vccnz .LBB31_1309
; %bb.1308:
	s_wait_loadcnt 0x0
	global_load_b32 v0, v[8:9], off
	s_wait_loadcnt 0x0
	v_cvt_f32_f16_e32 v0, v0
	s_delay_alu instid0(VALU_DEP_1) | instskip(NEXT) | instid1(VALU_DEP_1)
	v_cvt_i32_f32_e32 v4, v0
	v_ashrrev_i32_e32 v5, 31, v4
.LBB31_1309:
	s_cbranch_execnz .LBB31_1320
.LBB31_1310:
	s_sext_i32_i16 s7, s0
	s_delay_alu instid0(SALU_CYCLE_1)
	s_cmp_lt_i32 s7, 6
	s_cbranch_scc1 .LBB31_1313
; %bb.1311:
	s_cmp_gt_i32 s7, 6
	s_cbranch_scc0 .LBB31_1314
; %bb.1312:
	s_wait_loadcnt 0x0
	global_load_b64 v[0:1], v[8:9], off
	s_mov_b32 s7, 0
	s_wait_loadcnt 0x0
	v_trunc_f64_e32 v[0:1], v[0:1]
	s_delay_alu instid0(VALU_DEP_1) | instskip(NEXT) | instid1(VALU_DEP_1)
	v_ldexp_f64 v[4:5], v[0:1], 0xffffffe0
	v_floor_f64_e32 v[4:5], v[4:5]
	s_delay_alu instid0(VALU_DEP_1) | instskip(SKIP_1) | instid1(VALU_DEP_2)
	v_fmamk_f64 v[0:1], v[4:5], 0xc1f00000, v[0:1]
	v_cvt_i32_f64_e32 v5, v[4:5]
	v_cvt_u32_f64_e32 v4, v[0:1]
	s_branch .LBB31_1315
.LBB31_1313:
	s_mov_b32 s7, -1
                                        ; implicit-def: $vgpr4_vgpr5
	s_branch .LBB31_1318
.LBB31_1314:
	s_mov_b32 s7, -1
                                        ; implicit-def: $vgpr4_vgpr5
.LBB31_1315:
	s_delay_alu instid0(SALU_CYCLE_1)
	s_and_not1_b32 vcc_lo, exec_lo, s7
	s_cbranch_vccnz .LBB31_1317
; %bb.1316:
	s_wait_loadcnt 0x0
	global_load_b32 v0, v[8:9], off
	s_wait_loadcnt 0x0
	v_trunc_f32_e32 v0, v0
	s_delay_alu instid0(VALU_DEP_1) | instskip(NEXT) | instid1(VALU_DEP_1)
	v_mul_f32_e64 v1, 0x2f800000, |v0|
	v_floor_f32_e32 v1, v1
	s_delay_alu instid0(VALU_DEP_1) | instskip(SKIP_2) | instid1(VALU_DEP_3)
	v_fma_f32 v3, 0xcf800000, v1, |v0|
	v_ashrrev_i32_e32 v0, 31, v0
	v_cvt_u32_f32_e32 v4, v1
	v_cvt_u32_f32_e32 v3, v3
	s_delay_alu instid0(VALU_DEP_3) | instskip(NEXT) | instid1(VALU_DEP_3)
	v_mov_b32_e32 v1, v0
	v_xor_b32_e32 v5, v4, v0
	s_delay_alu instid0(VALU_DEP_3) | instskip(NEXT) | instid1(VALU_DEP_1)
	v_xor_b32_e32 v4, v3, v0
	v_sub_nc_u64_e32 v[4:5], v[4:5], v[0:1]
.LBB31_1317:
	s_mov_b32 s7, 0
.LBB31_1318:
	s_delay_alu instid0(SALU_CYCLE_1)
	s_and_not1_b32 vcc_lo, exec_lo, s7
	s_cbranch_vccnz .LBB31_1320
; %bb.1319:
	s_wait_loadcnt 0x0
	global_load_u16 v0, v[8:9], off
	s_wait_loadcnt 0x0
	v_cvt_f32_f16_e32 v0, v0
	s_delay_alu instid0(VALU_DEP_1) | instskip(NEXT) | instid1(VALU_DEP_1)
	v_cvt_i32_f32_e32 v4, v0
	v_ashrrev_i32_e32 v5, 31, v4
.LBB31_1320:
	s_cbranch_execnz .LBB31_1339
.LBB31_1321:
	s_sext_i32_i16 s7, s0
	s_delay_alu instid0(SALU_CYCLE_1)
	s_cmp_lt_i32 s7, 2
	s_cbranch_scc1 .LBB31_1325
; %bb.1322:
	s_cmp_lt_i32 s7, 3
	s_cbranch_scc1 .LBB31_1326
; %bb.1323:
	s_cmp_gt_i32 s7, 3
	s_cbranch_scc0 .LBB31_1327
; %bb.1324:
	s_wait_loadcnt 0x0
	global_load_b64 v[4:5], v[8:9], off
	s_mov_b32 s7, 0
	s_branch .LBB31_1328
.LBB31_1325:
                                        ; implicit-def: $vgpr4_vgpr5
	s_branch .LBB31_1334
.LBB31_1326:
	s_mov_b32 s7, -1
                                        ; implicit-def: $vgpr4_vgpr5
	s_branch .LBB31_1331
.LBB31_1327:
	s_mov_b32 s7, -1
                                        ; implicit-def: $vgpr4_vgpr5
.LBB31_1328:
	s_delay_alu instid0(SALU_CYCLE_1)
	s_and_not1_b32 vcc_lo, exec_lo, s7
	s_cbranch_vccnz .LBB31_1330
; %bb.1329:
	s_wait_loadcnt 0x0
	global_load_b32 v4, v[8:9], off
	s_wait_loadcnt 0x0
	v_ashrrev_i32_e32 v5, 31, v4
.LBB31_1330:
	s_mov_b32 s7, 0
.LBB31_1331:
	s_delay_alu instid0(SALU_CYCLE_1)
	s_and_not1_b32 vcc_lo, exec_lo, s7
	s_cbranch_vccnz .LBB31_1333
; %bb.1332:
	s_wait_loadcnt 0x0
	global_load_u16 v0, v[8:9], off
	s_wait_loadcnt 0x0
	v_bfe_i32 v4, v0, 0, 16
	s_delay_alu instid0(VALU_DEP_1)
	v_ashrrev_i32_e32 v5, 31, v4
.LBB31_1333:
	s_cbranch_execnz .LBB31_1339
.LBB31_1334:
	s_sext_i32_i16 s0, s0
	s_delay_alu instid0(SALU_CYCLE_1)
	s_cmp_gt_i32 s0, 0
	s_mov_b32 s0, 0
	s_cbranch_scc0 .LBB31_1336
; %bb.1335:
	s_wait_loadcnt 0x0
	global_load_i8 v0, v[8:9], off
	s_wait_loadcnt 0x0
	v_bfe_i32 v4, v0, 0, 16
	s_delay_alu instid0(VALU_DEP_1)
	v_ashrrev_i32_e32 v5, 31, v4
	s_branch .LBB31_1337
.LBB31_1336:
	s_mov_b32 s0, -1
                                        ; implicit-def: $vgpr4_vgpr5
.LBB31_1337:
	s_delay_alu instid0(SALU_CYCLE_1)
	s_and_not1_b32 vcc_lo, exec_lo, s0
	s_cbranch_vccnz .LBB31_1339
; %bb.1338:
	s_wait_loadcnt 0x0
	global_load_u8 v0, v[8:9], off
	s_mov_b32 s0, 0
	s_delay_alu instid0(SALU_CYCLE_1)
	v_mov_b32_e32 v5, s0
	s_wait_loadcnt 0x0
	v_and_b32_e32 v4, 0xffff, v0
.LBB31_1339:
	s_or_b32 s24, s24, exec_lo
.LBB31_1340:
	s_wait_xcnt 0x0
	s_or_b32 exec_lo, exec_lo, s6
	s_mov_b32 s8, 0
	s_mov_b32 s7, 0
	;; [unrolled: 1-line block ×3, first 2 shown]
                                        ; implicit-def: $sgpr0
                                        ; implicit-def: $vgpr0_vgpr1
                                        ; implicit-def: $vgpr8_vgpr9
	s_and_saveexec_b32 s6, s24
	s_cbranch_execz .LBB31_1348
; %bb.1341:
	v_mov_b32_e32 v7, 0
	s_and_b32 s0, s9, 0xff
	s_delay_alu instid0(SALU_CYCLE_1) | instskip(NEXT) | instid1(VALU_DEP_1)
	s_cmp_lt_i32 s0, 11
	v_add_nc_u64_e32 v[0:1], s[16:17], v[6:7]
	s_cbranch_scc1 .LBB31_1351
; %bb.1342:
	s_and_b32 s7, 0xffff, s0
	s_mov_b32 s9, 0
	s_cmp_gt_i32 s7, 25
	s_cbranch_scc0 .LBB31_1352
; %bb.1343:
	s_cmp_gt_i32 s7, 28
	s_cbranch_scc0 .LBB31_1353
; %bb.1344:
	;; [unrolled: 3-line block ×4, first 2 shown]
	s_cmp_eq_u32 s7, 46
	s_mov_b32 s11, 0
	s_cbranch_scc0 .LBB31_1356
; %bb.1347:
	global_load_b32 v3, v[0:1], off
	s_mov_b32 s10, -1
	s_wait_loadcnt 0x0
	v_lshlrev_b32_e32 v3, 16, v3
	s_delay_alu instid0(VALU_DEP_1) | instskip(NEXT) | instid1(VALU_DEP_1)
	v_trunc_f32_e32 v3, v3
	v_mul_f32_e64 v6, 0x2f800000, |v3|
	s_delay_alu instid0(VALU_DEP_1) | instskip(SKIP_1) | instid1(VALU_DEP_2)
	v_floor_f32_e32 v7, v6
	v_ashrrev_i32_e32 v6, 31, v3
	v_fma_f32 v8, 0xcf800000, v7, |v3|
	v_cvt_u32_f32_e32 v3, v7
	s_delay_alu instid0(VALU_DEP_3) | instskip(NEXT) | instid1(VALU_DEP_3)
	v_mov_b32_e32 v7, v6
	v_cvt_u32_f32_e32 v8, v8
	s_delay_alu instid0(VALU_DEP_3) | instskip(NEXT) | instid1(VALU_DEP_2)
	v_xor_b32_e32 v9, v3, v6
	v_xor_b32_e32 v8, v8, v6
	s_delay_alu instid0(VALU_DEP_1)
	v_sub_nc_u64_e32 v[8:9], v[8:9], v[6:7]
	s_branch .LBB31_1358
.LBB31_1348:
	s_or_b32 exec_lo, exec_lo, s6
	s_and_saveexec_b32 s6, s39
	s_cbranch_execnz .LBB31_1417
.LBB31_1349:
	s_or_b32 exec_lo, exec_lo, s6
	s_and_saveexec_b32 s6, s8
	s_delay_alu instid0(SALU_CYCLE_1)
	s_xor_b32 s6, exec_lo, s6
	s_cbranch_execz .LBB31_1418
.LBB31_1350:
	global_load_u8 v3, v[0:1], off
	s_mov_b32 s8, 0
	s_or_b32 s10, s10, exec_lo
	s_wait_loadcnt 0x1
	v_mov_b32_e32 v9, s8
	s_wait_loadcnt 0x0
	v_cmp_ne_u16_e32 vcc_lo, 0, v3
	v_cndmask_b32_e64 v8, 0, 1, vcc_lo
	s_wait_xcnt 0x0
	s_or_b32 exec_lo, exec_lo, s6
	s_and_saveexec_b32 s6, s7
	s_cbranch_execz .LBB31_1464
	s_branch .LBB31_1419
.LBB31_1351:
	s_mov_b32 s7, -1
	s_mov_b32 s9, 0
	s_mov_b32 s8, s39
                                        ; implicit-def: $vgpr8_vgpr9
	s_branch .LBB31_1416
.LBB31_1352:
	s_mov_b32 s8, s39
                                        ; implicit-def: $vgpr8_vgpr9
	s_cbranch_execnz .LBB31_1385
	s_branch .LBB31_1415
.LBB31_1353:
	s_mov_b32 s11, -1
	s_mov_b32 s8, s39
                                        ; implicit-def: $vgpr8_vgpr9
	s_branch .LBB31_1368
.LBB31_1354:
	s_mov_b32 s11, -1
	s_mov_b32 s8, s39
                                        ; implicit-def: $vgpr8_vgpr9
	s_branch .LBB31_1363
.LBB31_1355:
	s_mov_b32 s11, -1
	s_mov_b32 s8, s39
	s_branch .LBB31_1357
.LBB31_1356:
	s_mov_b32 s8, -1
.LBB31_1357:
                                        ; implicit-def: $vgpr8_vgpr9
.LBB31_1358:
	s_and_b32 vcc_lo, exec_lo, s11
	s_cbranch_vccz .LBB31_1362
; %bb.1359:
	s_cmp_eq_u32 s7, 44
	s_cbranch_scc0 .LBB31_1361
; %bb.1360:
	global_load_u8 v3, v[0:1], off
	s_mov_b32 s8, 0
	s_mov_b32 s10, -1
	s_wait_loadcnt 0x0
	v_lshlrev_b32_e32 v6, 23, v3
	v_cmp_ne_u32_e32 vcc_lo, 0, v3
	s_delay_alu instid0(VALU_DEP_2) | instskip(NEXT) | instid1(VALU_DEP_1)
	v_trunc_f32_e32 v6, v6
	v_mul_f32_e64 v7, 0x2f800000, |v6|
	s_delay_alu instid0(VALU_DEP_1) | instskip(NEXT) | instid1(VALU_DEP_1)
	v_floor_f32_e32 v7, v7
	v_fma_f32 v8, 0xcf800000, v7, |v6|
	v_ashrrev_i32_e32 v6, 31, v6
	v_cvt_u32_f32_e32 v9, v7
	s_delay_alu instid0(VALU_DEP_3) | instskip(NEXT) | instid1(VALU_DEP_2)
	v_cvt_u32_f32_e32 v8, v8
	v_dual_mov_b32 v7, v6 :: v_dual_bitop2_b32 v9, v9, v6 bitop3:0x14
	s_delay_alu instid0(VALU_DEP_2) | instskip(NEXT) | instid1(VALU_DEP_1)
	v_xor_b32_e32 v8, v8, v6
	v_sub_nc_u64_e32 v[6:7], v[8:9], v[6:7]
	s_delay_alu instid0(VALU_DEP_1)
	v_dual_cndmask_b32 v9, 0, v7 :: v_dual_cndmask_b32 v8, 0, v6
	s_branch .LBB31_1362
.LBB31_1361:
	s_mov_b32 s8, -1
                                        ; implicit-def: $vgpr8_vgpr9
.LBB31_1362:
	s_mov_b32 s11, 0
.LBB31_1363:
	s_delay_alu instid0(SALU_CYCLE_1)
	s_and_b32 vcc_lo, exec_lo, s11
	s_cbranch_vccz .LBB31_1367
; %bb.1364:
	s_cmp_eq_u32 s7, 29
	s_cbranch_scc0 .LBB31_1366
; %bb.1365:
	s_wait_loadcnt 0x0
	global_load_b64 v[8:9], v[0:1], off
	s_mov_b32 s8, 0
	s_mov_b32 s10, -1
	s_branch .LBB31_1367
.LBB31_1366:
	s_mov_b32 s8, -1
                                        ; implicit-def: $vgpr8_vgpr9
.LBB31_1367:
	s_mov_b32 s11, 0
.LBB31_1368:
	s_delay_alu instid0(SALU_CYCLE_1)
	s_and_b32 vcc_lo, exec_lo, s11
	s_cbranch_vccz .LBB31_1384
; %bb.1369:
	s_cmp_lt_i32 s7, 27
	s_cbranch_scc1 .LBB31_1372
; %bb.1370:
	s_cmp_gt_i32 s7, 27
	s_cbranch_scc0 .LBB31_1373
; %bb.1371:
	s_wait_loadcnt 0x0
	global_load_b32 v8, v[0:1], off
	v_mov_b32_e32 v9, 0
	s_mov_b32 s10, 0
	s_branch .LBB31_1374
.LBB31_1372:
	s_mov_b32 s10, -1
                                        ; implicit-def: $vgpr8_vgpr9
	s_branch .LBB31_1377
.LBB31_1373:
	s_mov_b32 s10, -1
                                        ; implicit-def: $vgpr8_vgpr9
.LBB31_1374:
	s_delay_alu instid0(SALU_CYCLE_1)
	s_and_not1_b32 vcc_lo, exec_lo, s10
	s_cbranch_vccnz .LBB31_1376
; %bb.1375:
	global_load_u16 v3, v[0:1], off
	s_mov_b32 s10, 0
	s_wait_loadcnt 0x1
	v_mov_b32_e32 v9, s10
	s_wait_loadcnt 0x0
	v_and_b32_e32 v8, 0xffff, v3
.LBB31_1376:
	s_mov_b32 s10, 0
.LBB31_1377:
	s_delay_alu instid0(SALU_CYCLE_1)
	s_and_not1_b32 vcc_lo, exec_lo, s10
	s_cbranch_vccnz .LBB31_1383
; %bb.1378:
	global_load_u8 v3, v[0:1], off
	s_mov_b32 s11, 0
	s_mov_b32 s10, exec_lo
	s_wait_loadcnt 0x0
	v_cmpx_lt_i16_e32 0x7f, v3
	s_xor_b32 s10, exec_lo, s10
	s_cbranch_execz .LBB31_1394
; %bb.1379:
	v_cmp_ne_u16_e32 vcc_lo, 0x80, v3
	s_and_b32 s11, vcc_lo, exec_lo
	s_and_not1_saveexec_b32 s10, s10
	s_cbranch_execnz .LBB31_1395
.LBB31_1380:
	s_or_b32 exec_lo, exec_lo, s10
	v_mov_b64_e32 v[8:9], 0
	s_and_saveexec_b32 s10, s11
	s_cbranch_execz .LBB31_1382
.LBB31_1381:
	v_and_b32_e32 v6, 0xffff, v3
	s_delay_alu instid0(VALU_DEP_1) | instskip(SKIP_1) | instid1(VALU_DEP_2)
	v_and_b32_e32 v7, 7, v6
	v_bfe_u32 v10, v6, 3, 4
	v_clz_i32_u32_e32 v8, v7
	s_delay_alu instid0(VALU_DEP_2) | instskip(NEXT) | instid1(VALU_DEP_2)
	v_cmp_eq_u32_e32 vcc_lo, 0, v10
	v_min_u32_e32 v8, 32, v8
	s_delay_alu instid0(VALU_DEP_1) | instskip(NEXT) | instid1(VALU_DEP_1)
	v_subrev_nc_u32_e32 v9, 28, v8
	v_dual_lshlrev_b32 v6, v9, v6 :: v_dual_sub_nc_u32 v8, 29, v8
	s_delay_alu instid0(VALU_DEP_1) | instskip(NEXT) | instid1(VALU_DEP_1)
	v_dual_lshlrev_b32 v3, 24, v3 :: v_dual_bitop2_b32 v6, 7, v6 bitop3:0x40
	v_dual_cndmask_b32 v8, v10, v8, vcc_lo :: v_dual_cndmask_b32 v6, v7, v6, vcc_lo
	s_delay_alu instid0(VALU_DEP_2) | instskip(NEXT) | instid1(VALU_DEP_2)
	v_and_b32_e32 v3, 0x80000000, v3
	v_lshl_add_u32 v7, v8, 23, 0x3b800000
	s_delay_alu instid0(VALU_DEP_3) | instskip(NEXT) | instid1(VALU_DEP_1)
	v_lshlrev_b32_e32 v6, 20, v6
	v_or3_b32 v3, v3, v7, v6
	s_delay_alu instid0(VALU_DEP_1) | instskip(NEXT) | instid1(VALU_DEP_1)
	v_trunc_f32_e32 v3, v3
	v_mul_f32_e64 v6, 0x2f800000, |v3|
	s_delay_alu instid0(VALU_DEP_1) | instskip(SKIP_1) | instid1(VALU_DEP_2)
	v_floor_f32_e32 v7, v6
	v_ashrrev_i32_e32 v6, 31, v3
	v_fma_f32 v8, 0xcf800000, v7, |v3|
	v_cvt_u32_f32_e32 v3, v7
	s_delay_alu instid0(VALU_DEP_3) | instskip(NEXT) | instid1(VALU_DEP_3)
	v_mov_b32_e32 v7, v6
	v_cvt_u32_f32_e32 v8, v8
	s_delay_alu instid0(VALU_DEP_3) | instskip(NEXT) | instid1(VALU_DEP_2)
	v_xor_b32_e32 v9, v3, v6
	v_xor_b32_e32 v8, v8, v6
	s_delay_alu instid0(VALU_DEP_1)
	v_sub_nc_u64_e32 v[8:9], v[8:9], v[6:7]
.LBB31_1382:
	s_or_b32 exec_lo, exec_lo, s10
.LBB31_1383:
	s_mov_b32 s10, -1
.LBB31_1384:
	s_branch .LBB31_1415
.LBB31_1385:
	s_cmp_gt_i32 s7, 22
	s_cbranch_scc0 .LBB31_1393
; %bb.1386:
	s_cmp_lt_i32 s7, 24
	s_cbranch_scc1 .LBB31_1396
; %bb.1387:
	s_cmp_gt_i32 s7, 24
	s_cbranch_scc0 .LBB31_1397
; %bb.1388:
	global_load_u8 v3, v[0:1], off
	s_mov_b32 s10, 0
	s_mov_b32 s9, exec_lo
	s_wait_loadcnt 0x0
	v_cmpx_lt_i16_e32 0x7f, v3
	s_xor_b32 s9, exec_lo, s9
	s_cbranch_execz .LBB31_1409
; %bb.1389:
	v_cmp_ne_u16_e32 vcc_lo, 0x80, v3
	s_and_b32 s10, vcc_lo, exec_lo
	s_and_not1_saveexec_b32 s9, s9
	s_cbranch_execnz .LBB31_1410
.LBB31_1390:
	s_or_b32 exec_lo, exec_lo, s9
	v_mov_b64_e32 v[8:9], 0
	s_and_saveexec_b32 s9, s10
	s_cbranch_execz .LBB31_1392
.LBB31_1391:
	v_and_b32_e32 v6, 0xffff, v3
	s_delay_alu instid0(VALU_DEP_1) | instskip(SKIP_1) | instid1(VALU_DEP_2)
	v_and_b32_e32 v7, 3, v6
	v_bfe_u32 v10, v6, 2, 5
	v_clz_i32_u32_e32 v8, v7
	s_delay_alu instid0(VALU_DEP_2) | instskip(NEXT) | instid1(VALU_DEP_2)
	v_cmp_eq_u32_e32 vcc_lo, 0, v10
	v_min_u32_e32 v8, 32, v8
	s_delay_alu instid0(VALU_DEP_1) | instskip(NEXT) | instid1(VALU_DEP_1)
	v_subrev_nc_u32_e32 v9, 29, v8
	v_dual_lshlrev_b32 v6, v9, v6 :: v_dual_sub_nc_u32 v8, 30, v8
	s_delay_alu instid0(VALU_DEP_1) | instskip(NEXT) | instid1(VALU_DEP_1)
	v_dual_lshlrev_b32 v3, 24, v3 :: v_dual_bitop2_b32 v6, 3, v6 bitop3:0x40
	v_dual_cndmask_b32 v8, v10, v8, vcc_lo :: v_dual_cndmask_b32 v6, v7, v6, vcc_lo
	s_delay_alu instid0(VALU_DEP_2) | instskip(NEXT) | instid1(VALU_DEP_2)
	v_and_b32_e32 v3, 0x80000000, v3
	v_lshl_add_u32 v7, v8, 23, 0x37800000
	s_delay_alu instid0(VALU_DEP_3) | instskip(NEXT) | instid1(VALU_DEP_1)
	v_lshlrev_b32_e32 v6, 21, v6
	v_or3_b32 v3, v3, v7, v6
	s_delay_alu instid0(VALU_DEP_1) | instskip(NEXT) | instid1(VALU_DEP_1)
	v_trunc_f32_e32 v3, v3
	v_mul_f32_e64 v6, 0x2f800000, |v3|
	s_delay_alu instid0(VALU_DEP_1) | instskip(SKIP_1) | instid1(VALU_DEP_2)
	v_floor_f32_e32 v7, v6
	v_ashrrev_i32_e32 v6, 31, v3
	v_fma_f32 v8, 0xcf800000, v7, |v3|
	v_cvt_u32_f32_e32 v3, v7
	s_delay_alu instid0(VALU_DEP_3) | instskip(NEXT) | instid1(VALU_DEP_3)
	v_mov_b32_e32 v7, v6
	v_cvt_u32_f32_e32 v8, v8
	s_delay_alu instid0(VALU_DEP_3) | instskip(NEXT) | instid1(VALU_DEP_2)
	v_xor_b32_e32 v9, v3, v6
	v_xor_b32_e32 v8, v8, v6
	s_delay_alu instid0(VALU_DEP_1)
	v_sub_nc_u64_e32 v[8:9], v[8:9], v[6:7]
.LBB31_1392:
	s_or_b32 exec_lo, exec_lo, s9
	s_mov_b32 s9, 0
	s_branch .LBB31_1398
.LBB31_1393:
	s_mov_b32 s9, -1
                                        ; implicit-def: $vgpr8_vgpr9
	s_branch .LBB31_1404
.LBB31_1394:
	s_and_not1_saveexec_b32 s10, s10
	s_cbranch_execz .LBB31_1380
.LBB31_1395:
	v_cmp_ne_u16_e32 vcc_lo, 0, v3
	s_and_not1_b32 s11, s11, exec_lo
	s_and_b32 s12, vcc_lo, exec_lo
	s_delay_alu instid0(SALU_CYCLE_1)
	s_or_b32 s11, s11, s12
	s_or_b32 exec_lo, exec_lo, s10
	v_mov_b64_e32 v[8:9], 0
	s_and_saveexec_b32 s10, s11
	s_cbranch_execnz .LBB31_1381
	s_branch .LBB31_1382
.LBB31_1396:
	s_mov_b32 s9, -1
                                        ; implicit-def: $vgpr8_vgpr9
	s_branch .LBB31_1401
.LBB31_1397:
	s_mov_b32 s9, -1
                                        ; implicit-def: $vgpr8_vgpr9
.LBB31_1398:
	s_delay_alu instid0(SALU_CYCLE_1)
	s_and_b32 vcc_lo, exec_lo, s9
	s_cbranch_vccz .LBB31_1400
; %bb.1399:
	global_load_u8 v3, v[0:1], off
	s_wait_loadcnt 0x0
	v_lshlrev_b32_e32 v3, 24, v3
	s_delay_alu instid0(VALU_DEP_1) | instskip(NEXT) | instid1(VALU_DEP_1)
	v_and_b32_e32 v6, 0x7f000000, v3
	v_clz_i32_u32_e32 v7, v6
	v_cmp_ne_u32_e32 vcc_lo, 0, v6
	v_add_nc_u32_e32 v9, 0x1000000, v6
	s_delay_alu instid0(VALU_DEP_3) | instskip(NEXT) | instid1(VALU_DEP_1)
	v_min_u32_e32 v7, 32, v7
	v_sub_nc_u32_e64 v7, v7, 4 clamp
	s_delay_alu instid0(VALU_DEP_1) | instskip(NEXT) | instid1(VALU_DEP_1)
	v_dual_lshlrev_b32 v8, v7, v6 :: v_dual_lshlrev_b32 v7, 23, v7
	v_lshrrev_b32_e32 v8, 4, v8
	s_delay_alu instid0(VALU_DEP_1) | instskip(NEXT) | instid1(VALU_DEP_1)
	v_dual_sub_nc_u32 v7, v8, v7 :: v_dual_ashrrev_i32 v8, 8, v9
	v_add_nc_u32_e32 v7, 0x3c000000, v7
	s_delay_alu instid0(VALU_DEP_1) | instskip(NEXT) | instid1(VALU_DEP_1)
	v_and_or_b32 v7, 0x7f800000, v8, v7
	v_cndmask_b32_e32 v6, 0, v7, vcc_lo
	s_delay_alu instid0(VALU_DEP_1) | instskip(NEXT) | instid1(VALU_DEP_1)
	v_and_or_b32 v3, 0x80000000, v3, v6
	v_trunc_f32_e32 v3, v3
	s_delay_alu instid0(VALU_DEP_1) | instskip(NEXT) | instid1(VALU_DEP_1)
	v_mul_f32_e64 v6, 0x2f800000, |v3|
	v_floor_f32_e32 v7, v6
	v_ashrrev_i32_e32 v6, 31, v3
	s_delay_alu instid0(VALU_DEP_2) | instskip(SKIP_1) | instid1(VALU_DEP_3)
	v_fma_f32 v8, 0xcf800000, v7, |v3|
	v_cvt_u32_f32_e32 v3, v7
	v_mov_b32_e32 v7, v6
	s_delay_alu instid0(VALU_DEP_3) | instskip(NEXT) | instid1(VALU_DEP_3)
	v_cvt_u32_f32_e32 v8, v8
	v_xor_b32_e32 v9, v3, v6
	s_delay_alu instid0(VALU_DEP_2) | instskip(NEXT) | instid1(VALU_DEP_1)
	v_xor_b32_e32 v8, v8, v6
	v_sub_nc_u64_e32 v[8:9], v[8:9], v[6:7]
.LBB31_1400:
	s_mov_b32 s9, 0
.LBB31_1401:
	s_delay_alu instid0(SALU_CYCLE_1)
	s_and_not1_b32 vcc_lo, exec_lo, s9
	s_cbranch_vccnz .LBB31_1403
; %bb.1402:
	global_load_u8 v3, v[0:1], off
	s_wait_loadcnt 0x0
	v_lshlrev_b32_e32 v6, 25, v3
	v_lshlrev_b16 v3, 8, v3
	s_delay_alu instid0(VALU_DEP_1) | instskip(SKIP_1) | instid1(VALU_DEP_2)
	v_and_or_b32 v8, 0x7f00, v3, 0.5
	v_bfe_i32 v3, v3, 0, 16
	v_dual_add_f32 v8, -0.5, v8 :: v_dual_lshrrev_b32 v7, 4, v6
	v_cmp_gt_u32_e32 vcc_lo, 0x8000000, v6
	s_delay_alu instid0(VALU_DEP_2) | instskip(NEXT) | instid1(VALU_DEP_1)
	v_or_b32_e32 v7, 0x70000000, v7
	v_mul_f32_e32 v7, 0x7800000, v7
	s_delay_alu instid0(VALU_DEP_1) | instskip(NEXT) | instid1(VALU_DEP_1)
	v_cndmask_b32_e32 v6, v7, v8, vcc_lo
	v_and_or_b32 v3, 0x80000000, v3, v6
	s_delay_alu instid0(VALU_DEP_1) | instskip(NEXT) | instid1(VALU_DEP_1)
	v_trunc_f32_e32 v3, v3
	v_mul_f32_e64 v6, 0x2f800000, |v3|
	s_delay_alu instid0(VALU_DEP_1) | instskip(SKIP_1) | instid1(VALU_DEP_2)
	v_floor_f32_e32 v7, v6
	v_ashrrev_i32_e32 v6, 31, v3
	v_fma_f32 v8, 0xcf800000, v7, |v3|
	v_cvt_u32_f32_e32 v3, v7
	s_delay_alu instid0(VALU_DEP_3) | instskip(NEXT) | instid1(VALU_DEP_3)
	v_mov_b32_e32 v7, v6
	v_cvt_u32_f32_e32 v8, v8
	s_delay_alu instid0(VALU_DEP_3) | instskip(NEXT) | instid1(VALU_DEP_2)
	v_xor_b32_e32 v9, v3, v6
	v_xor_b32_e32 v8, v8, v6
	s_delay_alu instid0(VALU_DEP_1)
	v_sub_nc_u64_e32 v[8:9], v[8:9], v[6:7]
.LBB31_1403:
	s_mov_b32 s9, 0
	s_mov_b32 s10, -1
.LBB31_1404:
	s_and_not1_b32 vcc_lo, exec_lo, s9
	s_mov_b32 s9, 0
	s_cbranch_vccnz .LBB31_1415
; %bb.1405:
	s_cmp_gt_i32 s7, 14
	s_cbranch_scc0 .LBB31_1408
; %bb.1406:
	s_cmp_eq_u32 s7, 15
	s_cbranch_scc0 .LBB31_1411
; %bb.1407:
	global_load_u16 v3, v[0:1], off
	s_mov_b32 s8, 0
	s_mov_b32 s10, -1
	s_wait_loadcnt 0x0
	v_lshlrev_b32_e32 v3, 16, v3
	s_delay_alu instid0(VALU_DEP_1) | instskip(NEXT) | instid1(VALU_DEP_1)
	v_trunc_f32_e32 v3, v3
	v_mul_f32_e64 v6, 0x2f800000, |v3|
	s_delay_alu instid0(VALU_DEP_1) | instskip(SKIP_1) | instid1(VALU_DEP_2)
	v_floor_f32_e32 v7, v6
	v_ashrrev_i32_e32 v6, 31, v3
	v_fma_f32 v8, 0xcf800000, v7, |v3|
	v_cvt_u32_f32_e32 v3, v7
	s_delay_alu instid0(VALU_DEP_3) | instskip(NEXT) | instid1(VALU_DEP_3)
	v_mov_b32_e32 v7, v6
	v_cvt_u32_f32_e32 v8, v8
	s_delay_alu instid0(VALU_DEP_3) | instskip(NEXT) | instid1(VALU_DEP_2)
	v_xor_b32_e32 v9, v3, v6
	v_xor_b32_e32 v8, v8, v6
	s_delay_alu instid0(VALU_DEP_1)
	v_sub_nc_u64_e32 v[8:9], v[8:9], v[6:7]
	s_branch .LBB31_1413
.LBB31_1408:
	s_mov_b32 s9, -1
	s_branch .LBB31_1412
.LBB31_1409:
	s_and_not1_saveexec_b32 s9, s9
	s_cbranch_execz .LBB31_1390
.LBB31_1410:
	v_cmp_ne_u16_e32 vcc_lo, 0, v3
	s_and_not1_b32 s10, s10, exec_lo
	s_and_b32 s11, vcc_lo, exec_lo
	s_delay_alu instid0(SALU_CYCLE_1)
	s_or_b32 s10, s10, s11
	s_or_b32 exec_lo, exec_lo, s9
	v_mov_b64_e32 v[8:9], 0
	s_and_saveexec_b32 s9, s10
	s_cbranch_execnz .LBB31_1391
	s_branch .LBB31_1392
.LBB31_1411:
	s_mov_b32 s8, -1
.LBB31_1412:
                                        ; implicit-def: $vgpr8_vgpr9
.LBB31_1413:
	s_and_b32 vcc_lo, exec_lo, s9
	s_mov_b32 s9, 0
	s_cbranch_vccz .LBB31_1415
; %bb.1414:
	s_cmp_lg_u32 s7, 11
	s_mov_b32 s9, -1
	s_cselect_b32 s7, -1, 0
	s_and_not1_b32 s8, s8, exec_lo
	s_and_b32 s7, s7, exec_lo
	s_delay_alu instid0(SALU_CYCLE_1)
	s_or_b32 s8, s8, s7
.LBB31_1415:
	s_mov_b32 s7, 0
.LBB31_1416:
	s_and_not1_b32 s11, s39, exec_lo
	s_and_b32 s12, s8, exec_lo
	s_and_b32 s10, s10, exec_lo
	;; [unrolled: 1-line block ×4, first 2 shown]
	s_or_b32 s39, s11, s12
	s_wait_xcnt 0x0
	s_or_b32 exec_lo, exec_lo, s6
	s_and_saveexec_b32 s6, s39
	s_cbranch_execz .LBB31_1349
.LBB31_1417:
	s_or_b32 s1, s1, exec_lo
	s_and_not1_b32 s8, s8, exec_lo
	s_trap 2
	s_or_b32 exec_lo, exec_lo, s6
	s_and_saveexec_b32 s6, s8
	s_delay_alu instid0(SALU_CYCLE_1)
	s_xor_b32 s6, exec_lo, s6
	s_cbranch_execnz .LBB31_1350
.LBB31_1418:
	s_or_b32 exec_lo, exec_lo, s6
	s_and_saveexec_b32 s6, s7
	s_cbranch_execz .LBB31_1464
.LBB31_1419:
	s_sext_i32_i16 s7, s0
	s_delay_alu instid0(SALU_CYCLE_1)
	s_cmp_lt_i32 s7, 5
	s_cbranch_scc1 .LBB31_1424
; %bb.1420:
	s_cmp_lt_i32 s7, 8
	s_cbranch_scc1 .LBB31_1425
; %bb.1421:
	;; [unrolled: 3-line block ×3, first 2 shown]
	s_cmp_gt_i32 s7, 9
	s_cbranch_scc0 .LBB31_1427
; %bb.1423:
	global_load_b64 v[6:7], v[0:1], off
	s_mov_b32 s7, 0
	s_wait_loadcnt 0x0
	v_trunc_f64_e32 v[6:7], v[6:7]
	s_delay_alu instid0(VALU_DEP_1) | instskip(NEXT) | instid1(VALU_DEP_1)
	v_ldexp_f64 v[8:9], v[6:7], 0xffffffe0
	v_floor_f64_e32 v[8:9], v[8:9]
	s_delay_alu instid0(VALU_DEP_1) | instskip(SKIP_1) | instid1(VALU_DEP_2)
	v_fmamk_f64 v[6:7], v[8:9], 0xc1f00000, v[6:7]
	v_cvt_i32_f64_e32 v9, v[8:9]
	v_cvt_u32_f64_e32 v8, v[6:7]
	s_branch .LBB31_1428
.LBB31_1424:
                                        ; implicit-def: $vgpr8_vgpr9
	s_branch .LBB31_1445
.LBB31_1425:
                                        ; implicit-def: $vgpr8_vgpr9
	s_branch .LBB31_1434
.LBB31_1426:
	s_mov_b32 s7, -1
                                        ; implicit-def: $vgpr8_vgpr9
	s_branch .LBB31_1431
.LBB31_1427:
	s_mov_b32 s7, -1
                                        ; implicit-def: $vgpr8_vgpr9
.LBB31_1428:
	s_delay_alu instid0(SALU_CYCLE_1)
	s_and_not1_b32 vcc_lo, exec_lo, s7
	s_cbranch_vccnz .LBB31_1430
; %bb.1429:
	global_load_b32 v3, v[0:1], off
	s_wait_loadcnt 0x0
	v_trunc_f32_e32 v3, v3
	s_delay_alu instid0(VALU_DEP_1) | instskip(NEXT) | instid1(VALU_DEP_1)
	v_mul_f32_e64 v6, 0x2f800000, |v3|
	v_floor_f32_e32 v7, v6
	v_ashrrev_i32_e32 v6, 31, v3
	s_delay_alu instid0(VALU_DEP_2) | instskip(SKIP_1) | instid1(VALU_DEP_3)
	v_fma_f32 v8, 0xcf800000, v7, |v3|
	v_cvt_u32_f32_e32 v3, v7
	v_mov_b32_e32 v7, v6
	s_delay_alu instid0(VALU_DEP_3) | instskip(NEXT) | instid1(VALU_DEP_3)
	v_cvt_u32_f32_e32 v8, v8
	v_xor_b32_e32 v9, v3, v6
	s_delay_alu instid0(VALU_DEP_2) | instskip(NEXT) | instid1(VALU_DEP_1)
	v_xor_b32_e32 v8, v8, v6
	v_sub_nc_u64_e32 v[8:9], v[8:9], v[6:7]
.LBB31_1430:
	s_mov_b32 s7, 0
.LBB31_1431:
	s_delay_alu instid0(SALU_CYCLE_1)
	s_and_not1_b32 vcc_lo, exec_lo, s7
	s_cbranch_vccnz .LBB31_1433
; %bb.1432:
	global_load_b32 v3, v[0:1], off
	s_wait_loadcnt 0x0
	v_cvt_f32_f16_e32 v3, v3
	s_delay_alu instid0(VALU_DEP_1) | instskip(NEXT) | instid1(VALU_DEP_1)
	v_cvt_i32_f32_e32 v8, v3
	v_ashrrev_i32_e32 v9, 31, v8
.LBB31_1433:
	s_cbranch_execnz .LBB31_1444
.LBB31_1434:
	s_sext_i32_i16 s7, s0
	s_delay_alu instid0(SALU_CYCLE_1)
	s_cmp_lt_i32 s7, 6
	s_cbranch_scc1 .LBB31_1437
; %bb.1435:
	s_cmp_gt_i32 s7, 6
	s_cbranch_scc0 .LBB31_1438
; %bb.1436:
	global_load_b64 v[6:7], v[0:1], off
	s_mov_b32 s7, 0
	s_wait_loadcnt 0x0
	v_trunc_f64_e32 v[6:7], v[6:7]
	s_delay_alu instid0(VALU_DEP_1) | instskip(NEXT) | instid1(VALU_DEP_1)
	v_ldexp_f64 v[8:9], v[6:7], 0xffffffe0
	v_floor_f64_e32 v[8:9], v[8:9]
	s_delay_alu instid0(VALU_DEP_1) | instskip(SKIP_1) | instid1(VALU_DEP_2)
	v_fmamk_f64 v[6:7], v[8:9], 0xc1f00000, v[6:7]
	v_cvt_i32_f64_e32 v9, v[8:9]
	v_cvt_u32_f64_e32 v8, v[6:7]
	s_branch .LBB31_1439
.LBB31_1437:
	s_mov_b32 s7, -1
                                        ; implicit-def: $vgpr8_vgpr9
	s_branch .LBB31_1442
.LBB31_1438:
	s_mov_b32 s7, -1
                                        ; implicit-def: $vgpr8_vgpr9
.LBB31_1439:
	s_delay_alu instid0(SALU_CYCLE_1)
	s_and_not1_b32 vcc_lo, exec_lo, s7
	s_cbranch_vccnz .LBB31_1441
; %bb.1440:
	global_load_b32 v3, v[0:1], off
	s_wait_loadcnt 0x0
	v_trunc_f32_e32 v3, v3
	s_delay_alu instid0(VALU_DEP_1) | instskip(NEXT) | instid1(VALU_DEP_1)
	v_mul_f32_e64 v6, 0x2f800000, |v3|
	v_floor_f32_e32 v7, v6
	v_ashrrev_i32_e32 v6, 31, v3
	s_delay_alu instid0(VALU_DEP_2) | instskip(SKIP_1) | instid1(VALU_DEP_3)
	v_fma_f32 v8, 0xcf800000, v7, |v3|
	v_cvt_u32_f32_e32 v3, v7
	v_mov_b32_e32 v7, v6
	s_delay_alu instid0(VALU_DEP_3) | instskip(NEXT) | instid1(VALU_DEP_3)
	v_cvt_u32_f32_e32 v8, v8
	v_xor_b32_e32 v9, v3, v6
	s_delay_alu instid0(VALU_DEP_2) | instskip(NEXT) | instid1(VALU_DEP_1)
	v_xor_b32_e32 v8, v8, v6
	v_sub_nc_u64_e32 v[8:9], v[8:9], v[6:7]
.LBB31_1441:
	s_mov_b32 s7, 0
.LBB31_1442:
	s_delay_alu instid0(SALU_CYCLE_1)
	s_and_not1_b32 vcc_lo, exec_lo, s7
	s_cbranch_vccnz .LBB31_1444
; %bb.1443:
	global_load_u16 v3, v[0:1], off
	s_wait_loadcnt 0x0
	v_cvt_f32_f16_e32 v3, v3
	s_delay_alu instid0(VALU_DEP_1) | instskip(NEXT) | instid1(VALU_DEP_1)
	v_cvt_i32_f32_e32 v8, v3
	v_ashrrev_i32_e32 v9, 31, v8
.LBB31_1444:
	s_cbranch_execnz .LBB31_1463
.LBB31_1445:
	s_sext_i32_i16 s7, s0
	s_delay_alu instid0(SALU_CYCLE_1)
	s_cmp_lt_i32 s7, 2
	s_cbranch_scc1 .LBB31_1449
; %bb.1446:
	s_cmp_lt_i32 s7, 3
	s_cbranch_scc1 .LBB31_1450
; %bb.1447:
	s_cmp_gt_i32 s7, 3
	s_cbranch_scc0 .LBB31_1451
; %bb.1448:
	s_wait_loadcnt 0x0
	global_load_b64 v[8:9], v[0:1], off
	s_mov_b32 s7, 0
	s_branch .LBB31_1452
.LBB31_1449:
                                        ; implicit-def: $vgpr8_vgpr9
	s_branch .LBB31_1458
.LBB31_1450:
	s_mov_b32 s7, -1
                                        ; implicit-def: $vgpr8_vgpr9
	s_branch .LBB31_1455
.LBB31_1451:
	s_mov_b32 s7, -1
                                        ; implicit-def: $vgpr8_vgpr9
.LBB31_1452:
	s_delay_alu instid0(SALU_CYCLE_1)
	s_and_not1_b32 vcc_lo, exec_lo, s7
	s_cbranch_vccnz .LBB31_1454
; %bb.1453:
	s_wait_loadcnt 0x0
	global_load_b32 v8, v[0:1], off
	s_wait_loadcnt 0x0
	v_ashrrev_i32_e32 v9, 31, v8
.LBB31_1454:
	s_mov_b32 s7, 0
.LBB31_1455:
	s_delay_alu instid0(SALU_CYCLE_1)
	s_and_not1_b32 vcc_lo, exec_lo, s7
	s_cbranch_vccnz .LBB31_1457
; %bb.1456:
	global_load_u16 v3, v[0:1], off
	s_wait_loadcnt 0x0
	v_bfe_i32 v8, v3, 0, 16
	s_delay_alu instid0(VALU_DEP_1)
	v_ashrrev_i32_e32 v9, 31, v8
.LBB31_1457:
	s_cbranch_execnz .LBB31_1463
.LBB31_1458:
	s_sext_i32_i16 s0, s0
	s_delay_alu instid0(SALU_CYCLE_1)
	s_cmp_gt_i32 s0, 0
	s_mov_b32 s0, 0
	s_cbranch_scc0 .LBB31_1460
; %bb.1459:
	global_load_i8 v3, v[0:1], off
	s_wait_loadcnt 0x0
	v_bfe_i32 v8, v3, 0, 16
	s_delay_alu instid0(VALU_DEP_1)
	v_ashrrev_i32_e32 v9, 31, v8
	s_branch .LBB31_1461
.LBB31_1460:
	s_mov_b32 s0, -1
                                        ; implicit-def: $vgpr8_vgpr9
.LBB31_1461:
	s_delay_alu instid0(SALU_CYCLE_1)
	s_and_not1_b32 vcc_lo, exec_lo, s0
	s_cbranch_vccnz .LBB31_1463
; %bb.1462:
	global_load_u8 v0, v[0:1], off
	s_mov_b32 s0, 0
	s_wait_loadcnt 0x1
	v_mov_b32_e32 v9, s0
	s_wait_loadcnt 0x0
	v_and_b32_e32 v8, 0xffff, v0
.LBB31_1463:
	s_or_b32 s10, s10, exec_lo
.LBB31_1464:
	s_wait_xcnt 0x0
	s_or_b32 exec_lo, exec_lo, s6
	s_mov_b32 s0, 0
	s_mov_b32 s8, 0
                                        ; implicit-def: $sgpr6
                                        ; implicit-def: $vgpr6_vgpr7
                                        ; implicit-def: $vgpr0_vgpr1
	s_and_saveexec_b32 s7, s10
	s_cbranch_execz .LBB31_1472
; %bb.1465:
	s_wait_loadcnt 0x0
	s_delay_alu instid0(VALU_DEP_1) | instskip(SKIP_1) | instid1(VALU_DEP_1)
	v_sub_nc_u64_e32 v[0:1], 0, v[8:9]
	s_mov_b32 s6, exec_lo
	v_max_i64 v[0:1], v[8:9], v[0:1]
	v_cmpx_ne_u64_e32 0, v[4:5]
	s_cbranch_execz .LBB31_1476
; %bb.1466:
	v_sub_nc_u64_e32 v[6:7], 0, v[4:5]
	s_delay_alu instid0(VALU_DEP_1)
	v_max_i64 v[8:9], v[4:5], v[6:7]
	v_mov_b32_e32 v4, 0
	s_branch .LBB31_1468
.LBB31_1467:                            ;   in Loop: Header=BB31_1468 Depth=1
	s_or_b32 exec_lo, exec_lo, s0
	s_delay_alu instid0(VALU_DEP_1) | instskip(SKIP_2) | instid1(SALU_CYCLE_1)
	v_cmp_eq_u64_e32 vcc_lo, 0, v[8:9]
	v_mov_b64_e32 v[0:1], v[6:7]
	s_or_b32 s8, vcc_lo, s8
	s_and_not1_b32 exec_lo, exec_lo, s8
	s_cbranch_execz .LBB31_1475
.LBB31_1468:                            ; =>This Inner Loop Header: Depth=1
	s_delay_alu instid0(VALU_DEP_2) | instskip(SKIP_1) | instid1(VALU_DEP_1)
	v_mov_b64_e32 v[6:7], v[8:9]
                                        ; implicit-def: $vgpr8_vgpr9
	s_mov_b32 s0, exec_lo
	v_or_b32_e32 v5, v1, v7
	s_delay_alu instid0(VALU_DEP_1)
	v_cmpx_ne_u64_e32 0, v[4:5]
	s_xor_b32 s9, exec_lo, s0
	s_cbranch_execz .LBB31_1470
; %bb.1469:                             ;   in Loop: Header=BB31_1468 Depth=1
	s_delay_alu instid0(VALU_DEP_3) | instskip(SKIP_4) | instid1(VALU_DEP_4)
	v_cvt_f32_u32_e32 v3, v6
	v_cvt_f32_u32_e32 v5, v7
	v_sub_nc_u64_e32 v[10:11], 0, v[6:7]
	v_dual_mov_b32 v9, v4 :: v_dual_mov_b32 v17, v4
	v_mov_b32_e32 v19, v4
	v_fmac_f32_e32 v3, 0x4f800000, v5
	s_delay_alu instid0(VALU_DEP_1) | instskip(SKIP_1) | instid1(TRANS32_DEP_1)
	v_rcp_f32_e32 v3, v3
	v_nop
	v_mul_f32_e32 v3, 0x5f7ffffc, v3
	s_delay_alu instid0(VALU_DEP_1) | instskip(NEXT) | instid1(VALU_DEP_1)
	v_mul_f32_e32 v5, 0x2f800000, v3
	v_trunc_f32_e32 v5, v5
	s_delay_alu instid0(VALU_DEP_1) | instskip(SKIP_1) | instid1(VALU_DEP_2)
	v_fmac_f32_e32 v3, 0xcf800000, v5
	v_cvt_u32_f32_e32 v13, v5
	v_cvt_u32_f32_e32 v8, v3
	s_delay_alu instid0(VALU_DEP_1) | instskip(NEXT) | instid1(VALU_DEP_1)
	v_dual_mov_b32 v18, v13 :: v_dual_mov_b32 v12, v8
	v_mul_u64_e32 v[14:15], v[10:11], v[12:13]
	s_delay_alu instid0(VALU_DEP_1) | instskip(NEXT) | instid1(VALU_DEP_1)
	v_dual_mov_b32 v16, v15 :: v_dual_mov_b32 v15, v4
	v_mul_u64_e32 v[20:21], v[8:9], v[16:17]
	s_delay_alu instid0(VALU_DEP_2) | instskip(SKIP_2) | instid1(VALU_DEP_1)
	v_mul_u64_e32 v[22:23], v[18:19], v[14:15]
	v_mul_u64_e32 v[16:17], v[18:19], v[16:17]
	v_mul_hi_u32 v14, v8, v14
	v_add_nc_u64_e32 v[14:15], v[14:15], v[20:21]
	s_delay_alu instid0(VALU_DEP_1) | instskip(NEXT) | instid1(VALU_DEP_2)
	v_add_co_u32 v3, vcc_lo, v14, v22
	v_add_co_ci_u32_e32 v18, vcc_lo, v15, v23, vcc_lo
	v_add_co_ci_u32_e32 v17, vcc_lo, 0, v17, vcc_lo
	s_delay_alu instid0(VALU_DEP_1) | instskip(NEXT) | instid1(VALU_DEP_1)
	v_add_nc_u64_e32 v[14:15], v[18:19], v[16:17]
	v_add_co_u32 v8, vcc_lo, v8, v14
	s_delay_alu instid0(VALU_DEP_1) | instskip(SKIP_1) | instid1(VALU_DEP_2)
	v_add_co_ci_u32_e64 v12, null, v13, v15, vcc_lo
	v_dual_mov_b32 v15, v4 :: v_dual_mov_b32 v13, v4
	v_mov_b32_e32 v9, v12
	s_delay_alu instid0(VALU_DEP_1) | instskip(NEXT) | instid1(VALU_DEP_1)
	v_mul_u64_e32 v[10:11], v[10:11], v[8:9]
	v_dual_mov_b32 v9, v4 :: v_dual_mov_b32 v14, v11
	s_delay_alu instid0(VALU_DEP_2) | instskip(SKIP_1) | instid1(VALU_DEP_3)
	v_dual_mov_b32 v18, v10 :: v_dual_mov_b32 v11, v4
	v_mul_hi_u32 v10, v8, v10
	v_mul_u64_e32 v[16:17], v[8:9], v[14:15]
	s_delay_alu instid0(VALU_DEP_3) | instskip(SKIP_1) | instid1(VALU_DEP_3)
	v_mul_u64_e32 v[18:19], v[12:13], v[18:19]
	v_mul_u64_e32 v[14:15], v[12:13], v[14:15]
	v_add_nc_u64_e32 v[10:11], v[10:11], v[16:17]
	v_mov_b32_e32 v17, v4
	s_delay_alu instid0(VALU_DEP_2) | instskip(NEXT) | instid1(VALU_DEP_3)
	v_add_co_u32 v3, vcc_lo, v10, v18
	v_add_co_ci_u32_e32 v16, vcc_lo, v11, v19, vcc_lo
	v_add_co_ci_u32_e32 v15, vcc_lo, 0, v15, vcc_lo
	s_delay_alu instid0(VALU_DEP_1) | instskip(SKIP_1) | instid1(VALU_DEP_2)
	v_add_nc_u64_e32 v[10:11], v[16:17], v[14:15]
	v_dual_mov_b32 v14, v0 :: v_dual_mov_b32 v15, v4
	v_add_co_u32 v10, vcc_lo, v8, v10
	s_delay_alu instid0(VALU_DEP_1) | instskip(SKIP_1) | instid1(VALU_DEP_2)
	v_add_co_ci_u32_e64 v8, null, v12, v11, vcc_lo
	v_dual_mov_b32 v12, v1 :: v_dual_mov_b32 v11, v4
	v_mul_u64_e32 v[14:15], v[14:15], v[8:9]
	s_delay_alu instid0(VALU_DEP_2) | instskip(NEXT) | instid1(VALU_DEP_3)
	v_mul_u64_e32 v[8:9], v[12:13], v[8:9]
	v_mul_u64_e32 v[16:17], v[12:13], v[10:11]
	v_mul_hi_u32 v10, v0, v10
	s_delay_alu instid0(VALU_DEP_1) | instskip(NEXT) | instid1(VALU_DEP_1)
	v_add_nc_u64_e32 v[10:11], v[10:11], v[14:15]
	v_add_co_u32 v3, vcc_lo, v10, v16
	s_delay_alu instid0(VALU_DEP_2) | instskip(SKIP_1) | instid1(VALU_DEP_1)
	v_add_co_ci_u32_e32 v12, vcc_lo, v11, v17, vcc_lo
	v_add_co_ci_u32_e32 v9, vcc_lo, 0, v9, vcc_lo
	v_add_nc_u64_e32 v[8:9], v[12:13], v[8:9]
	s_delay_alu instid0(VALU_DEP_1) | instskip(NEXT) | instid1(VALU_DEP_1)
	v_mul_u64_e32 v[8:9], v[6:7], v[8:9]
	v_sub_nc_u32_e32 v3, v1, v9
	s_delay_alu instid0(VALU_DEP_2) | instskip(NEXT) | instid1(VALU_DEP_1)
	v_sub_co_u32 v0, vcc_lo, v0, v8
	v_sub_co_ci_u32_e64 v1, null, v1, v9, vcc_lo
	s_delay_alu instid0(VALU_DEP_3) | instskip(NEXT) | instid1(VALU_DEP_3)
	v_sub_co_ci_u32_e64 v3, null, v3, v7, vcc_lo
	v_sub_co_u32 v5, vcc_lo, v0, v6
	v_cmp_ge_u32_e64 s0, v0, v6
	s_delay_alu instid0(VALU_DEP_3) | instskip(SKIP_1) | instid1(VALU_DEP_3)
	v_subrev_co_ci_u32_e64 v8, null, 0, v3, vcc_lo
	v_sub_co_ci_u32_e64 v3, null, v3, v7, vcc_lo
	v_cndmask_b32_e64 v9, 0, -1, s0
	v_cmp_ge_u32_e64 s0, v5, v6
	v_cmp_ge_u32_e32 vcc_lo, v1, v7
	s_delay_alu instid0(VALU_DEP_2) | instskip(SKIP_3) | instid1(VALU_DEP_3)
	v_cndmask_b32_e64 v10, 0, -1, s0
	v_cmp_ge_u32_e64 s0, v8, v7
	v_cndmask_b32_e64 v12, 0, -1, vcc_lo
	v_cmp_eq_u32_e32 vcc_lo, v8, v7
	v_cndmask_b32_e64 v11, 0, -1, s0
	v_cmp_eq_u32_e64 s0, v1, v7
	s_delay_alu instid0(VALU_DEP_1) | instskip(SKIP_1) | instid1(VALU_DEP_1)
	v_dual_cndmask_b32 v10, v11, v10, vcc_lo :: v_dual_cndmask_b32 v9, v12, v9, s0
	v_sub_co_u32 v11, vcc_lo, v5, v6
	v_subrev_co_ci_u32_e64 v3, null, 0, v3, vcc_lo
	s_delay_alu instid0(VALU_DEP_3) | instskip(NEXT) | instid1(VALU_DEP_2)
	v_cmp_ne_u32_e32 vcc_lo, 0, v10
	v_cndmask_b32_e32 v3, v8, v3, vcc_lo
	s_delay_alu instid0(VALU_DEP_4) | instskip(SKIP_1) | instid1(VALU_DEP_2)
	v_cndmask_b32_e32 v5, v5, v11, vcc_lo
	v_cmp_ne_u32_e32 vcc_lo, 0, v9
	v_dual_cndmask_b32 v9, v1, v3 :: v_dual_cndmask_b32 v8, v0, v5
                                        ; implicit-def: $vgpr0_vgpr1
.LBB31_1470:                            ;   in Loop: Header=BB31_1468 Depth=1
	s_and_not1_saveexec_b32 s0, s9
	s_cbranch_execz .LBB31_1467
; %bb.1471:                             ;   in Loop: Header=BB31_1468 Depth=1
	v_cvt_f32_u32_e32 v1, v6
	v_dual_sub_nc_u32 v3, 0, v6 :: v_dual_mov_b32 v9, v4
	s_delay_alu instid0(VALU_DEP_2) | instskip(SKIP_1) | instid1(TRANS32_DEP_1)
	v_rcp_iflag_f32_e32 v1, v1
	v_nop
	v_mul_f32_e32 v1, 0x4f7ffffe, v1
	s_delay_alu instid0(VALU_DEP_1) | instskip(NEXT) | instid1(VALU_DEP_1)
	v_cvt_u32_f32_e32 v1, v1
	v_mul_lo_u32 v3, v3, v1
	s_delay_alu instid0(VALU_DEP_1) | instskip(NEXT) | instid1(VALU_DEP_1)
	v_mul_hi_u32 v3, v1, v3
	v_add_nc_u32_e32 v1, v1, v3
	s_delay_alu instid0(VALU_DEP_1) | instskip(NEXT) | instid1(VALU_DEP_1)
	v_mul_hi_u32 v1, v0, v1
	v_mul_lo_u32 v1, v1, v6
	s_delay_alu instid0(VALU_DEP_1) | instskip(NEXT) | instid1(VALU_DEP_1)
	v_sub_nc_u32_e32 v0, v0, v1
	v_sub_nc_u32_e32 v1, v0, v6
	v_cmp_ge_u32_e32 vcc_lo, v0, v6
	s_delay_alu instid0(VALU_DEP_2) | instskip(NEXT) | instid1(VALU_DEP_1)
	v_cndmask_b32_e32 v0, v0, v1, vcc_lo
	v_sub_nc_u32_e32 v1, v0, v6
	v_cmp_ge_u32_e32 vcc_lo, v0, v6
	s_delay_alu instid0(VALU_DEP_2)
	v_cndmask_b32_e32 v8, v0, v1, vcc_lo
	s_branch .LBB31_1467
.LBB31_1472:
	s_or_b32 exec_lo, exec_lo, s7
	s_and_saveexec_b32 s4, s38
	s_cbranch_execnz .LBB31_1553
.LBB31_1473:
	s_or_b32 exec_lo, exec_lo, s4
	s_and_saveexec_b32 s4, s0
	s_delay_alu instid0(SALU_CYCLE_1)
	s_xor_b32 s0, exec_lo, s4
	s_cbranch_execz .LBB31_1554
.LBB31_1474:
	s_delay_alu instid0(VALU_DEP_3)
	v_cmp_ne_u64_e32 vcc_lo, 0, v[0:1]
	v_cndmask_b32_e64 v2, 0, 1, vcc_lo
	global_store_b8 v[6:7], v2, off
	s_wait_xcnt 0x0
	s_or_b32 exec_lo, exec_lo, s0
	s_and_saveexec_b32 s0, s8
	s_delay_alu instid0(SALU_CYCLE_1)
	s_xor_b32 s0, exec_lo, s0
	s_cbranch_execz .LBB31_1592
	s_branch .LBB31_1555
.LBB31_1475:
	s_or_b32 exec_lo, exec_lo, s8
	v_mov_b64_e32 v[0:1], v[6:7]
.LBB31_1476:
	s_or_b32 exec_lo, exec_lo, s6
	v_mov_b32_e32 v3, 0
	s_and_b32 s6, s31, 0xff
	s_delay_alu instid0(SALU_CYCLE_1) | instskip(NEXT) | instid1(VALU_DEP_1)
	s_cmp_lt_i32 s6, 11
	v_add_nc_u64_e32 v[6:7], s[4:5], v[2:3]
	s_cbranch_scc1 .LBB31_1483
; %bb.1477:
	s_and_b32 s4, 0xffff, s6
	s_mov_b32 s5, -1
	s_cmp_gt_i32 s4, 25
	s_mov_b32 s0, s38
	s_cbranch_scc0 .LBB31_1511
; %bb.1478:
	s_cmp_gt_i32 s4, 28
	s_mov_b32 s0, s38
	s_cbranch_scc0 .LBB31_1495
; %bb.1479:
	;; [unrolled: 4-line block ×4, first 2 shown]
	s_cmp_eq_u32 s4, 46
	s_mov_b32 s0, -1
	s_cbranch_scc0 .LBB31_1484
; %bb.1482:
	s_delay_alu instid0(VALU_DEP_3) | instskip(SKIP_2) | instid1(VALU_DEP_1)
	v_clz_i32_u32_e32 v2, v1
	s_mov_b32 s0, 0
	s_mov_b32 s5, 0
	v_min_u32_e32 v4, 32, v2
	s_delay_alu instid0(VALU_DEP_1) | instskip(NEXT) | instid1(VALU_DEP_1)
	v_lshlrev_b64_e32 v[2:3], v4, v[0:1]
	v_min_u32_e32 v2, 1, v2
	s_delay_alu instid0(VALU_DEP_1) | instskip(NEXT) | instid1(VALU_DEP_1)
	v_dual_sub_nc_u32 v3, 32, v4 :: v_dual_bitop2_b32 v2, v3, v2 bitop3:0x54
	v_cvt_f32_u32_e32 v2, v2
	s_delay_alu instid0(VALU_DEP_1) | instskip(NEXT) | instid1(VALU_DEP_1)
	v_ldexp_f32 v2, v2, v3
	v_bfe_u32 v3, v2, 16, 1
	s_delay_alu instid0(VALU_DEP_1) | instskip(NEXT) | instid1(VALU_DEP_1)
	v_add3_u32 v2, v2, v3, 0x7fff
	v_lshrrev_b32_e32 v2, 16, v2
	global_store_b32 v[6:7], v2, off
	s_branch .LBB31_1485
.LBB31_1483:
	s_mov_b32 s9, 0
	s_mov_b32 s5, -1
	s_mov_b32 s0, s38
	s_branch .LBB31_1552
.LBB31_1484:
	s_mov_b32 s5, 0
.LBB31_1485:
	s_delay_alu instid0(SALU_CYCLE_1)
	s_and_b32 vcc_lo, exec_lo, s5
	s_cbranch_vccz .LBB31_1490
; %bb.1486:
	s_cmp_eq_u32 s4, 44
	s_mov_b32 s0, -1
	s_cbranch_scc0 .LBB31_1490
; %bb.1487:
	s_wait_xcnt 0x0
	s_delay_alu instid0(VALU_DEP_3) | instskip(SKIP_1) | instid1(VALU_DEP_1)
	v_clz_i32_u32_e32 v2, v1
	s_mov_b32 s5, exec_lo
	v_min_u32_e32 v4, 32, v2
	s_delay_alu instid0(VALU_DEP_1) | instskip(NEXT) | instid1(VALU_DEP_1)
	v_lshlrev_b64_e32 v[2:3], v4, v[0:1]
	v_min_u32_e32 v2, 1, v2
	s_delay_alu instid0(VALU_DEP_1) | instskip(NEXT) | instid1(VALU_DEP_1)
	v_dual_sub_nc_u32 v3, 32, v4 :: v_dual_bitop2_b32 v2, v3, v2 bitop3:0x54
	v_cvt_f32_u32_e32 v2, v2
	s_delay_alu instid0(VALU_DEP_1) | instskip(NEXT) | instid1(VALU_DEP_1)
	v_ldexp_f32 v4, v2, v3
	v_dual_mov_b32 v3, 0xff :: v_dual_lshrrev_b32 v2, 23, v4
	s_delay_alu instid0(VALU_DEP_1)
	v_cmpx_ne_u32_e32 0xff, v2
; %bb.1488:
	v_and_b32_e32 v3, 0x400000, v4
	v_and_or_b32 v4, 0x3fffff, v4, v2
	s_delay_alu instid0(VALU_DEP_2) | instskip(NEXT) | instid1(VALU_DEP_2)
	v_cmp_ne_u32_e32 vcc_lo, 0, v3
	v_cmp_ne_u32_e64 s0, 0, v4
	s_and_b32 s0, vcc_lo, s0
	s_delay_alu instid0(SALU_CYCLE_1) | instskip(NEXT) | instid1(VALU_DEP_1)
	v_cndmask_b32_e64 v3, 0, 1, s0
	v_add_nc_u32_e32 v3, v2, v3
; %bb.1489:
	s_or_b32 exec_lo, exec_lo, s5
	s_mov_b32 s0, 0
	global_store_b8 v[6:7], v3, off
.LBB31_1490:
	s_mov_b32 s5, 0
.LBB31_1491:
	s_delay_alu instid0(SALU_CYCLE_1)
	s_and_b32 vcc_lo, exec_lo, s5
	s_cbranch_vccz .LBB31_1494
; %bb.1492:
	s_cmp_eq_u32 s4, 29
	s_mov_b32 s0, -1
	s_cbranch_scc0 .LBB31_1494
; %bb.1493:
	s_mov_b32 s0, 0
	global_store_b64 v[6:7], v[0:1], off
.LBB31_1494:
	s_mov_b32 s5, 0
.LBB31_1495:
	s_delay_alu instid0(SALU_CYCLE_1)
	s_and_b32 vcc_lo, exec_lo, s5
	s_cbranch_vccz .LBB31_1510
; %bb.1496:
	s_cmp_lt_i32 s4, 27
	s_mov_b32 s5, -1
	s_cbranch_scc1 .LBB31_1502
; %bb.1497:
	s_cmp_gt_i32 s4, 27
	s_cbranch_scc0 .LBB31_1499
; %bb.1498:
	s_mov_b32 s5, 0
	global_store_b32 v[6:7], v0, off
.LBB31_1499:
	s_and_not1_b32 vcc_lo, exec_lo, s5
	s_cbranch_vccnz .LBB31_1501
; %bb.1500:
	global_store_b16 v[6:7], v0, off
.LBB31_1501:
	s_mov_b32 s5, 0
.LBB31_1502:
	s_delay_alu instid0(SALU_CYCLE_1)
	s_and_not1_b32 vcc_lo, exec_lo, s5
	s_cbranch_vccnz .LBB31_1510
; %bb.1503:
	s_wait_xcnt 0x0
	s_delay_alu instid0(VALU_DEP_3) | instskip(SKIP_1) | instid1(VALU_DEP_1)
	v_clz_i32_u32_e32 v2, v1
	s_mov_b32 s5, exec_lo
	v_min_u32_e32 v4, 32, v2
	s_delay_alu instid0(VALU_DEP_1) | instskip(NEXT) | instid1(VALU_DEP_1)
	v_lshlrev_b64_e32 v[2:3], v4, v[0:1]
	v_min_u32_e32 v2, 1, v2
	s_delay_alu instid0(VALU_DEP_1) | instskip(SKIP_1) | instid1(VALU_DEP_2)
	v_dual_sub_nc_u32 v3, 32, v4 :: v_dual_bitop2_b32 v2, v3, v2 bitop3:0x54
	v_mov_b32_e32 v4, 0x80
	v_cvt_f32_u32_e32 v2, v2
	s_delay_alu instid0(VALU_DEP_1) | instskip(NEXT) | instid1(VALU_DEP_1)
	v_ldexp_f32 v3, v2, v3
	v_cmpx_gt_u32_e32 0x43800000, v3
	s_cbranch_execz .LBB31_1509
; %bb.1504:
	s_mov_b32 s8, 0
	s_mov_b32 s9, exec_lo
                                        ; implicit-def: $vgpr2
	v_cmpx_lt_u32_e32 0x3bffffff, v3
	s_xor_b32 s9, exec_lo, s9
	s_cbranch_execz .LBB31_1651
; %bb.1505:
	v_bfe_u32 v2, v3, 20, 1
	s_mov_b32 s8, exec_lo
	s_delay_alu instid0(VALU_DEP_1) | instskip(NEXT) | instid1(VALU_DEP_1)
	v_add3_u32 v2, v3, v2, 0x487ffff
                                        ; implicit-def: $vgpr3
	v_lshrrev_b32_e32 v2, 20, v2
	s_and_not1_saveexec_b32 s9, s9
	s_cbranch_execnz .LBB31_1652
.LBB31_1506:
	s_or_b32 exec_lo, exec_lo, s9
	v_mov_b32_e32 v4, 0
	s_and_saveexec_b32 s9, s8
.LBB31_1507:
	v_mov_b32_e32 v4, v2
.LBB31_1508:
	s_or_b32 exec_lo, exec_lo, s9
.LBB31_1509:
	s_delay_alu instid0(SALU_CYCLE_1)
	s_or_b32 exec_lo, exec_lo, s5
	global_store_b8 v[6:7], v4, off
.LBB31_1510:
	s_mov_b32 s5, 0
.LBB31_1511:
	s_delay_alu instid0(SALU_CYCLE_1)
	s_and_b32 vcc_lo, exec_lo, s5
	s_mov_b32 s5, 0
	s_cbranch_vccz .LBB31_1551
; %bb.1512:
	s_cmp_gt_i32 s4, 22
	s_mov_b32 s8, -1
	s_cbranch_scc0 .LBB31_1544
; %bb.1513:
	s_cmp_lt_i32 s4, 24
	s_cbranch_scc1 .LBB31_1533
; %bb.1514:
	s_cmp_gt_i32 s4, 24
	s_cbranch_scc0 .LBB31_1522
; %bb.1515:
	s_wait_xcnt 0x0
	s_delay_alu instid0(VALU_DEP_3) | instskip(SKIP_1) | instid1(VALU_DEP_1)
	v_clz_i32_u32_e32 v2, v1
	s_mov_b32 s8, exec_lo
	v_min_u32_e32 v4, 32, v2
	s_delay_alu instid0(VALU_DEP_1) | instskip(NEXT) | instid1(VALU_DEP_1)
	v_lshlrev_b64_e32 v[2:3], v4, v[0:1]
	v_min_u32_e32 v2, 1, v2
	s_delay_alu instid0(VALU_DEP_1) | instskip(SKIP_1) | instid1(VALU_DEP_2)
	v_dual_sub_nc_u32 v3, 32, v4 :: v_dual_bitop2_b32 v2, v3, v2 bitop3:0x54
	v_mov_b32_e32 v4, 0x80
	v_cvt_f32_u32_e32 v2, v2
	s_delay_alu instid0(VALU_DEP_1) | instskip(NEXT) | instid1(VALU_DEP_1)
	v_ldexp_f32 v3, v2, v3
	v_cmpx_gt_u32_e32 0x47800000, v3
	s_cbranch_execz .LBB31_1521
; %bb.1516:
	s_mov_b32 s9, 0
	s_mov_b32 s10, exec_lo
                                        ; implicit-def: $vgpr2
	v_cmpx_lt_u32_e32 0x37ffffff, v3
	s_xor_b32 s10, exec_lo, s10
	s_cbranch_execz .LBB31_1772
; %bb.1517:
	v_bfe_u32 v2, v3, 21, 1
	s_mov_b32 s9, exec_lo
	s_delay_alu instid0(VALU_DEP_1) | instskip(NEXT) | instid1(VALU_DEP_1)
	v_add3_u32 v2, v3, v2, 0x88fffff
                                        ; implicit-def: $vgpr3
	v_lshrrev_b32_e32 v2, 21, v2
	s_and_not1_saveexec_b32 s10, s10
	s_cbranch_execnz .LBB31_1773
.LBB31_1518:
	s_or_b32 exec_lo, exec_lo, s10
	v_mov_b32_e32 v4, 0
	s_and_saveexec_b32 s10, s9
.LBB31_1519:
	v_mov_b32_e32 v4, v2
.LBB31_1520:
	s_or_b32 exec_lo, exec_lo, s10
.LBB31_1521:
	s_delay_alu instid0(SALU_CYCLE_1)
	s_or_b32 exec_lo, exec_lo, s8
	s_mov_b32 s8, 0
	global_store_b8 v[6:7], v4, off
.LBB31_1522:
	s_and_b32 vcc_lo, exec_lo, s8
	s_cbranch_vccz .LBB31_1532
; %bb.1523:
	s_wait_xcnt 0x0
	s_delay_alu instid0(VALU_DEP_3) | instskip(SKIP_1) | instid1(VALU_DEP_1)
	v_clz_i32_u32_e32 v2, v1
	s_mov_b32 s8, exec_lo
	v_min_u32_e32 v4, 32, v2
	s_delay_alu instid0(VALU_DEP_1) | instskip(NEXT) | instid1(VALU_DEP_1)
	v_lshlrev_b64_e32 v[2:3], v4, v[0:1]
	v_min_u32_e32 v2, 1, v2
	s_delay_alu instid0(VALU_DEP_1) | instskip(NEXT) | instid1(VALU_DEP_1)
	v_dual_sub_nc_u32 v3, 32, v4 :: v_dual_bitop2_b32 v2, v3, v2 bitop3:0x54
	v_cvt_f32_u32_e32 v2, v2
	s_delay_alu instid0(VALU_DEP_1) | instskip(NEXT) | instid1(VALU_DEP_1)
	v_ldexp_f32 v3, v2, v3
                                        ; implicit-def: $vgpr2
	v_cmpx_gt_u32_e32 0x43f00000, v3
	s_xor_b32 s8, exec_lo, s8
	s_cbranch_execz .LBB31_1529
; %bb.1524:
	s_mov_b32 s9, exec_lo
                                        ; implicit-def: $vgpr2
	v_cmpx_lt_u32_e32 0x3c7fffff, v3
	s_xor_b32 s9, exec_lo, s9
; %bb.1525:
	v_bfe_u32 v2, v3, 20, 1
	s_delay_alu instid0(VALU_DEP_1) | instskip(NEXT) | instid1(VALU_DEP_1)
	v_add3_u32 v2, v3, v2, 0x407ffff
	v_and_b32_e32 v3, 0xff00000, v2
	v_lshrrev_b32_e32 v2, 20, v2
	s_delay_alu instid0(VALU_DEP_2) | instskip(NEXT) | instid1(VALU_DEP_2)
	v_cmp_ne_u32_e32 vcc_lo, 0x7f00000, v3
                                        ; implicit-def: $vgpr3
	v_cndmask_b32_e32 v2, 0x7e, v2, vcc_lo
; %bb.1526:
	s_and_not1_saveexec_b32 s9, s9
; %bb.1527:
	v_add_f32_e32 v2, 0x46800000, v3
; %bb.1528:
	s_or_b32 exec_lo, exec_lo, s9
                                        ; implicit-def: $vgpr3
.LBB31_1529:
	s_and_not1_saveexec_b32 s8, s8
; %bb.1530:
	v_mov_b32_e32 v2, 0x7f
	v_cmp_lt_u32_e32 vcc_lo, 0x7f800000, v3
	s_delay_alu instid0(VALU_DEP_2)
	v_cndmask_b32_e32 v2, 0x7e, v2, vcc_lo
; %bb.1531:
	s_or_b32 exec_lo, exec_lo, s8
	global_store_b8 v[6:7], v2, off
.LBB31_1532:
	s_mov_b32 s8, 0
.LBB31_1533:
	s_delay_alu instid0(SALU_CYCLE_1)
	s_and_not1_b32 vcc_lo, exec_lo, s8
	s_cbranch_vccnz .LBB31_1543
; %bb.1534:
	s_wait_xcnt 0x0
	s_delay_alu instid0(VALU_DEP_3) | instskip(SKIP_1) | instid1(VALU_DEP_1)
	v_clz_i32_u32_e32 v2, v1
	s_mov_b32 s8, exec_lo
	v_min_u32_e32 v4, 32, v2
	s_delay_alu instid0(VALU_DEP_1) | instskip(NEXT) | instid1(VALU_DEP_1)
	v_lshlrev_b64_e32 v[2:3], v4, v[0:1]
	v_min_u32_e32 v2, 1, v2
	s_delay_alu instid0(VALU_DEP_1) | instskip(NEXT) | instid1(VALU_DEP_1)
	v_dual_sub_nc_u32 v3, 32, v4 :: v_dual_bitop2_b32 v2, v3, v2 bitop3:0x54
	v_cvt_f32_u32_e32 v2, v2
	s_delay_alu instid0(VALU_DEP_1) | instskip(NEXT) | instid1(VALU_DEP_1)
	v_ldexp_f32 v3, v2, v3
                                        ; implicit-def: $vgpr2
	v_cmpx_gt_u32_e32 0x47800000, v3
	s_xor_b32 s8, exec_lo, s8
	s_cbranch_execz .LBB31_1540
; %bb.1535:
	s_mov_b32 s9, exec_lo
                                        ; implicit-def: $vgpr2
	v_cmpx_lt_u32_e32 0x387fffff, v3
	s_xor_b32 s9, exec_lo, s9
; %bb.1536:
	v_bfe_u32 v2, v3, 21, 1
	s_delay_alu instid0(VALU_DEP_1) | instskip(NEXT) | instid1(VALU_DEP_1)
	v_add3_u32 v2, v3, v2, 0x80fffff
                                        ; implicit-def: $vgpr3
	v_lshrrev_b32_e32 v2, 21, v2
; %bb.1537:
	s_and_not1_saveexec_b32 s9, s9
; %bb.1538:
	v_add_f32_e32 v2, 0x43000000, v3
; %bb.1539:
	s_or_b32 exec_lo, exec_lo, s9
                                        ; implicit-def: $vgpr3
.LBB31_1540:
	s_and_not1_saveexec_b32 s8, s8
; %bb.1541:
	v_mov_b32_e32 v2, 0x7f
	v_cmp_lt_u32_e32 vcc_lo, 0x7f800000, v3
	s_delay_alu instid0(VALU_DEP_2)
	v_cndmask_b32_e32 v2, 0x7c, v2, vcc_lo
; %bb.1542:
	s_or_b32 exec_lo, exec_lo, s8
	global_store_b8 v[6:7], v2, off
.LBB31_1543:
	s_mov_b32 s8, 0
.LBB31_1544:
	s_delay_alu instid0(SALU_CYCLE_1)
	s_and_not1_b32 vcc_lo, exec_lo, s8
	s_mov_b32 s9, 0
	s_cbranch_vccnz .LBB31_1552
; %bb.1545:
	s_cmp_gt_i32 s4, 14
	s_mov_b32 s8, -1
	s_cbranch_scc0 .LBB31_1549
; %bb.1546:
	s_cmp_eq_u32 s4, 15
	s_mov_b32 s0, -1
	s_cbranch_scc0 .LBB31_1548
; %bb.1547:
	s_wait_xcnt 0x0
	s_delay_alu instid0(VALU_DEP_3) | instskip(SKIP_1) | instid1(VALU_DEP_1)
	v_clz_i32_u32_e32 v2, v1
	s_mov_b32 s0, 0
	v_min_u32_e32 v4, 32, v2
	s_delay_alu instid0(VALU_DEP_1) | instskip(NEXT) | instid1(VALU_DEP_1)
	v_lshlrev_b64_e32 v[2:3], v4, v[0:1]
	v_min_u32_e32 v2, 1, v2
	s_delay_alu instid0(VALU_DEP_1) | instskip(NEXT) | instid1(VALU_DEP_1)
	v_dual_sub_nc_u32 v3, 32, v4 :: v_dual_bitop2_b32 v2, v3, v2 bitop3:0x54
	v_cvt_f32_u32_e32 v2, v2
	s_delay_alu instid0(VALU_DEP_1) | instskip(NEXT) | instid1(VALU_DEP_1)
	v_ldexp_f32 v2, v2, v3
	v_bfe_u32 v3, v2, 16, 1
	s_delay_alu instid0(VALU_DEP_1)
	v_add3_u32 v2, v2, v3, 0x7fff
	global_store_d16_hi_b16 v[6:7], v2, off
.LBB31_1548:
	s_mov_b32 s8, 0
.LBB31_1549:
	s_delay_alu instid0(SALU_CYCLE_1)
	s_and_b32 vcc_lo, exec_lo, s8
	s_cbranch_vccz .LBB31_1552
; %bb.1550:
	s_cmp_lg_u32 s4, 11
	s_mov_b32 s9, -1
	s_cselect_b32 s4, -1, 0
	s_and_not1_b32 s0, s0, exec_lo
	s_and_b32 s4, s4, exec_lo
	s_delay_alu instid0(SALU_CYCLE_1)
	s_or_b32 s0, s0, s4
	s_branch .LBB31_1552
.LBB31_1551:
	s_mov_b32 s9, 0
.LBB31_1552:
	s_and_b32 s8, s5, exec_lo
	s_and_not1_b32 s4, s38, exec_lo
	s_and_b32 s5, s0, exec_lo
	s_and_b32 s0, s9, exec_lo
	s_or_b32 s38, s4, s5
	s_wait_xcnt 0x0
	s_or_b32 exec_lo, exec_lo, s7
	s_and_saveexec_b32 s4, s38
	s_cbranch_execz .LBB31_1473
.LBB31_1553:
	s_or_b32 s1, s1, exec_lo
	s_and_not1_b32 s0, s0, exec_lo
	s_trap 2
	s_or_b32 exec_lo, exec_lo, s4
	s_and_saveexec_b32 s4, s0
	s_delay_alu instid0(SALU_CYCLE_1)
	s_xor_b32 s0, exec_lo, s4
	s_cbranch_execnz .LBB31_1474
.LBB31_1554:
	s_or_b32 exec_lo, exec_lo, s0
	s_and_saveexec_b32 s0, s8
	s_delay_alu instid0(SALU_CYCLE_1)
	s_xor_b32 s0, exec_lo, s0
	s_cbranch_execz .LBB31_1592
.LBB31_1555:
	s_sext_i32_i16 s5, s6
	s_mov_b32 s4, -1
	s_cmp_lt_i32 s5, 5
	s_cbranch_scc1 .LBB31_1576
; %bb.1556:
	s_cmp_lt_i32 s5, 8
	s_cbranch_scc1 .LBB31_1566
; %bb.1557:
	;; [unrolled: 3-line block ×3, first 2 shown]
	s_cmp_gt_i32 s5, 9
	s_cbranch_scc0 .LBB31_1560
; %bb.1559:
	v_cvt_f64_u32_e32 v[2:3], v1
	s_wait_loadcnt 0x0
	v_cvt_f64_u32_e32 v[4:5], v0
	s_mov_b32 s4, 0
	s_delay_alu instid0(VALU_DEP_2) | instskip(NEXT) | instid1(VALU_DEP_1)
	v_ldexp_f64 v[2:3], v[2:3], 32
	v_dual_add_f64 v[2:3], v[2:3], v[4:5] :: v_dual_mov_b32 v4, 0
	s_delay_alu instid0(VALU_DEP_1)
	v_mov_b32_e32 v5, v4
	global_store_b128 v[6:7], v[2:5], off
.LBB31_1560:
	s_and_not1_b32 vcc_lo, exec_lo, s4
	s_cbranch_vccnz .LBB31_1562
; %bb.1561:
	s_wait_xcnt 0x0
	v_clz_i32_u32_e32 v2, v1
	s_wait_loadcnt 0x0
	s_delay_alu instid0(VALU_DEP_1) | instskip(NEXT) | instid1(VALU_DEP_1)
	v_min_u32_e32 v4, 32, v2
	v_lshlrev_b64_e32 v[2:3], v4, v[0:1]
	s_delay_alu instid0(VALU_DEP_1) | instskip(NEXT) | instid1(VALU_DEP_1)
	v_min_u32_e32 v2, 1, v2
	v_dual_sub_nc_u32 v3, 32, v4 :: v_dual_bitop2_b32 v2, v3, v2 bitop3:0x54
	s_delay_alu instid0(VALU_DEP_1) | instskip(NEXT) | instid1(VALU_DEP_1)
	v_cvt_f32_u32_e32 v2, v2
	v_ldexp_f32 v2, v2, v3
	v_mov_b32_e32 v3, 0
	global_store_b64 v[6:7], v[2:3], off
.LBB31_1562:
	s_mov_b32 s4, 0
.LBB31_1563:
	s_delay_alu instid0(SALU_CYCLE_1)
	s_and_not1_b32 vcc_lo, exec_lo, s4
	s_cbranch_vccnz .LBB31_1565
; %bb.1564:
	s_wait_xcnt 0x0
	v_clz_i32_u32_e32 v2, v1
	s_wait_loadcnt 0x0
	s_delay_alu instid0(VALU_DEP_1) | instskip(NEXT) | instid1(VALU_DEP_1)
	v_min_u32_e32 v4, 32, v2
	v_lshlrev_b64_e32 v[2:3], v4, v[0:1]
	s_delay_alu instid0(VALU_DEP_1) | instskip(NEXT) | instid1(VALU_DEP_1)
	v_min_u32_e32 v2, 1, v2
	v_dual_sub_nc_u32 v3, 32, v4 :: v_dual_bitop2_b32 v2, v3, v2 bitop3:0x54
	s_delay_alu instid0(VALU_DEP_1) | instskip(NEXT) | instid1(VALU_DEP_1)
	v_cvt_f32_u32_e32 v2, v2
	v_ldexp_f32 v2, v2, v3
	s_delay_alu instid0(VALU_DEP_1) | instskip(NEXT) | instid1(VALU_DEP_1)
	v_cvt_f16_f32_e32 v2, v2
	v_and_b32_e32 v2, 0xffff, v2
	global_store_b32 v[6:7], v2, off
.LBB31_1565:
	s_mov_b32 s4, 0
.LBB31_1566:
	s_delay_alu instid0(SALU_CYCLE_1)
	s_and_not1_b32 vcc_lo, exec_lo, s4
	s_cbranch_vccnz .LBB31_1575
; %bb.1567:
	s_sext_i32_i16 s5, s6
	s_mov_b32 s4, -1
	s_cmp_lt_i32 s5, 6
	s_cbranch_scc1 .LBB31_1573
; %bb.1568:
	s_cmp_gt_i32 s5, 6
	s_cbranch_scc0 .LBB31_1570
; %bb.1569:
	s_wait_xcnt 0x0
	v_cvt_f64_u32_e32 v[2:3], v1
	s_wait_loadcnt 0x0
	v_cvt_f64_u32_e32 v[4:5], v0
	s_mov_b32 s4, 0
	s_delay_alu instid0(VALU_DEP_2) | instskip(NEXT) | instid1(VALU_DEP_1)
	v_ldexp_f64 v[2:3], v[2:3], 32
	v_add_f64_e32 v[2:3], v[2:3], v[4:5]
	global_store_b64 v[6:7], v[2:3], off
.LBB31_1570:
	s_and_not1_b32 vcc_lo, exec_lo, s4
	s_cbranch_vccnz .LBB31_1572
; %bb.1571:
	s_wait_xcnt 0x0
	v_clz_i32_u32_e32 v2, v1
	s_wait_loadcnt 0x0
	s_delay_alu instid0(VALU_DEP_1) | instskip(NEXT) | instid1(VALU_DEP_1)
	v_min_u32_e32 v4, 32, v2
	v_lshlrev_b64_e32 v[2:3], v4, v[0:1]
	s_delay_alu instid0(VALU_DEP_1) | instskip(NEXT) | instid1(VALU_DEP_1)
	v_min_u32_e32 v2, 1, v2
	v_dual_sub_nc_u32 v3, 32, v4 :: v_dual_bitop2_b32 v2, v3, v2 bitop3:0x54
	s_delay_alu instid0(VALU_DEP_1) | instskip(NEXT) | instid1(VALU_DEP_1)
	v_cvt_f32_u32_e32 v2, v2
	v_ldexp_f32 v2, v2, v3
	global_store_b32 v[6:7], v2, off
.LBB31_1572:
	s_mov_b32 s4, 0
.LBB31_1573:
	s_delay_alu instid0(SALU_CYCLE_1)
	s_and_not1_b32 vcc_lo, exec_lo, s4
	s_cbranch_vccnz .LBB31_1575
; %bb.1574:
	s_wait_xcnt 0x0
	v_clz_i32_u32_e32 v2, v1
	s_wait_loadcnt 0x0
	s_delay_alu instid0(VALU_DEP_1) | instskip(NEXT) | instid1(VALU_DEP_1)
	v_min_u32_e32 v4, 32, v2
	v_lshlrev_b64_e32 v[2:3], v4, v[0:1]
	s_delay_alu instid0(VALU_DEP_1) | instskip(NEXT) | instid1(VALU_DEP_1)
	v_min_u32_e32 v2, 1, v2
	v_dual_sub_nc_u32 v3, 32, v4 :: v_dual_bitop2_b32 v2, v3, v2 bitop3:0x54
	s_delay_alu instid0(VALU_DEP_1) | instskip(NEXT) | instid1(VALU_DEP_1)
	v_cvt_f32_u32_e32 v2, v2
	v_ldexp_f32 v2, v2, v3
	s_delay_alu instid0(VALU_DEP_1)
	v_cvt_f16_f32_e32 v2, v2
	global_store_b16 v[6:7], v2, off
.LBB31_1575:
	s_mov_b32 s4, 0
.LBB31_1576:
	s_delay_alu instid0(SALU_CYCLE_1)
	s_and_not1_b32 vcc_lo, exec_lo, s4
	s_cbranch_vccnz .LBB31_1592
; %bb.1577:
	s_sext_i32_i16 s5, s6
	s_mov_b32 s4, -1
	s_cmp_lt_i32 s5, 2
	s_cbranch_scc1 .LBB31_1587
; %bb.1578:
	s_cmp_lt_i32 s5, 3
	s_cbranch_scc1 .LBB31_1584
; %bb.1579:
	s_cmp_gt_i32 s5, 3
	s_cbranch_scc0 .LBB31_1581
; %bb.1580:
	s_mov_b32 s4, 0
	global_store_b64 v[6:7], v[0:1], off
.LBB31_1581:
	s_and_not1_b32 vcc_lo, exec_lo, s4
	s_cbranch_vccnz .LBB31_1583
; %bb.1582:
	global_store_b32 v[6:7], v0, off
.LBB31_1583:
	s_mov_b32 s4, 0
.LBB31_1584:
	s_delay_alu instid0(SALU_CYCLE_1)
	s_and_not1_b32 vcc_lo, exec_lo, s4
	s_cbranch_vccnz .LBB31_1586
; %bb.1585:
	global_store_b16 v[6:7], v0, off
.LBB31_1586:
	s_mov_b32 s4, 0
.LBB31_1587:
	s_delay_alu instid0(SALU_CYCLE_1)
	s_and_not1_b32 vcc_lo, exec_lo, s4
	s_cbranch_vccnz .LBB31_1592
; %bb.1588:
	s_sext_i32_i16 s4, s6
	s_delay_alu instid0(SALU_CYCLE_1)
	s_cmp_gt_i32 s4, 0
	s_mov_b32 s4, -1
	s_cbranch_scc0 .LBB31_1590
; %bb.1589:
	s_mov_b32 s4, 0
	global_store_b8 v[6:7], v0, off
.LBB31_1590:
	s_and_not1_b32 vcc_lo, exec_lo, s4
	s_cbranch_vccnz .LBB31_1592
; %bb.1591:
	global_store_b8 v[6:7], v0, off
.LBB31_1592:
	s_wait_xcnt 0x0
	s_or_b32 exec_lo, exec_lo, s0
	s_delay_alu instid0(SALU_CYCLE_1)
	s_and_b32 s10, s1, exec_lo
                                        ; implicit-def: $vgpr1
                                        ; implicit-def: $vgpr0
.LBB31_1593:
	s_or_saveexec_b32 s11, s30
	s_mov_b32 s0, 0
                                        ; implicit-def: $vgpr2_vgpr3
                                        ; implicit-def: $sgpr6
                                        ; implicit-def: $vgpr8_vgpr9
	s_xor_b32 exec_lo, exec_lo, s11
	s_cbranch_execz .LBB31_2675
; %bb.1594:
	v_cndmask_b32_e64 v3, 0, 1, s29
	s_and_not1_b32 vcc_lo, exec_lo, s29
	s_cbranch_vccnz .LBB31_1600
; %bb.1595:
	s_cmp_lg_u32 s26, 0
	s_mov_b32 s4, 0
	s_cbranch_scc0 .LBB31_1604
; %bb.1596:
	s_min_u32 s5, s27, 15
	v_dual_mov_b32 v6, 0 :: v_dual_mov_b32 v2, v0
	v_dual_mov_b32 v22, 0 :: v_dual_mov_b32 v10, 0
	s_add_co_i32 s6, s5, 1
	s_mov_b64 s[0:1], 0xffffffffffffffe8
	s_and_b32 s6, s6, 30
	s_add_nc_u64 s[0:1], s[2:3], s[0:1]
.LBB31_1597:                            ; =>This Inner Loop Header: Depth=1
	s_clause 0x1
	s_load_b128 s[12:15], s[0:1], 0x1c
	s_load_b64 s[8:9], s[0:1], 0x2c
	s_add_co_i32 s6, s6, -2
	s_delay_alu instid0(SALU_CYCLE_1) | instskip(SKIP_3) | instid1(VALU_DEP_1)
	s_cmp_lg_u32 s6, 0
	s_wait_loadcnt 0x0
	s_wait_kmcnt 0x0
	v_mul_hi_u32 v4, s13, v2
	v_add_nc_u32_e32 v4, v2, v4
	s_delay_alu instid0(VALU_DEP_1) | instskip(NEXT) | instid1(VALU_DEP_1)
	v_lshrrev_b32_e32 v4, s14, v4
	v_mul_hi_u32 v5, s8, v4
	v_mul_lo_u32 v7, v4, s12
	s_clause 0x1
	s_load_b128 s[16:19], s[0:1], 0xdc
	s_load_b64 s[12:13], s[0:1], 0xec
	s_wait_xcnt 0x0
	s_add_nc_u64 s[0:1], s[0:1], 24
	s_delay_alu instid0(VALU_DEP_1) | instskip(NEXT) | instid1(VALU_DEP_1)
	v_dual_add_nc_u32 v5, v4, v5 :: v_dual_sub_nc_u32 v7, v2, v7
	v_lshrrev_b32_e32 v2, s9, v5
	s_wait_kmcnt 0x0
	s_delay_alu instid0(VALU_DEP_2) | instskip(NEXT) | instid1(VALU_DEP_2)
	v_mad_u32 v6, v7, s16, v6
	v_mul_lo_u32 v5, v2, s15
	v_mad_u32 v8, v7, s18, v10
	v_mad_u32 v7, v7, s17, v22
	s_delay_alu instid0(VALU_DEP_3) | instskip(NEXT) | instid1(VALU_DEP_1)
	v_sub_nc_u32_e32 v4, v4, v5
	v_mad_u32 v6, v4, s19, v6
	s_delay_alu instid0(VALU_DEP_4) | instskip(NEXT) | instid1(VALU_DEP_4)
	v_mad_u32 v10, v4, s13, v8
	v_mad_u32 v22, v4, s12, v7
	s_cbranch_scc1 .LBB31_1597
; %bb.1598:
	s_bitcmp1_b32 s5, 0
	s_cselect_b32 s5, -1, 0
	s_delay_alu instid0(SALU_CYCLE_1)
	s_and_b32 vcc_lo, exec_lo, s5
	s_cbranch_vccnz .LBB31_1601
; %bb.1599:
	s_clause 0x1
	s_load_b96 s[12:14], s[0:1], 0x1c
	s_load_b96 s[16:18], s[0:1], 0xdc
	s_wait_kmcnt 0x0
	v_mul_hi_u32 v4, s13, v2
	s_delay_alu instid0(VALU_DEP_1) | instskip(NEXT) | instid1(VALU_DEP_1)
	v_add_nc_u32_e32 v4, v2, v4
	v_lshrrev_b32_e32 v4, s14, v4
	s_delay_alu instid0(VALU_DEP_1) | instskip(NEXT) | instid1(VALU_DEP_1)
	v_mul_lo_u32 v4, v4, s12
	v_sub_nc_u32_e32 v2, v2, v4
	s_delay_alu instid0(VALU_DEP_1)
	v_mad_u32 v6, v2, s16, v6
	v_mad_u32 v22, v2, s17, v22
	;; [unrolled: 1-line block ×3, first 2 shown]
	s_and_not1_b32 vcc_lo, exec_lo, s4
	s_cbranch_vccz .LBB31_1602
	s_branch .LBB31_1605
.LBB31_1600:
	s_mov_b32 s4, -1
                                        ; implicit-def: $vgpr10
                                        ; implicit-def: $vgpr22
                                        ; implicit-def: $vgpr6
.LBB31_1601:
	s_delay_alu instid0(SALU_CYCLE_1)
	s_and_not1_b32 vcc_lo, exec_lo, s4
	s_cbranch_vccnz .LBB31_1605
.LBB31_1602:
	s_clause 0x1
	s_load_b96 s[4:6], s[2:3], 0x4
	s_load_b96 s[12:14], s[2:3], 0xc4
	s_cmp_lt_u32 s26, 2
	s_wait_kmcnt 0x0
	v_mul_hi_u32 v2, s5, v0
	s_delay_alu instid0(VALU_DEP_1) | instskip(NEXT) | instid1(VALU_DEP_1)
	v_add_nc_u32_e32 v2, v0, v2
	v_lshrrev_b32_e32 v2, s6, v2
	s_wait_loadcnt 0x0
	s_delay_alu instid0(VALU_DEP_1) | instskip(NEXT) | instid1(VALU_DEP_1)
	v_mul_lo_u32 v4, v2, s4
	v_sub_nc_u32_e32 v4, v0, v4
	s_delay_alu instid0(VALU_DEP_1)
	v_mul_lo_u32 v6, v4, s12
	v_mul_lo_u32 v10, v4, s14
	;; [unrolled: 1-line block ×3, first 2 shown]
	s_cbranch_scc1 .LBB31_1605
; %bb.1603:
	s_clause 0x1
	s_load_b96 s[4:6], s[2:3], 0x10
	s_load_b96 s[12:14], s[2:3], 0xd0
	s_wait_kmcnt 0x0
	v_mul_hi_u32 v4, s5, v2
	s_delay_alu instid0(VALU_DEP_1) | instskip(NEXT) | instid1(VALU_DEP_1)
	v_add_nc_u32_e32 v4, v2, v4
	v_lshrrev_b32_e32 v4, s6, v4
	s_delay_alu instid0(VALU_DEP_1) | instskip(NEXT) | instid1(VALU_DEP_1)
	v_mul_lo_u32 v4, v4, s4
	v_sub_nc_u32_e32 v2, v2, v4
	s_delay_alu instid0(VALU_DEP_1)
	v_mad_u32 v6, v2, s12, v6
	v_mad_u32 v22, v2, s13, v22
	v_mad_u32 v10, v2, s14, v10
	s_branch .LBB31_1605
.LBB31_1604:
	v_dual_mov_b32 v10, 0 :: v_dual_mov_b32 v22, 0
	v_mov_b32_e32 v6, 0
	s_and_not1_b32 vcc_lo, exec_lo, s4
	s_cbranch_vccz .LBB31_1602
.LBB31_1605:
	v_cmp_ne_u32_e32 vcc_lo, 1, v3
	v_add_nc_u32_e32 v2, 0x80, v0
	s_cbranch_vccnz .LBB31_1611
; %bb.1606:
	s_cmp_lg_u32 s26, 0
	s_mov_b32 s4, 0
	s_cbranch_scc0 .LBB31_1615
; %bb.1607:
	s_min_u32 s5, s27, 15
	s_wait_loadcnt 0x0
	v_dual_mov_b32 v4, 0 :: v_dual_mov_b32 v5, v2
	v_dual_mov_b32 v20, 0 :: v_dual_mov_b32 v14, 0
	s_add_co_i32 s6, s5, 1
	s_mov_b64 s[0:1], 0xffffffffffffffe8
	s_and_b32 s6, s6, 30
	s_add_nc_u64 s[0:1], s[2:3], s[0:1]
.LBB31_1608:                            ; =>This Inner Loop Header: Depth=1
	s_clause 0x1
	s_load_b128 s[12:15], s[0:1], 0x1c
	s_load_b64 s[8:9], s[0:1], 0x2c
	s_add_co_i32 s6, s6, -2
	s_delay_alu instid0(SALU_CYCLE_1) | instskip(SKIP_2) | instid1(VALU_DEP_1)
	s_cmp_lg_u32 s6, 0
	s_wait_kmcnt 0x0
	v_mul_hi_u32 v7, s13, v5
	v_add_nc_u32_e32 v7, v5, v7
	s_delay_alu instid0(VALU_DEP_1) | instskip(NEXT) | instid1(VALU_DEP_1)
	v_lshrrev_b32_e32 v7, s14, v7
	v_mul_hi_u32 v8, s8, v7
	v_mul_lo_u32 v9, v7, s12
	s_clause 0x1
	s_load_b128 s[16:19], s[0:1], 0xdc
	s_load_b64 s[12:13], s[0:1], 0xec
	s_wait_xcnt 0x0
	s_add_nc_u64 s[0:1], s[0:1], 24
	s_delay_alu instid0(VALU_DEP_1) | instskip(NEXT) | instid1(VALU_DEP_1)
	v_dual_add_nc_u32 v8, v7, v8 :: v_dual_sub_nc_u32 v9, v5, v9
	v_lshrrev_b32_e32 v5, s9, v8
	s_wait_kmcnt 0x0
	s_delay_alu instid0(VALU_DEP_2) | instskip(NEXT) | instid1(VALU_DEP_2)
	v_mad_u32 v4, v9, s16, v4
	v_mul_lo_u32 v8, v5, s15
	v_mad_u32 v11, v9, s18, v14
	v_mad_u32 v9, v9, s17, v20
	s_delay_alu instid0(VALU_DEP_3) | instskip(NEXT) | instid1(VALU_DEP_1)
	v_sub_nc_u32_e32 v7, v7, v8
	v_mad_u32 v4, v7, s19, v4
	s_delay_alu instid0(VALU_DEP_4) | instskip(NEXT) | instid1(VALU_DEP_4)
	v_mad_u32 v14, v7, s13, v11
	v_mad_u32 v20, v7, s12, v9
	s_cbranch_scc1 .LBB31_1608
; %bb.1609:
	s_bitcmp1_b32 s5, 0
	s_cselect_b32 s5, -1, 0
	s_delay_alu instid0(SALU_CYCLE_1)
	s_and_b32 vcc_lo, exec_lo, s5
	s_cbranch_vccnz .LBB31_1612
; %bb.1610:
	s_clause 0x1
	s_load_b96 s[12:14], s[0:1], 0x1c
	s_load_b96 s[16:18], s[0:1], 0xdc
	s_wait_kmcnt 0x0
	v_mul_hi_u32 v7, s13, v5
	s_delay_alu instid0(VALU_DEP_1) | instskip(NEXT) | instid1(VALU_DEP_1)
	v_add_nc_u32_e32 v7, v5, v7
	v_lshrrev_b32_e32 v7, s14, v7
	s_delay_alu instid0(VALU_DEP_1) | instskip(NEXT) | instid1(VALU_DEP_1)
	v_mul_lo_u32 v7, v7, s12
	v_sub_nc_u32_e32 v5, v5, v7
	s_delay_alu instid0(VALU_DEP_1)
	v_mad_u32 v4, v5, s16, v4
	v_mad_u32 v20, v5, s17, v20
	;; [unrolled: 1-line block ×3, first 2 shown]
	s_and_not1_b32 vcc_lo, exec_lo, s4
	s_cbranch_vccz .LBB31_1613
	s_branch .LBB31_1616
.LBB31_1611:
	s_mov_b32 s4, -1
                                        ; implicit-def: $vgpr14
                                        ; implicit-def: $vgpr20
                                        ; implicit-def: $vgpr4
.LBB31_1612:
	s_delay_alu instid0(SALU_CYCLE_1)
	s_and_not1_b32 vcc_lo, exec_lo, s4
	s_cbranch_vccnz .LBB31_1616
.LBB31_1613:
	s_clause 0x1
	s_load_b96 s[4:6], s[2:3], 0x4
	s_load_b96 s[12:14], s[2:3], 0xc4
	s_cmp_lt_u32 s26, 2
	s_wait_loadcnt 0x0
	s_wait_kmcnt 0x0
	v_mul_hi_u32 v4, s5, v2
	s_delay_alu instid0(VALU_DEP_1) | instskip(NEXT) | instid1(VALU_DEP_1)
	v_add_nc_u32_e32 v4, v2, v4
	v_lshrrev_b32_e32 v5, s6, v4
	s_delay_alu instid0(VALU_DEP_1) | instskip(NEXT) | instid1(VALU_DEP_1)
	v_mul_lo_u32 v4, v5, s4
	v_sub_nc_u32_e32 v2, v2, v4
	s_delay_alu instid0(VALU_DEP_1)
	v_mul_lo_u32 v4, v2, s12
	v_mul_lo_u32 v14, v2, s14
	v_mul_lo_u32 v20, v2, s13
	s_cbranch_scc1 .LBB31_1616
; %bb.1614:
	s_clause 0x1
	s_load_b96 s[4:6], s[2:3], 0x10
	s_load_b96 s[12:14], s[2:3], 0xd0
	s_wait_kmcnt 0x0
	v_mul_hi_u32 v2, s5, v5
	s_delay_alu instid0(VALU_DEP_1) | instskip(NEXT) | instid1(VALU_DEP_1)
	v_add_nc_u32_e32 v2, v5, v2
	v_lshrrev_b32_e32 v2, s6, v2
	s_delay_alu instid0(VALU_DEP_1) | instskip(NEXT) | instid1(VALU_DEP_1)
	v_mul_lo_u32 v2, v2, s4
	v_sub_nc_u32_e32 v2, v5, v2
	s_delay_alu instid0(VALU_DEP_1)
	v_mad_u32 v4, v2, s12, v4
	v_mad_u32 v20, v2, s13, v20
	;; [unrolled: 1-line block ×3, first 2 shown]
	s_branch .LBB31_1616
.LBB31_1615:
	v_dual_mov_b32 v14, 0 :: v_dual_mov_b32 v20, 0
	s_wait_loadcnt 0x0
	v_mov_b32_e32 v4, 0
	s_and_not1_b32 vcc_lo, exec_lo, s4
	s_cbranch_vccz .LBB31_1613
.LBB31_1616:
	v_cmp_ne_u32_e32 vcc_lo, 1, v3
	v_add_nc_u32_e32 v0, 0x100, v0
	s_cbranch_vccnz .LBB31_1622
; %bb.1617:
	s_cmp_lg_u32 s26, 0
	s_mov_b32 s4, 0
	s_cbranch_scc0 .LBB31_1626
; %bb.1618:
	s_min_u32 s5, s27, 15
	s_wait_loadcnt 0x0
	v_dual_mov_b32 v2, 0 :: v_dual_mov_b32 v5, v0
	v_dual_mov_b32 v18, 0 :: v_dual_mov_b32 v16, 0
	s_add_co_i32 s6, s5, 1
	s_mov_b64 s[0:1], 0xffffffffffffffe8
	s_and_b32 s6, s6, 30
	s_add_nc_u64 s[0:1], s[2:3], s[0:1]
.LBB31_1619:                            ; =>This Inner Loop Header: Depth=1
	s_clause 0x1
	s_load_b128 s[12:15], s[0:1], 0x1c
	s_load_b64 s[8:9], s[0:1], 0x2c
	s_add_co_i32 s6, s6, -2
	s_delay_alu instid0(SALU_CYCLE_1) | instskip(SKIP_2) | instid1(VALU_DEP_1)
	s_cmp_lg_u32 s6, 0
	s_wait_kmcnt 0x0
	v_mul_hi_u32 v7, s13, v5
	v_add_nc_u32_e32 v7, v5, v7
	s_delay_alu instid0(VALU_DEP_1) | instskip(NEXT) | instid1(VALU_DEP_1)
	v_lshrrev_b32_e32 v7, s14, v7
	v_mul_hi_u32 v8, s8, v7
	v_mul_lo_u32 v9, v7, s12
	s_clause 0x1
	s_load_b128 s[16:19], s[0:1], 0xdc
	s_load_b64 s[12:13], s[0:1], 0xec
	s_wait_xcnt 0x0
	s_add_nc_u64 s[0:1], s[0:1], 24
	s_delay_alu instid0(VALU_DEP_1) | instskip(NEXT) | instid1(VALU_DEP_1)
	v_dual_add_nc_u32 v8, v7, v8 :: v_dual_sub_nc_u32 v9, v5, v9
	v_lshrrev_b32_e32 v5, s9, v8
	s_wait_kmcnt 0x0
	s_delay_alu instid0(VALU_DEP_2) | instskip(NEXT) | instid1(VALU_DEP_2)
	v_mad_u32 v2, v9, s16, v2
	v_mul_lo_u32 v8, v5, s15
	v_mad_u32 v11, v9, s18, v16
	v_mad_u32 v9, v9, s17, v18
	s_delay_alu instid0(VALU_DEP_3) | instskip(NEXT) | instid1(VALU_DEP_1)
	v_sub_nc_u32_e32 v7, v7, v8
	v_mad_u32 v2, v7, s19, v2
	s_delay_alu instid0(VALU_DEP_4) | instskip(NEXT) | instid1(VALU_DEP_4)
	v_mad_u32 v16, v7, s13, v11
	v_mad_u32 v18, v7, s12, v9
	s_cbranch_scc1 .LBB31_1619
; %bb.1620:
	s_bitcmp1_b32 s5, 0
	s_cselect_b32 s5, -1, 0
	s_delay_alu instid0(SALU_CYCLE_1)
	s_and_b32 vcc_lo, exec_lo, s5
	s_cbranch_vccnz .LBB31_1623
; %bb.1621:
	s_clause 0x1
	s_load_b96 s[12:14], s[0:1], 0x1c
	s_load_b96 s[16:18], s[0:1], 0xdc
	s_wait_kmcnt 0x0
	v_mul_hi_u32 v7, s13, v5
	s_delay_alu instid0(VALU_DEP_1) | instskip(NEXT) | instid1(VALU_DEP_1)
	v_add_nc_u32_e32 v7, v5, v7
	v_lshrrev_b32_e32 v7, s14, v7
	s_delay_alu instid0(VALU_DEP_1) | instskip(NEXT) | instid1(VALU_DEP_1)
	v_mul_lo_u32 v7, v7, s12
	v_sub_nc_u32_e32 v5, v5, v7
	s_delay_alu instid0(VALU_DEP_1)
	v_mad_u32 v2, v5, s16, v2
	v_mad_u32 v18, v5, s17, v18
	v_mad_u32 v16, v5, s18, v16
	s_and_not1_b32 vcc_lo, exec_lo, s4
	s_cbranch_vccz .LBB31_1624
	s_branch .LBB31_1627
.LBB31_1622:
	s_mov_b32 s4, -1
                                        ; implicit-def: $vgpr16
                                        ; implicit-def: $vgpr18
                                        ; implicit-def: $vgpr2
.LBB31_1623:
	s_delay_alu instid0(SALU_CYCLE_1)
	s_and_not1_b32 vcc_lo, exec_lo, s4
	s_cbranch_vccnz .LBB31_1627
.LBB31_1624:
	s_clause 0x1
	s_load_b96 s[4:6], s[2:3], 0x4
	s_load_b96 s[12:14], s[2:3], 0xc4
	s_cmp_lt_u32 s26, 2
	s_wait_kmcnt 0x0
	v_mul_hi_u32 v2, s5, v0
	s_delay_alu instid0(VALU_DEP_1) | instskip(SKIP_1) | instid1(VALU_DEP_1)
	v_add_nc_u32_e32 v2, v0, v2
	s_wait_loadcnt 0x0
	v_lshrrev_b32_e32 v5, s6, v2
	s_delay_alu instid0(VALU_DEP_1) | instskip(NEXT) | instid1(VALU_DEP_1)
	v_mul_lo_u32 v2, v5, s4
	v_sub_nc_u32_e32 v0, v0, v2
	s_delay_alu instid0(VALU_DEP_1)
	v_mul_lo_u32 v2, v0, s12
	v_mul_lo_u32 v16, v0, s14
	;; [unrolled: 1-line block ×3, first 2 shown]
	s_cbranch_scc1 .LBB31_1627
; %bb.1625:
	s_clause 0x1
	s_load_b96 s[4:6], s[2:3], 0x10
	s_load_b96 s[12:14], s[2:3], 0xd0
	s_wait_kmcnt 0x0
	v_mul_hi_u32 v0, s5, v5
	s_delay_alu instid0(VALU_DEP_1) | instskip(NEXT) | instid1(VALU_DEP_1)
	v_add_nc_u32_e32 v0, v5, v0
	v_lshrrev_b32_e32 v0, s6, v0
	s_delay_alu instid0(VALU_DEP_1) | instskip(NEXT) | instid1(VALU_DEP_1)
	v_mul_lo_u32 v0, v0, s4
	v_sub_nc_u32_e32 v0, v5, v0
	s_delay_alu instid0(VALU_DEP_1)
	v_mad_u32 v2, v0, s12, v2
	v_mad_u32 v18, v0, s13, v18
	;; [unrolled: 1-line block ×3, first 2 shown]
	s_branch .LBB31_1627
.LBB31_1626:
	v_dual_mov_b32 v16, 0 :: v_dual_mov_b32 v18, 0
	v_mov_b32_e32 v2, 0
	s_and_not1_b32 vcc_lo, exec_lo, s4
	s_cbranch_vccz .LBB31_1624
.LBB31_1627:
	v_cmp_ne_u32_e32 vcc_lo, 1, v3
	s_cbranch_vccnz .LBB31_1633
; %bb.1628:
	s_cmp_lg_u32 s26, 0
	s_mov_b32 s4, 0
	s_cbranch_scc0 .LBB31_1637
; %bb.1629:
	s_min_u32 s5, s27, 15
	v_dual_mov_b32 v0, 0 :: v_dual_mov_b32 v3, v1
	s_wait_loadcnt 0x0
	v_dual_mov_b32 v12, 0 :: v_dual_mov_b32 v8, 0
	s_add_co_i32 s6, s5, 1
	s_mov_b64 s[0:1], 0xffffffffffffffe8
	s_and_b32 s6, s6, 30
	s_add_nc_u64 s[0:1], s[2:3], s[0:1]
.LBB31_1630:                            ; =>This Inner Loop Header: Depth=1
	s_clause 0x1
	s_load_b128 s[12:15], s[0:1], 0x1c
	s_load_b64 s[8:9], s[0:1], 0x2c
	s_add_co_i32 s6, s6, -2
	s_delay_alu instid0(SALU_CYCLE_1) | instskip(SKIP_2) | instid1(VALU_DEP_1)
	s_cmp_lg_u32 s6, 0
	s_wait_kmcnt 0x0
	v_mul_hi_u32 v5, s13, v3
	v_add_nc_u32_e32 v5, v3, v5
	s_delay_alu instid0(VALU_DEP_1) | instskip(NEXT) | instid1(VALU_DEP_1)
	v_lshrrev_b32_e32 v5, s14, v5
	v_mul_hi_u32 v7, s8, v5
	v_mul_lo_u32 v9, v5, s12
	s_clause 0x1
	s_load_b128 s[16:19], s[0:1], 0xdc
	s_load_b64 s[12:13], s[0:1], 0xec
	s_wait_xcnt 0x0
	s_add_nc_u64 s[0:1], s[0:1], 24
	s_delay_alu instid0(VALU_DEP_1) | instskip(NEXT) | instid1(VALU_DEP_1)
	v_dual_add_nc_u32 v7, v5, v7 :: v_dual_sub_nc_u32 v9, v3, v9
	v_lshrrev_b32_e32 v3, s9, v7
	s_wait_kmcnt 0x0
	s_delay_alu instid0(VALU_DEP_2) | instskip(NEXT) | instid1(VALU_DEP_2)
	v_mad_u32 v0, v9, s16, v0
	v_mul_lo_u32 v7, v3, s15
	v_mad_u32 v8, v9, s18, v8
	v_mad_u32 v9, v9, s17, v12
	s_delay_alu instid0(VALU_DEP_3) | instskip(NEXT) | instid1(VALU_DEP_1)
	v_sub_nc_u32_e32 v5, v5, v7
	v_mad_u32 v0, v5, s19, v0
	s_delay_alu instid0(VALU_DEP_4) | instskip(NEXT) | instid1(VALU_DEP_4)
	v_mad_u32 v8, v5, s13, v8
	v_mad_u32 v12, v5, s12, v9
	s_cbranch_scc1 .LBB31_1630
; %bb.1631:
	s_bitcmp1_b32 s5, 0
	s_cselect_b32 s5, -1, 0
	s_delay_alu instid0(SALU_CYCLE_1)
	s_and_b32 vcc_lo, exec_lo, s5
	s_cbranch_vccnz .LBB31_1634
; %bb.1632:
	s_clause 0x1
	s_load_b96 s[12:14], s[0:1], 0x1c
	s_load_b96 s[16:18], s[0:1], 0xdc
	s_wait_kmcnt 0x0
	v_mul_hi_u32 v5, s13, v3
	s_delay_alu instid0(VALU_DEP_1) | instskip(NEXT) | instid1(VALU_DEP_1)
	v_add_nc_u32_e32 v5, v3, v5
	v_lshrrev_b32_e32 v5, s14, v5
	s_delay_alu instid0(VALU_DEP_1) | instskip(NEXT) | instid1(VALU_DEP_1)
	v_mul_lo_u32 v5, v5, s12
	v_sub_nc_u32_e32 v3, v3, v5
	s_delay_alu instid0(VALU_DEP_1)
	v_mad_u32 v0, v3, s16, v0
	v_mad_u32 v12, v3, s17, v12
	;; [unrolled: 1-line block ×3, first 2 shown]
	s_and_not1_b32 vcc_lo, exec_lo, s4
	s_cbranch_vccz .LBB31_1635
	s_branch .LBB31_1638
.LBB31_1633:
	s_mov_b32 s4, -1
                                        ; implicit-def: $vgpr8
                                        ; implicit-def: $vgpr12
                                        ; implicit-def: $vgpr0
.LBB31_1634:
	s_delay_alu instid0(SALU_CYCLE_1)
	s_and_not1_b32 vcc_lo, exec_lo, s4
	s_cbranch_vccnz .LBB31_1638
.LBB31_1635:
	s_clause 0x1
	s_load_b96 s[4:6], s[2:3], 0x4
	s_load_b96 s[12:14], s[2:3], 0xc4
	s_cmp_lt_u32 s26, 2
	s_wait_kmcnt 0x0
	v_mul_hi_u32 v0, s5, v1
	s_delay_alu instid0(VALU_DEP_1) | instskip(NEXT) | instid1(VALU_DEP_1)
	v_add_nc_u32_e32 v0, v1, v0
	v_lshrrev_b32_e32 v3, s6, v0
	s_delay_alu instid0(VALU_DEP_1) | instskip(NEXT) | instid1(VALU_DEP_1)
	v_mul_lo_u32 v0, v3, s4
	v_sub_nc_u32_e32 v1, v1, v0
	s_delay_alu instid0(VALU_DEP_1)
	v_mul_lo_u32 v0, v1, s12
	s_wait_loadcnt 0x0
	v_mul_lo_u32 v8, v1, s14
	v_mul_lo_u32 v12, v1, s13
	s_cbranch_scc1 .LBB31_1638
; %bb.1636:
	s_clause 0x1
	s_load_b96 s[4:6], s[2:3], 0x10
	s_load_b96 s[12:14], s[2:3], 0xd0
	s_wait_kmcnt 0x0
	v_mul_hi_u32 v1, s5, v3
	s_delay_alu instid0(VALU_DEP_1) | instskip(NEXT) | instid1(VALU_DEP_1)
	v_add_nc_u32_e32 v1, v3, v1
	v_lshrrev_b32_e32 v1, s6, v1
	s_delay_alu instid0(VALU_DEP_1) | instskip(NEXT) | instid1(VALU_DEP_1)
	v_mul_lo_u32 v1, v1, s4
	v_sub_nc_u32_e32 v1, v3, v1
	s_delay_alu instid0(VALU_DEP_1)
	v_mad_u32 v0, v1, s12, v0
	v_mad_u32 v12, v1, s13, v12
	;; [unrolled: 1-line block ×3, first 2 shown]
	s_branch .LBB31_1638
.LBB31_1637:
	s_wait_loadcnt 0x0
	v_dual_mov_b32 v8, 0 :: v_dual_mov_b32 v12, 0
	v_mov_b32_e32 v0, 0
	s_and_not1_b32 vcc_lo, exec_lo, s4
	s_cbranch_vccz .LBB31_1635
.LBB31_1638:
	v_mov_b32_e32 v23, 0
	s_load_b128 s[4:7], s[2:3], 0x188
	global_load_u8 v1, v23, s[2:3] offset:418
	s_wait_kmcnt 0x0
	v_add_nc_u64_e32 v[24:25], s[6:7], v[22:23]
	s_wait_loadcnt 0x0
	v_and_b32_e32 v3, 0xffff, v1
	v_readfirstlane_b32 s12, v1
	s_delay_alu instid0(VALU_DEP_2)
	v_cmp_gt_i32_e32 vcc_lo, 11, v3
	s_cbranch_vccnz .LBB31_1645
; %bb.1639:
	s_and_b32 s0, 0xffff, s12
	s_mov_b32 s8, 0
	s_cmp_gt_i32 s0, 25
	s_cbranch_scc0 .LBB31_1647
; %bb.1640:
	s_cmp_gt_i32 s0, 28
	s_cbranch_scc0 .LBB31_1648
; %bb.1641:
	;; [unrolled: 3-line block ×4, first 2 shown]
	s_cmp_eq_u32 s0, 46
	s_mov_b32 s13, 0
	s_cbranch_scc0 .LBB31_1653
; %bb.1644:
	global_load_b32 v1, v[24:25], off
	s_mov_b32 s1, 0
	s_mov_b32 s9, -1
	s_wait_loadcnt 0x0
	v_lshlrev_b32_e32 v1, 16, v1
	s_delay_alu instid0(VALU_DEP_1) | instskip(NEXT) | instid1(VALU_DEP_1)
	v_trunc_f32_e32 v1, v1
	v_mul_f32_e64 v3, 0x2f800000, |v1|
	v_ashrrev_i32_e32 v22, 31, v1
	s_delay_alu instid0(VALU_DEP_2) | instskip(SKIP_1) | instid1(VALU_DEP_2)
	v_floor_f32_e32 v3, v3
	s_wait_xcnt 0x1
	v_mov_b32_e32 v23, v22
	s_delay_alu instid0(VALU_DEP_2) | instskip(SKIP_1) | instid1(VALU_DEP_2)
	v_fma_f32 v5, 0xcf800000, v3, |v1|
	v_cvt_u32_f32_e32 v1, v3
	v_cvt_u32_f32_e32 v3, v5
	s_delay_alu instid0(VALU_DEP_2) | instskip(NEXT) | instid1(VALU_DEP_2)
	v_xor_b32_e32 v27, v1, v22
	v_xor_b32_e32 v26, v3, v22
	s_delay_alu instid0(VALU_DEP_1)
	v_sub_nc_u64_e32 v[22:23], v[26:27], v[22:23]
	s_branch .LBB31_1655
.LBB31_1645:
	s_mov_b32 s9, 0
	s_mov_b32 s1, s10
                                        ; implicit-def: $vgpr22_vgpr23
	s_cbranch_execnz .LBB31_1713
.LBB31_1646:
	s_and_not1_b32 vcc_lo, exec_lo, s9
	s_cbranch_vccz .LBB31_1758
	s_branch .LBB31_2673
.LBB31_1647:
	s_mov_b32 s9, 0
	s_mov_b32 s1, 0
                                        ; implicit-def: $vgpr22_vgpr23
	s_cbranch_execnz .LBB31_1680
	s_branch .LBB31_1709
.LBB31_1648:
	s_mov_b32 s9, 0
	s_mov_b32 s1, 0
                                        ; implicit-def: $vgpr22_vgpr23
	s_cbranch_execz .LBB31_1679
	s_branch .LBB31_1664
.LBB31_1649:
	s_mov_b32 s9, 0
	s_mov_b32 s1, 0
                                        ; implicit-def: $vgpr22_vgpr23
	s_cbranch_execnz .LBB31_1660
	s_branch .LBB31_1663
.LBB31_1650:
	s_mov_b32 s13, -1
	s_mov_b32 s9, 0
	s_mov_b32 s1, 0
	s_branch .LBB31_1654
.LBB31_1651:
	s_and_not1_saveexec_b32 s9, s9
	s_cbranch_execz .LBB31_1506
.LBB31_1652:
	v_add_f32_e32 v2, 0x46000000, v3
	s_and_not1_b32 s8, s8, exec_lo
	s_delay_alu instid0(VALU_DEP_1) | instskip(NEXT) | instid1(VALU_DEP_1)
	v_and_b32_e32 v2, 0xff, v2
	v_cmp_ne_u32_e32 vcc_lo, 0, v2
	s_and_b32 s10, vcc_lo, exec_lo
	s_delay_alu instid0(SALU_CYCLE_1)
	s_or_b32 s8, s8, s10
	s_or_b32 exec_lo, exec_lo, s9
	v_mov_b32_e32 v4, 0
	s_and_saveexec_b32 s9, s8
	s_cbranch_execnz .LBB31_1507
	s_branch .LBB31_1508
.LBB31_1653:
	s_mov_b32 s1, -1
	s_mov_b32 s9, 0
.LBB31_1654:
                                        ; implicit-def: $vgpr22_vgpr23
.LBB31_1655:
	s_and_b32 vcc_lo, exec_lo, s13
	s_cbranch_vccz .LBB31_1658
; %bb.1656:
	s_cmp_eq_u32 s0, 44
	s_cbranch_scc0 .LBB31_1659
; %bb.1657:
	global_load_u8 v1, v[24:25], off
	s_mov_b32 s1, 0
	s_mov_b32 s9, -1
	s_wait_loadcnt 0x0
	v_lshlrev_b32_e32 v3, 23, v1
	v_cmp_ne_u32_e32 vcc_lo, 0, v1
	s_delay_alu instid0(VALU_DEP_2) | instskip(NEXT) | instid1(VALU_DEP_1)
	v_trunc_f32_e32 v3, v3
	v_mul_f32_e64 v5, 0x2f800000, |v3|
	v_ashrrev_i32_e32 v22, 31, v3
	s_delay_alu instid0(VALU_DEP_2) | instskip(SKIP_1) | instid1(VALU_DEP_2)
	v_floor_f32_e32 v5, v5
	s_wait_xcnt 0x1
	v_mov_b32_e32 v23, v22
	s_delay_alu instid0(VALU_DEP_2) | instskip(SKIP_1) | instid1(VALU_DEP_2)
	v_fma_f32 v7, 0xcf800000, v5, |v3|
	v_cvt_u32_f32_e32 v3, v5
	v_cvt_u32_f32_e32 v5, v7
	s_delay_alu instid0(VALU_DEP_2) | instskip(NEXT) | instid1(VALU_DEP_2)
	v_xor_b32_e32 v27, v3, v22
	v_xor_b32_e32 v26, v5, v22
	s_delay_alu instid0(VALU_DEP_1) | instskip(NEXT) | instid1(VALU_DEP_1)
	v_sub_nc_u64_e32 v[22:23], v[26:27], v[22:23]
	v_dual_cndmask_b32 v23, 0, v23 :: v_dual_cndmask_b32 v22, 0, v22
.LBB31_1658:
	s_branch .LBB31_1663
.LBB31_1659:
	s_mov_b32 s1, -1
                                        ; implicit-def: $vgpr22_vgpr23
	s_branch .LBB31_1663
.LBB31_1660:
	s_cmp_eq_u32 s0, 29
	s_cbranch_scc0 .LBB31_1662
; %bb.1661:
	global_load_b64 v[22:23], v[24:25], off
	s_mov_b32 s1, 0
	s_mov_b32 s9, -1
	s_branch .LBB31_1663
.LBB31_1662:
	s_mov_b32 s1, -1
                                        ; implicit-def: $vgpr22_vgpr23
.LBB31_1663:
	s_branch .LBB31_1679
.LBB31_1664:
	s_cmp_lt_i32 s0, 27
	s_cbranch_scc1 .LBB31_1667
; %bb.1665:
	s_cmp_gt_i32 s0, 27
	s_cbranch_scc0 .LBB31_1668
; %bb.1666:
	s_wait_loadcnt 0x0
	global_load_b32 v22, v[24:25], off
	s_wait_xcnt 0x1
	v_mov_b32_e32 v23, 0
	s_mov_b32 s9, 0
	s_branch .LBB31_1669
.LBB31_1667:
	s_mov_b32 s9, -1
                                        ; implicit-def: $vgpr22_vgpr23
	s_branch .LBB31_1672
.LBB31_1668:
	s_mov_b32 s9, -1
                                        ; implicit-def: $vgpr22_vgpr23
.LBB31_1669:
	s_delay_alu instid0(SALU_CYCLE_1)
	s_and_not1_b32 vcc_lo, exec_lo, s9
	s_cbranch_vccnz .LBB31_1671
; %bb.1670:
	global_load_u16 v1, v[24:25], off
	s_mov_b32 s9, 0
	s_wait_loadcnt 0x1
	s_wait_xcnt 0x1
	v_mov_b32_e32 v23, s9
	s_wait_loadcnt 0x0
	v_and_b32_e32 v22, 0xffff, v1
.LBB31_1671:
	s_mov_b32 s9, 0
.LBB31_1672:
	s_delay_alu instid0(SALU_CYCLE_1)
	s_and_not1_b32 vcc_lo, exec_lo, s9
	s_cbranch_vccnz .LBB31_1678
; %bb.1673:
	global_load_u8 v1, v[24:25], off
	s_mov_b32 s13, 0
	s_mov_b32 s9, exec_lo
	s_wait_loadcnt 0x0
	v_cmpx_lt_i16_e32 0x7f, v1
	s_xor_b32 s9, exec_lo, s9
	s_cbranch_execz .LBB31_1689
; %bb.1674:
	v_cmp_ne_u16_e32 vcc_lo, 0x80, v1
	s_and_b32 s13, vcc_lo, exec_lo
	s_and_not1_saveexec_b32 s9, s9
	s_cbranch_execnz .LBB31_1690
.LBB31_1675:
	s_or_b32 exec_lo, exec_lo, s9
	v_mov_b64_e32 v[22:23], 0
	s_and_saveexec_b32 s9, s13
	s_cbranch_execz .LBB31_1677
.LBB31_1676:
	v_and_b32_e32 v3, 0xffff, v1
	s_delay_alu instid0(VALU_DEP_1) | instskip(SKIP_1) | instid1(VALU_DEP_2)
	v_dual_lshlrev_b32 v1, 24, v1 :: v_dual_bitop2_b32 v5, 7, v3 bitop3:0x40
	v_bfe_u32 v11, v3, 3, 4
	v_and_b32_e32 v1, 0x80000000, v1
	s_delay_alu instid0(VALU_DEP_3) | instskip(NEXT) | instid1(VALU_DEP_3)
	v_clz_i32_u32_e32 v7, v5
	v_cmp_eq_u32_e32 vcc_lo, 0, v11
	s_delay_alu instid0(VALU_DEP_2) | instskip(NEXT) | instid1(VALU_DEP_1)
	v_min_u32_e32 v7, 32, v7
	v_subrev_nc_u32_e32 v9, 28, v7
	v_sub_nc_u32_e32 v7, 29, v7
	s_delay_alu instid0(VALU_DEP_2) | instskip(NEXT) | instid1(VALU_DEP_2)
	v_lshlrev_b32_e32 v3, v9, v3
	v_cndmask_b32_e32 v7, v11, v7, vcc_lo
	s_delay_alu instid0(VALU_DEP_2) | instskip(NEXT) | instid1(VALU_DEP_1)
	v_and_b32_e32 v3, 7, v3
	v_cndmask_b32_e32 v3, v5, v3, vcc_lo
	s_delay_alu instid0(VALU_DEP_3) | instskip(NEXT) | instid1(VALU_DEP_2)
	v_lshl_add_u32 v5, v7, 23, 0x3b800000
	v_lshlrev_b32_e32 v3, 20, v3
	s_delay_alu instid0(VALU_DEP_1) | instskip(NEXT) | instid1(VALU_DEP_1)
	v_or3_b32 v1, v1, v5, v3
	v_trunc_f32_e32 v1, v1
	s_delay_alu instid0(VALU_DEP_1) | instskip(SKIP_1) | instid1(VALU_DEP_2)
	v_mul_f32_e64 v3, 0x2f800000, |v1|
	v_ashrrev_i32_e32 v22, 31, v1
	v_floor_f32_e32 v3, v3
	s_delay_alu instid0(VALU_DEP_2) | instskip(NEXT) | instid1(VALU_DEP_2)
	v_mov_b32_e32 v23, v22
	v_fma_f32 v5, 0xcf800000, v3, |v1|
	v_cvt_u32_f32_e32 v1, v3
	s_delay_alu instid0(VALU_DEP_2) | instskip(NEXT) | instid1(VALU_DEP_2)
	v_cvt_u32_f32_e32 v3, v5
	v_xor_b32_e32 v27, v1, v22
	s_delay_alu instid0(VALU_DEP_2) | instskip(NEXT) | instid1(VALU_DEP_1)
	v_xor_b32_e32 v26, v3, v22
	v_sub_nc_u64_e32 v[22:23], v[26:27], v[22:23]
.LBB31_1677:
	s_or_b32 exec_lo, exec_lo, s9
.LBB31_1678:
	s_mov_b32 s9, -1
.LBB31_1679:
	s_branch .LBB31_1709
.LBB31_1680:
	s_cmp_gt_i32 s0, 22
	s_cbranch_scc0 .LBB31_1688
; %bb.1681:
	s_cmp_lt_i32 s0, 24
	s_cbranch_scc1 .LBB31_1691
; %bb.1682:
	s_cmp_gt_i32 s0, 24
	s_cbranch_scc0 .LBB31_1692
; %bb.1683:
	global_load_u8 v1, v[24:25], off
	s_mov_b32 s9, 0
	s_mov_b32 s8, exec_lo
	s_wait_loadcnt 0x0
	v_cmpx_lt_i16_e32 0x7f, v1
	s_xor_b32 s8, exec_lo, s8
	s_cbranch_execz .LBB31_1703
; %bb.1684:
	v_cmp_ne_u16_e32 vcc_lo, 0x80, v1
	s_and_b32 s9, vcc_lo, exec_lo
	s_and_not1_saveexec_b32 s8, s8
	s_cbranch_execnz .LBB31_1704
.LBB31_1685:
	s_or_b32 exec_lo, exec_lo, s8
	v_mov_b64_e32 v[22:23], 0
	s_and_saveexec_b32 s8, s9
	s_cbranch_execz .LBB31_1687
.LBB31_1686:
	v_and_b32_e32 v3, 0xffff, v1
	s_delay_alu instid0(VALU_DEP_1) | instskip(SKIP_1) | instid1(VALU_DEP_2)
	v_dual_lshlrev_b32 v1, 24, v1 :: v_dual_bitop2_b32 v5, 3, v3 bitop3:0x40
	v_bfe_u32 v11, v3, 2, 5
	v_and_b32_e32 v1, 0x80000000, v1
	s_delay_alu instid0(VALU_DEP_3) | instskip(NEXT) | instid1(VALU_DEP_3)
	v_clz_i32_u32_e32 v7, v5
	v_cmp_eq_u32_e32 vcc_lo, 0, v11
	s_delay_alu instid0(VALU_DEP_2) | instskip(NEXT) | instid1(VALU_DEP_1)
	v_min_u32_e32 v7, 32, v7
	v_subrev_nc_u32_e32 v9, 29, v7
	v_sub_nc_u32_e32 v7, 30, v7
	s_delay_alu instid0(VALU_DEP_2) | instskip(NEXT) | instid1(VALU_DEP_2)
	v_lshlrev_b32_e32 v3, v9, v3
	v_cndmask_b32_e32 v7, v11, v7, vcc_lo
	s_delay_alu instid0(VALU_DEP_2) | instskip(NEXT) | instid1(VALU_DEP_1)
	v_and_b32_e32 v3, 3, v3
	v_cndmask_b32_e32 v3, v5, v3, vcc_lo
	s_delay_alu instid0(VALU_DEP_3) | instskip(NEXT) | instid1(VALU_DEP_2)
	v_lshl_add_u32 v5, v7, 23, 0x37800000
	v_lshlrev_b32_e32 v3, 21, v3
	s_delay_alu instid0(VALU_DEP_1) | instskip(NEXT) | instid1(VALU_DEP_1)
	v_or3_b32 v1, v1, v5, v3
	v_trunc_f32_e32 v1, v1
	s_delay_alu instid0(VALU_DEP_1) | instskip(SKIP_1) | instid1(VALU_DEP_2)
	v_mul_f32_e64 v3, 0x2f800000, |v1|
	v_ashrrev_i32_e32 v22, 31, v1
	v_floor_f32_e32 v3, v3
	s_delay_alu instid0(VALU_DEP_2) | instskip(NEXT) | instid1(VALU_DEP_2)
	v_mov_b32_e32 v23, v22
	v_fma_f32 v5, 0xcf800000, v3, |v1|
	v_cvt_u32_f32_e32 v1, v3
	s_delay_alu instid0(VALU_DEP_2) | instskip(NEXT) | instid1(VALU_DEP_2)
	v_cvt_u32_f32_e32 v3, v5
	v_xor_b32_e32 v27, v1, v22
	s_delay_alu instid0(VALU_DEP_2) | instskip(NEXT) | instid1(VALU_DEP_1)
	v_xor_b32_e32 v26, v3, v22
	v_sub_nc_u64_e32 v[22:23], v[26:27], v[22:23]
.LBB31_1687:
	s_or_b32 exec_lo, exec_lo, s8
	s_mov_b32 s8, 0
	s_branch .LBB31_1693
.LBB31_1688:
                                        ; implicit-def: $vgpr22_vgpr23
	s_mov_b32 s8, 0
	s_branch .LBB31_1699
.LBB31_1689:
	s_and_not1_saveexec_b32 s9, s9
	s_cbranch_execz .LBB31_1675
.LBB31_1690:
	v_cmp_ne_u16_e32 vcc_lo, 0, v1
	s_and_not1_b32 s13, s13, exec_lo
	s_and_b32 s14, vcc_lo, exec_lo
	s_delay_alu instid0(SALU_CYCLE_1)
	s_or_b32 s13, s13, s14
	s_or_b32 exec_lo, exec_lo, s9
	v_mov_b64_e32 v[22:23], 0
	s_and_saveexec_b32 s9, s13
	s_cbranch_execnz .LBB31_1676
	s_branch .LBB31_1677
.LBB31_1691:
	s_mov_b32 s8, -1
                                        ; implicit-def: $vgpr22_vgpr23
	s_branch .LBB31_1696
.LBB31_1692:
	s_mov_b32 s8, -1
                                        ; implicit-def: $vgpr22_vgpr23
.LBB31_1693:
	s_delay_alu instid0(SALU_CYCLE_1)
	s_and_b32 vcc_lo, exec_lo, s8
	s_cbranch_vccz .LBB31_1695
; %bb.1694:
	global_load_u8 v1, v[24:25], off
	s_wait_loadcnt 0x0
	v_lshlrev_b32_e32 v1, 24, v1
	s_delay_alu instid0(VALU_DEP_1) | instskip(NEXT) | instid1(VALU_DEP_1)
	v_and_b32_e32 v3, 0x7f000000, v1
	v_clz_i32_u32_e32 v5, v3
	v_add_nc_u32_e32 v9, 0x1000000, v3
	v_cmp_ne_u32_e32 vcc_lo, 0, v3
	s_delay_alu instid0(VALU_DEP_3) | instskip(NEXT) | instid1(VALU_DEP_1)
	v_min_u32_e32 v5, 32, v5
	v_sub_nc_u32_e64 v5, v5, 4 clamp
	s_delay_alu instid0(VALU_DEP_1) | instskip(NEXT) | instid1(VALU_DEP_1)
	v_dual_lshlrev_b32 v7, v5, v3 :: v_dual_lshlrev_b32 v5, 23, v5
	v_lshrrev_b32_e32 v7, 4, v7
	s_delay_alu instid0(VALU_DEP_1) | instskip(SKIP_1) | instid1(VALU_DEP_2)
	v_sub_nc_u32_e32 v5, v7, v5
	v_ashrrev_i32_e32 v7, 8, v9
	v_add_nc_u32_e32 v5, 0x3c000000, v5
	s_delay_alu instid0(VALU_DEP_1) | instskip(NEXT) | instid1(VALU_DEP_1)
	v_and_or_b32 v5, 0x7f800000, v7, v5
	v_cndmask_b32_e32 v3, 0, v5, vcc_lo
	s_delay_alu instid0(VALU_DEP_1) | instskip(NEXT) | instid1(VALU_DEP_1)
	v_and_or_b32 v1, 0x80000000, v1, v3
	v_trunc_f32_e32 v1, v1
	s_delay_alu instid0(VALU_DEP_1) | instskip(SKIP_1) | instid1(VALU_DEP_2)
	v_mul_f32_e64 v3, 0x2f800000, |v1|
	v_ashrrev_i32_e32 v22, 31, v1
	v_floor_f32_e32 v3, v3
	s_wait_xcnt 0x1
	s_delay_alu instid0(VALU_DEP_2) | instskip(NEXT) | instid1(VALU_DEP_2)
	v_mov_b32_e32 v23, v22
	v_fma_f32 v5, 0xcf800000, v3, |v1|
	v_cvt_u32_f32_e32 v1, v3
	s_delay_alu instid0(VALU_DEP_2) | instskip(NEXT) | instid1(VALU_DEP_2)
	v_cvt_u32_f32_e32 v3, v5
	v_xor_b32_e32 v27, v1, v22
	s_delay_alu instid0(VALU_DEP_2) | instskip(NEXT) | instid1(VALU_DEP_1)
	v_xor_b32_e32 v26, v3, v22
	v_sub_nc_u64_e32 v[22:23], v[26:27], v[22:23]
.LBB31_1695:
	s_mov_b32 s8, 0
.LBB31_1696:
	s_delay_alu instid0(SALU_CYCLE_1)
	s_and_not1_b32 vcc_lo, exec_lo, s8
	s_cbranch_vccnz .LBB31_1698
; %bb.1697:
	global_load_u8 v1, v[24:25], off
	s_wait_loadcnt 0x0
	v_lshlrev_b32_e32 v3, 25, v1
	v_lshlrev_b16 v1, 8, v1
	s_delay_alu instid0(VALU_DEP_1) | instskip(SKIP_1) | instid1(VALU_DEP_2)
	v_and_or_b32 v7, 0x7f00, v1, 0.5
	v_bfe_i32 v1, v1, 0, 16
	v_add_f32_e32 v7, -0.5, v7
	v_lshrrev_b32_e32 v5, 4, v3
	v_cmp_gt_u32_e32 vcc_lo, 0x8000000, v3
	s_delay_alu instid0(VALU_DEP_2) | instskip(NEXT) | instid1(VALU_DEP_1)
	v_or_b32_e32 v5, 0x70000000, v5
	v_mul_f32_e32 v5, 0x7800000, v5
	s_delay_alu instid0(VALU_DEP_1) | instskip(NEXT) | instid1(VALU_DEP_1)
	v_cndmask_b32_e32 v3, v5, v7, vcc_lo
	v_and_or_b32 v1, 0x80000000, v1, v3
	s_delay_alu instid0(VALU_DEP_1) | instskip(NEXT) | instid1(VALU_DEP_1)
	v_trunc_f32_e32 v1, v1
	v_mul_f32_e64 v3, 0x2f800000, |v1|
	v_ashrrev_i32_e32 v22, 31, v1
	s_delay_alu instid0(VALU_DEP_2) | instskip(SKIP_1) | instid1(VALU_DEP_2)
	v_floor_f32_e32 v3, v3
	s_wait_xcnt 0x1
	v_mov_b32_e32 v23, v22
	s_delay_alu instid0(VALU_DEP_2) | instskip(SKIP_1) | instid1(VALU_DEP_2)
	v_fma_f32 v5, 0xcf800000, v3, |v1|
	v_cvt_u32_f32_e32 v1, v3
	v_cvt_u32_f32_e32 v3, v5
	s_delay_alu instid0(VALU_DEP_2) | instskip(NEXT) | instid1(VALU_DEP_2)
	v_xor_b32_e32 v27, v1, v22
	v_xor_b32_e32 v26, v3, v22
	s_delay_alu instid0(VALU_DEP_1)
	v_sub_nc_u64_e32 v[22:23], v[26:27], v[22:23]
.LBB31_1698:
	s_mov_b32 s9, -1
	s_mov_b32 s8, 0
	s_cbranch_execnz .LBB31_1709
.LBB31_1699:
	s_cmp_gt_i32 s0, 14
	s_cbranch_scc0 .LBB31_1702
; %bb.1700:
	s_cmp_eq_u32 s0, 15
	s_cbranch_scc0 .LBB31_1705
; %bb.1701:
	global_load_u16 v1, v[24:25], off
	s_mov_b32 s1, 0
	s_mov_b32 s9, -1
	s_wait_loadcnt 0x0
	v_lshlrev_b32_e32 v1, 16, v1
	s_delay_alu instid0(VALU_DEP_1) | instskip(NEXT) | instid1(VALU_DEP_1)
	v_trunc_f32_e32 v1, v1
	v_mul_f32_e64 v3, 0x2f800000, |v1|
	v_ashrrev_i32_e32 v22, 31, v1
	s_delay_alu instid0(VALU_DEP_2) | instskip(SKIP_1) | instid1(VALU_DEP_2)
	v_floor_f32_e32 v3, v3
	s_wait_xcnt 0x1
	v_mov_b32_e32 v23, v22
	s_delay_alu instid0(VALU_DEP_2) | instskip(SKIP_1) | instid1(VALU_DEP_2)
	v_fma_f32 v5, 0xcf800000, v3, |v1|
	v_cvt_u32_f32_e32 v1, v3
	v_cvt_u32_f32_e32 v3, v5
	s_delay_alu instid0(VALU_DEP_2) | instskip(NEXT) | instid1(VALU_DEP_2)
	v_xor_b32_e32 v27, v1, v22
	v_xor_b32_e32 v26, v3, v22
	s_delay_alu instid0(VALU_DEP_1)
	v_sub_nc_u64_e32 v[22:23], v[26:27], v[22:23]
	s_branch .LBB31_1707
.LBB31_1702:
	s_mov_b32 s8, -1
	s_branch .LBB31_1706
.LBB31_1703:
	s_and_not1_saveexec_b32 s8, s8
	s_cbranch_execz .LBB31_1685
.LBB31_1704:
	v_cmp_ne_u16_e32 vcc_lo, 0, v1
	s_and_not1_b32 s9, s9, exec_lo
	s_and_b32 s13, vcc_lo, exec_lo
	s_delay_alu instid0(SALU_CYCLE_1)
	s_or_b32 s9, s9, s13
	s_or_b32 exec_lo, exec_lo, s8
	v_mov_b64_e32 v[22:23], 0
	s_and_saveexec_b32 s8, s9
	s_cbranch_execnz .LBB31_1686
	s_branch .LBB31_1687
.LBB31_1705:
	s_mov_b32 s1, -1
.LBB31_1706:
                                        ; implicit-def: $vgpr22_vgpr23
.LBB31_1707:
	s_and_b32 vcc_lo, exec_lo, s8
	s_mov_b32 s8, 0
	s_cbranch_vccz .LBB31_1709
; %bb.1708:
	s_cmp_lg_u32 s0, 11
	s_mov_b32 s8, -1
	s_cselect_b32 s1, -1, 0
.LBB31_1709:
	s_delay_alu instid0(SALU_CYCLE_1)
	s_and_b32 vcc_lo, exec_lo, s1
	s_mov_b32 s1, s10
	s_cbranch_vccnz .LBB31_1770
; %bb.1710:
	s_and_not1_b32 vcc_lo, exec_lo, s8
	s_cbranch_vccnz .LBB31_1712
.LBB31_1711:
	global_load_u8 v1, v[24:25], off
	s_mov_b32 s0, 0
	s_mov_b32 s9, -1
	s_wait_loadcnt 0x1
	s_wait_xcnt 0x1
	v_mov_b32_e32 v23, s0
	s_wait_loadcnt 0x0
	v_cmp_ne_u16_e32 vcc_lo, 0, v1
	v_cndmask_b32_e64 v22, 0, 1, vcc_lo
.LBB31_1712:
	s_branch .LBB31_1646
.LBB31_1713:
	s_and_b32 s0, 0xffff, s12
	s_delay_alu instid0(SALU_CYCLE_1)
	s_cmp_lt_i32 s0, 5
	s_cbranch_scc1 .LBB31_1718
; %bb.1714:
	s_cmp_lt_i32 s0, 8
	s_cbranch_scc1 .LBB31_1719
; %bb.1715:
	;; [unrolled: 3-line block ×3, first 2 shown]
	s_cmp_gt_i32 s0, 9
	s_cbranch_scc0 .LBB31_1721
; %bb.1717:
	s_wait_loadcnt 0x0
	global_load_b64 v[22:23], v[24:25], off
	s_mov_b32 s8, 0
	s_wait_loadcnt 0x0
	v_trunc_f64_e32 v[22:23], v[22:23]
	s_delay_alu instid0(VALU_DEP_1) | instskip(NEXT) | instid1(VALU_DEP_1)
	v_ldexp_f64 v[26:27], v[22:23], 0xffffffe0
	v_floor_f64_e32 v[26:27], v[26:27]
	s_delay_alu instid0(VALU_DEP_1) | instskip(SKIP_1) | instid1(VALU_DEP_2)
	v_fmamk_f64 v[28:29], v[26:27], 0xc1f00000, v[22:23]
	v_cvt_i32_f64_e32 v23, v[26:27]
	v_cvt_u32_f64_e32 v22, v[28:29]
	s_branch .LBB31_1722
.LBB31_1718:
                                        ; implicit-def: $vgpr22_vgpr23
	s_branch .LBB31_1739
.LBB31_1719:
                                        ; implicit-def: $vgpr22_vgpr23
	s_branch .LBB31_1728
.LBB31_1720:
	s_mov_b32 s8, -1
                                        ; implicit-def: $vgpr22_vgpr23
	s_branch .LBB31_1725
.LBB31_1721:
	s_mov_b32 s8, -1
                                        ; implicit-def: $vgpr22_vgpr23
.LBB31_1722:
	s_delay_alu instid0(SALU_CYCLE_1)
	s_and_not1_b32 vcc_lo, exec_lo, s8
	s_cbranch_vccnz .LBB31_1724
; %bb.1723:
	global_load_b32 v1, v[24:25], off
	s_wait_loadcnt 0x0
	v_trunc_f32_e32 v1, v1
	s_delay_alu instid0(VALU_DEP_1) | instskip(SKIP_1) | instid1(VALU_DEP_2)
	v_mul_f32_e64 v3, 0x2f800000, |v1|
	v_ashrrev_i32_e32 v22, 31, v1
	v_floor_f32_e32 v3, v3
	s_delay_alu instid0(VALU_DEP_1) | instskip(SKIP_3) | instid1(VALU_DEP_3)
	v_fma_f32 v5, 0xcf800000, v3, |v1|
	v_cvt_u32_f32_e32 v1, v3
	s_wait_xcnt 0x1
	v_mov_b32_e32 v23, v22
	v_cvt_u32_f32_e32 v3, v5
	s_delay_alu instid0(VALU_DEP_3) | instskip(NEXT) | instid1(VALU_DEP_2)
	v_xor_b32_e32 v27, v1, v22
	v_xor_b32_e32 v26, v3, v22
	s_delay_alu instid0(VALU_DEP_1)
	v_sub_nc_u64_e32 v[22:23], v[26:27], v[22:23]
.LBB31_1724:
	s_mov_b32 s8, 0
.LBB31_1725:
	s_delay_alu instid0(SALU_CYCLE_1)
	s_and_not1_b32 vcc_lo, exec_lo, s8
	s_cbranch_vccnz .LBB31_1727
; %bb.1726:
	global_load_b32 v1, v[24:25], off
	s_wait_loadcnt 0x0
	v_cvt_f32_f16_e32 v1, v1
	s_delay_alu instid0(VALU_DEP_1) | instskip(SKIP_1) | instid1(VALU_DEP_1)
	v_cvt_i32_f32_e32 v22, v1
	s_wait_xcnt 0x1
	v_ashrrev_i32_e32 v23, 31, v22
.LBB31_1727:
	s_cbranch_execnz .LBB31_1738
.LBB31_1728:
	s_cmp_lt_i32 s0, 6
	s_cbranch_scc1 .LBB31_1731
; %bb.1729:
	s_cmp_gt_i32 s0, 6
	s_cbranch_scc0 .LBB31_1732
; %bb.1730:
	s_wait_loadcnt 0x0
	global_load_b64 v[22:23], v[24:25], off
	s_mov_b32 s8, 0
	s_wait_loadcnt 0x0
	v_trunc_f64_e32 v[22:23], v[22:23]
	s_delay_alu instid0(VALU_DEP_1) | instskip(NEXT) | instid1(VALU_DEP_1)
	v_ldexp_f64 v[26:27], v[22:23], 0xffffffe0
	v_floor_f64_e32 v[26:27], v[26:27]
	s_delay_alu instid0(VALU_DEP_1) | instskip(SKIP_1) | instid1(VALU_DEP_2)
	v_fmamk_f64 v[28:29], v[26:27], 0xc1f00000, v[22:23]
	v_cvt_i32_f64_e32 v23, v[26:27]
	v_cvt_u32_f64_e32 v22, v[28:29]
	s_branch .LBB31_1733
.LBB31_1731:
	s_mov_b32 s8, -1
                                        ; implicit-def: $vgpr22_vgpr23
	s_branch .LBB31_1736
.LBB31_1732:
	s_mov_b32 s8, -1
                                        ; implicit-def: $vgpr22_vgpr23
.LBB31_1733:
	s_delay_alu instid0(SALU_CYCLE_1)
	s_and_not1_b32 vcc_lo, exec_lo, s8
	s_cbranch_vccnz .LBB31_1735
; %bb.1734:
	global_load_b32 v1, v[24:25], off
	s_wait_loadcnt 0x0
	v_trunc_f32_e32 v1, v1
	s_delay_alu instid0(VALU_DEP_1) | instskip(SKIP_1) | instid1(VALU_DEP_2)
	v_mul_f32_e64 v3, 0x2f800000, |v1|
	v_ashrrev_i32_e32 v22, 31, v1
	v_floor_f32_e32 v3, v3
	s_delay_alu instid0(VALU_DEP_1) | instskip(SKIP_3) | instid1(VALU_DEP_3)
	v_fma_f32 v5, 0xcf800000, v3, |v1|
	v_cvt_u32_f32_e32 v1, v3
	s_wait_xcnt 0x1
	v_mov_b32_e32 v23, v22
	v_cvt_u32_f32_e32 v3, v5
	s_delay_alu instid0(VALU_DEP_3) | instskip(NEXT) | instid1(VALU_DEP_2)
	v_xor_b32_e32 v27, v1, v22
	v_xor_b32_e32 v26, v3, v22
	s_delay_alu instid0(VALU_DEP_1)
	v_sub_nc_u64_e32 v[22:23], v[26:27], v[22:23]
.LBB31_1735:
	s_mov_b32 s8, 0
.LBB31_1736:
	s_delay_alu instid0(SALU_CYCLE_1)
	s_and_not1_b32 vcc_lo, exec_lo, s8
	s_cbranch_vccnz .LBB31_1738
; %bb.1737:
	global_load_u16 v1, v[24:25], off
	s_wait_loadcnt 0x0
	v_cvt_f32_f16_e32 v1, v1
	s_delay_alu instid0(VALU_DEP_1) | instskip(SKIP_1) | instid1(VALU_DEP_1)
	v_cvt_i32_f32_e32 v22, v1
	s_wait_xcnt 0x1
	v_ashrrev_i32_e32 v23, 31, v22
.LBB31_1738:
	s_cbranch_execnz .LBB31_1757
.LBB31_1739:
	s_cmp_lt_i32 s0, 2
	s_cbranch_scc1 .LBB31_1743
; %bb.1740:
	s_cmp_lt_i32 s0, 3
	s_cbranch_scc1 .LBB31_1744
; %bb.1741:
	s_cmp_gt_i32 s0, 3
	s_cbranch_scc0 .LBB31_1745
; %bb.1742:
	s_wait_loadcnt 0x0
	global_load_b64 v[22:23], v[24:25], off
	s_mov_b32 s8, 0
	s_branch .LBB31_1746
.LBB31_1743:
                                        ; implicit-def: $vgpr22_vgpr23
	s_branch .LBB31_1752
.LBB31_1744:
	s_mov_b32 s8, -1
                                        ; implicit-def: $vgpr22_vgpr23
	s_branch .LBB31_1749
.LBB31_1745:
	s_mov_b32 s8, -1
                                        ; implicit-def: $vgpr22_vgpr23
.LBB31_1746:
	s_delay_alu instid0(SALU_CYCLE_1)
	s_and_not1_b32 vcc_lo, exec_lo, s8
	s_cbranch_vccnz .LBB31_1748
; %bb.1747:
	s_wait_loadcnt 0x0
	global_load_b32 v22, v[24:25], off
	s_wait_loadcnt 0x0
	s_wait_xcnt 0x1
	v_ashrrev_i32_e32 v23, 31, v22
.LBB31_1748:
	s_mov_b32 s8, 0
.LBB31_1749:
	s_delay_alu instid0(SALU_CYCLE_1)
	s_and_not1_b32 vcc_lo, exec_lo, s8
	s_cbranch_vccnz .LBB31_1751
; %bb.1750:
	global_load_u16 v1, v[24:25], off
	s_wait_loadcnt 0x0
	v_bfe_i32 v22, v1, 0, 16
	s_wait_xcnt 0x1
	s_delay_alu instid0(VALU_DEP_1)
	v_ashrrev_i32_e32 v23, 31, v22
.LBB31_1751:
	s_cbranch_execnz .LBB31_1757
.LBB31_1752:
	s_cmp_gt_i32 s0, 0
	s_mov_b32 s0, 0
	s_cbranch_scc0 .LBB31_1754
; %bb.1753:
	global_load_i8 v1, v[24:25], off
	s_wait_loadcnt 0x0
	v_bfe_i32 v22, v1, 0, 16
	s_wait_xcnt 0x1
	s_delay_alu instid0(VALU_DEP_1)
	v_ashrrev_i32_e32 v23, 31, v22
	s_branch .LBB31_1755
.LBB31_1754:
	s_mov_b32 s0, -1
                                        ; implicit-def: $vgpr22_vgpr23
.LBB31_1755:
	s_delay_alu instid0(SALU_CYCLE_1)
	s_and_not1_b32 vcc_lo, exec_lo, s0
	s_cbranch_vccnz .LBB31_1757
; %bb.1756:
	global_load_u8 v1, v[24:25], off
	s_mov_b32 s0, 0
	s_wait_loadcnt 0x1
	s_wait_xcnt 0x1
	v_mov_b32_e32 v23, s0
	s_wait_loadcnt 0x0
	v_and_b32_e32 v22, 0xffff, v1
.LBB31_1757:
.LBB31_1758:
	v_mov_b32_e32 v11, 0
	s_load_b64 s[8:9], s[2:3], 0x198
	global_load_u8 v1, v11, s[2:3] offset:419
	s_wait_kmcnt 0x0
	v_add_nc_u64_e32 v[10:11], s[8:9], v[10:11]
	s_wait_loadcnt 0x0
	v_and_b32_e32 v3, 0xffff, v1
	v_readfirstlane_b32 s13, v1
	s_delay_alu instid0(VALU_DEP_2)
	v_cmp_gt_i32_e32 vcc_lo, 11, v3
	s_cbranch_vccnz .LBB31_1765
; %bb.1759:
	s_and_b32 s0, 0xffff, s13
	s_mov_b32 s15, 0
	s_cmp_gt_i32 s0, 25
	s_cbranch_scc0 .LBB31_1767
; %bb.1760:
	s_cmp_gt_i32 s0, 28
	s_cbranch_scc0 .LBB31_1768
; %bb.1761:
	;; [unrolled: 3-line block ×4, first 2 shown]
	s_cmp_eq_u32 s0, 46
	s_mov_b32 s17, 0
	s_cbranch_scc0 .LBB31_1774
; %bb.1764:
	global_load_b32 v1, v[10:11], off
	s_mov_b32 s14, 0
	s_mov_b32 s16, -1
	s_wait_loadcnt 0x0
	v_lshlrev_b32_e32 v1, 16, v1
	s_delay_alu instid0(VALU_DEP_1) | instskip(NEXT) | instid1(VALU_DEP_1)
	v_trunc_f32_e32 v1, v1
	v_mul_f32_e64 v3, 0x2f800000, |v1|
	v_ashrrev_i32_e32 v24, 31, v1
	s_delay_alu instid0(VALU_DEP_2) | instskip(NEXT) | instid1(VALU_DEP_2)
	v_floor_f32_e32 v3, v3
	v_mov_b32_e32 v25, v24
	s_delay_alu instid0(VALU_DEP_2) | instskip(SKIP_1) | instid1(VALU_DEP_2)
	v_fma_f32 v5, 0xcf800000, v3, |v1|
	v_cvt_u32_f32_e32 v1, v3
	v_cvt_u32_f32_e32 v3, v5
	s_delay_alu instid0(VALU_DEP_2) | instskip(NEXT) | instid1(VALU_DEP_2)
	v_xor_b32_e32 v27, v1, v24
	v_xor_b32_e32 v26, v3, v24
	s_delay_alu instid0(VALU_DEP_1)
	v_sub_nc_u64_e32 v[24:25], v[26:27], v[24:25]
	s_branch .LBB31_1776
.LBB31_1765:
	s_mov_b32 s16, 0
                                        ; implicit-def: $vgpr24_vgpr25
	s_cbranch_execnz .LBB31_1837
.LBB31_1766:
	s_and_not1_b32 vcc_lo, exec_lo, s16
	s_cbranch_vccnz .LBB31_2673
	s_branch .LBB31_1884
.LBB31_1767:
	s_mov_b32 s16, 0
	s_mov_b32 s14, 0
                                        ; implicit-def: $vgpr24_vgpr25
	s_cbranch_execnz .LBB31_1803
	s_branch .LBB31_1833
.LBB31_1768:
	s_mov_b32 s17, -1
	s_mov_b32 s16, 0
	s_mov_b32 s14, 0
                                        ; implicit-def: $vgpr24_vgpr25
	s_branch .LBB31_1786
.LBB31_1769:
	s_mov_b32 s17, -1
	s_mov_b32 s16, 0
	s_mov_b32 s14, 0
                                        ; implicit-def: $vgpr24_vgpr25
	s_branch .LBB31_1781
.LBB31_1770:
	s_or_b32 s1, s10, exec_lo
	s_trap 2
	s_cbranch_execz .LBB31_1711
	s_branch .LBB31_1712
.LBB31_1771:
	s_mov_b32 s17, -1
	s_mov_b32 s16, 0
	s_mov_b32 s14, 0
	s_branch .LBB31_1775
.LBB31_1772:
	s_and_not1_saveexec_b32 s10, s10
	s_cbranch_execz .LBB31_1518
.LBB31_1773:
	v_add_f32_e32 v2, 0x42800000, v3
	s_and_not1_b32 s9, s9, exec_lo
	s_delay_alu instid0(VALU_DEP_1) | instskip(NEXT) | instid1(VALU_DEP_1)
	v_and_b32_e32 v2, 0xff, v2
	v_cmp_ne_u32_e32 vcc_lo, 0, v2
	s_and_b32 s11, vcc_lo, exec_lo
	s_delay_alu instid0(SALU_CYCLE_1)
	s_or_b32 s9, s9, s11
	s_or_b32 exec_lo, exec_lo, s10
	v_mov_b32_e32 v4, 0
	s_and_saveexec_b32 s10, s9
	s_cbranch_execnz .LBB31_1519
	s_branch .LBB31_1520
.LBB31_1774:
	s_mov_b32 s14, -1
	s_mov_b32 s16, 0
.LBB31_1775:
                                        ; implicit-def: $vgpr24_vgpr25
.LBB31_1776:
	s_and_b32 vcc_lo, exec_lo, s17
	s_cbranch_vccz .LBB31_1780
; %bb.1777:
	s_cmp_eq_u32 s0, 44
	s_cbranch_scc0 .LBB31_1779
; %bb.1778:
	global_load_u8 v1, v[10:11], off
	s_mov_b32 s14, 0
	s_mov_b32 s16, -1
	s_wait_loadcnt 0x0
	v_lshlrev_b32_e32 v3, 23, v1
	v_cmp_ne_u32_e32 vcc_lo, 0, v1
	s_delay_alu instid0(VALU_DEP_2) | instskip(NEXT) | instid1(VALU_DEP_1)
	v_trunc_f32_e32 v3, v3
	v_mul_f32_e64 v5, 0x2f800000, |v3|
	v_ashrrev_i32_e32 v24, 31, v3
	s_delay_alu instid0(VALU_DEP_2) | instskip(NEXT) | instid1(VALU_DEP_2)
	v_floor_f32_e32 v5, v5
	v_mov_b32_e32 v25, v24
	s_delay_alu instid0(VALU_DEP_2) | instskip(SKIP_1) | instid1(VALU_DEP_2)
	v_fma_f32 v7, 0xcf800000, v5, |v3|
	v_cvt_u32_f32_e32 v3, v5
	v_cvt_u32_f32_e32 v5, v7
	s_delay_alu instid0(VALU_DEP_2) | instskip(NEXT) | instid1(VALU_DEP_2)
	v_xor_b32_e32 v27, v3, v24
	v_xor_b32_e32 v26, v5, v24
	s_delay_alu instid0(VALU_DEP_1) | instskip(NEXT) | instid1(VALU_DEP_1)
	v_sub_nc_u64_e32 v[24:25], v[26:27], v[24:25]
	v_dual_cndmask_b32 v25, 0, v25 :: v_dual_cndmask_b32 v24, 0, v24
	s_branch .LBB31_1780
.LBB31_1779:
	s_mov_b32 s14, -1
                                        ; implicit-def: $vgpr24_vgpr25
.LBB31_1780:
	s_mov_b32 s17, 0
.LBB31_1781:
	s_delay_alu instid0(SALU_CYCLE_1)
	s_and_b32 vcc_lo, exec_lo, s17
	s_cbranch_vccz .LBB31_1785
; %bb.1782:
	s_cmp_eq_u32 s0, 29
	s_cbranch_scc0 .LBB31_1784
; %bb.1783:
	global_load_b64 v[24:25], v[10:11], off
	s_mov_b32 s14, 0
	s_mov_b32 s16, -1
	s_branch .LBB31_1785
.LBB31_1784:
	s_mov_b32 s14, -1
                                        ; implicit-def: $vgpr24_vgpr25
.LBB31_1785:
	s_mov_b32 s17, 0
.LBB31_1786:
	s_delay_alu instid0(SALU_CYCLE_1)
	s_and_b32 vcc_lo, exec_lo, s17
	s_cbranch_vccz .LBB31_1802
; %bb.1787:
	s_cmp_lt_i32 s0, 27
	s_cbranch_scc1 .LBB31_1790
; %bb.1788:
	s_cmp_gt_i32 s0, 27
	s_cbranch_scc0 .LBB31_1791
; %bb.1789:
	s_wait_loadcnt 0x0
	global_load_b32 v24, v[10:11], off
	v_mov_b32_e32 v25, 0
	s_mov_b32 s16, 0
	s_branch .LBB31_1792
.LBB31_1790:
	s_mov_b32 s16, -1
                                        ; implicit-def: $vgpr24_vgpr25
	s_branch .LBB31_1795
.LBB31_1791:
	s_mov_b32 s16, -1
                                        ; implicit-def: $vgpr24_vgpr25
.LBB31_1792:
	s_delay_alu instid0(SALU_CYCLE_1)
	s_and_not1_b32 vcc_lo, exec_lo, s16
	s_cbranch_vccnz .LBB31_1794
; %bb.1793:
	global_load_u16 v1, v[10:11], off
	s_mov_b32 s16, 0
	s_wait_loadcnt 0x1
	v_mov_b32_e32 v25, s16
	s_wait_loadcnt 0x0
	v_and_b32_e32 v24, 0xffff, v1
.LBB31_1794:
	s_mov_b32 s16, 0
.LBB31_1795:
	s_delay_alu instid0(SALU_CYCLE_1)
	s_and_not1_b32 vcc_lo, exec_lo, s16
	s_cbranch_vccnz .LBB31_1801
; %bb.1796:
	global_load_u8 v1, v[10:11], off
	s_mov_b32 s17, 0
	s_mov_b32 s16, exec_lo
	s_wait_loadcnt 0x0
	v_cmpx_lt_i16_e32 0x7f, v1
	s_xor_b32 s16, exec_lo, s16
	s_cbranch_execz .LBB31_1812
; %bb.1797:
	v_cmp_ne_u16_e32 vcc_lo, 0x80, v1
	s_and_b32 s17, vcc_lo, exec_lo
	s_and_not1_saveexec_b32 s16, s16
	s_cbranch_execnz .LBB31_1813
.LBB31_1798:
	s_or_b32 exec_lo, exec_lo, s16
	v_mov_b64_e32 v[24:25], 0
	s_and_saveexec_b32 s16, s17
	s_cbranch_execz .LBB31_1800
.LBB31_1799:
	v_and_b32_e32 v3, 0xffff, v1
	s_delay_alu instid0(VALU_DEP_1) | instskip(SKIP_1) | instid1(VALU_DEP_2)
	v_dual_lshlrev_b32 v1, 24, v1 :: v_dual_bitop2_b32 v5, 7, v3 bitop3:0x40
	v_bfe_u32 v13, v3, 3, 4
	v_and_b32_e32 v1, 0x80000000, v1
	s_delay_alu instid0(VALU_DEP_3) | instskip(NEXT) | instid1(VALU_DEP_3)
	v_clz_i32_u32_e32 v7, v5
	v_cmp_eq_u32_e32 vcc_lo, 0, v13
	s_delay_alu instid0(VALU_DEP_2) | instskip(NEXT) | instid1(VALU_DEP_1)
	v_min_u32_e32 v7, 32, v7
	v_subrev_nc_u32_e32 v9, 28, v7
	v_sub_nc_u32_e32 v7, 29, v7
	s_delay_alu instid0(VALU_DEP_2) | instskip(NEXT) | instid1(VALU_DEP_2)
	v_lshlrev_b32_e32 v3, v9, v3
	v_cndmask_b32_e32 v7, v13, v7, vcc_lo
	s_delay_alu instid0(VALU_DEP_2) | instskip(NEXT) | instid1(VALU_DEP_1)
	v_and_b32_e32 v3, 7, v3
	v_cndmask_b32_e32 v3, v5, v3, vcc_lo
	s_delay_alu instid0(VALU_DEP_3) | instskip(NEXT) | instid1(VALU_DEP_2)
	v_lshl_add_u32 v5, v7, 23, 0x3b800000
	v_lshlrev_b32_e32 v3, 20, v3
	s_delay_alu instid0(VALU_DEP_1) | instskip(NEXT) | instid1(VALU_DEP_1)
	v_or3_b32 v1, v1, v5, v3
	v_trunc_f32_e32 v1, v1
	s_delay_alu instid0(VALU_DEP_1) | instskip(SKIP_1) | instid1(VALU_DEP_2)
	v_mul_f32_e64 v3, 0x2f800000, |v1|
	v_ashrrev_i32_e32 v24, 31, v1
	v_floor_f32_e32 v3, v3
	s_delay_alu instid0(VALU_DEP_2) | instskip(NEXT) | instid1(VALU_DEP_2)
	v_mov_b32_e32 v25, v24
	v_fma_f32 v5, 0xcf800000, v3, |v1|
	v_cvt_u32_f32_e32 v1, v3
	s_delay_alu instid0(VALU_DEP_2) | instskip(NEXT) | instid1(VALU_DEP_2)
	v_cvt_u32_f32_e32 v3, v5
	v_xor_b32_e32 v27, v1, v24
	s_delay_alu instid0(VALU_DEP_2) | instskip(NEXT) | instid1(VALU_DEP_1)
	v_xor_b32_e32 v26, v3, v24
	v_sub_nc_u64_e32 v[24:25], v[26:27], v[24:25]
.LBB31_1800:
	s_or_b32 exec_lo, exec_lo, s16
.LBB31_1801:
	s_mov_b32 s16, -1
.LBB31_1802:
	s_branch .LBB31_1833
.LBB31_1803:
	s_cmp_gt_i32 s0, 22
	s_cbranch_scc0 .LBB31_1811
; %bb.1804:
	s_cmp_lt_i32 s0, 24
	s_cbranch_scc1 .LBB31_1814
; %bb.1805:
	s_cmp_gt_i32 s0, 24
	s_cbranch_scc0 .LBB31_1815
; %bb.1806:
	global_load_u8 v1, v[10:11], off
	s_mov_b32 s16, 0
	s_mov_b32 s15, exec_lo
	s_wait_loadcnt 0x0
	v_cmpx_lt_i16_e32 0x7f, v1
	s_xor_b32 s15, exec_lo, s15
	s_cbranch_execz .LBB31_1827
; %bb.1807:
	v_cmp_ne_u16_e32 vcc_lo, 0x80, v1
	s_and_b32 s16, vcc_lo, exec_lo
	s_and_not1_saveexec_b32 s15, s15
	s_cbranch_execnz .LBB31_1828
.LBB31_1808:
	s_or_b32 exec_lo, exec_lo, s15
	v_mov_b64_e32 v[24:25], 0
	s_and_saveexec_b32 s15, s16
	s_cbranch_execz .LBB31_1810
.LBB31_1809:
	v_and_b32_e32 v3, 0xffff, v1
	s_delay_alu instid0(VALU_DEP_1) | instskip(SKIP_1) | instid1(VALU_DEP_2)
	v_dual_lshlrev_b32 v1, 24, v1 :: v_dual_bitop2_b32 v5, 3, v3 bitop3:0x40
	v_bfe_u32 v13, v3, 2, 5
	v_and_b32_e32 v1, 0x80000000, v1
	s_delay_alu instid0(VALU_DEP_3) | instskip(NEXT) | instid1(VALU_DEP_3)
	v_clz_i32_u32_e32 v7, v5
	v_cmp_eq_u32_e32 vcc_lo, 0, v13
	s_delay_alu instid0(VALU_DEP_2) | instskip(NEXT) | instid1(VALU_DEP_1)
	v_min_u32_e32 v7, 32, v7
	v_subrev_nc_u32_e32 v9, 29, v7
	v_sub_nc_u32_e32 v7, 30, v7
	s_delay_alu instid0(VALU_DEP_2) | instskip(NEXT) | instid1(VALU_DEP_2)
	v_lshlrev_b32_e32 v3, v9, v3
	v_cndmask_b32_e32 v7, v13, v7, vcc_lo
	s_delay_alu instid0(VALU_DEP_2) | instskip(NEXT) | instid1(VALU_DEP_1)
	v_and_b32_e32 v3, 3, v3
	v_cndmask_b32_e32 v3, v5, v3, vcc_lo
	s_delay_alu instid0(VALU_DEP_3) | instskip(NEXT) | instid1(VALU_DEP_2)
	v_lshl_add_u32 v5, v7, 23, 0x37800000
	v_lshlrev_b32_e32 v3, 21, v3
	s_delay_alu instid0(VALU_DEP_1) | instskip(NEXT) | instid1(VALU_DEP_1)
	v_or3_b32 v1, v1, v5, v3
	v_trunc_f32_e32 v1, v1
	s_delay_alu instid0(VALU_DEP_1) | instskip(SKIP_1) | instid1(VALU_DEP_2)
	v_mul_f32_e64 v3, 0x2f800000, |v1|
	v_ashrrev_i32_e32 v24, 31, v1
	v_floor_f32_e32 v3, v3
	s_delay_alu instid0(VALU_DEP_2) | instskip(NEXT) | instid1(VALU_DEP_2)
	v_mov_b32_e32 v25, v24
	v_fma_f32 v5, 0xcf800000, v3, |v1|
	v_cvt_u32_f32_e32 v1, v3
	s_delay_alu instid0(VALU_DEP_2) | instskip(NEXT) | instid1(VALU_DEP_2)
	v_cvt_u32_f32_e32 v3, v5
	v_xor_b32_e32 v27, v1, v24
	s_delay_alu instid0(VALU_DEP_2) | instskip(NEXT) | instid1(VALU_DEP_1)
	v_xor_b32_e32 v26, v3, v24
	v_sub_nc_u64_e32 v[24:25], v[26:27], v[24:25]
.LBB31_1810:
	s_or_b32 exec_lo, exec_lo, s15
	s_mov_b32 s15, 0
	s_branch .LBB31_1816
.LBB31_1811:
	s_mov_b32 s15, -1
                                        ; implicit-def: $vgpr24_vgpr25
	s_branch .LBB31_1822
.LBB31_1812:
	s_and_not1_saveexec_b32 s16, s16
	s_cbranch_execz .LBB31_1798
.LBB31_1813:
	v_cmp_ne_u16_e32 vcc_lo, 0, v1
	s_and_not1_b32 s17, s17, exec_lo
	s_and_b32 s18, vcc_lo, exec_lo
	s_delay_alu instid0(SALU_CYCLE_1)
	s_or_b32 s17, s17, s18
	s_or_b32 exec_lo, exec_lo, s16
	v_mov_b64_e32 v[24:25], 0
	s_and_saveexec_b32 s16, s17
	s_cbranch_execnz .LBB31_1799
	s_branch .LBB31_1800
.LBB31_1814:
	s_mov_b32 s15, -1
                                        ; implicit-def: $vgpr24_vgpr25
	s_branch .LBB31_1819
.LBB31_1815:
	s_mov_b32 s15, -1
                                        ; implicit-def: $vgpr24_vgpr25
.LBB31_1816:
	s_delay_alu instid0(SALU_CYCLE_1)
	s_and_b32 vcc_lo, exec_lo, s15
	s_cbranch_vccz .LBB31_1818
; %bb.1817:
	global_load_u8 v1, v[10:11], off
	s_wait_loadcnt 0x0
	v_lshlrev_b32_e32 v1, 24, v1
	s_delay_alu instid0(VALU_DEP_1) | instskip(NEXT) | instid1(VALU_DEP_1)
	v_and_b32_e32 v3, 0x7f000000, v1
	v_clz_i32_u32_e32 v5, v3
	v_add_nc_u32_e32 v9, 0x1000000, v3
	v_cmp_ne_u32_e32 vcc_lo, 0, v3
	s_delay_alu instid0(VALU_DEP_3) | instskip(NEXT) | instid1(VALU_DEP_1)
	v_min_u32_e32 v5, 32, v5
	v_sub_nc_u32_e64 v5, v5, 4 clamp
	s_delay_alu instid0(VALU_DEP_1) | instskip(NEXT) | instid1(VALU_DEP_1)
	v_dual_lshlrev_b32 v7, v5, v3 :: v_dual_lshlrev_b32 v5, 23, v5
	v_lshrrev_b32_e32 v7, 4, v7
	s_delay_alu instid0(VALU_DEP_1) | instskip(SKIP_1) | instid1(VALU_DEP_2)
	v_sub_nc_u32_e32 v5, v7, v5
	v_ashrrev_i32_e32 v7, 8, v9
	v_add_nc_u32_e32 v5, 0x3c000000, v5
	s_delay_alu instid0(VALU_DEP_1) | instskip(NEXT) | instid1(VALU_DEP_1)
	v_and_or_b32 v5, 0x7f800000, v7, v5
	v_cndmask_b32_e32 v3, 0, v5, vcc_lo
	s_delay_alu instid0(VALU_DEP_1) | instskip(NEXT) | instid1(VALU_DEP_1)
	v_and_or_b32 v1, 0x80000000, v1, v3
	v_trunc_f32_e32 v1, v1
	s_delay_alu instid0(VALU_DEP_1) | instskip(SKIP_1) | instid1(VALU_DEP_2)
	v_mul_f32_e64 v3, 0x2f800000, |v1|
	v_ashrrev_i32_e32 v24, 31, v1
	v_floor_f32_e32 v3, v3
	s_delay_alu instid0(VALU_DEP_2) | instskip(NEXT) | instid1(VALU_DEP_2)
	v_mov_b32_e32 v25, v24
	v_fma_f32 v5, 0xcf800000, v3, |v1|
	v_cvt_u32_f32_e32 v1, v3
	s_delay_alu instid0(VALU_DEP_2) | instskip(NEXT) | instid1(VALU_DEP_2)
	v_cvt_u32_f32_e32 v3, v5
	v_xor_b32_e32 v27, v1, v24
	s_delay_alu instid0(VALU_DEP_2) | instskip(NEXT) | instid1(VALU_DEP_1)
	v_xor_b32_e32 v26, v3, v24
	v_sub_nc_u64_e32 v[24:25], v[26:27], v[24:25]
.LBB31_1818:
	s_mov_b32 s15, 0
.LBB31_1819:
	s_delay_alu instid0(SALU_CYCLE_1)
	s_and_not1_b32 vcc_lo, exec_lo, s15
	s_cbranch_vccnz .LBB31_1821
; %bb.1820:
	global_load_u8 v1, v[10:11], off
	s_wait_loadcnt 0x0
	v_lshlrev_b32_e32 v3, 25, v1
	v_lshlrev_b16 v1, 8, v1
	s_delay_alu instid0(VALU_DEP_1) | instskip(SKIP_1) | instid1(VALU_DEP_2)
	v_and_or_b32 v7, 0x7f00, v1, 0.5
	v_bfe_i32 v1, v1, 0, 16
	v_add_f32_e32 v7, -0.5, v7
	v_lshrrev_b32_e32 v5, 4, v3
	v_cmp_gt_u32_e32 vcc_lo, 0x8000000, v3
	s_delay_alu instid0(VALU_DEP_2) | instskip(NEXT) | instid1(VALU_DEP_1)
	v_or_b32_e32 v5, 0x70000000, v5
	v_mul_f32_e32 v5, 0x7800000, v5
	s_delay_alu instid0(VALU_DEP_1) | instskip(NEXT) | instid1(VALU_DEP_1)
	v_cndmask_b32_e32 v3, v5, v7, vcc_lo
	v_and_or_b32 v1, 0x80000000, v1, v3
	s_delay_alu instid0(VALU_DEP_1) | instskip(NEXT) | instid1(VALU_DEP_1)
	v_trunc_f32_e32 v1, v1
	v_mul_f32_e64 v3, 0x2f800000, |v1|
	v_ashrrev_i32_e32 v24, 31, v1
	s_delay_alu instid0(VALU_DEP_2) | instskip(NEXT) | instid1(VALU_DEP_2)
	v_floor_f32_e32 v3, v3
	v_mov_b32_e32 v25, v24
	s_delay_alu instid0(VALU_DEP_2) | instskip(SKIP_1) | instid1(VALU_DEP_2)
	v_fma_f32 v5, 0xcf800000, v3, |v1|
	v_cvt_u32_f32_e32 v1, v3
	v_cvt_u32_f32_e32 v3, v5
	s_delay_alu instid0(VALU_DEP_2) | instskip(NEXT) | instid1(VALU_DEP_2)
	v_xor_b32_e32 v27, v1, v24
	v_xor_b32_e32 v26, v3, v24
	s_delay_alu instid0(VALU_DEP_1)
	v_sub_nc_u64_e32 v[24:25], v[26:27], v[24:25]
.LBB31_1821:
	s_mov_b32 s15, 0
	s_mov_b32 s16, -1
.LBB31_1822:
	s_and_not1_b32 vcc_lo, exec_lo, s15
	s_mov_b32 s15, 0
	s_cbranch_vccnz .LBB31_1833
; %bb.1823:
	s_cmp_gt_i32 s0, 14
	s_cbranch_scc0 .LBB31_1826
; %bb.1824:
	s_cmp_eq_u32 s0, 15
	s_cbranch_scc0 .LBB31_1829
; %bb.1825:
	global_load_u16 v1, v[10:11], off
	s_mov_b32 s14, 0
	s_mov_b32 s16, -1
	s_wait_loadcnt 0x0
	v_lshlrev_b32_e32 v1, 16, v1
	s_delay_alu instid0(VALU_DEP_1) | instskip(NEXT) | instid1(VALU_DEP_1)
	v_trunc_f32_e32 v1, v1
	v_mul_f32_e64 v3, 0x2f800000, |v1|
	v_ashrrev_i32_e32 v24, 31, v1
	s_delay_alu instid0(VALU_DEP_2) | instskip(NEXT) | instid1(VALU_DEP_2)
	v_floor_f32_e32 v3, v3
	v_mov_b32_e32 v25, v24
	s_delay_alu instid0(VALU_DEP_2) | instskip(SKIP_1) | instid1(VALU_DEP_2)
	v_fma_f32 v5, 0xcf800000, v3, |v1|
	v_cvt_u32_f32_e32 v1, v3
	v_cvt_u32_f32_e32 v3, v5
	s_delay_alu instid0(VALU_DEP_2) | instskip(NEXT) | instid1(VALU_DEP_2)
	v_xor_b32_e32 v27, v1, v24
	v_xor_b32_e32 v26, v3, v24
	s_delay_alu instid0(VALU_DEP_1)
	v_sub_nc_u64_e32 v[24:25], v[26:27], v[24:25]
	s_branch .LBB31_1831
.LBB31_1826:
	s_mov_b32 s15, -1
	s_branch .LBB31_1830
.LBB31_1827:
	s_and_not1_saveexec_b32 s15, s15
	s_cbranch_execz .LBB31_1808
.LBB31_1828:
	v_cmp_ne_u16_e32 vcc_lo, 0, v1
	s_and_not1_b32 s16, s16, exec_lo
	s_and_b32 s17, vcc_lo, exec_lo
	s_delay_alu instid0(SALU_CYCLE_1)
	s_or_b32 s16, s16, s17
	s_or_b32 exec_lo, exec_lo, s15
	v_mov_b64_e32 v[24:25], 0
	s_and_saveexec_b32 s15, s16
	s_cbranch_execnz .LBB31_1809
	s_branch .LBB31_1810
.LBB31_1829:
	s_mov_b32 s14, -1
.LBB31_1830:
                                        ; implicit-def: $vgpr24_vgpr25
.LBB31_1831:
	s_and_b32 vcc_lo, exec_lo, s15
	s_mov_b32 s15, 0
	s_cbranch_vccz .LBB31_1833
; %bb.1832:
	s_cmp_lg_u32 s0, 11
	s_mov_b32 s15, -1
	s_cselect_b32 s14, -1, 0
.LBB31_1833:
	s_delay_alu instid0(SALU_CYCLE_1)
	s_and_b32 vcc_lo, exec_lo, s14
	s_cbranch_vccnz .LBB31_1904
; %bb.1834:
	s_and_not1_b32 vcc_lo, exec_lo, s15
	s_cbranch_vccnz .LBB31_1836
.LBB31_1835:
	global_load_u8 v1, v[10:11], off
	s_mov_b32 s0, 0
	s_mov_b32 s16, -1
	s_wait_loadcnt 0x1
	v_mov_b32_e32 v25, s0
	s_wait_loadcnt 0x0
	v_cmp_ne_u16_e32 vcc_lo, 0, v1
	v_cndmask_b32_e64 v24, 0, 1, vcc_lo
.LBB31_1836:
	s_branch .LBB31_1766
.LBB31_1837:
	s_and_b32 s0, 0xffff, s13
	s_delay_alu instid0(SALU_CYCLE_1)
	s_cmp_lt_i32 s0, 5
	s_cbranch_scc1 .LBB31_1842
; %bb.1838:
	s_cmp_lt_i32 s0, 8
	s_cbranch_scc1 .LBB31_1843
; %bb.1839:
	s_cmp_lt_i32 s0, 9
	s_cbranch_scc1 .LBB31_1844
; %bb.1840:
	s_cmp_gt_i32 s0, 9
	s_cbranch_scc0 .LBB31_1845
; %bb.1841:
	s_wait_loadcnt 0x0
	global_load_b64 v[24:25], v[10:11], off
	s_mov_b32 s14, 0
	s_wait_loadcnt 0x0
	v_trunc_f64_e32 v[24:25], v[24:25]
	s_delay_alu instid0(VALU_DEP_1) | instskip(NEXT) | instid1(VALU_DEP_1)
	v_ldexp_f64 v[26:27], v[24:25], 0xffffffe0
	v_floor_f64_e32 v[26:27], v[26:27]
	s_delay_alu instid0(VALU_DEP_1) | instskip(SKIP_1) | instid1(VALU_DEP_2)
	v_fmamk_f64 v[28:29], v[26:27], 0xc1f00000, v[24:25]
	v_cvt_i32_f64_e32 v25, v[26:27]
	v_cvt_u32_f64_e32 v24, v[28:29]
	s_branch .LBB31_1846
.LBB31_1842:
                                        ; implicit-def: $vgpr24_vgpr25
	s_branch .LBB31_1864
.LBB31_1843:
	s_mov_b32 s14, -1
                                        ; implicit-def: $vgpr24_vgpr25
	s_branch .LBB31_1852
.LBB31_1844:
	s_mov_b32 s14, -1
                                        ; implicit-def: $vgpr24_vgpr25
	s_branch .LBB31_1849
.LBB31_1845:
	s_mov_b32 s14, -1
                                        ; implicit-def: $vgpr24_vgpr25
.LBB31_1846:
	s_delay_alu instid0(SALU_CYCLE_1)
	s_and_not1_b32 vcc_lo, exec_lo, s14
	s_cbranch_vccnz .LBB31_1848
; %bb.1847:
	global_load_b32 v1, v[10:11], off
	s_wait_loadcnt 0x0
	v_trunc_f32_e32 v1, v1
	s_delay_alu instid0(VALU_DEP_1) | instskip(SKIP_1) | instid1(VALU_DEP_2)
	v_mul_f32_e64 v3, 0x2f800000, |v1|
	v_ashrrev_i32_e32 v24, 31, v1
	v_floor_f32_e32 v3, v3
	s_delay_alu instid0(VALU_DEP_1) | instskip(SKIP_1) | instid1(VALU_DEP_4)
	v_fma_f32 v5, 0xcf800000, v3, |v1|
	v_cvt_u32_f32_e32 v1, v3
	v_mov_b32_e32 v25, v24
	s_delay_alu instid0(VALU_DEP_3) | instskip(NEXT) | instid1(VALU_DEP_3)
	v_cvt_u32_f32_e32 v3, v5
	v_xor_b32_e32 v27, v1, v24
	s_delay_alu instid0(VALU_DEP_2) | instskip(NEXT) | instid1(VALU_DEP_1)
	v_xor_b32_e32 v26, v3, v24
	v_sub_nc_u64_e32 v[24:25], v[26:27], v[24:25]
.LBB31_1848:
	s_mov_b32 s14, 0
.LBB31_1849:
	s_delay_alu instid0(SALU_CYCLE_1)
	s_and_not1_b32 vcc_lo, exec_lo, s14
	s_cbranch_vccnz .LBB31_1851
; %bb.1850:
	global_load_b32 v1, v[10:11], off
	s_wait_loadcnt 0x0
	v_cvt_f32_f16_e32 v1, v1
	s_delay_alu instid0(VALU_DEP_1) | instskip(NEXT) | instid1(VALU_DEP_1)
	v_cvt_i32_f32_e32 v24, v1
	v_ashrrev_i32_e32 v25, 31, v24
.LBB31_1851:
	s_mov_b32 s14, 0
.LBB31_1852:
	s_delay_alu instid0(SALU_CYCLE_1)
	s_and_not1_b32 vcc_lo, exec_lo, s14
	s_cbranch_vccnz .LBB31_1863
; %bb.1853:
	s_cmp_lt_i32 s0, 6
	s_cbranch_scc1 .LBB31_1856
; %bb.1854:
	s_cmp_gt_i32 s0, 6
	s_cbranch_scc0 .LBB31_1857
; %bb.1855:
	s_wait_loadcnt 0x0
	global_load_b64 v[24:25], v[10:11], off
	s_mov_b32 s14, 0
	s_wait_loadcnt 0x0
	v_trunc_f64_e32 v[24:25], v[24:25]
	s_delay_alu instid0(VALU_DEP_1) | instskip(NEXT) | instid1(VALU_DEP_1)
	v_ldexp_f64 v[26:27], v[24:25], 0xffffffe0
	v_floor_f64_e32 v[26:27], v[26:27]
	s_delay_alu instid0(VALU_DEP_1) | instskip(SKIP_1) | instid1(VALU_DEP_2)
	v_fmamk_f64 v[28:29], v[26:27], 0xc1f00000, v[24:25]
	v_cvt_i32_f64_e32 v25, v[26:27]
	v_cvt_u32_f64_e32 v24, v[28:29]
	s_branch .LBB31_1858
.LBB31_1856:
	s_mov_b32 s14, -1
                                        ; implicit-def: $vgpr24_vgpr25
	s_branch .LBB31_1861
.LBB31_1857:
	s_mov_b32 s14, -1
                                        ; implicit-def: $vgpr24_vgpr25
.LBB31_1858:
	s_delay_alu instid0(SALU_CYCLE_1)
	s_and_not1_b32 vcc_lo, exec_lo, s14
	s_cbranch_vccnz .LBB31_1860
; %bb.1859:
	global_load_b32 v1, v[10:11], off
	s_wait_loadcnt 0x0
	v_trunc_f32_e32 v1, v1
	s_delay_alu instid0(VALU_DEP_1) | instskip(SKIP_1) | instid1(VALU_DEP_2)
	v_mul_f32_e64 v3, 0x2f800000, |v1|
	v_ashrrev_i32_e32 v24, 31, v1
	v_floor_f32_e32 v3, v3
	s_delay_alu instid0(VALU_DEP_1) | instskip(SKIP_1) | instid1(VALU_DEP_4)
	v_fma_f32 v5, 0xcf800000, v3, |v1|
	v_cvt_u32_f32_e32 v1, v3
	v_mov_b32_e32 v25, v24
	s_delay_alu instid0(VALU_DEP_3) | instskip(NEXT) | instid1(VALU_DEP_3)
	v_cvt_u32_f32_e32 v3, v5
	v_xor_b32_e32 v27, v1, v24
	s_delay_alu instid0(VALU_DEP_2) | instskip(NEXT) | instid1(VALU_DEP_1)
	v_xor_b32_e32 v26, v3, v24
	v_sub_nc_u64_e32 v[24:25], v[26:27], v[24:25]
.LBB31_1860:
	s_mov_b32 s14, 0
.LBB31_1861:
	s_delay_alu instid0(SALU_CYCLE_1)
	s_and_not1_b32 vcc_lo, exec_lo, s14
	s_cbranch_vccnz .LBB31_1863
; %bb.1862:
	global_load_u16 v1, v[10:11], off
	s_wait_loadcnt 0x0
	v_cvt_f32_f16_e32 v1, v1
	s_delay_alu instid0(VALU_DEP_1) | instskip(NEXT) | instid1(VALU_DEP_1)
	v_cvt_i32_f32_e32 v24, v1
	v_ashrrev_i32_e32 v25, 31, v24
.LBB31_1863:
	s_cbranch_execnz .LBB31_1883
.LBB31_1864:
	s_cmp_lt_i32 s0, 2
	s_cbranch_scc1 .LBB31_1868
; %bb.1865:
	s_cmp_lt_i32 s0, 3
	s_cbranch_scc1 .LBB31_1869
; %bb.1866:
	s_cmp_gt_i32 s0, 3
	s_cbranch_scc0 .LBB31_1870
; %bb.1867:
	s_wait_loadcnt 0x0
	global_load_b64 v[24:25], v[10:11], off
	s_mov_b32 s14, 0
	s_branch .LBB31_1871
.LBB31_1868:
	s_mov_b32 s14, -1
                                        ; implicit-def: $vgpr24_vgpr25
	s_branch .LBB31_1877
.LBB31_1869:
	s_mov_b32 s14, -1
                                        ; implicit-def: $vgpr24_vgpr25
	s_branch .LBB31_1874
.LBB31_1870:
	s_mov_b32 s14, -1
                                        ; implicit-def: $vgpr24_vgpr25
.LBB31_1871:
	s_delay_alu instid0(SALU_CYCLE_1)
	s_and_not1_b32 vcc_lo, exec_lo, s14
	s_cbranch_vccnz .LBB31_1873
; %bb.1872:
	s_wait_loadcnt 0x0
	global_load_b32 v24, v[10:11], off
	s_wait_loadcnt 0x0
	v_ashrrev_i32_e32 v25, 31, v24
.LBB31_1873:
	s_mov_b32 s14, 0
.LBB31_1874:
	s_delay_alu instid0(SALU_CYCLE_1)
	s_and_not1_b32 vcc_lo, exec_lo, s14
	s_cbranch_vccnz .LBB31_1876
; %bb.1875:
	global_load_u16 v1, v[10:11], off
	s_wait_loadcnt 0x0
	v_bfe_i32 v24, v1, 0, 16
	s_delay_alu instid0(VALU_DEP_1)
	v_ashrrev_i32_e32 v25, 31, v24
.LBB31_1876:
	s_mov_b32 s14, 0
.LBB31_1877:
	s_delay_alu instid0(SALU_CYCLE_1)
	s_and_not1_b32 vcc_lo, exec_lo, s14
	s_cbranch_vccnz .LBB31_1883
; %bb.1878:
	s_cmp_gt_i32 s0, 0
	s_mov_b32 s0, 0
	s_cbranch_scc0 .LBB31_1880
; %bb.1879:
	global_load_i8 v1, v[10:11], off
	s_wait_loadcnt 0x0
	v_bfe_i32 v24, v1, 0, 16
	s_delay_alu instid0(VALU_DEP_1)
	v_ashrrev_i32_e32 v25, 31, v24
	s_branch .LBB31_1881
.LBB31_1880:
	s_mov_b32 s0, -1
                                        ; implicit-def: $vgpr24_vgpr25
.LBB31_1881:
	s_delay_alu instid0(SALU_CYCLE_1)
	s_and_not1_b32 vcc_lo, exec_lo, s0
	s_cbranch_vccnz .LBB31_1883
; %bb.1882:
	global_load_u8 v1, v[10:11], off
	s_mov_b32 s0, 0
	s_wait_loadcnt 0x1
	v_mov_b32_e32 v25, s0
	s_wait_loadcnt 0x0
	v_and_b32_e32 v24, 0xffff, v1
.LBB31_1883:
.LBB31_1884:
	s_wait_loadcnt 0x0
	s_delay_alu instid0(VALU_DEP_1) | instskip(SKIP_1) | instid1(VALU_DEP_1)
	v_sub_nc_u64_e32 v[10:11], 0, v[24:25]
	s_mov_b32 s14, exec_lo
	v_max_i64 v[10:11], v[24:25], v[10:11]
	v_cmpx_ne_u64_e32 0, v[22:23]
	s_cbranch_execz .LBB31_1892
; %bb.1885:
	v_sub_nc_u64_e32 v[24:25], 0, v[22:23]
	s_mov_b32 s15, 0
	s_delay_alu instid0(VALU_DEP_1)
	v_max_i64 v[26:27], v[22:23], v[24:25]
	v_mov_b32_e32 v22, 0
	s_branch .LBB31_1887
.LBB31_1886:                            ;   in Loop: Header=BB31_1887 Depth=1
	s_or_b32 exec_lo, exec_lo, s0
	s_delay_alu instid0(VALU_DEP_1) | instskip(SKIP_2) | instid1(SALU_CYCLE_1)
	v_cmp_eq_u64_e32 vcc_lo, 0, v[26:27]
	v_mov_b64_e32 v[10:11], v[24:25]
	s_or_b32 s15, vcc_lo, s15
	s_and_not1_b32 exec_lo, exec_lo, s15
	s_cbranch_execz .LBB31_1891
.LBB31_1887:                            ; =>This Inner Loop Header: Depth=1
	s_delay_alu instid0(VALU_DEP_2) | instskip(SKIP_1) | instid1(VALU_DEP_1)
	v_mov_b64_e32 v[24:25], v[26:27]
                                        ; implicit-def: $vgpr26_vgpr27
	s_mov_b32 s0, exec_lo
	v_or_b32_e32 v23, v11, v25
	s_delay_alu instid0(VALU_DEP_1)
	v_cmpx_ne_u64_e32 0, v[22:23]
	s_xor_b32 s16, exec_lo, s0
	s_cbranch_execz .LBB31_1889
; %bb.1888:                             ;   in Loop: Header=BB31_1887 Depth=1
	s_delay_alu instid0(VALU_DEP_3) | instskip(SKIP_4) | instid1(VALU_DEP_4)
	v_cvt_f32_u32_e32 v1, v24
	v_cvt_f32_u32_e32 v3, v25
	v_sub_nc_u64_e32 v[28:29], 0, v[24:25]
	v_dual_mov_b32 v27, v22 :: v_dual_mov_b32 v35, v22
	v_mov_b32_e32 v37, v22
	v_fmac_f32_e32 v1, 0x4f800000, v3
	s_delay_alu instid0(VALU_DEP_1) | instskip(SKIP_1) | instid1(TRANS32_DEP_1)
	v_rcp_f32_e32 v1, v1
	v_nop
	v_mul_f32_e32 v1, 0x5f7ffffc, v1
	s_delay_alu instid0(VALU_DEP_1) | instskip(NEXT) | instid1(VALU_DEP_1)
	v_mul_f32_e32 v3, 0x2f800000, v1
	v_trunc_f32_e32 v3, v3
	s_delay_alu instid0(VALU_DEP_1) | instskip(SKIP_1) | instid1(VALU_DEP_2)
	v_fmac_f32_e32 v1, 0xcf800000, v3
	v_cvt_u32_f32_e32 v31, v3
	v_cvt_u32_f32_e32 v26, v1
	s_delay_alu instid0(VALU_DEP_1) | instskip(NEXT) | instid1(VALU_DEP_1)
	v_dual_mov_b32 v36, v31 :: v_dual_mov_b32 v30, v26
	v_mul_u64_e32 v[32:33], v[28:29], v[30:31]
	s_delay_alu instid0(VALU_DEP_1) | instskip(NEXT) | instid1(VALU_DEP_1)
	v_dual_mov_b32 v34, v33 :: v_dual_mov_b32 v33, v22
	v_mul_u64_e32 v[38:39], v[26:27], v[34:35]
	s_delay_alu instid0(VALU_DEP_2) | instskip(SKIP_2) | instid1(VALU_DEP_1)
	v_mul_u64_e32 v[40:41], v[36:37], v[32:33]
	v_mul_u64_e32 v[34:35], v[36:37], v[34:35]
	v_mul_hi_u32 v32, v26, v32
	v_add_nc_u64_e32 v[32:33], v[32:33], v[38:39]
	s_delay_alu instid0(VALU_DEP_1) | instskip(NEXT) | instid1(VALU_DEP_2)
	v_add_co_u32 v1, vcc_lo, v32, v40
	v_add_co_ci_u32_e32 v36, vcc_lo, v33, v41, vcc_lo
	v_add_co_ci_u32_e32 v35, vcc_lo, 0, v35, vcc_lo
	s_delay_alu instid0(VALU_DEP_1) | instskip(NEXT) | instid1(VALU_DEP_1)
	v_add_nc_u64_e32 v[32:33], v[36:37], v[34:35]
	v_add_co_u32 v26, vcc_lo, v26, v32
	s_delay_alu instid0(VALU_DEP_1) | instskip(SKIP_1) | instid1(VALU_DEP_2)
	v_add_co_ci_u32_e64 v30, null, v31, v33, vcc_lo
	v_dual_mov_b32 v33, v22 :: v_dual_mov_b32 v31, v22
	v_mov_b32_e32 v27, v30
	s_delay_alu instid0(VALU_DEP_1) | instskip(NEXT) | instid1(VALU_DEP_1)
	v_mul_u64_e32 v[28:29], v[28:29], v[26:27]
	v_dual_mov_b32 v27, v22 :: v_dual_mov_b32 v32, v29
	s_delay_alu instid0(VALU_DEP_2) | instskip(SKIP_1) | instid1(VALU_DEP_3)
	v_dual_mov_b32 v36, v28 :: v_dual_mov_b32 v29, v22
	v_mul_hi_u32 v28, v26, v28
	v_mul_u64_e32 v[34:35], v[26:27], v[32:33]
	s_delay_alu instid0(VALU_DEP_3) | instskip(SKIP_1) | instid1(VALU_DEP_3)
	v_mul_u64_e32 v[36:37], v[30:31], v[36:37]
	v_mul_u64_e32 v[32:33], v[30:31], v[32:33]
	v_add_nc_u64_e32 v[28:29], v[28:29], v[34:35]
	v_mov_b32_e32 v35, v22
	s_delay_alu instid0(VALU_DEP_2) | instskip(NEXT) | instid1(VALU_DEP_3)
	v_add_co_u32 v1, vcc_lo, v28, v36
	v_add_co_ci_u32_e32 v34, vcc_lo, v29, v37, vcc_lo
	v_add_co_ci_u32_e32 v33, vcc_lo, 0, v33, vcc_lo
	s_delay_alu instid0(VALU_DEP_1) | instskip(SKIP_1) | instid1(VALU_DEP_2)
	v_add_nc_u64_e32 v[28:29], v[34:35], v[32:33]
	v_dual_mov_b32 v32, v10 :: v_dual_mov_b32 v33, v22
	v_add_co_u32 v28, vcc_lo, v26, v28
	s_delay_alu instid0(VALU_DEP_1) | instskip(SKIP_1) | instid1(VALU_DEP_2)
	v_add_co_ci_u32_e64 v26, null, v30, v29, vcc_lo
	v_dual_mov_b32 v30, v11 :: v_dual_mov_b32 v29, v22
	v_mul_u64_e32 v[32:33], v[32:33], v[26:27]
	s_delay_alu instid0(VALU_DEP_2) | instskip(NEXT) | instid1(VALU_DEP_3)
	v_mul_u64_e32 v[26:27], v[30:31], v[26:27]
	v_mul_u64_e32 v[34:35], v[30:31], v[28:29]
	v_mul_hi_u32 v28, v10, v28
	s_delay_alu instid0(VALU_DEP_1) | instskip(NEXT) | instid1(VALU_DEP_1)
	v_add_nc_u64_e32 v[28:29], v[28:29], v[32:33]
	v_add_co_u32 v1, vcc_lo, v28, v34
	s_delay_alu instid0(VALU_DEP_2) | instskip(SKIP_1) | instid1(VALU_DEP_1)
	v_add_co_ci_u32_e32 v30, vcc_lo, v29, v35, vcc_lo
	v_add_co_ci_u32_e32 v27, vcc_lo, 0, v27, vcc_lo
	v_add_nc_u64_e32 v[26:27], v[30:31], v[26:27]
	s_delay_alu instid0(VALU_DEP_1) | instskip(NEXT) | instid1(VALU_DEP_1)
	v_mul_u64_e32 v[26:27], v[24:25], v[26:27]
	v_sub_nc_u32_e32 v1, v11, v27
	s_delay_alu instid0(VALU_DEP_2) | instskip(NEXT) | instid1(VALU_DEP_1)
	v_sub_co_u32 v3, vcc_lo, v10, v26
	v_sub_co_ci_u32_e64 v5, null, v11, v27, vcc_lo
	s_delay_alu instid0(VALU_DEP_3) | instskip(NEXT) | instid1(VALU_DEP_3)
	v_sub_co_ci_u32_e64 v1, null, v1, v25, vcc_lo
	v_sub_co_u32 v7, vcc_lo, v3, v24
	v_cmp_ge_u32_e64 s0, v3, v24
	s_delay_alu instid0(VALU_DEP_3) | instskip(SKIP_1) | instid1(VALU_DEP_3)
	v_subrev_co_ci_u32_e64 v9, null, 0, v1, vcc_lo
	v_sub_co_ci_u32_e64 v1, null, v1, v25, vcc_lo
	v_cndmask_b32_e64 v10, 0, -1, s0
	v_cmp_ge_u32_e64 s0, v7, v24
	v_cmp_ge_u32_e32 vcc_lo, v5, v25
	s_delay_alu instid0(VALU_DEP_2) | instskip(SKIP_3) | instid1(VALU_DEP_3)
	v_cndmask_b32_e64 v11, 0, -1, s0
	v_cmp_ge_u32_e64 s0, v9, v25
	v_cndmask_b32_e64 v15, 0, -1, vcc_lo
	v_cmp_eq_u32_e32 vcc_lo, v9, v25
	v_cndmask_b32_e64 v13, 0, -1, s0
	v_cmp_eq_u32_e64 s0, v5, v25
	s_delay_alu instid0(VALU_DEP_1) | instskip(SKIP_1) | instid1(VALU_DEP_1)
	v_dual_cndmask_b32 v11, v13, v11, vcc_lo :: v_dual_cndmask_b32 v10, v15, v10, s0
	v_sub_co_u32 v13, vcc_lo, v7, v24
	v_subrev_co_ci_u32_e64 v1, null, 0, v1, vcc_lo
	s_delay_alu instid0(VALU_DEP_3) | instskip(NEXT) | instid1(VALU_DEP_3)
	v_cmp_ne_u32_e32 vcc_lo, 0, v11
	v_cndmask_b32_e32 v7, v7, v13, vcc_lo
	s_delay_alu instid0(VALU_DEP_3) | instskip(SKIP_1) | instid1(VALU_DEP_2)
	v_cndmask_b32_e32 v1, v9, v1, vcc_lo
	v_cmp_ne_u32_e32 vcc_lo, 0, v10
                                        ; implicit-def: $vgpr10_vgpr11
	v_dual_cndmask_b32 v26, v3, v7 :: v_dual_cndmask_b32 v27, v5, v1
.LBB31_1889:                            ;   in Loop: Header=BB31_1887 Depth=1
	s_and_not1_saveexec_b32 s0, s16
	s_cbranch_execz .LBB31_1886
; %bb.1890:                             ;   in Loop: Header=BB31_1887 Depth=1
	v_cvt_f32_u32_e32 v1, v24
	v_dual_sub_nc_u32 v3, 0, v24 :: v_dual_mov_b32 v27, v22
	s_delay_alu instid0(VALU_DEP_2) | instskip(SKIP_1) | instid1(TRANS32_DEP_1)
	v_rcp_iflag_f32_e32 v1, v1
	v_nop
	v_mul_f32_e32 v1, 0x4f7ffffe, v1
	s_delay_alu instid0(VALU_DEP_1) | instskip(NEXT) | instid1(VALU_DEP_1)
	v_cvt_u32_f32_e32 v1, v1
	v_mul_lo_u32 v3, v3, v1
	s_delay_alu instid0(VALU_DEP_1) | instskip(NEXT) | instid1(VALU_DEP_1)
	v_mul_hi_u32 v3, v1, v3
	v_add_nc_u32_e32 v1, v1, v3
	s_delay_alu instid0(VALU_DEP_1) | instskip(NEXT) | instid1(VALU_DEP_1)
	v_mul_hi_u32 v1, v10, v1
	v_mul_lo_u32 v1, v1, v24
	s_delay_alu instid0(VALU_DEP_1) | instskip(NEXT) | instid1(VALU_DEP_1)
	v_sub_nc_u32_e32 v1, v10, v1
	v_sub_nc_u32_e32 v3, v1, v24
	v_cmp_ge_u32_e32 vcc_lo, v1, v24
	s_delay_alu instid0(VALU_DEP_2) | instskip(NEXT) | instid1(VALU_DEP_1)
	v_cndmask_b32_e32 v1, v1, v3, vcc_lo
	v_sub_nc_u32_e32 v3, v1, v24
	v_cmp_ge_u32_e32 vcc_lo, v1, v24
	s_delay_alu instid0(VALU_DEP_2)
	v_cndmask_b32_e32 v26, v1, v3, vcc_lo
	s_branch .LBB31_1886
.LBB31_1891:
	s_or_b32 exec_lo, exec_lo, s15
	v_mov_b64_e32 v[10:11], v[24:25]
.LBB31_1892:
	s_or_b32 exec_lo, exec_lo, s14
	v_mov_b32_e32 v21, 0
	s_and_b32 s12, 0xffff, s12
	s_delay_alu instid0(SALU_CYCLE_1) | instskip(NEXT) | instid1(VALU_DEP_1)
	s_cmp_lt_i32 s12, 11
	v_add_nc_u64_e32 v[22:23], s[6:7], v[20:21]
	s_cbranch_scc1 .LBB31_1899
; %bb.1893:
	s_cmp_gt_i32 s12, 25
	s_mov_b32 s14, 0
	s_cbranch_scc0 .LBB31_1901
; %bb.1894:
	s_cmp_gt_i32 s12, 28
	s_cbranch_scc0 .LBB31_1902
; %bb.1895:
	s_cmp_gt_i32 s12, 43
	;; [unrolled: 3-line block ×3, first 2 shown]
	s_cbranch_scc0 .LBB31_1905
; %bb.1897:
	s_cmp_eq_u32 s12, 46
	s_mov_b32 s16, 0
	s_cbranch_scc0 .LBB31_1906
; %bb.1898:
	global_load_b32 v1, v[22:23], off
	s_mov_b32 s0, 0
	s_mov_b32 s15, -1
	s_wait_loadcnt 0x0
	v_lshlrev_b32_e32 v1, 16, v1
	s_delay_alu instid0(VALU_DEP_1) | instskip(NEXT) | instid1(VALU_DEP_1)
	v_trunc_f32_e32 v1, v1
	v_mul_f32_e64 v3, 0x2f800000, |v1|
	v_ashrrev_i32_e32 v20, 31, v1
	s_delay_alu instid0(VALU_DEP_2) | instskip(NEXT) | instid1(VALU_DEP_2)
	v_floor_f32_e32 v3, v3
	v_mov_b32_e32 v21, v20
	s_delay_alu instid0(VALU_DEP_2) | instskip(SKIP_1) | instid1(VALU_DEP_2)
	v_fma_f32 v5, 0xcf800000, v3, |v1|
	v_cvt_u32_f32_e32 v1, v3
	v_cvt_u32_f32_e32 v3, v5
	s_delay_alu instid0(VALU_DEP_2) | instskip(NEXT) | instid1(VALU_DEP_2)
	v_xor_b32_e32 v25, v1, v20
	v_xor_b32_e32 v24, v3, v20
	s_delay_alu instid0(VALU_DEP_1)
	v_sub_nc_u64_e32 v[20:21], v[24:25], v[20:21]
	s_branch .LBB31_1908
.LBB31_1899:
	s_mov_b32 s15, 0
                                        ; implicit-def: $vgpr20_vgpr21
	s_cbranch_execnz .LBB31_1970
.LBB31_1900:
	s_and_not1_b32 vcc_lo, exec_lo, s15
	s_cbranch_vccnz .LBB31_2673
	s_branch .LBB31_2018
.LBB31_1901:
	s_mov_b32 s16, -1
	s_mov_b32 s15, 0
	s_mov_b32 s0, 0
                                        ; implicit-def: $vgpr20_vgpr21
	s_branch .LBB31_1935
.LBB31_1902:
	s_mov_b32 s16, -1
	s_mov_b32 s15, 0
	s_mov_b32 s0, 0
                                        ; implicit-def: $vgpr20_vgpr21
	s_branch .LBB31_1918
.LBB31_1903:
	s_mov_b32 s16, -1
	s_mov_b32 s15, 0
	s_mov_b32 s0, 0
                                        ; implicit-def: $vgpr20_vgpr21
	s_branch .LBB31_1913
.LBB31_1904:
	s_or_b32 s1, s1, exec_lo
	s_trap 2
	s_cbranch_execz .LBB31_1835
	s_branch .LBB31_1836
.LBB31_1905:
	s_mov_b32 s16, -1
	s_mov_b32 s15, 0
	s_mov_b32 s0, 0
	s_branch .LBB31_1907
.LBB31_1906:
	s_mov_b32 s0, -1
	s_mov_b32 s15, 0
.LBB31_1907:
                                        ; implicit-def: $vgpr20_vgpr21
.LBB31_1908:
	s_and_b32 vcc_lo, exec_lo, s16
	s_cbranch_vccz .LBB31_1912
; %bb.1909:
	s_cmp_eq_u32 s12, 44
	s_cbranch_scc0 .LBB31_1911
; %bb.1910:
	global_load_u8 v1, v[22:23], off
	s_mov_b32 s0, 0
	s_mov_b32 s15, -1
	s_wait_loadcnt 0x0
	v_lshlrev_b32_e32 v3, 23, v1
	v_cmp_ne_u32_e32 vcc_lo, 0, v1
	s_delay_alu instid0(VALU_DEP_2) | instskip(NEXT) | instid1(VALU_DEP_1)
	v_trunc_f32_e32 v3, v3
	v_mul_f32_e64 v5, 0x2f800000, |v3|
	v_ashrrev_i32_e32 v20, 31, v3
	s_delay_alu instid0(VALU_DEP_2) | instskip(NEXT) | instid1(VALU_DEP_2)
	v_floor_f32_e32 v5, v5
	v_mov_b32_e32 v21, v20
	s_delay_alu instid0(VALU_DEP_2) | instskip(SKIP_1) | instid1(VALU_DEP_2)
	v_fma_f32 v7, 0xcf800000, v5, |v3|
	v_cvt_u32_f32_e32 v3, v5
	v_cvt_u32_f32_e32 v5, v7
	s_delay_alu instid0(VALU_DEP_2) | instskip(NEXT) | instid1(VALU_DEP_2)
	v_xor_b32_e32 v25, v3, v20
	v_xor_b32_e32 v24, v5, v20
	s_delay_alu instid0(VALU_DEP_1) | instskip(NEXT) | instid1(VALU_DEP_1)
	v_sub_nc_u64_e32 v[20:21], v[24:25], v[20:21]
	v_dual_cndmask_b32 v21, 0, v21 :: v_dual_cndmask_b32 v20, 0, v20
	s_branch .LBB31_1912
.LBB31_1911:
	s_mov_b32 s0, -1
                                        ; implicit-def: $vgpr20_vgpr21
.LBB31_1912:
	s_mov_b32 s16, 0
.LBB31_1913:
	s_delay_alu instid0(SALU_CYCLE_1)
	s_and_b32 vcc_lo, exec_lo, s16
	s_cbranch_vccz .LBB31_1917
; %bb.1914:
	s_cmp_eq_u32 s12, 29
	s_cbranch_scc0 .LBB31_1916
; %bb.1915:
	global_load_b64 v[20:21], v[22:23], off
	s_mov_b32 s0, 0
	s_mov_b32 s15, -1
	s_branch .LBB31_1917
.LBB31_1916:
	s_mov_b32 s0, -1
                                        ; implicit-def: $vgpr20_vgpr21
.LBB31_1917:
	s_mov_b32 s16, 0
.LBB31_1918:
	s_delay_alu instid0(SALU_CYCLE_1)
	s_and_b32 vcc_lo, exec_lo, s16
	s_cbranch_vccz .LBB31_1934
; %bb.1919:
	s_cmp_lt_i32 s12, 27
	s_cbranch_scc1 .LBB31_1922
; %bb.1920:
	s_cmp_gt_i32 s12, 27
	s_cbranch_scc0 .LBB31_1923
; %bb.1921:
	s_wait_loadcnt 0x0
	global_load_b32 v20, v[22:23], off
	v_mov_b32_e32 v21, 0
	s_mov_b32 s15, 0
	s_branch .LBB31_1924
.LBB31_1922:
	s_mov_b32 s15, -1
                                        ; implicit-def: $vgpr20_vgpr21
	s_branch .LBB31_1927
.LBB31_1923:
	s_mov_b32 s15, -1
                                        ; implicit-def: $vgpr20_vgpr21
.LBB31_1924:
	s_delay_alu instid0(SALU_CYCLE_1)
	s_and_not1_b32 vcc_lo, exec_lo, s15
	s_cbranch_vccnz .LBB31_1926
; %bb.1925:
	global_load_u16 v1, v[22:23], off
	s_mov_b32 s15, 0
	s_wait_loadcnt 0x1
	v_mov_b32_e32 v21, s15
	s_wait_loadcnt 0x0
	v_and_b32_e32 v20, 0xffff, v1
.LBB31_1926:
	s_mov_b32 s15, 0
.LBB31_1927:
	s_delay_alu instid0(SALU_CYCLE_1)
	s_and_not1_b32 vcc_lo, exec_lo, s15
	s_cbranch_vccnz .LBB31_1933
; %bb.1928:
	global_load_u8 v1, v[22:23], off
	s_mov_b32 s16, 0
	s_mov_b32 s15, exec_lo
	s_wait_loadcnt 0x0
	v_cmpx_lt_i16_e32 0x7f, v1
	s_xor_b32 s15, exec_lo, s15
	s_cbranch_execz .LBB31_1945
; %bb.1929:
	v_cmp_ne_u16_e32 vcc_lo, 0x80, v1
	s_and_b32 s16, vcc_lo, exec_lo
	s_and_not1_saveexec_b32 s15, s15
	s_cbranch_execnz .LBB31_1946
.LBB31_1930:
	s_or_b32 exec_lo, exec_lo, s15
	v_mov_b64_e32 v[20:21], 0
	s_and_saveexec_b32 s15, s16
	s_cbranch_execz .LBB31_1932
.LBB31_1931:
	v_and_b32_e32 v3, 0xffff, v1
	s_delay_alu instid0(VALU_DEP_1) | instskip(SKIP_1) | instid1(VALU_DEP_2)
	v_dual_lshlrev_b32 v1, 24, v1 :: v_dual_bitop2_b32 v5, 7, v3 bitop3:0x40
	v_bfe_u32 v13, v3, 3, 4
	v_and_b32_e32 v1, 0x80000000, v1
	s_delay_alu instid0(VALU_DEP_3) | instskip(NEXT) | instid1(VALU_DEP_3)
	v_clz_i32_u32_e32 v7, v5
	v_cmp_eq_u32_e32 vcc_lo, 0, v13
	s_delay_alu instid0(VALU_DEP_2) | instskip(NEXT) | instid1(VALU_DEP_1)
	v_min_u32_e32 v7, 32, v7
	v_subrev_nc_u32_e32 v9, 28, v7
	v_sub_nc_u32_e32 v7, 29, v7
	s_delay_alu instid0(VALU_DEP_2) | instskip(NEXT) | instid1(VALU_DEP_2)
	v_lshlrev_b32_e32 v3, v9, v3
	v_cndmask_b32_e32 v7, v13, v7, vcc_lo
	s_delay_alu instid0(VALU_DEP_2) | instskip(NEXT) | instid1(VALU_DEP_1)
	v_and_b32_e32 v3, 7, v3
	v_cndmask_b32_e32 v3, v5, v3, vcc_lo
	s_delay_alu instid0(VALU_DEP_3) | instskip(NEXT) | instid1(VALU_DEP_2)
	v_lshl_add_u32 v5, v7, 23, 0x3b800000
	v_lshlrev_b32_e32 v3, 20, v3
	s_delay_alu instid0(VALU_DEP_1) | instskip(NEXT) | instid1(VALU_DEP_1)
	v_or3_b32 v1, v1, v5, v3
	v_trunc_f32_e32 v1, v1
	s_delay_alu instid0(VALU_DEP_1) | instskip(SKIP_1) | instid1(VALU_DEP_2)
	v_mul_f32_e64 v3, 0x2f800000, |v1|
	v_ashrrev_i32_e32 v20, 31, v1
	v_floor_f32_e32 v3, v3
	s_delay_alu instid0(VALU_DEP_2) | instskip(NEXT) | instid1(VALU_DEP_2)
	v_mov_b32_e32 v21, v20
	v_fma_f32 v5, 0xcf800000, v3, |v1|
	v_cvt_u32_f32_e32 v1, v3
	s_delay_alu instid0(VALU_DEP_2) | instskip(NEXT) | instid1(VALU_DEP_2)
	v_cvt_u32_f32_e32 v3, v5
	v_xor_b32_e32 v25, v1, v20
	s_delay_alu instid0(VALU_DEP_2) | instskip(NEXT) | instid1(VALU_DEP_1)
	v_xor_b32_e32 v24, v3, v20
	v_sub_nc_u64_e32 v[20:21], v[24:25], v[20:21]
.LBB31_1932:
	s_or_b32 exec_lo, exec_lo, s15
.LBB31_1933:
	s_mov_b32 s15, -1
.LBB31_1934:
	s_mov_b32 s16, 0
.LBB31_1935:
	s_delay_alu instid0(SALU_CYCLE_1)
	s_and_b32 vcc_lo, exec_lo, s16
	s_cbranch_vccz .LBB31_1966
; %bb.1936:
	s_cmp_gt_i32 s12, 22
	s_cbranch_scc0 .LBB31_1944
; %bb.1937:
	s_cmp_lt_i32 s12, 24
	s_cbranch_scc1 .LBB31_1947
; %bb.1938:
	s_cmp_gt_i32 s12, 24
	s_cbranch_scc0 .LBB31_1948
; %bb.1939:
	global_load_u8 v1, v[22:23], off
	s_mov_b32 s15, 0
	s_mov_b32 s14, exec_lo
	s_wait_loadcnt 0x0
	v_cmpx_lt_i16_e32 0x7f, v1
	s_xor_b32 s14, exec_lo, s14
	s_cbranch_execz .LBB31_1960
; %bb.1940:
	v_cmp_ne_u16_e32 vcc_lo, 0x80, v1
	s_and_b32 s15, vcc_lo, exec_lo
	s_and_not1_saveexec_b32 s14, s14
	s_cbranch_execnz .LBB31_1961
.LBB31_1941:
	s_or_b32 exec_lo, exec_lo, s14
	v_mov_b64_e32 v[20:21], 0
	s_and_saveexec_b32 s14, s15
	s_cbranch_execz .LBB31_1943
.LBB31_1942:
	v_and_b32_e32 v3, 0xffff, v1
	s_delay_alu instid0(VALU_DEP_1) | instskip(SKIP_1) | instid1(VALU_DEP_2)
	v_dual_lshlrev_b32 v1, 24, v1 :: v_dual_bitop2_b32 v5, 3, v3 bitop3:0x40
	v_bfe_u32 v13, v3, 2, 5
	v_and_b32_e32 v1, 0x80000000, v1
	s_delay_alu instid0(VALU_DEP_3) | instskip(NEXT) | instid1(VALU_DEP_3)
	v_clz_i32_u32_e32 v7, v5
	v_cmp_eq_u32_e32 vcc_lo, 0, v13
	s_delay_alu instid0(VALU_DEP_2) | instskip(NEXT) | instid1(VALU_DEP_1)
	v_min_u32_e32 v7, 32, v7
	v_subrev_nc_u32_e32 v9, 29, v7
	v_sub_nc_u32_e32 v7, 30, v7
	s_delay_alu instid0(VALU_DEP_2) | instskip(NEXT) | instid1(VALU_DEP_2)
	v_lshlrev_b32_e32 v3, v9, v3
	v_cndmask_b32_e32 v7, v13, v7, vcc_lo
	s_delay_alu instid0(VALU_DEP_2) | instskip(NEXT) | instid1(VALU_DEP_1)
	v_and_b32_e32 v3, 3, v3
	v_cndmask_b32_e32 v3, v5, v3, vcc_lo
	s_delay_alu instid0(VALU_DEP_3) | instskip(NEXT) | instid1(VALU_DEP_2)
	v_lshl_add_u32 v5, v7, 23, 0x37800000
	v_lshlrev_b32_e32 v3, 21, v3
	s_delay_alu instid0(VALU_DEP_1) | instskip(NEXT) | instid1(VALU_DEP_1)
	v_or3_b32 v1, v1, v5, v3
	v_trunc_f32_e32 v1, v1
	s_delay_alu instid0(VALU_DEP_1) | instskip(SKIP_1) | instid1(VALU_DEP_2)
	v_mul_f32_e64 v3, 0x2f800000, |v1|
	v_ashrrev_i32_e32 v20, 31, v1
	v_floor_f32_e32 v3, v3
	s_delay_alu instid0(VALU_DEP_2) | instskip(NEXT) | instid1(VALU_DEP_2)
	v_mov_b32_e32 v21, v20
	v_fma_f32 v5, 0xcf800000, v3, |v1|
	v_cvt_u32_f32_e32 v1, v3
	s_delay_alu instid0(VALU_DEP_2) | instskip(NEXT) | instid1(VALU_DEP_2)
	v_cvt_u32_f32_e32 v3, v5
	v_xor_b32_e32 v25, v1, v20
	s_delay_alu instid0(VALU_DEP_2) | instskip(NEXT) | instid1(VALU_DEP_1)
	v_xor_b32_e32 v24, v3, v20
	v_sub_nc_u64_e32 v[20:21], v[24:25], v[20:21]
.LBB31_1943:
	s_or_b32 exec_lo, exec_lo, s14
	s_mov_b32 s14, 0
	s_branch .LBB31_1949
.LBB31_1944:
	s_mov_b32 s14, -1
                                        ; implicit-def: $vgpr20_vgpr21
	s_branch .LBB31_1955
.LBB31_1945:
	s_and_not1_saveexec_b32 s15, s15
	s_cbranch_execz .LBB31_1930
.LBB31_1946:
	v_cmp_ne_u16_e32 vcc_lo, 0, v1
	s_and_not1_b32 s16, s16, exec_lo
	s_and_b32 s17, vcc_lo, exec_lo
	s_delay_alu instid0(SALU_CYCLE_1)
	s_or_b32 s16, s16, s17
	s_or_b32 exec_lo, exec_lo, s15
	v_mov_b64_e32 v[20:21], 0
	s_and_saveexec_b32 s15, s16
	s_cbranch_execnz .LBB31_1931
	s_branch .LBB31_1932
.LBB31_1947:
	s_mov_b32 s14, -1
                                        ; implicit-def: $vgpr20_vgpr21
	s_branch .LBB31_1952
.LBB31_1948:
	s_mov_b32 s14, -1
                                        ; implicit-def: $vgpr20_vgpr21
.LBB31_1949:
	s_delay_alu instid0(SALU_CYCLE_1)
	s_and_b32 vcc_lo, exec_lo, s14
	s_cbranch_vccz .LBB31_1951
; %bb.1950:
	global_load_u8 v1, v[22:23], off
	s_wait_loadcnt 0x0
	v_lshlrev_b32_e32 v1, 24, v1
	s_delay_alu instid0(VALU_DEP_1) | instskip(NEXT) | instid1(VALU_DEP_1)
	v_and_b32_e32 v3, 0x7f000000, v1
	v_clz_i32_u32_e32 v5, v3
	v_add_nc_u32_e32 v9, 0x1000000, v3
	v_cmp_ne_u32_e32 vcc_lo, 0, v3
	s_delay_alu instid0(VALU_DEP_3) | instskip(NEXT) | instid1(VALU_DEP_1)
	v_min_u32_e32 v5, 32, v5
	v_sub_nc_u32_e64 v5, v5, 4 clamp
	s_delay_alu instid0(VALU_DEP_1) | instskip(NEXT) | instid1(VALU_DEP_1)
	v_dual_lshlrev_b32 v7, v5, v3 :: v_dual_lshlrev_b32 v5, 23, v5
	v_lshrrev_b32_e32 v7, 4, v7
	s_delay_alu instid0(VALU_DEP_1) | instskip(SKIP_1) | instid1(VALU_DEP_2)
	v_sub_nc_u32_e32 v5, v7, v5
	v_ashrrev_i32_e32 v7, 8, v9
	v_add_nc_u32_e32 v5, 0x3c000000, v5
	s_delay_alu instid0(VALU_DEP_1) | instskip(NEXT) | instid1(VALU_DEP_1)
	v_and_or_b32 v5, 0x7f800000, v7, v5
	v_cndmask_b32_e32 v3, 0, v5, vcc_lo
	s_delay_alu instid0(VALU_DEP_1) | instskip(NEXT) | instid1(VALU_DEP_1)
	v_and_or_b32 v1, 0x80000000, v1, v3
	v_trunc_f32_e32 v1, v1
	s_delay_alu instid0(VALU_DEP_1) | instskip(SKIP_1) | instid1(VALU_DEP_2)
	v_mul_f32_e64 v3, 0x2f800000, |v1|
	v_ashrrev_i32_e32 v20, 31, v1
	v_floor_f32_e32 v3, v3
	s_delay_alu instid0(VALU_DEP_2) | instskip(NEXT) | instid1(VALU_DEP_2)
	v_mov_b32_e32 v21, v20
	v_fma_f32 v5, 0xcf800000, v3, |v1|
	v_cvt_u32_f32_e32 v1, v3
	s_delay_alu instid0(VALU_DEP_2) | instskip(NEXT) | instid1(VALU_DEP_2)
	v_cvt_u32_f32_e32 v3, v5
	v_xor_b32_e32 v25, v1, v20
	s_delay_alu instid0(VALU_DEP_2) | instskip(NEXT) | instid1(VALU_DEP_1)
	v_xor_b32_e32 v24, v3, v20
	v_sub_nc_u64_e32 v[20:21], v[24:25], v[20:21]
.LBB31_1951:
	s_mov_b32 s14, 0
.LBB31_1952:
	s_delay_alu instid0(SALU_CYCLE_1)
	s_and_not1_b32 vcc_lo, exec_lo, s14
	s_cbranch_vccnz .LBB31_1954
; %bb.1953:
	global_load_u8 v1, v[22:23], off
	s_wait_loadcnt 0x0
	v_lshlrev_b32_e32 v3, 25, v1
	v_lshlrev_b16 v1, 8, v1
	s_delay_alu instid0(VALU_DEP_1) | instskip(SKIP_1) | instid1(VALU_DEP_2)
	v_and_or_b32 v7, 0x7f00, v1, 0.5
	v_bfe_i32 v1, v1, 0, 16
	v_add_f32_e32 v7, -0.5, v7
	v_lshrrev_b32_e32 v5, 4, v3
	v_cmp_gt_u32_e32 vcc_lo, 0x8000000, v3
	s_delay_alu instid0(VALU_DEP_2) | instskip(NEXT) | instid1(VALU_DEP_1)
	v_or_b32_e32 v5, 0x70000000, v5
	v_mul_f32_e32 v5, 0x7800000, v5
	s_delay_alu instid0(VALU_DEP_1) | instskip(NEXT) | instid1(VALU_DEP_1)
	v_cndmask_b32_e32 v3, v5, v7, vcc_lo
	v_and_or_b32 v1, 0x80000000, v1, v3
	s_delay_alu instid0(VALU_DEP_1) | instskip(NEXT) | instid1(VALU_DEP_1)
	v_trunc_f32_e32 v1, v1
	v_mul_f32_e64 v3, 0x2f800000, |v1|
	v_ashrrev_i32_e32 v20, 31, v1
	s_delay_alu instid0(VALU_DEP_2) | instskip(NEXT) | instid1(VALU_DEP_2)
	v_floor_f32_e32 v3, v3
	v_mov_b32_e32 v21, v20
	s_delay_alu instid0(VALU_DEP_2) | instskip(SKIP_1) | instid1(VALU_DEP_2)
	v_fma_f32 v5, 0xcf800000, v3, |v1|
	v_cvt_u32_f32_e32 v1, v3
	v_cvt_u32_f32_e32 v3, v5
	s_delay_alu instid0(VALU_DEP_2) | instskip(NEXT) | instid1(VALU_DEP_2)
	v_xor_b32_e32 v25, v1, v20
	v_xor_b32_e32 v24, v3, v20
	s_delay_alu instid0(VALU_DEP_1)
	v_sub_nc_u64_e32 v[20:21], v[24:25], v[20:21]
.LBB31_1954:
	s_mov_b32 s14, 0
	s_mov_b32 s15, -1
.LBB31_1955:
	s_and_not1_b32 vcc_lo, exec_lo, s14
	s_mov_b32 s14, 0
	s_cbranch_vccnz .LBB31_1966
; %bb.1956:
	s_cmp_gt_i32 s12, 14
	s_cbranch_scc0 .LBB31_1959
; %bb.1957:
	s_cmp_eq_u32 s12, 15
	s_cbranch_scc0 .LBB31_1962
; %bb.1958:
	global_load_u16 v1, v[22:23], off
	s_mov_b32 s0, 0
	s_mov_b32 s15, -1
	s_wait_loadcnt 0x0
	v_lshlrev_b32_e32 v1, 16, v1
	s_delay_alu instid0(VALU_DEP_1) | instskip(NEXT) | instid1(VALU_DEP_1)
	v_trunc_f32_e32 v1, v1
	v_mul_f32_e64 v3, 0x2f800000, |v1|
	v_ashrrev_i32_e32 v20, 31, v1
	s_delay_alu instid0(VALU_DEP_2) | instskip(NEXT) | instid1(VALU_DEP_2)
	v_floor_f32_e32 v3, v3
	v_mov_b32_e32 v21, v20
	s_delay_alu instid0(VALU_DEP_2) | instskip(SKIP_1) | instid1(VALU_DEP_2)
	v_fma_f32 v5, 0xcf800000, v3, |v1|
	v_cvt_u32_f32_e32 v1, v3
	v_cvt_u32_f32_e32 v3, v5
	s_delay_alu instid0(VALU_DEP_2) | instskip(NEXT) | instid1(VALU_DEP_2)
	v_xor_b32_e32 v25, v1, v20
	v_xor_b32_e32 v24, v3, v20
	s_delay_alu instid0(VALU_DEP_1)
	v_sub_nc_u64_e32 v[20:21], v[24:25], v[20:21]
	s_branch .LBB31_1964
.LBB31_1959:
	s_mov_b32 s14, -1
	s_branch .LBB31_1963
.LBB31_1960:
	s_and_not1_saveexec_b32 s14, s14
	s_cbranch_execz .LBB31_1941
.LBB31_1961:
	v_cmp_ne_u16_e32 vcc_lo, 0, v1
	s_and_not1_b32 s15, s15, exec_lo
	s_and_b32 s16, vcc_lo, exec_lo
	s_delay_alu instid0(SALU_CYCLE_1)
	s_or_b32 s15, s15, s16
	s_or_b32 exec_lo, exec_lo, s14
	v_mov_b64_e32 v[20:21], 0
	s_and_saveexec_b32 s14, s15
	s_cbranch_execnz .LBB31_1942
	s_branch .LBB31_1943
.LBB31_1962:
	s_mov_b32 s0, -1
.LBB31_1963:
                                        ; implicit-def: $vgpr20_vgpr21
.LBB31_1964:
	s_and_b32 vcc_lo, exec_lo, s14
	s_mov_b32 s14, 0
	s_cbranch_vccz .LBB31_1966
; %bb.1965:
	s_cmp_lg_u32 s12, 11
	s_mov_b32 s14, -1
	s_cselect_b32 s0, -1, 0
.LBB31_1966:
	s_delay_alu instid0(SALU_CYCLE_1)
	s_and_b32 vcc_lo, exec_lo, s0
	s_cbranch_vccnz .LBB31_2029
; %bb.1967:
	s_and_not1_b32 vcc_lo, exec_lo, s14
	s_cbranch_vccnz .LBB31_1969
.LBB31_1968:
	global_load_u8 v1, v[22:23], off
	s_mov_b32 s0, 0
	s_mov_b32 s15, -1
	s_wait_loadcnt 0x1
	v_mov_b32_e32 v21, s0
	s_wait_loadcnt 0x0
	v_cmp_ne_u16_e32 vcc_lo, 0, v1
	v_cndmask_b32_e64 v20, 0, 1, vcc_lo
.LBB31_1969:
	s_branch .LBB31_1900
.LBB31_1970:
	s_cmp_lt_i32 s12, 5
	s_cbranch_scc1 .LBB31_1975
; %bb.1971:
	s_cmp_lt_i32 s12, 8
	s_cbranch_scc1 .LBB31_1976
; %bb.1972:
	;; [unrolled: 3-line block ×3, first 2 shown]
	s_cmp_gt_i32 s12, 9
	s_cbranch_scc0 .LBB31_1978
; %bb.1974:
	s_wait_loadcnt 0x0
	global_load_b64 v[20:21], v[22:23], off
	s_mov_b32 s0, 0
	s_wait_loadcnt 0x0
	v_trunc_f64_e32 v[20:21], v[20:21]
	s_delay_alu instid0(VALU_DEP_1) | instskip(NEXT) | instid1(VALU_DEP_1)
	v_ldexp_f64 v[24:25], v[20:21], 0xffffffe0
	v_floor_f64_e32 v[24:25], v[24:25]
	s_delay_alu instid0(VALU_DEP_1) | instskip(SKIP_1) | instid1(VALU_DEP_2)
	v_fmamk_f64 v[26:27], v[24:25], 0xc1f00000, v[20:21]
	v_cvt_i32_f64_e32 v21, v[24:25]
	v_cvt_u32_f64_e32 v20, v[26:27]
	s_branch .LBB31_1979
.LBB31_1975:
	s_mov_b32 s0, -1
                                        ; implicit-def: $vgpr20_vgpr21
	s_branch .LBB31_1997
.LBB31_1976:
	s_mov_b32 s0, -1
                                        ; implicit-def: $vgpr20_vgpr21
	s_branch .LBB31_1985
.LBB31_1977:
	s_mov_b32 s0, -1
                                        ; implicit-def: $vgpr20_vgpr21
	s_branch .LBB31_1982
.LBB31_1978:
	s_mov_b32 s0, -1
                                        ; implicit-def: $vgpr20_vgpr21
.LBB31_1979:
	s_delay_alu instid0(SALU_CYCLE_1)
	s_and_not1_b32 vcc_lo, exec_lo, s0
	s_cbranch_vccnz .LBB31_1981
; %bb.1980:
	global_load_b32 v1, v[22:23], off
	s_wait_loadcnt 0x0
	v_trunc_f32_e32 v1, v1
	s_delay_alu instid0(VALU_DEP_1) | instskip(SKIP_1) | instid1(VALU_DEP_2)
	v_mul_f32_e64 v3, 0x2f800000, |v1|
	v_ashrrev_i32_e32 v20, 31, v1
	v_floor_f32_e32 v3, v3
	s_delay_alu instid0(VALU_DEP_1) | instskip(SKIP_1) | instid1(VALU_DEP_4)
	v_fma_f32 v5, 0xcf800000, v3, |v1|
	v_cvt_u32_f32_e32 v1, v3
	v_mov_b32_e32 v21, v20
	s_delay_alu instid0(VALU_DEP_3) | instskip(NEXT) | instid1(VALU_DEP_3)
	v_cvt_u32_f32_e32 v3, v5
	v_xor_b32_e32 v25, v1, v20
	s_delay_alu instid0(VALU_DEP_2) | instskip(NEXT) | instid1(VALU_DEP_1)
	v_xor_b32_e32 v24, v3, v20
	v_sub_nc_u64_e32 v[20:21], v[24:25], v[20:21]
.LBB31_1981:
	s_mov_b32 s0, 0
.LBB31_1982:
	s_delay_alu instid0(SALU_CYCLE_1)
	s_and_not1_b32 vcc_lo, exec_lo, s0
	s_cbranch_vccnz .LBB31_1984
; %bb.1983:
	global_load_b32 v1, v[22:23], off
	s_wait_loadcnt 0x0
	v_cvt_f32_f16_e32 v1, v1
	s_delay_alu instid0(VALU_DEP_1) | instskip(NEXT) | instid1(VALU_DEP_1)
	v_cvt_i32_f32_e32 v20, v1
	v_ashrrev_i32_e32 v21, 31, v20
.LBB31_1984:
	s_mov_b32 s0, 0
.LBB31_1985:
	s_delay_alu instid0(SALU_CYCLE_1)
	s_and_not1_b32 vcc_lo, exec_lo, s0
	s_cbranch_vccnz .LBB31_1996
; %bb.1986:
	s_cmp_lt_i32 s12, 6
	s_cbranch_scc1 .LBB31_1989
; %bb.1987:
	s_cmp_gt_i32 s12, 6
	s_cbranch_scc0 .LBB31_1990
; %bb.1988:
	s_wait_loadcnt 0x0
	global_load_b64 v[20:21], v[22:23], off
	s_mov_b32 s0, 0
	s_wait_loadcnt 0x0
	v_trunc_f64_e32 v[20:21], v[20:21]
	s_delay_alu instid0(VALU_DEP_1) | instskip(NEXT) | instid1(VALU_DEP_1)
	v_ldexp_f64 v[24:25], v[20:21], 0xffffffe0
	v_floor_f64_e32 v[24:25], v[24:25]
	s_delay_alu instid0(VALU_DEP_1) | instskip(SKIP_1) | instid1(VALU_DEP_2)
	v_fmamk_f64 v[26:27], v[24:25], 0xc1f00000, v[20:21]
	v_cvt_i32_f64_e32 v21, v[24:25]
	v_cvt_u32_f64_e32 v20, v[26:27]
	s_branch .LBB31_1991
.LBB31_1989:
	s_mov_b32 s0, -1
                                        ; implicit-def: $vgpr20_vgpr21
	s_branch .LBB31_1994
.LBB31_1990:
	s_mov_b32 s0, -1
                                        ; implicit-def: $vgpr20_vgpr21
.LBB31_1991:
	s_delay_alu instid0(SALU_CYCLE_1)
	s_and_not1_b32 vcc_lo, exec_lo, s0
	s_cbranch_vccnz .LBB31_1993
; %bb.1992:
	global_load_b32 v1, v[22:23], off
	s_wait_loadcnt 0x0
	v_trunc_f32_e32 v1, v1
	s_delay_alu instid0(VALU_DEP_1) | instskip(SKIP_1) | instid1(VALU_DEP_2)
	v_mul_f32_e64 v3, 0x2f800000, |v1|
	v_ashrrev_i32_e32 v20, 31, v1
	v_floor_f32_e32 v3, v3
	s_delay_alu instid0(VALU_DEP_1) | instskip(SKIP_1) | instid1(VALU_DEP_4)
	v_fma_f32 v5, 0xcf800000, v3, |v1|
	v_cvt_u32_f32_e32 v1, v3
	v_mov_b32_e32 v21, v20
	s_delay_alu instid0(VALU_DEP_3) | instskip(NEXT) | instid1(VALU_DEP_3)
	v_cvt_u32_f32_e32 v3, v5
	v_xor_b32_e32 v25, v1, v20
	s_delay_alu instid0(VALU_DEP_2) | instskip(NEXT) | instid1(VALU_DEP_1)
	v_xor_b32_e32 v24, v3, v20
	v_sub_nc_u64_e32 v[20:21], v[24:25], v[20:21]
.LBB31_1993:
	s_mov_b32 s0, 0
.LBB31_1994:
	s_delay_alu instid0(SALU_CYCLE_1)
	s_and_not1_b32 vcc_lo, exec_lo, s0
	s_cbranch_vccnz .LBB31_1996
; %bb.1995:
	global_load_u16 v1, v[22:23], off
	s_wait_loadcnt 0x0
	v_cvt_f32_f16_e32 v1, v1
	s_delay_alu instid0(VALU_DEP_1) | instskip(NEXT) | instid1(VALU_DEP_1)
	v_cvt_i32_f32_e32 v20, v1
	v_ashrrev_i32_e32 v21, 31, v20
.LBB31_1996:
	s_mov_b32 s0, 0
.LBB31_1997:
	s_delay_alu instid0(SALU_CYCLE_1)
	s_and_not1_b32 vcc_lo, exec_lo, s0
	s_cbranch_vccnz .LBB31_2017
; %bb.1998:
	s_cmp_lt_i32 s12, 2
	s_cbranch_scc1 .LBB31_2002
; %bb.1999:
	s_cmp_lt_i32 s12, 3
	s_cbranch_scc1 .LBB31_2003
; %bb.2000:
	s_cmp_gt_i32 s12, 3
	s_cbranch_scc0 .LBB31_2004
; %bb.2001:
	s_wait_loadcnt 0x0
	global_load_b64 v[20:21], v[22:23], off
	s_mov_b32 s0, 0
	s_branch .LBB31_2005
.LBB31_2002:
	s_mov_b32 s0, -1
                                        ; implicit-def: $vgpr20_vgpr21
	s_branch .LBB31_2011
.LBB31_2003:
	s_mov_b32 s0, -1
                                        ; implicit-def: $vgpr20_vgpr21
	s_branch .LBB31_2008
.LBB31_2004:
	s_mov_b32 s0, -1
                                        ; implicit-def: $vgpr20_vgpr21
.LBB31_2005:
	s_delay_alu instid0(SALU_CYCLE_1)
	s_and_not1_b32 vcc_lo, exec_lo, s0
	s_cbranch_vccnz .LBB31_2007
; %bb.2006:
	s_wait_loadcnt 0x0
	global_load_b32 v20, v[22:23], off
	s_wait_loadcnt 0x0
	v_ashrrev_i32_e32 v21, 31, v20
.LBB31_2007:
	s_mov_b32 s0, 0
.LBB31_2008:
	s_delay_alu instid0(SALU_CYCLE_1)
	s_and_not1_b32 vcc_lo, exec_lo, s0
	s_cbranch_vccnz .LBB31_2010
; %bb.2009:
	global_load_u16 v1, v[22:23], off
	s_wait_loadcnt 0x0
	v_bfe_i32 v20, v1, 0, 16
	s_delay_alu instid0(VALU_DEP_1)
	v_ashrrev_i32_e32 v21, 31, v20
.LBB31_2010:
	s_mov_b32 s0, 0
.LBB31_2011:
	s_delay_alu instid0(SALU_CYCLE_1)
	s_and_not1_b32 vcc_lo, exec_lo, s0
	s_cbranch_vccnz .LBB31_2017
; %bb.2012:
	s_cmp_gt_i32 s12, 0
	s_mov_b32 s0, 0
	s_cbranch_scc0 .LBB31_2014
; %bb.2013:
	global_load_i8 v1, v[22:23], off
	s_wait_loadcnt 0x0
	v_bfe_i32 v20, v1, 0, 16
	s_delay_alu instid0(VALU_DEP_1)
	v_ashrrev_i32_e32 v21, 31, v20
	s_branch .LBB31_2015
.LBB31_2014:
	s_mov_b32 s0, -1
                                        ; implicit-def: $vgpr20_vgpr21
.LBB31_2015:
	s_delay_alu instid0(SALU_CYCLE_1)
	s_and_not1_b32 vcc_lo, exec_lo, s0
	s_cbranch_vccnz .LBB31_2017
; %bb.2016:
	global_load_u8 v1, v[22:23], off
	s_mov_b32 s0, 0
	s_wait_loadcnt 0x1
	v_mov_b32_e32 v21, s0
	s_wait_loadcnt 0x0
	v_and_b32_e32 v20, 0xffff, v1
.LBB31_2017:
.LBB31_2018:
	v_mov_b32_e32 v15, 0
	s_and_b32 s13, 0xffff, s13
	s_delay_alu instid0(SALU_CYCLE_1) | instskip(NEXT) | instid1(VALU_DEP_1)
	s_cmp_lt_i32 s13, 11
	v_add_nc_u64_e32 v[14:15], s[8:9], v[14:15]
	s_cbranch_scc1 .LBB31_2025
; %bb.2019:
	s_cmp_gt_i32 s13, 25
	s_mov_b32 s14, 0
	s_cbranch_scc0 .LBB31_2026
; %bb.2020:
	s_cmp_gt_i32 s13, 28
	s_cbranch_scc0 .LBB31_2027
; %bb.2021:
	s_cmp_gt_i32 s13, 43
	;; [unrolled: 3-line block ×3, first 2 shown]
	s_cbranch_scc0 .LBB31_2030
; %bb.2023:
	s_cmp_eq_u32 s13, 46
	s_mov_b32 s16, 0
	s_cbranch_scc0 .LBB31_2031
; %bb.2024:
	global_load_b32 v1, v[14:15], off
	s_mov_b32 s0, 0
	s_mov_b32 s15, -1
	s_wait_loadcnt 0x0
	v_lshlrev_b32_e32 v1, 16, v1
	s_delay_alu instid0(VALU_DEP_1) | instskip(NEXT) | instid1(VALU_DEP_1)
	v_trunc_f32_e32 v1, v1
	v_mul_f32_e64 v3, 0x2f800000, |v1|
	s_wait_xcnt 0x1
	v_ashrrev_i32_e32 v22, 31, v1
	s_delay_alu instid0(VALU_DEP_2) | instskip(NEXT) | instid1(VALU_DEP_2)
	v_floor_f32_e32 v3, v3
	v_mov_b32_e32 v23, v22
	s_delay_alu instid0(VALU_DEP_2) | instskip(SKIP_1) | instid1(VALU_DEP_2)
	v_fma_f32 v5, 0xcf800000, v3, |v1|
	v_cvt_u32_f32_e32 v1, v3
	v_cvt_u32_f32_e32 v3, v5
	s_delay_alu instid0(VALU_DEP_2) | instskip(NEXT) | instid1(VALU_DEP_2)
	v_xor_b32_e32 v25, v1, v22
	v_xor_b32_e32 v24, v3, v22
	s_delay_alu instid0(VALU_DEP_1)
	v_sub_nc_u64_e32 v[22:23], v[24:25], v[22:23]
	s_branch .LBB31_2033
.LBB31_2025:
	s_mov_b32 s0, -1
	s_mov_b32 s15, 0
                                        ; implicit-def: $vgpr22_vgpr23
	s_branch .LBB31_2095
.LBB31_2026:
	s_mov_b32 s16, -1
	s_mov_b32 s15, 0
	s_mov_b32 s0, 0
                                        ; implicit-def: $vgpr22_vgpr23
	s_branch .LBB31_2060
.LBB31_2027:
	s_mov_b32 s16, -1
	s_mov_b32 s15, 0
	s_mov_b32 s0, 0
                                        ; implicit-def: $vgpr22_vgpr23
	s_branch .LBB31_2043
.LBB31_2028:
	s_mov_b32 s16, -1
	s_mov_b32 s15, 0
	s_mov_b32 s0, 0
                                        ; implicit-def: $vgpr22_vgpr23
	s_branch .LBB31_2038
.LBB31_2029:
	s_or_b32 s1, s1, exec_lo
	s_trap 2
	s_cbranch_execz .LBB31_1968
	s_branch .LBB31_1969
.LBB31_2030:
	s_mov_b32 s16, -1
	s_mov_b32 s15, 0
	s_mov_b32 s0, 0
	s_branch .LBB31_2032
.LBB31_2031:
	s_mov_b32 s0, -1
	s_mov_b32 s15, 0
.LBB31_2032:
                                        ; implicit-def: $vgpr22_vgpr23
.LBB31_2033:
	s_and_b32 vcc_lo, exec_lo, s16
	s_cbranch_vccz .LBB31_2037
; %bb.2034:
	s_cmp_eq_u32 s13, 44
	s_cbranch_scc0 .LBB31_2036
; %bb.2035:
	global_load_u8 v1, v[14:15], off
	s_mov_b32 s0, 0
	s_mov_b32 s15, -1
	s_wait_loadcnt 0x0
	v_lshlrev_b32_e32 v3, 23, v1
	v_cmp_ne_u32_e32 vcc_lo, 0, v1
	s_delay_alu instid0(VALU_DEP_2) | instskip(NEXT) | instid1(VALU_DEP_1)
	v_trunc_f32_e32 v3, v3
	v_mul_f32_e64 v5, 0x2f800000, |v3|
	s_wait_xcnt 0x1
	v_ashrrev_i32_e32 v22, 31, v3
	s_delay_alu instid0(VALU_DEP_2) | instskip(NEXT) | instid1(VALU_DEP_2)
	v_floor_f32_e32 v5, v5
	v_mov_b32_e32 v23, v22
	s_delay_alu instid0(VALU_DEP_2) | instskip(SKIP_1) | instid1(VALU_DEP_2)
	v_fma_f32 v7, 0xcf800000, v5, |v3|
	v_cvt_u32_f32_e32 v3, v5
	v_cvt_u32_f32_e32 v5, v7
	s_delay_alu instid0(VALU_DEP_2) | instskip(NEXT) | instid1(VALU_DEP_2)
	v_xor_b32_e32 v25, v3, v22
	v_xor_b32_e32 v24, v5, v22
	s_delay_alu instid0(VALU_DEP_1) | instskip(NEXT) | instid1(VALU_DEP_1)
	v_sub_nc_u64_e32 v[22:23], v[24:25], v[22:23]
	v_dual_cndmask_b32 v23, 0, v23 :: v_dual_cndmask_b32 v22, 0, v22
	s_branch .LBB31_2037
.LBB31_2036:
	s_mov_b32 s0, -1
                                        ; implicit-def: $vgpr22_vgpr23
.LBB31_2037:
	s_mov_b32 s16, 0
.LBB31_2038:
	s_delay_alu instid0(SALU_CYCLE_1)
	s_and_b32 vcc_lo, exec_lo, s16
	s_cbranch_vccz .LBB31_2042
; %bb.2039:
	s_cmp_eq_u32 s13, 29
	s_cbranch_scc0 .LBB31_2041
; %bb.2040:
	global_load_b64 v[22:23], v[14:15], off
	s_mov_b32 s0, 0
	s_mov_b32 s15, -1
	s_branch .LBB31_2042
.LBB31_2041:
	s_mov_b32 s0, -1
                                        ; implicit-def: $vgpr22_vgpr23
.LBB31_2042:
	s_mov_b32 s16, 0
.LBB31_2043:
	s_delay_alu instid0(SALU_CYCLE_1)
	s_and_b32 vcc_lo, exec_lo, s16
	s_cbranch_vccz .LBB31_2059
; %bb.2044:
	s_cmp_lt_i32 s13, 27
	s_cbranch_scc1 .LBB31_2047
; %bb.2045:
	s_cmp_gt_i32 s13, 27
	s_cbranch_scc0 .LBB31_2048
; %bb.2046:
	s_wait_loadcnt 0x0
	global_load_b32 v22, v[14:15], off
	v_mov_b32_e32 v23, 0
	s_mov_b32 s15, 0
	s_branch .LBB31_2049
.LBB31_2047:
	s_mov_b32 s15, -1
                                        ; implicit-def: $vgpr22_vgpr23
	s_branch .LBB31_2052
.LBB31_2048:
	s_mov_b32 s15, -1
                                        ; implicit-def: $vgpr22_vgpr23
.LBB31_2049:
	s_delay_alu instid0(SALU_CYCLE_1)
	s_and_not1_b32 vcc_lo, exec_lo, s15
	s_cbranch_vccnz .LBB31_2051
; %bb.2050:
	global_load_u16 v1, v[14:15], off
	s_mov_b32 s15, 0
	s_wait_loadcnt 0x1
	s_wait_xcnt 0x1
	v_mov_b32_e32 v23, s15
	s_wait_loadcnt 0x0
	v_and_b32_e32 v22, 0xffff, v1
.LBB31_2051:
	s_mov_b32 s15, 0
.LBB31_2052:
	s_delay_alu instid0(SALU_CYCLE_1)
	s_and_not1_b32 vcc_lo, exec_lo, s15
	s_cbranch_vccnz .LBB31_2058
; %bb.2053:
	global_load_u8 v1, v[14:15], off
	s_mov_b32 s16, 0
	s_mov_b32 s15, exec_lo
	s_wait_loadcnt 0x0
	v_cmpx_lt_i16_e32 0x7f, v1
	s_xor_b32 s15, exec_lo, s15
	s_cbranch_execz .LBB31_2070
; %bb.2054:
	v_cmp_ne_u16_e32 vcc_lo, 0x80, v1
	s_and_b32 s16, vcc_lo, exec_lo
	s_and_not1_saveexec_b32 s15, s15
	s_cbranch_execnz .LBB31_2071
.LBB31_2055:
	s_or_b32 exec_lo, exec_lo, s15
	v_mov_b64_e32 v[22:23], 0
	s_and_saveexec_b32 s15, s16
	s_cbranch_execz .LBB31_2057
.LBB31_2056:
	v_and_b32_e32 v3, 0xffff, v1
	s_delay_alu instid0(VALU_DEP_1) | instskip(SKIP_1) | instid1(VALU_DEP_2)
	v_dual_lshlrev_b32 v1, 24, v1 :: v_dual_bitop2_b32 v5, 7, v3 bitop3:0x40
	v_bfe_u32 v13, v3, 3, 4
	v_and_b32_e32 v1, 0x80000000, v1
	s_delay_alu instid0(VALU_DEP_3) | instskip(NEXT) | instid1(VALU_DEP_3)
	v_clz_i32_u32_e32 v7, v5
	v_cmp_eq_u32_e32 vcc_lo, 0, v13
	s_delay_alu instid0(VALU_DEP_2) | instskip(NEXT) | instid1(VALU_DEP_1)
	v_min_u32_e32 v7, 32, v7
	v_subrev_nc_u32_e32 v9, 28, v7
	v_sub_nc_u32_e32 v7, 29, v7
	s_delay_alu instid0(VALU_DEP_2) | instskip(NEXT) | instid1(VALU_DEP_2)
	v_lshlrev_b32_e32 v3, v9, v3
	v_cndmask_b32_e32 v7, v13, v7, vcc_lo
	s_delay_alu instid0(VALU_DEP_2) | instskip(NEXT) | instid1(VALU_DEP_1)
	v_and_b32_e32 v3, 7, v3
	v_cndmask_b32_e32 v3, v5, v3, vcc_lo
	s_delay_alu instid0(VALU_DEP_3) | instskip(NEXT) | instid1(VALU_DEP_2)
	v_lshl_add_u32 v5, v7, 23, 0x3b800000
	v_lshlrev_b32_e32 v3, 20, v3
	s_delay_alu instid0(VALU_DEP_1) | instskip(NEXT) | instid1(VALU_DEP_1)
	v_or3_b32 v1, v1, v5, v3
	v_trunc_f32_e32 v1, v1
	s_delay_alu instid0(VALU_DEP_1) | instskip(SKIP_1) | instid1(VALU_DEP_2)
	v_mul_f32_e64 v3, 0x2f800000, |v1|
	v_ashrrev_i32_e32 v22, 31, v1
	v_floor_f32_e32 v3, v3
	s_delay_alu instid0(VALU_DEP_2) | instskip(NEXT) | instid1(VALU_DEP_2)
	v_mov_b32_e32 v23, v22
	v_fma_f32 v5, 0xcf800000, v3, |v1|
	v_cvt_u32_f32_e32 v1, v3
	s_delay_alu instid0(VALU_DEP_2) | instskip(NEXT) | instid1(VALU_DEP_2)
	v_cvt_u32_f32_e32 v3, v5
	v_xor_b32_e32 v25, v1, v22
	s_delay_alu instid0(VALU_DEP_2) | instskip(NEXT) | instid1(VALU_DEP_1)
	v_xor_b32_e32 v24, v3, v22
	v_sub_nc_u64_e32 v[22:23], v[24:25], v[22:23]
.LBB31_2057:
	s_or_b32 exec_lo, exec_lo, s15
.LBB31_2058:
	s_mov_b32 s15, -1
.LBB31_2059:
	s_mov_b32 s16, 0
.LBB31_2060:
	s_delay_alu instid0(SALU_CYCLE_1)
	s_and_b32 vcc_lo, exec_lo, s16
	s_cbranch_vccz .LBB31_2091
; %bb.2061:
	s_cmp_gt_i32 s13, 22
	s_cbranch_scc0 .LBB31_2069
; %bb.2062:
	s_cmp_lt_i32 s13, 24
	s_cbranch_scc1 .LBB31_2072
; %bb.2063:
	s_cmp_gt_i32 s13, 24
	s_cbranch_scc0 .LBB31_2073
; %bb.2064:
	global_load_u8 v1, v[14:15], off
	s_mov_b32 s15, 0
	s_mov_b32 s14, exec_lo
	s_wait_loadcnt 0x0
	v_cmpx_lt_i16_e32 0x7f, v1
	s_xor_b32 s14, exec_lo, s14
	s_cbranch_execz .LBB31_2085
; %bb.2065:
	v_cmp_ne_u16_e32 vcc_lo, 0x80, v1
	s_and_b32 s15, vcc_lo, exec_lo
	s_and_not1_saveexec_b32 s14, s14
	s_cbranch_execnz .LBB31_2086
.LBB31_2066:
	s_or_b32 exec_lo, exec_lo, s14
	v_mov_b64_e32 v[22:23], 0
	s_and_saveexec_b32 s14, s15
	s_cbranch_execz .LBB31_2068
.LBB31_2067:
	v_and_b32_e32 v3, 0xffff, v1
	s_delay_alu instid0(VALU_DEP_1) | instskip(SKIP_1) | instid1(VALU_DEP_2)
	v_dual_lshlrev_b32 v1, 24, v1 :: v_dual_bitop2_b32 v5, 3, v3 bitop3:0x40
	v_bfe_u32 v13, v3, 2, 5
	v_and_b32_e32 v1, 0x80000000, v1
	s_delay_alu instid0(VALU_DEP_3) | instskip(NEXT) | instid1(VALU_DEP_3)
	v_clz_i32_u32_e32 v7, v5
	v_cmp_eq_u32_e32 vcc_lo, 0, v13
	s_delay_alu instid0(VALU_DEP_2) | instskip(NEXT) | instid1(VALU_DEP_1)
	v_min_u32_e32 v7, 32, v7
	v_subrev_nc_u32_e32 v9, 29, v7
	v_sub_nc_u32_e32 v7, 30, v7
	s_delay_alu instid0(VALU_DEP_2) | instskip(NEXT) | instid1(VALU_DEP_2)
	v_lshlrev_b32_e32 v3, v9, v3
	v_cndmask_b32_e32 v7, v13, v7, vcc_lo
	s_delay_alu instid0(VALU_DEP_2) | instskip(NEXT) | instid1(VALU_DEP_1)
	v_and_b32_e32 v3, 3, v3
	v_cndmask_b32_e32 v3, v5, v3, vcc_lo
	s_delay_alu instid0(VALU_DEP_3) | instskip(NEXT) | instid1(VALU_DEP_2)
	v_lshl_add_u32 v5, v7, 23, 0x37800000
	v_lshlrev_b32_e32 v3, 21, v3
	s_delay_alu instid0(VALU_DEP_1) | instskip(NEXT) | instid1(VALU_DEP_1)
	v_or3_b32 v1, v1, v5, v3
	v_trunc_f32_e32 v1, v1
	s_delay_alu instid0(VALU_DEP_1) | instskip(SKIP_1) | instid1(VALU_DEP_2)
	v_mul_f32_e64 v3, 0x2f800000, |v1|
	v_ashrrev_i32_e32 v22, 31, v1
	v_floor_f32_e32 v3, v3
	s_delay_alu instid0(VALU_DEP_2) | instskip(NEXT) | instid1(VALU_DEP_2)
	v_mov_b32_e32 v23, v22
	v_fma_f32 v5, 0xcf800000, v3, |v1|
	v_cvt_u32_f32_e32 v1, v3
	s_delay_alu instid0(VALU_DEP_2) | instskip(NEXT) | instid1(VALU_DEP_2)
	v_cvt_u32_f32_e32 v3, v5
	v_xor_b32_e32 v25, v1, v22
	s_delay_alu instid0(VALU_DEP_2) | instskip(NEXT) | instid1(VALU_DEP_1)
	v_xor_b32_e32 v24, v3, v22
	v_sub_nc_u64_e32 v[22:23], v[24:25], v[22:23]
.LBB31_2068:
	s_or_b32 exec_lo, exec_lo, s14
	s_mov_b32 s14, 0
	s_branch .LBB31_2074
.LBB31_2069:
	s_mov_b32 s14, -1
                                        ; implicit-def: $vgpr22_vgpr23
	s_branch .LBB31_2080
.LBB31_2070:
	s_and_not1_saveexec_b32 s15, s15
	s_cbranch_execz .LBB31_2055
.LBB31_2071:
	v_cmp_ne_u16_e32 vcc_lo, 0, v1
	s_and_not1_b32 s16, s16, exec_lo
	s_and_b32 s17, vcc_lo, exec_lo
	s_delay_alu instid0(SALU_CYCLE_1)
	s_or_b32 s16, s16, s17
	s_or_b32 exec_lo, exec_lo, s15
	v_mov_b64_e32 v[22:23], 0
	s_and_saveexec_b32 s15, s16
	s_cbranch_execnz .LBB31_2056
	s_branch .LBB31_2057
.LBB31_2072:
	s_mov_b32 s14, -1
                                        ; implicit-def: $vgpr22_vgpr23
	s_branch .LBB31_2077
.LBB31_2073:
	s_mov_b32 s14, -1
                                        ; implicit-def: $vgpr22_vgpr23
.LBB31_2074:
	s_delay_alu instid0(SALU_CYCLE_1)
	s_and_b32 vcc_lo, exec_lo, s14
	s_cbranch_vccz .LBB31_2076
; %bb.2075:
	global_load_u8 v1, v[14:15], off
	s_wait_loadcnt 0x0
	v_lshlrev_b32_e32 v1, 24, v1
	s_delay_alu instid0(VALU_DEP_1) | instskip(NEXT) | instid1(VALU_DEP_1)
	v_and_b32_e32 v3, 0x7f000000, v1
	v_clz_i32_u32_e32 v5, v3
	v_add_nc_u32_e32 v9, 0x1000000, v3
	v_cmp_ne_u32_e32 vcc_lo, 0, v3
	s_delay_alu instid0(VALU_DEP_3) | instskip(NEXT) | instid1(VALU_DEP_1)
	v_min_u32_e32 v5, 32, v5
	v_sub_nc_u32_e64 v5, v5, 4 clamp
	s_delay_alu instid0(VALU_DEP_1) | instskip(NEXT) | instid1(VALU_DEP_1)
	v_dual_lshlrev_b32 v7, v5, v3 :: v_dual_lshlrev_b32 v5, 23, v5
	v_lshrrev_b32_e32 v7, 4, v7
	s_delay_alu instid0(VALU_DEP_1) | instskip(SKIP_1) | instid1(VALU_DEP_2)
	v_sub_nc_u32_e32 v5, v7, v5
	v_ashrrev_i32_e32 v7, 8, v9
	v_add_nc_u32_e32 v5, 0x3c000000, v5
	s_delay_alu instid0(VALU_DEP_1) | instskip(NEXT) | instid1(VALU_DEP_1)
	v_and_or_b32 v5, 0x7f800000, v7, v5
	v_cndmask_b32_e32 v3, 0, v5, vcc_lo
	s_delay_alu instid0(VALU_DEP_1) | instskip(NEXT) | instid1(VALU_DEP_1)
	v_and_or_b32 v1, 0x80000000, v1, v3
	v_trunc_f32_e32 v1, v1
	s_delay_alu instid0(VALU_DEP_1) | instskip(SKIP_2) | instid1(VALU_DEP_2)
	v_mul_f32_e64 v3, 0x2f800000, |v1|
	s_wait_xcnt 0x1
	v_ashrrev_i32_e32 v22, 31, v1
	v_floor_f32_e32 v3, v3
	s_delay_alu instid0(VALU_DEP_2) | instskip(NEXT) | instid1(VALU_DEP_2)
	v_mov_b32_e32 v23, v22
	v_fma_f32 v5, 0xcf800000, v3, |v1|
	v_cvt_u32_f32_e32 v1, v3
	s_delay_alu instid0(VALU_DEP_2) | instskip(NEXT) | instid1(VALU_DEP_2)
	v_cvt_u32_f32_e32 v3, v5
	v_xor_b32_e32 v25, v1, v22
	s_delay_alu instid0(VALU_DEP_2) | instskip(NEXT) | instid1(VALU_DEP_1)
	v_xor_b32_e32 v24, v3, v22
	v_sub_nc_u64_e32 v[22:23], v[24:25], v[22:23]
.LBB31_2076:
	s_mov_b32 s14, 0
.LBB31_2077:
	s_delay_alu instid0(SALU_CYCLE_1)
	s_and_not1_b32 vcc_lo, exec_lo, s14
	s_cbranch_vccnz .LBB31_2079
; %bb.2078:
	global_load_u8 v1, v[14:15], off
	s_wait_loadcnt 0x0
	v_lshlrev_b32_e32 v3, 25, v1
	v_lshlrev_b16 v1, 8, v1
	s_delay_alu instid0(VALU_DEP_1) | instskip(SKIP_1) | instid1(VALU_DEP_2)
	v_and_or_b32 v7, 0x7f00, v1, 0.5
	v_bfe_i32 v1, v1, 0, 16
	v_add_f32_e32 v7, -0.5, v7
	v_lshrrev_b32_e32 v5, 4, v3
	v_cmp_gt_u32_e32 vcc_lo, 0x8000000, v3
	s_delay_alu instid0(VALU_DEP_2) | instskip(NEXT) | instid1(VALU_DEP_1)
	v_or_b32_e32 v5, 0x70000000, v5
	v_mul_f32_e32 v5, 0x7800000, v5
	s_delay_alu instid0(VALU_DEP_1) | instskip(NEXT) | instid1(VALU_DEP_1)
	v_cndmask_b32_e32 v3, v5, v7, vcc_lo
	v_and_or_b32 v1, 0x80000000, v1, v3
	s_delay_alu instid0(VALU_DEP_1) | instskip(NEXT) | instid1(VALU_DEP_1)
	v_trunc_f32_e32 v1, v1
	v_mul_f32_e64 v3, 0x2f800000, |v1|
	s_wait_xcnt 0x1
	v_ashrrev_i32_e32 v22, 31, v1
	s_delay_alu instid0(VALU_DEP_2) | instskip(NEXT) | instid1(VALU_DEP_2)
	v_floor_f32_e32 v3, v3
	v_mov_b32_e32 v23, v22
	s_delay_alu instid0(VALU_DEP_2) | instskip(SKIP_1) | instid1(VALU_DEP_2)
	v_fma_f32 v5, 0xcf800000, v3, |v1|
	v_cvt_u32_f32_e32 v1, v3
	v_cvt_u32_f32_e32 v3, v5
	s_delay_alu instid0(VALU_DEP_2) | instskip(NEXT) | instid1(VALU_DEP_2)
	v_xor_b32_e32 v25, v1, v22
	v_xor_b32_e32 v24, v3, v22
	s_delay_alu instid0(VALU_DEP_1)
	v_sub_nc_u64_e32 v[22:23], v[24:25], v[22:23]
.LBB31_2079:
	s_mov_b32 s14, 0
	s_mov_b32 s15, -1
.LBB31_2080:
	s_and_not1_b32 vcc_lo, exec_lo, s14
	s_mov_b32 s14, 0
	s_cbranch_vccnz .LBB31_2091
; %bb.2081:
	s_cmp_gt_i32 s13, 14
	s_cbranch_scc0 .LBB31_2084
; %bb.2082:
	s_cmp_eq_u32 s13, 15
	s_cbranch_scc0 .LBB31_2087
; %bb.2083:
	global_load_u16 v1, v[14:15], off
	s_mov_b32 s0, 0
	s_mov_b32 s15, -1
	s_wait_loadcnt 0x0
	v_lshlrev_b32_e32 v1, 16, v1
	s_delay_alu instid0(VALU_DEP_1) | instskip(NEXT) | instid1(VALU_DEP_1)
	v_trunc_f32_e32 v1, v1
	v_mul_f32_e64 v3, 0x2f800000, |v1|
	s_wait_xcnt 0x1
	v_ashrrev_i32_e32 v22, 31, v1
	s_delay_alu instid0(VALU_DEP_2) | instskip(NEXT) | instid1(VALU_DEP_2)
	v_floor_f32_e32 v3, v3
	v_mov_b32_e32 v23, v22
	s_delay_alu instid0(VALU_DEP_2) | instskip(SKIP_1) | instid1(VALU_DEP_2)
	v_fma_f32 v5, 0xcf800000, v3, |v1|
	v_cvt_u32_f32_e32 v1, v3
	v_cvt_u32_f32_e32 v3, v5
	s_delay_alu instid0(VALU_DEP_2) | instskip(NEXT) | instid1(VALU_DEP_2)
	v_xor_b32_e32 v25, v1, v22
	v_xor_b32_e32 v24, v3, v22
	s_delay_alu instid0(VALU_DEP_1)
	v_sub_nc_u64_e32 v[22:23], v[24:25], v[22:23]
	s_branch .LBB31_2089
.LBB31_2084:
	s_mov_b32 s14, -1
	s_branch .LBB31_2088
.LBB31_2085:
	s_and_not1_saveexec_b32 s14, s14
	s_cbranch_execz .LBB31_2066
.LBB31_2086:
	v_cmp_ne_u16_e32 vcc_lo, 0, v1
	s_and_not1_b32 s15, s15, exec_lo
	s_and_b32 s16, vcc_lo, exec_lo
	s_delay_alu instid0(SALU_CYCLE_1)
	s_or_b32 s15, s15, s16
	s_or_b32 exec_lo, exec_lo, s14
	v_mov_b64_e32 v[22:23], 0
	s_and_saveexec_b32 s14, s15
	s_cbranch_execnz .LBB31_2067
	s_branch .LBB31_2068
.LBB31_2087:
	s_mov_b32 s0, -1
.LBB31_2088:
                                        ; implicit-def: $vgpr22_vgpr23
.LBB31_2089:
	s_and_b32 vcc_lo, exec_lo, s14
	s_mov_b32 s14, 0
	s_cbranch_vccz .LBB31_2091
; %bb.2090:
	s_cmp_lg_u32 s13, 11
	s_mov_b32 s14, -1
	s_cselect_b32 s0, -1, 0
.LBB31_2091:
	s_delay_alu instid0(SALU_CYCLE_1)
	s_and_b32 vcc_lo, exec_lo, s0
	s_cbranch_vccnz .LBB31_2164
; %bb.2092:
	s_and_not1_b32 vcc_lo, exec_lo, s14
	s_cbranch_vccnz .LBB31_2094
.LBB31_2093:
	global_load_u8 v1, v[14:15], off
	s_mov_b32 s0, 0
	s_mov_b32 s15, -1
	s_wait_loadcnt 0x1
	s_wait_xcnt 0x1
	v_mov_b32_e32 v23, s0
	s_wait_loadcnt 0x0
	v_cmp_ne_u16_e32 vcc_lo, 0, v1
	v_cndmask_b32_e64 v22, 0, 1, vcc_lo
.LBB31_2094:
	s_mov_b32 s0, 0
.LBB31_2095:
	s_delay_alu instid0(SALU_CYCLE_1)
	s_and_b32 vcc_lo, exec_lo, s0
	s_cbranch_vccz .LBB31_2144
; %bb.2096:
	s_cmp_lt_i32 s13, 5
	s_cbranch_scc1 .LBB31_2101
; %bb.2097:
	s_cmp_lt_i32 s13, 8
	s_cbranch_scc1 .LBB31_2102
	;; [unrolled: 3-line block ×3, first 2 shown]
; %bb.2099:
	s_cmp_gt_i32 s13, 9
	s_cbranch_scc0 .LBB31_2104
; %bb.2100:
	s_wait_loadcnt 0x0
	global_load_b64 v[22:23], v[14:15], off
	s_mov_b32 s0, 0
	s_wait_loadcnt 0x0
	v_trunc_f64_e32 v[22:23], v[22:23]
	s_delay_alu instid0(VALU_DEP_1) | instskip(NEXT) | instid1(VALU_DEP_1)
	v_ldexp_f64 v[24:25], v[22:23], 0xffffffe0
	v_floor_f64_e32 v[24:25], v[24:25]
	s_delay_alu instid0(VALU_DEP_1) | instskip(SKIP_1) | instid1(VALU_DEP_2)
	v_fmamk_f64 v[26:27], v[24:25], 0xc1f00000, v[22:23]
	v_cvt_i32_f64_e32 v23, v[24:25]
	v_cvt_u32_f64_e32 v22, v[26:27]
	s_branch .LBB31_2105
.LBB31_2101:
	s_mov_b32 s0, -1
                                        ; implicit-def: $vgpr22_vgpr23
	s_branch .LBB31_2123
.LBB31_2102:
	s_mov_b32 s0, -1
                                        ; implicit-def: $vgpr22_vgpr23
	s_branch .LBB31_2111
.LBB31_2103:
	s_mov_b32 s0, -1
                                        ; implicit-def: $vgpr22_vgpr23
	s_branch .LBB31_2108
.LBB31_2104:
	s_mov_b32 s0, -1
                                        ; implicit-def: $vgpr22_vgpr23
.LBB31_2105:
	s_delay_alu instid0(SALU_CYCLE_1)
	s_and_not1_b32 vcc_lo, exec_lo, s0
	s_cbranch_vccnz .LBB31_2107
; %bb.2106:
	global_load_b32 v1, v[14:15], off
	s_wait_loadcnt 0x0
	v_trunc_f32_e32 v1, v1
	s_delay_alu instid0(VALU_DEP_1) | instskip(SKIP_2) | instid1(VALU_DEP_2)
	v_mul_f32_e64 v3, 0x2f800000, |v1|
	s_wait_xcnt 0x1
	v_ashrrev_i32_e32 v22, 31, v1
	v_floor_f32_e32 v3, v3
	s_delay_alu instid0(VALU_DEP_1) | instskip(SKIP_1) | instid1(VALU_DEP_4)
	v_fma_f32 v5, 0xcf800000, v3, |v1|
	v_cvt_u32_f32_e32 v1, v3
	v_mov_b32_e32 v23, v22
	s_delay_alu instid0(VALU_DEP_3) | instskip(NEXT) | instid1(VALU_DEP_3)
	v_cvt_u32_f32_e32 v3, v5
	v_xor_b32_e32 v25, v1, v22
	s_delay_alu instid0(VALU_DEP_2) | instskip(NEXT) | instid1(VALU_DEP_1)
	v_xor_b32_e32 v24, v3, v22
	v_sub_nc_u64_e32 v[22:23], v[24:25], v[22:23]
.LBB31_2107:
	s_mov_b32 s0, 0
.LBB31_2108:
	s_delay_alu instid0(SALU_CYCLE_1)
	s_and_not1_b32 vcc_lo, exec_lo, s0
	s_cbranch_vccnz .LBB31_2110
; %bb.2109:
	global_load_b32 v1, v[14:15], off
	s_wait_loadcnt 0x0
	v_cvt_f32_f16_e32 v1, v1
	s_wait_xcnt 0x1
	s_delay_alu instid0(VALU_DEP_1) | instskip(NEXT) | instid1(VALU_DEP_1)
	v_cvt_i32_f32_e32 v22, v1
	v_ashrrev_i32_e32 v23, 31, v22
.LBB31_2110:
	s_mov_b32 s0, 0
.LBB31_2111:
	s_delay_alu instid0(SALU_CYCLE_1)
	s_and_not1_b32 vcc_lo, exec_lo, s0
	s_cbranch_vccnz .LBB31_2122
; %bb.2112:
	s_cmp_lt_i32 s13, 6
	s_cbranch_scc1 .LBB31_2115
; %bb.2113:
	s_cmp_gt_i32 s13, 6
	s_cbranch_scc0 .LBB31_2116
; %bb.2114:
	s_wait_loadcnt 0x0
	global_load_b64 v[22:23], v[14:15], off
	s_mov_b32 s0, 0
	s_wait_loadcnt 0x0
	v_trunc_f64_e32 v[22:23], v[22:23]
	s_delay_alu instid0(VALU_DEP_1) | instskip(NEXT) | instid1(VALU_DEP_1)
	v_ldexp_f64 v[24:25], v[22:23], 0xffffffe0
	v_floor_f64_e32 v[24:25], v[24:25]
	s_delay_alu instid0(VALU_DEP_1) | instskip(SKIP_1) | instid1(VALU_DEP_2)
	v_fmamk_f64 v[26:27], v[24:25], 0xc1f00000, v[22:23]
	v_cvt_i32_f64_e32 v23, v[24:25]
	v_cvt_u32_f64_e32 v22, v[26:27]
	s_branch .LBB31_2117
.LBB31_2115:
	s_mov_b32 s0, -1
                                        ; implicit-def: $vgpr22_vgpr23
	s_branch .LBB31_2120
.LBB31_2116:
	s_mov_b32 s0, -1
                                        ; implicit-def: $vgpr22_vgpr23
.LBB31_2117:
	s_delay_alu instid0(SALU_CYCLE_1)
	s_and_not1_b32 vcc_lo, exec_lo, s0
	s_cbranch_vccnz .LBB31_2119
; %bb.2118:
	global_load_b32 v1, v[14:15], off
	s_wait_loadcnt 0x0
	v_trunc_f32_e32 v1, v1
	s_delay_alu instid0(VALU_DEP_1) | instskip(SKIP_2) | instid1(VALU_DEP_2)
	v_mul_f32_e64 v3, 0x2f800000, |v1|
	s_wait_xcnt 0x1
	v_ashrrev_i32_e32 v22, 31, v1
	v_floor_f32_e32 v3, v3
	s_delay_alu instid0(VALU_DEP_1) | instskip(SKIP_1) | instid1(VALU_DEP_4)
	v_fma_f32 v5, 0xcf800000, v3, |v1|
	v_cvt_u32_f32_e32 v1, v3
	v_mov_b32_e32 v23, v22
	s_delay_alu instid0(VALU_DEP_3) | instskip(NEXT) | instid1(VALU_DEP_3)
	v_cvt_u32_f32_e32 v3, v5
	v_xor_b32_e32 v25, v1, v22
	s_delay_alu instid0(VALU_DEP_2) | instskip(NEXT) | instid1(VALU_DEP_1)
	v_xor_b32_e32 v24, v3, v22
	v_sub_nc_u64_e32 v[22:23], v[24:25], v[22:23]
.LBB31_2119:
	s_mov_b32 s0, 0
.LBB31_2120:
	s_delay_alu instid0(SALU_CYCLE_1)
	s_and_not1_b32 vcc_lo, exec_lo, s0
	s_cbranch_vccnz .LBB31_2122
; %bb.2121:
	global_load_u16 v1, v[14:15], off
	s_wait_loadcnt 0x0
	v_cvt_f32_f16_e32 v1, v1
	s_wait_xcnt 0x1
	s_delay_alu instid0(VALU_DEP_1) | instskip(NEXT) | instid1(VALU_DEP_1)
	v_cvt_i32_f32_e32 v22, v1
	v_ashrrev_i32_e32 v23, 31, v22
.LBB31_2122:
	s_mov_b32 s0, 0
.LBB31_2123:
	s_delay_alu instid0(SALU_CYCLE_1)
	s_and_not1_b32 vcc_lo, exec_lo, s0
	s_cbranch_vccnz .LBB31_2143
; %bb.2124:
	s_cmp_lt_i32 s13, 2
	s_cbranch_scc1 .LBB31_2128
; %bb.2125:
	s_cmp_lt_i32 s13, 3
	s_cbranch_scc1 .LBB31_2129
; %bb.2126:
	s_cmp_gt_i32 s13, 3
	s_cbranch_scc0 .LBB31_2130
; %bb.2127:
	s_wait_loadcnt 0x0
	global_load_b64 v[22:23], v[14:15], off
	s_mov_b32 s0, 0
	s_branch .LBB31_2131
.LBB31_2128:
	s_mov_b32 s0, -1
                                        ; implicit-def: $vgpr22_vgpr23
	s_branch .LBB31_2137
.LBB31_2129:
	s_mov_b32 s0, -1
                                        ; implicit-def: $vgpr22_vgpr23
	s_branch .LBB31_2134
.LBB31_2130:
	s_mov_b32 s0, -1
                                        ; implicit-def: $vgpr22_vgpr23
.LBB31_2131:
	s_delay_alu instid0(SALU_CYCLE_1)
	s_and_not1_b32 vcc_lo, exec_lo, s0
	s_cbranch_vccnz .LBB31_2133
; %bb.2132:
	s_wait_loadcnt 0x0
	global_load_b32 v22, v[14:15], off
	s_wait_loadcnt 0x0
	v_ashrrev_i32_e32 v23, 31, v22
.LBB31_2133:
	s_mov_b32 s0, 0
.LBB31_2134:
	s_delay_alu instid0(SALU_CYCLE_1)
	s_and_not1_b32 vcc_lo, exec_lo, s0
	s_cbranch_vccnz .LBB31_2136
; %bb.2135:
	global_load_u16 v1, v[14:15], off
	s_wait_loadcnt 0x0
	s_wait_xcnt 0x1
	v_bfe_i32 v22, v1, 0, 16
	s_delay_alu instid0(VALU_DEP_1)
	v_ashrrev_i32_e32 v23, 31, v22
.LBB31_2136:
	s_mov_b32 s0, 0
.LBB31_2137:
	s_delay_alu instid0(SALU_CYCLE_1)
	s_and_not1_b32 vcc_lo, exec_lo, s0
	s_cbranch_vccnz .LBB31_2143
; %bb.2138:
	s_cmp_gt_i32 s13, 0
	s_mov_b32 s0, 0
	s_cbranch_scc0 .LBB31_2140
; %bb.2139:
	global_load_i8 v1, v[14:15], off
	s_wait_loadcnt 0x0
	s_wait_xcnt 0x1
	v_bfe_i32 v22, v1, 0, 16
	s_delay_alu instid0(VALU_DEP_1)
	v_ashrrev_i32_e32 v23, 31, v22
	s_branch .LBB31_2141
.LBB31_2140:
	s_mov_b32 s0, -1
                                        ; implicit-def: $vgpr22_vgpr23
.LBB31_2141:
	s_delay_alu instid0(SALU_CYCLE_1)
	s_and_not1_b32 vcc_lo, exec_lo, s0
	s_cbranch_vccnz .LBB31_2143
; %bb.2142:
	global_load_u8 v1, v[14:15], off
	s_mov_b32 s0, 0
	s_wait_loadcnt 0x1
	s_wait_xcnt 0x1
	v_mov_b32_e32 v23, s0
	s_wait_loadcnt 0x0
	v_and_b32_e32 v22, 0xffff, v1
.LBB31_2143:
	s_mov_b32 s15, -1
.LBB31_2144:
	s_delay_alu instid0(SALU_CYCLE_1)
	s_and_not1_b32 vcc_lo, exec_lo, s15
	s_cbranch_vccnz .LBB31_2673
; %bb.2145:
	s_wait_loadcnt 0x0
	s_delay_alu instid0(VALU_DEP_1) | instskip(SKIP_1) | instid1(VALU_DEP_1)
	v_sub_nc_u64_e32 v[14:15], 0, v[22:23]
	s_mov_b32 s14, exec_lo
	v_max_i64 v[14:15], v[22:23], v[14:15]
	v_cmpx_ne_u64_e32 0, v[20:21]
	s_cbranch_execz .LBB31_2153
; %bb.2146:
	v_sub_nc_u64_e32 v[22:23], 0, v[20:21]
	s_mov_b32 s15, 0
	s_delay_alu instid0(VALU_DEP_1)
	v_max_i64 v[24:25], v[20:21], v[22:23]
	v_mov_b32_e32 v20, 0
	s_branch .LBB31_2148
.LBB31_2147:                            ;   in Loop: Header=BB31_2148 Depth=1
	s_or_b32 exec_lo, exec_lo, s0
	s_delay_alu instid0(VALU_DEP_1) | instskip(SKIP_2) | instid1(SALU_CYCLE_1)
	v_cmp_eq_u64_e32 vcc_lo, 0, v[24:25]
	v_mov_b64_e32 v[14:15], v[22:23]
	s_or_b32 s15, vcc_lo, s15
	s_and_not1_b32 exec_lo, exec_lo, s15
	s_cbranch_execz .LBB31_2152
.LBB31_2148:                            ; =>This Inner Loop Header: Depth=1
	s_delay_alu instid0(VALU_DEP_2) | instskip(SKIP_1) | instid1(VALU_DEP_1)
	v_mov_b64_e32 v[22:23], v[24:25]
                                        ; implicit-def: $vgpr24_vgpr25
	s_mov_b32 s0, exec_lo
	v_or_b32_e32 v21, v15, v23
	s_delay_alu instid0(VALU_DEP_1)
	v_cmpx_ne_u64_e32 0, v[20:21]
	s_xor_b32 s16, exec_lo, s0
	s_cbranch_execz .LBB31_2150
; %bb.2149:                             ;   in Loop: Header=BB31_2148 Depth=1
	s_delay_alu instid0(VALU_DEP_3) | instskip(SKIP_4) | instid1(VALU_DEP_4)
	v_cvt_f32_u32_e32 v1, v22
	v_cvt_f32_u32_e32 v3, v23
	v_sub_nc_u64_e32 v[26:27], 0, v[22:23]
	v_dual_mov_b32 v25, v20 :: v_dual_mov_b32 v33, v20
	v_mov_b32_e32 v35, v20
	v_fmac_f32_e32 v1, 0x4f800000, v3
	s_delay_alu instid0(VALU_DEP_1) | instskip(SKIP_1) | instid1(TRANS32_DEP_1)
	v_rcp_f32_e32 v1, v1
	v_nop
	v_mul_f32_e32 v1, 0x5f7ffffc, v1
	s_delay_alu instid0(VALU_DEP_1) | instskip(NEXT) | instid1(VALU_DEP_1)
	v_mul_f32_e32 v3, 0x2f800000, v1
	v_trunc_f32_e32 v3, v3
	s_delay_alu instid0(VALU_DEP_1) | instskip(SKIP_1) | instid1(VALU_DEP_2)
	v_fmac_f32_e32 v1, 0xcf800000, v3
	v_cvt_u32_f32_e32 v29, v3
	v_cvt_u32_f32_e32 v24, v1
	s_delay_alu instid0(VALU_DEP_1) | instskip(NEXT) | instid1(VALU_DEP_1)
	v_dual_mov_b32 v34, v29 :: v_dual_mov_b32 v28, v24
	v_mul_u64_e32 v[30:31], v[26:27], v[28:29]
	s_delay_alu instid0(VALU_DEP_1) | instskip(NEXT) | instid1(VALU_DEP_1)
	v_dual_mov_b32 v32, v31 :: v_dual_mov_b32 v31, v20
	v_mul_u64_e32 v[36:37], v[24:25], v[32:33]
	s_delay_alu instid0(VALU_DEP_2) | instskip(SKIP_2) | instid1(VALU_DEP_1)
	v_mul_u64_e32 v[38:39], v[34:35], v[30:31]
	v_mul_u64_e32 v[32:33], v[34:35], v[32:33]
	v_mul_hi_u32 v30, v24, v30
	v_add_nc_u64_e32 v[30:31], v[30:31], v[36:37]
	s_delay_alu instid0(VALU_DEP_1) | instskip(NEXT) | instid1(VALU_DEP_2)
	v_add_co_u32 v1, vcc_lo, v30, v38
	v_add_co_ci_u32_e32 v34, vcc_lo, v31, v39, vcc_lo
	v_add_co_ci_u32_e32 v33, vcc_lo, 0, v33, vcc_lo
	s_delay_alu instid0(VALU_DEP_1) | instskip(NEXT) | instid1(VALU_DEP_1)
	v_add_nc_u64_e32 v[30:31], v[34:35], v[32:33]
	v_add_co_u32 v24, vcc_lo, v24, v30
	s_delay_alu instid0(VALU_DEP_1) | instskip(SKIP_1) | instid1(VALU_DEP_2)
	v_add_co_ci_u32_e64 v28, null, v29, v31, vcc_lo
	v_dual_mov_b32 v31, v20 :: v_dual_mov_b32 v29, v20
	v_mov_b32_e32 v25, v28
	s_delay_alu instid0(VALU_DEP_1) | instskip(NEXT) | instid1(VALU_DEP_1)
	v_mul_u64_e32 v[26:27], v[26:27], v[24:25]
	v_dual_mov_b32 v25, v20 :: v_dual_mov_b32 v30, v27
	s_delay_alu instid0(VALU_DEP_2) | instskip(SKIP_1) | instid1(VALU_DEP_3)
	v_dual_mov_b32 v34, v26 :: v_dual_mov_b32 v27, v20
	v_mul_hi_u32 v26, v24, v26
	v_mul_u64_e32 v[32:33], v[24:25], v[30:31]
	s_delay_alu instid0(VALU_DEP_3) | instskip(SKIP_1) | instid1(VALU_DEP_3)
	v_mul_u64_e32 v[34:35], v[28:29], v[34:35]
	v_mul_u64_e32 v[30:31], v[28:29], v[30:31]
	v_add_nc_u64_e32 v[26:27], v[26:27], v[32:33]
	v_mov_b32_e32 v33, v20
	s_delay_alu instid0(VALU_DEP_2) | instskip(NEXT) | instid1(VALU_DEP_3)
	v_add_co_u32 v1, vcc_lo, v26, v34
	v_add_co_ci_u32_e32 v32, vcc_lo, v27, v35, vcc_lo
	v_add_co_ci_u32_e32 v31, vcc_lo, 0, v31, vcc_lo
	s_delay_alu instid0(VALU_DEP_1) | instskip(SKIP_1) | instid1(VALU_DEP_2)
	v_add_nc_u64_e32 v[26:27], v[32:33], v[30:31]
	v_dual_mov_b32 v30, v14 :: v_dual_mov_b32 v31, v20
	v_add_co_u32 v26, vcc_lo, v24, v26
	s_delay_alu instid0(VALU_DEP_1) | instskip(SKIP_1) | instid1(VALU_DEP_2)
	v_add_co_ci_u32_e64 v24, null, v28, v27, vcc_lo
	v_dual_mov_b32 v28, v15 :: v_dual_mov_b32 v27, v20
	v_mul_u64_e32 v[30:31], v[30:31], v[24:25]
	s_delay_alu instid0(VALU_DEP_2) | instskip(NEXT) | instid1(VALU_DEP_3)
	v_mul_u64_e32 v[24:25], v[28:29], v[24:25]
	v_mul_u64_e32 v[32:33], v[28:29], v[26:27]
	v_mul_hi_u32 v26, v14, v26
	s_delay_alu instid0(VALU_DEP_1) | instskip(NEXT) | instid1(VALU_DEP_1)
	v_add_nc_u64_e32 v[26:27], v[26:27], v[30:31]
	v_add_co_u32 v1, vcc_lo, v26, v32
	s_delay_alu instid0(VALU_DEP_2) | instskip(SKIP_1) | instid1(VALU_DEP_1)
	v_add_co_ci_u32_e32 v28, vcc_lo, v27, v33, vcc_lo
	v_add_co_ci_u32_e32 v25, vcc_lo, 0, v25, vcc_lo
	v_add_nc_u64_e32 v[24:25], v[28:29], v[24:25]
	s_delay_alu instid0(VALU_DEP_1) | instskip(NEXT) | instid1(VALU_DEP_1)
	v_mul_u64_e32 v[24:25], v[22:23], v[24:25]
	v_sub_nc_u32_e32 v1, v15, v25
	s_delay_alu instid0(VALU_DEP_2) | instskip(NEXT) | instid1(VALU_DEP_1)
	v_sub_co_u32 v3, vcc_lo, v14, v24
	v_sub_co_ci_u32_e64 v5, null, v15, v25, vcc_lo
	s_delay_alu instid0(VALU_DEP_3) | instskip(NEXT) | instid1(VALU_DEP_3)
	v_sub_co_ci_u32_e64 v1, null, v1, v23, vcc_lo
	v_sub_co_u32 v7, vcc_lo, v3, v22
	v_cmp_ge_u32_e64 s0, v3, v22
	s_delay_alu instid0(VALU_DEP_3) | instskip(SKIP_1) | instid1(VALU_DEP_3)
	v_subrev_co_ci_u32_e64 v9, null, 0, v1, vcc_lo
	v_sub_co_ci_u32_e64 v1, null, v1, v23, vcc_lo
	v_cndmask_b32_e64 v13, 0, -1, s0
	v_cmp_ge_u32_e64 s0, v7, v22
	v_cmp_ge_u32_e32 vcc_lo, v5, v23
	s_delay_alu instid0(VALU_DEP_2) | instskip(SKIP_3) | instid1(VALU_DEP_3)
	v_cndmask_b32_e64 v14, 0, -1, s0
	v_cmp_ge_u32_e64 s0, v9, v23
	v_cndmask_b32_e64 v17, 0, -1, vcc_lo
	v_cmp_eq_u32_e32 vcc_lo, v9, v23
	v_cndmask_b32_e64 v15, 0, -1, s0
	v_cmp_eq_u32_e64 s0, v5, v23
	s_delay_alu instid0(VALU_DEP_1) | instskip(SKIP_1) | instid1(VALU_DEP_1)
	v_dual_cndmask_b32 v14, v15, v14, vcc_lo :: v_dual_cndmask_b32 v13, v17, v13, s0
	v_sub_co_u32 v15, vcc_lo, v7, v22
	v_subrev_co_ci_u32_e64 v1, null, 0, v1, vcc_lo
	s_delay_alu instid0(VALU_DEP_3) | instskip(NEXT) | instid1(VALU_DEP_2)
	v_cmp_ne_u32_e32 vcc_lo, 0, v14
	v_dual_cndmask_b32 v1, v9, v1, vcc_lo :: v_dual_cndmask_b32 v7, v7, v15, vcc_lo
	v_cmp_ne_u32_e32 vcc_lo, 0, v13
                                        ; implicit-def: $vgpr14_vgpr15
	s_delay_alu instid0(VALU_DEP_2)
	v_dual_cndmask_b32 v25, v5, v1 :: v_dual_cndmask_b32 v24, v3, v7
.LBB31_2150:                            ;   in Loop: Header=BB31_2148 Depth=1
	s_and_not1_saveexec_b32 s0, s16
	s_cbranch_execz .LBB31_2147
; %bb.2151:                             ;   in Loop: Header=BB31_2148 Depth=1
	v_cvt_f32_u32_e32 v1, v22
	v_dual_sub_nc_u32 v3, 0, v22 :: v_dual_mov_b32 v25, v20
	s_delay_alu instid0(VALU_DEP_2) | instskip(SKIP_1) | instid1(TRANS32_DEP_1)
	v_rcp_iflag_f32_e32 v1, v1
	v_nop
	v_mul_f32_e32 v1, 0x4f7ffffe, v1
	s_delay_alu instid0(VALU_DEP_1) | instskip(NEXT) | instid1(VALU_DEP_1)
	v_cvt_u32_f32_e32 v1, v1
	v_mul_lo_u32 v3, v3, v1
	s_delay_alu instid0(VALU_DEP_1) | instskip(NEXT) | instid1(VALU_DEP_1)
	v_mul_hi_u32 v3, v1, v3
	v_add_nc_u32_e32 v1, v1, v3
	s_delay_alu instid0(VALU_DEP_1) | instskip(NEXT) | instid1(VALU_DEP_1)
	v_mul_hi_u32 v1, v14, v1
	v_mul_lo_u32 v1, v1, v22
	s_delay_alu instid0(VALU_DEP_1) | instskip(NEXT) | instid1(VALU_DEP_1)
	v_sub_nc_u32_e32 v1, v14, v1
	v_sub_nc_u32_e32 v3, v1, v22
	v_cmp_ge_u32_e32 vcc_lo, v1, v22
	s_delay_alu instid0(VALU_DEP_2) | instskip(NEXT) | instid1(VALU_DEP_1)
	v_cndmask_b32_e32 v1, v1, v3, vcc_lo
	v_sub_nc_u32_e32 v3, v1, v22
	v_cmp_ge_u32_e32 vcc_lo, v1, v22
	s_delay_alu instid0(VALU_DEP_2)
	v_cndmask_b32_e32 v24, v1, v3, vcc_lo
	s_branch .LBB31_2147
.LBB31_2152:
	s_or_b32 exec_lo, exec_lo, s15
	v_mov_b64_e32 v[14:15], v[22:23]
.LBB31_2153:
	s_or_b32 exec_lo, exec_lo, s14
	v_mov_b32_e32 v19, 0
	s_cmp_lt_i32 s12, 11
	s_delay_alu instid0(VALU_DEP_1)
	v_add_nc_u64_e32 v[20:21], s[6:7], v[18:19]
	s_cbranch_scc1 .LBB31_2160
; %bb.2154:
	s_cmp_gt_i32 s12, 25
	s_mov_b32 s14, 0
	s_cbranch_scc0 .LBB31_2161
; %bb.2155:
	s_cmp_gt_i32 s12, 28
	s_cbranch_scc0 .LBB31_2162
; %bb.2156:
	s_cmp_gt_i32 s12, 43
	;; [unrolled: 3-line block ×3, first 2 shown]
	s_cbranch_scc0 .LBB31_2165
; %bb.2158:
	s_cmp_eq_u32 s12, 46
	s_mov_b32 s16, 0
	s_cbranch_scc0 .LBB31_2166
; %bb.2159:
	global_load_b32 v1, v[20:21], off
	s_mov_b32 s0, 0
	s_mov_b32 s15, -1
	s_wait_loadcnt 0x0
	v_lshlrev_b32_e32 v1, 16, v1
	s_delay_alu instid0(VALU_DEP_1) | instskip(NEXT) | instid1(VALU_DEP_1)
	v_trunc_f32_e32 v1, v1
	v_mul_f32_e64 v3, 0x2f800000, |v1|
	v_ashrrev_i32_e32 v18, 31, v1
	s_delay_alu instid0(VALU_DEP_2) | instskip(NEXT) | instid1(VALU_DEP_2)
	v_floor_f32_e32 v3, v3
	v_mov_b32_e32 v19, v18
	s_delay_alu instid0(VALU_DEP_2) | instskip(SKIP_1) | instid1(VALU_DEP_2)
	v_fma_f32 v5, 0xcf800000, v3, |v1|
	v_cvt_u32_f32_e32 v1, v3
	v_cvt_u32_f32_e32 v3, v5
	s_delay_alu instid0(VALU_DEP_2) | instskip(NEXT) | instid1(VALU_DEP_2)
	v_xor_b32_e32 v23, v1, v18
	v_xor_b32_e32 v22, v3, v18
	s_delay_alu instid0(VALU_DEP_1)
	v_sub_nc_u64_e32 v[18:19], v[22:23], v[18:19]
	s_branch .LBB31_2168
.LBB31_2160:
	s_mov_b32 s0, -1
	s_mov_b32 s15, 0
                                        ; implicit-def: $vgpr18_vgpr19
	s_branch .LBB31_2230
.LBB31_2161:
	s_mov_b32 s16, -1
	s_mov_b32 s15, 0
	s_mov_b32 s0, 0
                                        ; implicit-def: $vgpr18_vgpr19
	s_branch .LBB31_2195
.LBB31_2162:
	s_mov_b32 s16, -1
	s_mov_b32 s15, 0
	s_mov_b32 s0, 0
                                        ; implicit-def: $vgpr18_vgpr19
	s_branch .LBB31_2178
.LBB31_2163:
	s_mov_b32 s16, -1
	s_mov_b32 s15, 0
	s_mov_b32 s0, 0
                                        ; implicit-def: $vgpr18_vgpr19
	s_branch .LBB31_2173
.LBB31_2164:
	s_or_b32 s1, s1, exec_lo
	s_trap 2
	s_cbranch_execz .LBB31_2093
	s_branch .LBB31_2094
.LBB31_2165:
	s_mov_b32 s16, -1
	s_mov_b32 s15, 0
	s_mov_b32 s0, 0
	s_branch .LBB31_2167
.LBB31_2166:
	s_mov_b32 s0, -1
	s_mov_b32 s15, 0
.LBB31_2167:
                                        ; implicit-def: $vgpr18_vgpr19
.LBB31_2168:
	s_and_b32 vcc_lo, exec_lo, s16
	s_cbranch_vccz .LBB31_2172
; %bb.2169:
	s_cmp_eq_u32 s12, 44
	s_cbranch_scc0 .LBB31_2171
; %bb.2170:
	global_load_u8 v1, v[20:21], off
	s_mov_b32 s0, 0
	s_mov_b32 s15, -1
	s_wait_loadcnt 0x0
	v_lshlrev_b32_e32 v3, 23, v1
	v_cmp_ne_u32_e32 vcc_lo, 0, v1
	s_delay_alu instid0(VALU_DEP_2) | instskip(NEXT) | instid1(VALU_DEP_1)
	v_trunc_f32_e32 v3, v3
	v_mul_f32_e64 v5, 0x2f800000, |v3|
	v_ashrrev_i32_e32 v18, 31, v3
	s_delay_alu instid0(VALU_DEP_2) | instskip(NEXT) | instid1(VALU_DEP_2)
	v_floor_f32_e32 v5, v5
	v_mov_b32_e32 v19, v18
	s_delay_alu instid0(VALU_DEP_2) | instskip(SKIP_1) | instid1(VALU_DEP_2)
	v_fma_f32 v7, 0xcf800000, v5, |v3|
	v_cvt_u32_f32_e32 v3, v5
	v_cvt_u32_f32_e32 v5, v7
	s_delay_alu instid0(VALU_DEP_2) | instskip(NEXT) | instid1(VALU_DEP_2)
	v_xor_b32_e32 v23, v3, v18
	v_xor_b32_e32 v22, v5, v18
	s_delay_alu instid0(VALU_DEP_1) | instskip(NEXT) | instid1(VALU_DEP_1)
	v_sub_nc_u64_e32 v[18:19], v[22:23], v[18:19]
	v_dual_cndmask_b32 v19, 0, v19 :: v_dual_cndmask_b32 v18, 0, v18
	s_branch .LBB31_2172
.LBB31_2171:
	s_mov_b32 s0, -1
                                        ; implicit-def: $vgpr18_vgpr19
.LBB31_2172:
	s_mov_b32 s16, 0
.LBB31_2173:
	s_delay_alu instid0(SALU_CYCLE_1)
	s_and_b32 vcc_lo, exec_lo, s16
	s_cbranch_vccz .LBB31_2177
; %bb.2174:
	s_cmp_eq_u32 s12, 29
	s_cbranch_scc0 .LBB31_2176
; %bb.2175:
	global_load_b64 v[18:19], v[20:21], off
	s_mov_b32 s0, 0
	s_mov_b32 s15, -1
	s_branch .LBB31_2177
.LBB31_2176:
	s_mov_b32 s0, -1
                                        ; implicit-def: $vgpr18_vgpr19
.LBB31_2177:
	s_mov_b32 s16, 0
.LBB31_2178:
	s_delay_alu instid0(SALU_CYCLE_1)
	s_and_b32 vcc_lo, exec_lo, s16
	s_cbranch_vccz .LBB31_2194
; %bb.2179:
	s_cmp_lt_i32 s12, 27
	s_cbranch_scc1 .LBB31_2182
; %bb.2180:
	s_cmp_gt_i32 s12, 27
	s_cbranch_scc0 .LBB31_2183
; %bb.2181:
	s_wait_loadcnt 0x0
	global_load_b32 v18, v[20:21], off
	v_mov_b32_e32 v19, 0
	s_mov_b32 s15, 0
	s_branch .LBB31_2184
.LBB31_2182:
	s_mov_b32 s15, -1
                                        ; implicit-def: $vgpr18_vgpr19
	s_branch .LBB31_2187
.LBB31_2183:
	s_mov_b32 s15, -1
                                        ; implicit-def: $vgpr18_vgpr19
.LBB31_2184:
	s_delay_alu instid0(SALU_CYCLE_1)
	s_and_not1_b32 vcc_lo, exec_lo, s15
	s_cbranch_vccnz .LBB31_2186
; %bb.2185:
	global_load_u16 v1, v[20:21], off
	s_mov_b32 s15, 0
	s_wait_loadcnt 0x1
	v_mov_b32_e32 v19, s15
	s_wait_loadcnt 0x0
	v_and_b32_e32 v18, 0xffff, v1
.LBB31_2186:
	s_mov_b32 s15, 0
.LBB31_2187:
	s_delay_alu instid0(SALU_CYCLE_1)
	s_and_not1_b32 vcc_lo, exec_lo, s15
	s_cbranch_vccnz .LBB31_2193
; %bb.2188:
	global_load_u8 v1, v[20:21], off
	s_mov_b32 s16, 0
	s_mov_b32 s15, exec_lo
	s_wait_loadcnt 0x0
	v_cmpx_lt_i16_e32 0x7f, v1
	s_xor_b32 s15, exec_lo, s15
	s_cbranch_execz .LBB31_2205
; %bb.2189:
	v_cmp_ne_u16_e32 vcc_lo, 0x80, v1
	s_and_b32 s16, vcc_lo, exec_lo
	s_and_not1_saveexec_b32 s15, s15
	s_cbranch_execnz .LBB31_2206
.LBB31_2190:
	s_or_b32 exec_lo, exec_lo, s15
	v_mov_b64_e32 v[18:19], 0
	s_and_saveexec_b32 s15, s16
	s_cbranch_execz .LBB31_2192
.LBB31_2191:
	v_and_b32_e32 v3, 0xffff, v1
	s_delay_alu instid0(VALU_DEP_1) | instskip(SKIP_1) | instid1(VALU_DEP_2)
	v_dual_lshlrev_b32 v1, 24, v1 :: v_dual_bitop2_b32 v5, 7, v3 bitop3:0x40
	v_bfe_u32 v13, v3, 3, 4
	v_and_b32_e32 v1, 0x80000000, v1
	s_delay_alu instid0(VALU_DEP_3) | instskip(NEXT) | instid1(VALU_DEP_3)
	v_clz_i32_u32_e32 v7, v5
	v_cmp_eq_u32_e32 vcc_lo, 0, v13
	s_delay_alu instid0(VALU_DEP_2) | instskip(NEXT) | instid1(VALU_DEP_1)
	v_min_u32_e32 v7, 32, v7
	v_subrev_nc_u32_e32 v9, 28, v7
	v_sub_nc_u32_e32 v7, 29, v7
	s_delay_alu instid0(VALU_DEP_2) | instskip(NEXT) | instid1(VALU_DEP_2)
	v_lshlrev_b32_e32 v3, v9, v3
	v_cndmask_b32_e32 v7, v13, v7, vcc_lo
	s_delay_alu instid0(VALU_DEP_2) | instskip(NEXT) | instid1(VALU_DEP_1)
	v_and_b32_e32 v3, 7, v3
	v_cndmask_b32_e32 v3, v5, v3, vcc_lo
	s_delay_alu instid0(VALU_DEP_3) | instskip(NEXT) | instid1(VALU_DEP_2)
	v_lshl_add_u32 v5, v7, 23, 0x3b800000
	v_lshlrev_b32_e32 v3, 20, v3
	s_delay_alu instid0(VALU_DEP_1) | instskip(NEXT) | instid1(VALU_DEP_1)
	v_or3_b32 v1, v1, v5, v3
	v_trunc_f32_e32 v1, v1
	s_delay_alu instid0(VALU_DEP_1) | instskip(SKIP_1) | instid1(VALU_DEP_2)
	v_mul_f32_e64 v3, 0x2f800000, |v1|
	v_ashrrev_i32_e32 v18, 31, v1
	v_floor_f32_e32 v3, v3
	s_delay_alu instid0(VALU_DEP_2) | instskip(NEXT) | instid1(VALU_DEP_2)
	v_mov_b32_e32 v19, v18
	v_fma_f32 v5, 0xcf800000, v3, |v1|
	v_cvt_u32_f32_e32 v1, v3
	s_delay_alu instid0(VALU_DEP_2) | instskip(NEXT) | instid1(VALU_DEP_2)
	v_cvt_u32_f32_e32 v3, v5
	v_xor_b32_e32 v23, v1, v18
	s_delay_alu instid0(VALU_DEP_2) | instskip(NEXT) | instid1(VALU_DEP_1)
	v_xor_b32_e32 v22, v3, v18
	v_sub_nc_u64_e32 v[18:19], v[22:23], v[18:19]
.LBB31_2192:
	s_or_b32 exec_lo, exec_lo, s15
.LBB31_2193:
	s_mov_b32 s15, -1
.LBB31_2194:
	s_mov_b32 s16, 0
.LBB31_2195:
	s_delay_alu instid0(SALU_CYCLE_1)
	s_and_b32 vcc_lo, exec_lo, s16
	s_cbranch_vccz .LBB31_2226
; %bb.2196:
	s_cmp_gt_i32 s12, 22
	s_cbranch_scc0 .LBB31_2204
; %bb.2197:
	s_cmp_lt_i32 s12, 24
	s_cbranch_scc1 .LBB31_2207
; %bb.2198:
	s_cmp_gt_i32 s12, 24
	s_cbranch_scc0 .LBB31_2208
; %bb.2199:
	global_load_u8 v1, v[20:21], off
	s_mov_b32 s15, 0
	s_mov_b32 s14, exec_lo
	s_wait_loadcnt 0x0
	v_cmpx_lt_i16_e32 0x7f, v1
	s_xor_b32 s14, exec_lo, s14
	s_cbranch_execz .LBB31_2220
; %bb.2200:
	v_cmp_ne_u16_e32 vcc_lo, 0x80, v1
	s_and_b32 s15, vcc_lo, exec_lo
	s_and_not1_saveexec_b32 s14, s14
	s_cbranch_execnz .LBB31_2221
.LBB31_2201:
	s_or_b32 exec_lo, exec_lo, s14
	v_mov_b64_e32 v[18:19], 0
	s_and_saveexec_b32 s14, s15
	s_cbranch_execz .LBB31_2203
.LBB31_2202:
	v_and_b32_e32 v3, 0xffff, v1
	s_delay_alu instid0(VALU_DEP_1) | instskip(SKIP_1) | instid1(VALU_DEP_2)
	v_dual_lshlrev_b32 v1, 24, v1 :: v_dual_bitop2_b32 v5, 3, v3 bitop3:0x40
	v_bfe_u32 v13, v3, 2, 5
	v_and_b32_e32 v1, 0x80000000, v1
	s_delay_alu instid0(VALU_DEP_3) | instskip(NEXT) | instid1(VALU_DEP_3)
	v_clz_i32_u32_e32 v7, v5
	v_cmp_eq_u32_e32 vcc_lo, 0, v13
	s_delay_alu instid0(VALU_DEP_2) | instskip(NEXT) | instid1(VALU_DEP_1)
	v_min_u32_e32 v7, 32, v7
	v_subrev_nc_u32_e32 v9, 29, v7
	v_sub_nc_u32_e32 v7, 30, v7
	s_delay_alu instid0(VALU_DEP_2) | instskip(NEXT) | instid1(VALU_DEP_2)
	v_lshlrev_b32_e32 v3, v9, v3
	v_cndmask_b32_e32 v7, v13, v7, vcc_lo
	s_delay_alu instid0(VALU_DEP_2) | instskip(NEXT) | instid1(VALU_DEP_1)
	v_and_b32_e32 v3, 3, v3
	v_cndmask_b32_e32 v3, v5, v3, vcc_lo
	s_delay_alu instid0(VALU_DEP_3) | instskip(NEXT) | instid1(VALU_DEP_2)
	v_lshl_add_u32 v5, v7, 23, 0x37800000
	v_lshlrev_b32_e32 v3, 21, v3
	s_delay_alu instid0(VALU_DEP_1) | instskip(NEXT) | instid1(VALU_DEP_1)
	v_or3_b32 v1, v1, v5, v3
	v_trunc_f32_e32 v1, v1
	s_delay_alu instid0(VALU_DEP_1) | instskip(SKIP_1) | instid1(VALU_DEP_2)
	v_mul_f32_e64 v3, 0x2f800000, |v1|
	v_ashrrev_i32_e32 v18, 31, v1
	v_floor_f32_e32 v3, v3
	s_delay_alu instid0(VALU_DEP_2) | instskip(NEXT) | instid1(VALU_DEP_2)
	v_mov_b32_e32 v19, v18
	v_fma_f32 v5, 0xcf800000, v3, |v1|
	v_cvt_u32_f32_e32 v1, v3
	s_delay_alu instid0(VALU_DEP_2) | instskip(NEXT) | instid1(VALU_DEP_2)
	v_cvt_u32_f32_e32 v3, v5
	v_xor_b32_e32 v23, v1, v18
	s_delay_alu instid0(VALU_DEP_2) | instskip(NEXT) | instid1(VALU_DEP_1)
	v_xor_b32_e32 v22, v3, v18
	v_sub_nc_u64_e32 v[18:19], v[22:23], v[18:19]
.LBB31_2203:
	s_or_b32 exec_lo, exec_lo, s14
	s_mov_b32 s14, 0
	s_branch .LBB31_2209
.LBB31_2204:
	s_mov_b32 s14, -1
                                        ; implicit-def: $vgpr18_vgpr19
	s_branch .LBB31_2215
.LBB31_2205:
	s_and_not1_saveexec_b32 s15, s15
	s_cbranch_execz .LBB31_2190
.LBB31_2206:
	v_cmp_ne_u16_e32 vcc_lo, 0, v1
	s_and_not1_b32 s16, s16, exec_lo
	s_and_b32 s17, vcc_lo, exec_lo
	s_delay_alu instid0(SALU_CYCLE_1)
	s_or_b32 s16, s16, s17
	s_or_b32 exec_lo, exec_lo, s15
	v_mov_b64_e32 v[18:19], 0
	s_and_saveexec_b32 s15, s16
	s_cbranch_execnz .LBB31_2191
	s_branch .LBB31_2192
.LBB31_2207:
	s_mov_b32 s14, -1
                                        ; implicit-def: $vgpr18_vgpr19
	s_branch .LBB31_2212
.LBB31_2208:
	s_mov_b32 s14, -1
                                        ; implicit-def: $vgpr18_vgpr19
.LBB31_2209:
	s_delay_alu instid0(SALU_CYCLE_1)
	s_and_b32 vcc_lo, exec_lo, s14
	s_cbranch_vccz .LBB31_2211
; %bb.2210:
	global_load_u8 v1, v[20:21], off
	s_wait_loadcnt 0x0
	v_lshlrev_b32_e32 v1, 24, v1
	s_delay_alu instid0(VALU_DEP_1) | instskip(NEXT) | instid1(VALU_DEP_1)
	v_and_b32_e32 v3, 0x7f000000, v1
	v_clz_i32_u32_e32 v5, v3
	v_add_nc_u32_e32 v9, 0x1000000, v3
	v_cmp_ne_u32_e32 vcc_lo, 0, v3
	s_delay_alu instid0(VALU_DEP_3) | instskip(NEXT) | instid1(VALU_DEP_1)
	v_min_u32_e32 v5, 32, v5
	v_sub_nc_u32_e64 v5, v5, 4 clamp
	s_delay_alu instid0(VALU_DEP_1) | instskip(NEXT) | instid1(VALU_DEP_1)
	v_dual_lshlrev_b32 v7, v5, v3 :: v_dual_lshlrev_b32 v5, 23, v5
	v_lshrrev_b32_e32 v7, 4, v7
	s_delay_alu instid0(VALU_DEP_1) | instskip(SKIP_1) | instid1(VALU_DEP_2)
	v_sub_nc_u32_e32 v5, v7, v5
	v_ashrrev_i32_e32 v7, 8, v9
	v_add_nc_u32_e32 v5, 0x3c000000, v5
	s_delay_alu instid0(VALU_DEP_1) | instskip(NEXT) | instid1(VALU_DEP_1)
	v_and_or_b32 v5, 0x7f800000, v7, v5
	v_cndmask_b32_e32 v3, 0, v5, vcc_lo
	s_delay_alu instid0(VALU_DEP_1) | instskip(NEXT) | instid1(VALU_DEP_1)
	v_and_or_b32 v1, 0x80000000, v1, v3
	v_trunc_f32_e32 v1, v1
	s_delay_alu instid0(VALU_DEP_1) | instskip(SKIP_1) | instid1(VALU_DEP_2)
	v_mul_f32_e64 v3, 0x2f800000, |v1|
	v_ashrrev_i32_e32 v18, 31, v1
	v_floor_f32_e32 v3, v3
	s_delay_alu instid0(VALU_DEP_2) | instskip(NEXT) | instid1(VALU_DEP_2)
	v_mov_b32_e32 v19, v18
	v_fma_f32 v5, 0xcf800000, v3, |v1|
	v_cvt_u32_f32_e32 v1, v3
	s_delay_alu instid0(VALU_DEP_2) | instskip(NEXT) | instid1(VALU_DEP_2)
	v_cvt_u32_f32_e32 v3, v5
	v_xor_b32_e32 v23, v1, v18
	s_delay_alu instid0(VALU_DEP_2) | instskip(NEXT) | instid1(VALU_DEP_1)
	v_xor_b32_e32 v22, v3, v18
	v_sub_nc_u64_e32 v[18:19], v[22:23], v[18:19]
.LBB31_2211:
	s_mov_b32 s14, 0
.LBB31_2212:
	s_delay_alu instid0(SALU_CYCLE_1)
	s_and_not1_b32 vcc_lo, exec_lo, s14
	s_cbranch_vccnz .LBB31_2214
; %bb.2213:
	global_load_u8 v1, v[20:21], off
	s_wait_loadcnt 0x0
	v_lshlrev_b32_e32 v3, 25, v1
	v_lshlrev_b16 v1, 8, v1
	s_delay_alu instid0(VALU_DEP_1) | instskip(SKIP_1) | instid1(VALU_DEP_2)
	v_and_or_b32 v7, 0x7f00, v1, 0.5
	v_bfe_i32 v1, v1, 0, 16
	v_add_f32_e32 v7, -0.5, v7
	v_lshrrev_b32_e32 v5, 4, v3
	v_cmp_gt_u32_e32 vcc_lo, 0x8000000, v3
	s_delay_alu instid0(VALU_DEP_2) | instskip(NEXT) | instid1(VALU_DEP_1)
	v_or_b32_e32 v5, 0x70000000, v5
	v_mul_f32_e32 v5, 0x7800000, v5
	s_delay_alu instid0(VALU_DEP_1) | instskip(NEXT) | instid1(VALU_DEP_1)
	v_cndmask_b32_e32 v3, v5, v7, vcc_lo
	v_and_or_b32 v1, 0x80000000, v1, v3
	s_delay_alu instid0(VALU_DEP_1) | instskip(NEXT) | instid1(VALU_DEP_1)
	v_trunc_f32_e32 v1, v1
	v_mul_f32_e64 v3, 0x2f800000, |v1|
	v_ashrrev_i32_e32 v18, 31, v1
	s_delay_alu instid0(VALU_DEP_2) | instskip(NEXT) | instid1(VALU_DEP_2)
	v_floor_f32_e32 v3, v3
	v_mov_b32_e32 v19, v18
	s_delay_alu instid0(VALU_DEP_2) | instskip(SKIP_1) | instid1(VALU_DEP_2)
	v_fma_f32 v5, 0xcf800000, v3, |v1|
	v_cvt_u32_f32_e32 v1, v3
	v_cvt_u32_f32_e32 v3, v5
	s_delay_alu instid0(VALU_DEP_2) | instskip(NEXT) | instid1(VALU_DEP_2)
	v_xor_b32_e32 v23, v1, v18
	v_xor_b32_e32 v22, v3, v18
	s_delay_alu instid0(VALU_DEP_1)
	v_sub_nc_u64_e32 v[18:19], v[22:23], v[18:19]
.LBB31_2214:
	s_mov_b32 s14, 0
	s_mov_b32 s15, -1
.LBB31_2215:
	s_and_not1_b32 vcc_lo, exec_lo, s14
	s_mov_b32 s14, 0
	s_cbranch_vccnz .LBB31_2226
; %bb.2216:
	s_cmp_gt_i32 s12, 14
	s_cbranch_scc0 .LBB31_2219
; %bb.2217:
	s_cmp_eq_u32 s12, 15
	s_cbranch_scc0 .LBB31_2222
; %bb.2218:
	global_load_u16 v1, v[20:21], off
	s_mov_b32 s0, 0
	s_mov_b32 s15, -1
	s_wait_loadcnt 0x0
	v_lshlrev_b32_e32 v1, 16, v1
	s_delay_alu instid0(VALU_DEP_1) | instskip(NEXT) | instid1(VALU_DEP_1)
	v_trunc_f32_e32 v1, v1
	v_mul_f32_e64 v3, 0x2f800000, |v1|
	v_ashrrev_i32_e32 v18, 31, v1
	s_delay_alu instid0(VALU_DEP_2) | instskip(NEXT) | instid1(VALU_DEP_2)
	v_floor_f32_e32 v3, v3
	v_mov_b32_e32 v19, v18
	s_delay_alu instid0(VALU_DEP_2) | instskip(SKIP_1) | instid1(VALU_DEP_2)
	v_fma_f32 v5, 0xcf800000, v3, |v1|
	v_cvt_u32_f32_e32 v1, v3
	v_cvt_u32_f32_e32 v3, v5
	s_delay_alu instid0(VALU_DEP_2) | instskip(NEXT) | instid1(VALU_DEP_2)
	v_xor_b32_e32 v23, v1, v18
	v_xor_b32_e32 v22, v3, v18
	s_delay_alu instid0(VALU_DEP_1)
	v_sub_nc_u64_e32 v[18:19], v[22:23], v[18:19]
	s_branch .LBB31_2224
.LBB31_2219:
	s_mov_b32 s14, -1
	s_branch .LBB31_2223
.LBB31_2220:
	s_and_not1_saveexec_b32 s14, s14
	s_cbranch_execz .LBB31_2201
.LBB31_2221:
	v_cmp_ne_u16_e32 vcc_lo, 0, v1
	s_and_not1_b32 s15, s15, exec_lo
	s_and_b32 s16, vcc_lo, exec_lo
	s_delay_alu instid0(SALU_CYCLE_1)
	s_or_b32 s15, s15, s16
	s_or_b32 exec_lo, exec_lo, s14
	v_mov_b64_e32 v[18:19], 0
	s_and_saveexec_b32 s14, s15
	s_cbranch_execnz .LBB31_2202
	s_branch .LBB31_2203
.LBB31_2222:
	s_mov_b32 s0, -1
.LBB31_2223:
                                        ; implicit-def: $vgpr18_vgpr19
.LBB31_2224:
	s_and_b32 vcc_lo, exec_lo, s14
	s_mov_b32 s14, 0
	s_cbranch_vccz .LBB31_2226
; %bb.2225:
	s_cmp_lg_u32 s12, 11
	s_mov_b32 s14, -1
	s_cselect_b32 s0, -1, 0
.LBB31_2226:
	s_delay_alu instid0(SALU_CYCLE_1)
	s_and_b32 vcc_lo, exec_lo, s0
	s_cbranch_vccnz .LBB31_2291
; %bb.2227:
	s_and_not1_b32 vcc_lo, exec_lo, s14
	s_cbranch_vccnz .LBB31_2229
.LBB31_2228:
	global_load_u8 v1, v[20:21], off
	s_mov_b32 s0, 0
	s_mov_b32 s15, -1
	s_wait_loadcnt 0x1
	v_mov_b32_e32 v19, s0
	s_wait_loadcnt 0x0
	v_cmp_ne_u16_e32 vcc_lo, 0, v1
	v_cndmask_b32_e64 v18, 0, 1, vcc_lo
.LBB31_2229:
	s_mov_b32 s0, 0
.LBB31_2230:
	s_delay_alu instid0(SALU_CYCLE_1)
	s_and_b32 vcc_lo, exec_lo, s0
	s_cbranch_vccz .LBB31_2279
; %bb.2231:
	s_cmp_lt_i32 s12, 5
	s_cbranch_scc1 .LBB31_2236
; %bb.2232:
	s_cmp_lt_i32 s12, 8
	s_cbranch_scc1 .LBB31_2237
	;; [unrolled: 3-line block ×3, first 2 shown]
; %bb.2234:
	s_cmp_gt_i32 s12, 9
	s_cbranch_scc0 .LBB31_2239
; %bb.2235:
	s_wait_loadcnt 0x0
	global_load_b64 v[18:19], v[20:21], off
	s_mov_b32 s0, 0
	s_wait_loadcnt 0x0
	v_trunc_f64_e32 v[18:19], v[18:19]
	s_delay_alu instid0(VALU_DEP_1) | instskip(NEXT) | instid1(VALU_DEP_1)
	v_ldexp_f64 v[22:23], v[18:19], 0xffffffe0
	v_floor_f64_e32 v[22:23], v[22:23]
	s_delay_alu instid0(VALU_DEP_1) | instskip(SKIP_1) | instid1(VALU_DEP_2)
	v_fmamk_f64 v[24:25], v[22:23], 0xc1f00000, v[18:19]
	v_cvt_i32_f64_e32 v19, v[22:23]
	v_cvt_u32_f64_e32 v18, v[24:25]
	s_branch .LBB31_2240
.LBB31_2236:
	s_mov_b32 s0, -1
                                        ; implicit-def: $vgpr18_vgpr19
	s_branch .LBB31_2258
.LBB31_2237:
	s_mov_b32 s0, -1
                                        ; implicit-def: $vgpr18_vgpr19
	s_branch .LBB31_2246
.LBB31_2238:
	s_mov_b32 s0, -1
                                        ; implicit-def: $vgpr18_vgpr19
	s_branch .LBB31_2243
.LBB31_2239:
	s_mov_b32 s0, -1
                                        ; implicit-def: $vgpr18_vgpr19
.LBB31_2240:
	s_delay_alu instid0(SALU_CYCLE_1)
	s_and_not1_b32 vcc_lo, exec_lo, s0
	s_cbranch_vccnz .LBB31_2242
; %bb.2241:
	global_load_b32 v1, v[20:21], off
	s_wait_loadcnt 0x0
	v_trunc_f32_e32 v1, v1
	s_delay_alu instid0(VALU_DEP_1) | instskip(SKIP_1) | instid1(VALU_DEP_2)
	v_mul_f32_e64 v3, 0x2f800000, |v1|
	v_ashrrev_i32_e32 v18, 31, v1
	v_floor_f32_e32 v3, v3
	s_delay_alu instid0(VALU_DEP_1) | instskip(SKIP_1) | instid1(VALU_DEP_4)
	v_fma_f32 v5, 0xcf800000, v3, |v1|
	v_cvt_u32_f32_e32 v1, v3
	v_mov_b32_e32 v19, v18
	s_delay_alu instid0(VALU_DEP_3) | instskip(NEXT) | instid1(VALU_DEP_3)
	v_cvt_u32_f32_e32 v3, v5
	v_xor_b32_e32 v23, v1, v18
	s_delay_alu instid0(VALU_DEP_2) | instskip(NEXT) | instid1(VALU_DEP_1)
	v_xor_b32_e32 v22, v3, v18
	v_sub_nc_u64_e32 v[18:19], v[22:23], v[18:19]
.LBB31_2242:
	s_mov_b32 s0, 0
.LBB31_2243:
	s_delay_alu instid0(SALU_CYCLE_1)
	s_and_not1_b32 vcc_lo, exec_lo, s0
	s_cbranch_vccnz .LBB31_2245
; %bb.2244:
	global_load_b32 v1, v[20:21], off
	s_wait_loadcnt 0x0
	v_cvt_f32_f16_e32 v1, v1
	s_delay_alu instid0(VALU_DEP_1) | instskip(NEXT) | instid1(VALU_DEP_1)
	v_cvt_i32_f32_e32 v18, v1
	v_ashrrev_i32_e32 v19, 31, v18
.LBB31_2245:
	s_mov_b32 s0, 0
.LBB31_2246:
	s_delay_alu instid0(SALU_CYCLE_1)
	s_and_not1_b32 vcc_lo, exec_lo, s0
	s_cbranch_vccnz .LBB31_2257
; %bb.2247:
	s_cmp_lt_i32 s12, 6
	s_cbranch_scc1 .LBB31_2250
; %bb.2248:
	s_cmp_gt_i32 s12, 6
	s_cbranch_scc0 .LBB31_2251
; %bb.2249:
	s_wait_loadcnt 0x0
	global_load_b64 v[18:19], v[20:21], off
	s_mov_b32 s0, 0
	s_wait_loadcnt 0x0
	v_trunc_f64_e32 v[18:19], v[18:19]
	s_delay_alu instid0(VALU_DEP_1) | instskip(NEXT) | instid1(VALU_DEP_1)
	v_ldexp_f64 v[22:23], v[18:19], 0xffffffe0
	v_floor_f64_e32 v[22:23], v[22:23]
	s_delay_alu instid0(VALU_DEP_1) | instskip(SKIP_1) | instid1(VALU_DEP_2)
	v_fmamk_f64 v[24:25], v[22:23], 0xc1f00000, v[18:19]
	v_cvt_i32_f64_e32 v19, v[22:23]
	v_cvt_u32_f64_e32 v18, v[24:25]
	s_branch .LBB31_2252
.LBB31_2250:
	s_mov_b32 s0, -1
                                        ; implicit-def: $vgpr18_vgpr19
	s_branch .LBB31_2255
.LBB31_2251:
	s_mov_b32 s0, -1
                                        ; implicit-def: $vgpr18_vgpr19
.LBB31_2252:
	s_delay_alu instid0(SALU_CYCLE_1)
	s_and_not1_b32 vcc_lo, exec_lo, s0
	s_cbranch_vccnz .LBB31_2254
; %bb.2253:
	global_load_b32 v1, v[20:21], off
	s_wait_loadcnt 0x0
	v_trunc_f32_e32 v1, v1
	s_delay_alu instid0(VALU_DEP_1) | instskip(SKIP_1) | instid1(VALU_DEP_2)
	v_mul_f32_e64 v3, 0x2f800000, |v1|
	v_ashrrev_i32_e32 v18, 31, v1
	v_floor_f32_e32 v3, v3
	s_delay_alu instid0(VALU_DEP_1) | instskip(SKIP_1) | instid1(VALU_DEP_4)
	v_fma_f32 v5, 0xcf800000, v3, |v1|
	v_cvt_u32_f32_e32 v1, v3
	v_mov_b32_e32 v19, v18
	s_delay_alu instid0(VALU_DEP_3) | instskip(NEXT) | instid1(VALU_DEP_3)
	v_cvt_u32_f32_e32 v3, v5
	v_xor_b32_e32 v23, v1, v18
	s_delay_alu instid0(VALU_DEP_2) | instskip(NEXT) | instid1(VALU_DEP_1)
	v_xor_b32_e32 v22, v3, v18
	v_sub_nc_u64_e32 v[18:19], v[22:23], v[18:19]
.LBB31_2254:
	s_mov_b32 s0, 0
.LBB31_2255:
	s_delay_alu instid0(SALU_CYCLE_1)
	s_and_not1_b32 vcc_lo, exec_lo, s0
	s_cbranch_vccnz .LBB31_2257
; %bb.2256:
	global_load_u16 v1, v[20:21], off
	s_wait_loadcnt 0x0
	v_cvt_f32_f16_e32 v1, v1
	s_delay_alu instid0(VALU_DEP_1) | instskip(NEXT) | instid1(VALU_DEP_1)
	v_cvt_i32_f32_e32 v18, v1
	v_ashrrev_i32_e32 v19, 31, v18
.LBB31_2257:
	s_mov_b32 s0, 0
.LBB31_2258:
	s_delay_alu instid0(SALU_CYCLE_1)
	s_and_not1_b32 vcc_lo, exec_lo, s0
	s_cbranch_vccnz .LBB31_2278
; %bb.2259:
	s_cmp_lt_i32 s12, 2
	s_cbranch_scc1 .LBB31_2263
; %bb.2260:
	s_cmp_lt_i32 s12, 3
	s_cbranch_scc1 .LBB31_2264
; %bb.2261:
	s_cmp_gt_i32 s12, 3
	s_cbranch_scc0 .LBB31_2265
; %bb.2262:
	s_wait_loadcnt 0x0
	global_load_b64 v[18:19], v[20:21], off
	s_mov_b32 s0, 0
	s_branch .LBB31_2266
.LBB31_2263:
	s_mov_b32 s0, -1
                                        ; implicit-def: $vgpr18_vgpr19
	s_branch .LBB31_2272
.LBB31_2264:
	s_mov_b32 s0, -1
                                        ; implicit-def: $vgpr18_vgpr19
	s_branch .LBB31_2269
.LBB31_2265:
	s_mov_b32 s0, -1
                                        ; implicit-def: $vgpr18_vgpr19
.LBB31_2266:
	s_delay_alu instid0(SALU_CYCLE_1)
	s_and_not1_b32 vcc_lo, exec_lo, s0
	s_cbranch_vccnz .LBB31_2268
; %bb.2267:
	s_wait_loadcnt 0x0
	global_load_b32 v18, v[20:21], off
	s_wait_loadcnt 0x0
	v_ashrrev_i32_e32 v19, 31, v18
.LBB31_2268:
	s_mov_b32 s0, 0
.LBB31_2269:
	s_delay_alu instid0(SALU_CYCLE_1)
	s_and_not1_b32 vcc_lo, exec_lo, s0
	s_cbranch_vccnz .LBB31_2271
; %bb.2270:
	global_load_u16 v1, v[20:21], off
	s_wait_loadcnt 0x0
	v_bfe_i32 v18, v1, 0, 16
	s_delay_alu instid0(VALU_DEP_1)
	v_ashrrev_i32_e32 v19, 31, v18
.LBB31_2271:
	s_mov_b32 s0, 0
.LBB31_2272:
	s_delay_alu instid0(SALU_CYCLE_1)
	s_and_not1_b32 vcc_lo, exec_lo, s0
	s_cbranch_vccnz .LBB31_2278
; %bb.2273:
	s_cmp_gt_i32 s12, 0
	s_mov_b32 s0, 0
	s_cbranch_scc0 .LBB31_2275
; %bb.2274:
	global_load_i8 v1, v[20:21], off
	s_wait_loadcnt 0x0
	v_bfe_i32 v18, v1, 0, 16
	s_delay_alu instid0(VALU_DEP_1)
	v_ashrrev_i32_e32 v19, 31, v18
	s_branch .LBB31_2276
.LBB31_2275:
	s_mov_b32 s0, -1
                                        ; implicit-def: $vgpr18_vgpr19
.LBB31_2276:
	s_delay_alu instid0(SALU_CYCLE_1)
	s_and_not1_b32 vcc_lo, exec_lo, s0
	s_cbranch_vccnz .LBB31_2278
; %bb.2277:
	global_load_u8 v1, v[20:21], off
	s_mov_b32 s0, 0
	s_wait_loadcnt 0x1
	v_mov_b32_e32 v19, s0
	s_wait_loadcnt 0x0
	v_and_b32_e32 v18, 0xffff, v1
.LBB31_2278:
	s_mov_b32 s15, -1
.LBB31_2279:
	s_delay_alu instid0(SALU_CYCLE_1)
	s_and_not1_b32 vcc_lo, exec_lo, s15
	s_cbranch_vccnz .LBB31_2673
; %bb.2280:
	v_mov_b32_e32 v17, 0
	s_cmp_lt_i32 s13, 11
	s_delay_alu instid0(VALU_DEP_1)
	v_add_nc_u64_e32 v[16:17], s[8:9], v[16:17]
	s_cbranch_scc1 .LBB31_2287
; %bb.2281:
	s_cmp_gt_i32 s13, 25
	s_mov_b32 s14, 0
	s_cbranch_scc0 .LBB31_2288
; %bb.2282:
	s_cmp_gt_i32 s13, 28
	s_cbranch_scc0 .LBB31_2289
; %bb.2283:
	s_cmp_gt_i32 s13, 43
	;; [unrolled: 3-line block ×3, first 2 shown]
	s_cbranch_scc0 .LBB31_2292
; %bb.2285:
	s_cmp_eq_u32 s13, 46
	s_mov_b32 s16, 0
	s_cbranch_scc0 .LBB31_2295
; %bb.2286:
	global_load_b32 v1, v[16:17], off
	s_mov_b32 s0, 0
	s_mov_b32 s15, -1
	s_wait_loadcnt 0x0
	v_lshlrev_b32_e32 v1, 16, v1
	s_delay_alu instid0(VALU_DEP_1) | instskip(NEXT) | instid1(VALU_DEP_1)
	v_trunc_f32_e32 v1, v1
	v_mul_f32_e64 v3, 0x2f800000, |v1|
	s_wait_xcnt 0x1
	v_ashrrev_i32_e32 v20, 31, v1
	s_delay_alu instid0(VALU_DEP_2) | instskip(NEXT) | instid1(VALU_DEP_2)
	v_floor_f32_e32 v3, v3
	v_mov_b32_e32 v21, v20
	s_delay_alu instid0(VALU_DEP_2) | instskip(SKIP_1) | instid1(VALU_DEP_2)
	v_fma_f32 v5, 0xcf800000, v3, |v1|
	v_cvt_u32_f32_e32 v1, v3
	v_cvt_u32_f32_e32 v3, v5
	s_delay_alu instid0(VALU_DEP_2) | instskip(NEXT) | instid1(VALU_DEP_2)
	v_xor_b32_e32 v23, v1, v20
	v_xor_b32_e32 v22, v3, v20
	s_delay_alu instid0(VALU_DEP_1)
	v_sub_nc_u64_e32 v[20:21], v[22:23], v[20:21]
	s_branch .LBB31_2297
.LBB31_2287:
	s_mov_b32 s0, -1
	s_mov_b32 s15, 0
                                        ; implicit-def: $vgpr20_vgpr21
	s_branch .LBB31_2359
.LBB31_2288:
	s_mov_b32 s16, -1
	s_mov_b32 s15, 0
	s_mov_b32 s0, 0
                                        ; implicit-def: $vgpr20_vgpr21
	s_branch .LBB31_2324
.LBB31_2289:
	s_mov_b32 s16, -1
	s_mov_b32 s15, 0
	s_mov_b32 s0, 0
                                        ; implicit-def: $vgpr20_vgpr21
	s_branch .LBB31_2307
.LBB31_2290:
	s_mov_b32 s16, -1
	s_mov_b32 s15, 0
	s_mov_b32 s0, 0
                                        ; implicit-def: $vgpr20_vgpr21
	s_branch .LBB31_2302
.LBB31_2291:
	s_or_b32 s1, s1, exec_lo
	s_trap 2
	s_cbranch_execz .LBB31_2228
	s_branch .LBB31_2229
.LBB31_2292:
	s_mov_b32 s16, -1
	s_mov_b32 s15, 0
	s_mov_b32 s0, 0
	s_branch .LBB31_2296
.LBB31_2293:
	s_and_not1_saveexec_b32 s51, s51
	s_cbranch_execz .LBB31_1121
.LBB31_2294:
	v_add_f32_e32 v1, 0x42800000, v4
	s_and_not1_b32 s50, s50, exec_lo
	s_delay_alu instid0(VALU_DEP_1) | instskip(NEXT) | instid1(VALU_DEP_1)
	v_and_b32_e32 v1, 0xff, v1
	v_cmp_ne_u32_e32 vcc_lo, 0, v1
	s_and_b32 s52, vcc_lo, exec_lo
	s_delay_alu instid0(SALU_CYCLE_1)
	s_or_b32 s50, s50, s52
	s_or_b32 exec_lo, exec_lo, s51
	v_mov_b32_e32 v5, 0
	s_and_saveexec_b32 s51, s50
	s_cbranch_execnz .LBB31_1122
	s_branch .LBB31_1123
.LBB31_2295:
	s_mov_b32 s0, -1
	s_mov_b32 s15, 0
.LBB31_2296:
                                        ; implicit-def: $vgpr20_vgpr21
.LBB31_2297:
	s_and_b32 vcc_lo, exec_lo, s16
	s_cbranch_vccz .LBB31_2301
; %bb.2298:
	s_cmp_eq_u32 s13, 44
	s_cbranch_scc0 .LBB31_2300
; %bb.2299:
	global_load_u8 v1, v[16:17], off
	s_mov_b32 s0, 0
	s_mov_b32 s15, -1
	s_wait_loadcnt 0x0
	v_lshlrev_b32_e32 v3, 23, v1
	v_cmp_ne_u32_e32 vcc_lo, 0, v1
	s_delay_alu instid0(VALU_DEP_2) | instskip(NEXT) | instid1(VALU_DEP_1)
	v_trunc_f32_e32 v3, v3
	v_mul_f32_e64 v5, 0x2f800000, |v3|
	s_wait_xcnt 0x1
	v_ashrrev_i32_e32 v20, 31, v3
	s_delay_alu instid0(VALU_DEP_2) | instskip(NEXT) | instid1(VALU_DEP_2)
	v_floor_f32_e32 v5, v5
	v_mov_b32_e32 v21, v20
	s_delay_alu instid0(VALU_DEP_2) | instskip(SKIP_1) | instid1(VALU_DEP_2)
	v_fma_f32 v7, 0xcf800000, v5, |v3|
	v_cvt_u32_f32_e32 v3, v5
	v_cvt_u32_f32_e32 v5, v7
	s_delay_alu instid0(VALU_DEP_2) | instskip(NEXT) | instid1(VALU_DEP_2)
	v_xor_b32_e32 v23, v3, v20
	v_xor_b32_e32 v22, v5, v20
	s_delay_alu instid0(VALU_DEP_1) | instskip(NEXT) | instid1(VALU_DEP_1)
	v_sub_nc_u64_e32 v[20:21], v[22:23], v[20:21]
	v_dual_cndmask_b32 v21, 0, v21 :: v_dual_cndmask_b32 v20, 0, v20
	s_branch .LBB31_2301
.LBB31_2300:
	s_mov_b32 s0, -1
                                        ; implicit-def: $vgpr20_vgpr21
.LBB31_2301:
	s_mov_b32 s16, 0
.LBB31_2302:
	s_delay_alu instid0(SALU_CYCLE_1)
	s_and_b32 vcc_lo, exec_lo, s16
	s_cbranch_vccz .LBB31_2306
; %bb.2303:
	s_cmp_eq_u32 s13, 29
	s_cbranch_scc0 .LBB31_2305
; %bb.2304:
	global_load_b64 v[20:21], v[16:17], off
	s_mov_b32 s0, 0
	s_mov_b32 s15, -1
	s_branch .LBB31_2306
.LBB31_2305:
	s_mov_b32 s0, -1
                                        ; implicit-def: $vgpr20_vgpr21
.LBB31_2306:
	s_mov_b32 s16, 0
.LBB31_2307:
	s_delay_alu instid0(SALU_CYCLE_1)
	s_and_b32 vcc_lo, exec_lo, s16
	s_cbranch_vccz .LBB31_2323
; %bb.2308:
	s_cmp_lt_i32 s13, 27
	s_cbranch_scc1 .LBB31_2311
; %bb.2309:
	s_cmp_gt_i32 s13, 27
	s_cbranch_scc0 .LBB31_2312
; %bb.2310:
	s_wait_loadcnt 0x0
	global_load_b32 v20, v[16:17], off
	v_mov_b32_e32 v21, 0
	s_mov_b32 s15, 0
	s_branch .LBB31_2313
.LBB31_2311:
	s_mov_b32 s15, -1
                                        ; implicit-def: $vgpr20_vgpr21
	s_branch .LBB31_2316
.LBB31_2312:
	s_mov_b32 s15, -1
                                        ; implicit-def: $vgpr20_vgpr21
.LBB31_2313:
	s_delay_alu instid0(SALU_CYCLE_1)
	s_and_not1_b32 vcc_lo, exec_lo, s15
	s_cbranch_vccnz .LBB31_2315
; %bb.2314:
	global_load_u16 v1, v[16:17], off
	s_mov_b32 s15, 0
	s_wait_loadcnt 0x1
	s_wait_xcnt 0x1
	v_mov_b32_e32 v21, s15
	s_wait_loadcnt 0x0
	v_and_b32_e32 v20, 0xffff, v1
.LBB31_2315:
	s_mov_b32 s15, 0
.LBB31_2316:
	s_delay_alu instid0(SALU_CYCLE_1)
	s_and_not1_b32 vcc_lo, exec_lo, s15
	s_cbranch_vccnz .LBB31_2322
; %bb.2317:
	global_load_u8 v1, v[16:17], off
	s_mov_b32 s16, 0
	s_mov_b32 s15, exec_lo
	s_wait_loadcnt 0x0
	v_cmpx_lt_i16_e32 0x7f, v1
	s_xor_b32 s15, exec_lo, s15
	s_cbranch_execz .LBB31_2334
; %bb.2318:
	v_cmp_ne_u16_e32 vcc_lo, 0x80, v1
	s_and_b32 s16, vcc_lo, exec_lo
	s_and_not1_saveexec_b32 s15, s15
	s_cbranch_execnz .LBB31_2335
.LBB31_2319:
	s_or_b32 exec_lo, exec_lo, s15
	v_mov_b64_e32 v[20:21], 0
	s_and_saveexec_b32 s15, s16
	s_cbranch_execz .LBB31_2321
.LBB31_2320:
	v_and_b32_e32 v3, 0xffff, v1
	s_delay_alu instid0(VALU_DEP_1) | instskip(SKIP_1) | instid1(VALU_DEP_2)
	v_dual_lshlrev_b32 v1, 24, v1 :: v_dual_bitop2_b32 v5, 7, v3 bitop3:0x40
	v_bfe_u32 v13, v3, 3, 4
	v_and_b32_e32 v1, 0x80000000, v1
	s_delay_alu instid0(VALU_DEP_3) | instskip(NEXT) | instid1(VALU_DEP_3)
	v_clz_i32_u32_e32 v7, v5
	v_cmp_eq_u32_e32 vcc_lo, 0, v13
	s_delay_alu instid0(VALU_DEP_2) | instskip(NEXT) | instid1(VALU_DEP_1)
	v_min_u32_e32 v7, 32, v7
	v_subrev_nc_u32_e32 v9, 28, v7
	v_sub_nc_u32_e32 v7, 29, v7
	s_delay_alu instid0(VALU_DEP_2) | instskip(NEXT) | instid1(VALU_DEP_2)
	v_lshlrev_b32_e32 v3, v9, v3
	v_cndmask_b32_e32 v7, v13, v7, vcc_lo
	s_delay_alu instid0(VALU_DEP_2) | instskip(NEXT) | instid1(VALU_DEP_1)
	v_and_b32_e32 v3, 7, v3
	v_cndmask_b32_e32 v3, v5, v3, vcc_lo
	s_delay_alu instid0(VALU_DEP_3) | instskip(NEXT) | instid1(VALU_DEP_2)
	v_lshl_add_u32 v5, v7, 23, 0x3b800000
	v_lshlrev_b32_e32 v3, 20, v3
	s_delay_alu instid0(VALU_DEP_1) | instskip(NEXT) | instid1(VALU_DEP_1)
	v_or3_b32 v1, v1, v5, v3
	v_trunc_f32_e32 v1, v1
	s_delay_alu instid0(VALU_DEP_1) | instskip(SKIP_1) | instid1(VALU_DEP_2)
	v_mul_f32_e64 v3, 0x2f800000, |v1|
	v_ashrrev_i32_e32 v20, 31, v1
	v_floor_f32_e32 v3, v3
	s_delay_alu instid0(VALU_DEP_2) | instskip(NEXT) | instid1(VALU_DEP_2)
	v_mov_b32_e32 v21, v20
	v_fma_f32 v5, 0xcf800000, v3, |v1|
	v_cvt_u32_f32_e32 v1, v3
	s_delay_alu instid0(VALU_DEP_2) | instskip(NEXT) | instid1(VALU_DEP_2)
	v_cvt_u32_f32_e32 v3, v5
	v_xor_b32_e32 v23, v1, v20
	s_delay_alu instid0(VALU_DEP_2) | instskip(NEXT) | instid1(VALU_DEP_1)
	v_xor_b32_e32 v22, v3, v20
	v_sub_nc_u64_e32 v[20:21], v[22:23], v[20:21]
.LBB31_2321:
	s_or_b32 exec_lo, exec_lo, s15
.LBB31_2322:
	s_mov_b32 s15, -1
.LBB31_2323:
	s_mov_b32 s16, 0
.LBB31_2324:
	s_delay_alu instid0(SALU_CYCLE_1)
	s_and_b32 vcc_lo, exec_lo, s16
	s_cbranch_vccz .LBB31_2355
; %bb.2325:
	s_cmp_gt_i32 s13, 22
	s_cbranch_scc0 .LBB31_2333
; %bb.2326:
	s_cmp_lt_i32 s13, 24
	s_cbranch_scc1 .LBB31_2336
; %bb.2327:
	s_cmp_gt_i32 s13, 24
	s_cbranch_scc0 .LBB31_2337
; %bb.2328:
	global_load_u8 v1, v[16:17], off
	s_mov_b32 s15, 0
	s_mov_b32 s14, exec_lo
	s_wait_loadcnt 0x0
	v_cmpx_lt_i16_e32 0x7f, v1
	s_xor_b32 s14, exec_lo, s14
	s_cbranch_execz .LBB31_2349
; %bb.2329:
	v_cmp_ne_u16_e32 vcc_lo, 0x80, v1
	s_and_b32 s15, vcc_lo, exec_lo
	s_and_not1_saveexec_b32 s14, s14
	s_cbranch_execnz .LBB31_2350
.LBB31_2330:
	s_or_b32 exec_lo, exec_lo, s14
	v_mov_b64_e32 v[20:21], 0
	s_and_saveexec_b32 s14, s15
	s_cbranch_execz .LBB31_2332
.LBB31_2331:
	v_and_b32_e32 v3, 0xffff, v1
	s_delay_alu instid0(VALU_DEP_1) | instskip(SKIP_1) | instid1(VALU_DEP_2)
	v_dual_lshlrev_b32 v1, 24, v1 :: v_dual_bitop2_b32 v5, 3, v3 bitop3:0x40
	v_bfe_u32 v13, v3, 2, 5
	v_and_b32_e32 v1, 0x80000000, v1
	s_delay_alu instid0(VALU_DEP_3) | instskip(NEXT) | instid1(VALU_DEP_3)
	v_clz_i32_u32_e32 v7, v5
	v_cmp_eq_u32_e32 vcc_lo, 0, v13
	s_delay_alu instid0(VALU_DEP_2) | instskip(NEXT) | instid1(VALU_DEP_1)
	v_min_u32_e32 v7, 32, v7
	v_subrev_nc_u32_e32 v9, 29, v7
	v_sub_nc_u32_e32 v7, 30, v7
	s_delay_alu instid0(VALU_DEP_2) | instskip(NEXT) | instid1(VALU_DEP_2)
	v_lshlrev_b32_e32 v3, v9, v3
	v_cndmask_b32_e32 v7, v13, v7, vcc_lo
	s_delay_alu instid0(VALU_DEP_2) | instskip(NEXT) | instid1(VALU_DEP_1)
	v_and_b32_e32 v3, 3, v3
	v_cndmask_b32_e32 v3, v5, v3, vcc_lo
	s_delay_alu instid0(VALU_DEP_3) | instskip(NEXT) | instid1(VALU_DEP_2)
	v_lshl_add_u32 v5, v7, 23, 0x37800000
	v_lshlrev_b32_e32 v3, 21, v3
	s_delay_alu instid0(VALU_DEP_1) | instskip(NEXT) | instid1(VALU_DEP_1)
	v_or3_b32 v1, v1, v5, v3
	v_trunc_f32_e32 v1, v1
	s_delay_alu instid0(VALU_DEP_1) | instskip(SKIP_1) | instid1(VALU_DEP_2)
	v_mul_f32_e64 v3, 0x2f800000, |v1|
	v_ashrrev_i32_e32 v20, 31, v1
	v_floor_f32_e32 v3, v3
	s_delay_alu instid0(VALU_DEP_2) | instskip(NEXT) | instid1(VALU_DEP_2)
	v_mov_b32_e32 v21, v20
	v_fma_f32 v5, 0xcf800000, v3, |v1|
	v_cvt_u32_f32_e32 v1, v3
	s_delay_alu instid0(VALU_DEP_2) | instskip(NEXT) | instid1(VALU_DEP_2)
	v_cvt_u32_f32_e32 v3, v5
	v_xor_b32_e32 v23, v1, v20
	s_delay_alu instid0(VALU_DEP_2) | instskip(NEXT) | instid1(VALU_DEP_1)
	v_xor_b32_e32 v22, v3, v20
	v_sub_nc_u64_e32 v[20:21], v[22:23], v[20:21]
.LBB31_2332:
	s_or_b32 exec_lo, exec_lo, s14
	s_mov_b32 s14, 0
	s_branch .LBB31_2338
.LBB31_2333:
	s_mov_b32 s14, -1
                                        ; implicit-def: $vgpr20_vgpr21
	s_branch .LBB31_2344
.LBB31_2334:
	s_and_not1_saveexec_b32 s15, s15
	s_cbranch_execz .LBB31_2319
.LBB31_2335:
	v_cmp_ne_u16_e32 vcc_lo, 0, v1
	s_and_not1_b32 s16, s16, exec_lo
	s_and_b32 s17, vcc_lo, exec_lo
	s_delay_alu instid0(SALU_CYCLE_1)
	s_or_b32 s16, s16, s17
	s_or_b32 exec_lo, exec_lo, s15
	v_mov_b64_e32 v[20:21], 0
	s_and_saveexec_b32 s15, s16
	s_cbranch_execnz .LBB31_2320
	s_branch .LBB31_2321
.LBB31_2336:
	s_mov_b32 s14, -1
                                        ; implicit-def: $vgpr20_vgpr21
	s_branch .LBB31_2341
.LBB31_2337:
	s_mov_b32 s14, -1
                                        ; implicit-def: $vgpr20_vgpr21
.LBB31_2338:
	s_delay_alu instid0(SALU_CYCLE_1)
	s_and_b32 vcc_lo, exec_lo, s14
	s_cbranch_vccz .LBB31_2340
; %bb.2339:
	global_load_u8 v1, v[16:17], off
	s_wait_loadcnt 0x0
	v_lshlrev_b32_e32 v1, 24, v1
	s_delay_alu instid0(VALU_DEP_1) | instskip(NEXT) | instid1(VALU_DEP_1)
	v_and_b32_e32 v3, 0x7f000000, v1
	v_clz_i32_u32_e32 v5, v3
	v_add_nc_u32_e32 v9, 0x1000000, v3
	v_cmp_ne_u32_e32 vcc_lo, 0, v3
	s_delay_alu instid0(VALU_DEP_3) | instskip(NEXT) | instid1(VALU_DEP_1)
	v_min_u32_e32 v5, 32, v5
	v_sub_nc_u32_e64 v5, v5, 4 clamp
	s_delay_alu instid0(VALU_DEP_1) | instskip(NEXT) | instid1(VALU_DEP_1)
	v_dual_lshlrev_b32 v7, v5, v3 :: v_dual_lshlrev_b32 v5, 23, v5
	v_lshrrev_b32_e32 v7, 4, v7
	s_delay_alu instid0(VALU_DEP_1) | instskip(SKIP_1) | instid1(VALU_DEP_2)
	v_sub_nc_u32_e32 v5, v7, v5
	v_ashrrev_i32_e32 v7, 8, v9
	v_add_nc_u32_e32 v5, 0x3c000000, v5
	s_delay_alu instid0(VALU_DEP_1) | instskip(NEXT) | instid1(VALU_DEP_1)
	v_and_or_b32 v5, 0x7f800000, v7, v5
	v_cndmask_b32_e32 v3, 0, v5, vcc_lo
	s_delay_alu instid0(VALU_DEP_1) | instskip(NEXT) | instid1(VALU_DEP_1)
	v_and_or_b32 v1, 0x80000000, v1, v3
	v_trunc_f32_e32 v1, v1
	s_delay_alu instid0(VALU_DEP_1) | instskip(SKIP_2) | instid1(VALU_DEP_2)
	v_mul_f32_e64 v3, 0x2f800000, |v1|
	s_wait_xcnt 0x1
	v_ashrrev_i32_e32 v20, 31, v1
	v_floor_f32_e32 v3, v3
	s_delay_alu instid0(VALU_DEP_2) | instskip(NEXT) | instid1(VALU_DEP_2)
	v_mov_b32_e32 v21, v20
	v_fma_f32 v5, 0xcf800000, v3, |v1|
	v_cvt_u32_f32_e32 v1, v3
	s_delay_alu instid0(VALU_DEP_2) | instskip(NEXT) | instid1(VALU_DEP_2)
	v_cvt_u32_f32_e32 v3, v5
	v_xor_b32_e32 v23, v1, v20
	s_delay_alu instid0(VALU_DEP_2) | instskip(NEXT) | instid1(VALU_DEP_1)
	v_xor_b32_e32 v22, v3, v20
	v_sub_nc_u64_e32 v[20:21], v[22:23], v[20:21]
.LBB31_2340:
	s_mov_b32 s14, 0
.LBB31_2341:
	s_delay_alu instid0(SALU_CYCLE_1)
	s_and_not1_b32 vcc_lo, exec_lo, s14
	s_cbranch_vccnz .LBB31_2343
; %bb.2342:
	global_load_u8 v1, v[16:17], off
	s_wait_loadcnt 0x0
	v_lshlrev_b32_e32 v3, 25, v1
	v_lshlrev_b16 v1, 8, v1
	s_delay_alu instid0(VALU_DEP_1) | instskip(SKIP_1) | instid1(VALU_DEP_2)
	v_and_or_b32 v7, 0x7f00, v1, 0.5
	v_bfe_i32 v1, v1, 0, 16
	v_add_f32_e32 v7, -0.5, v7
	v_lshrrev_b32_e32 v5, 4, v3
	v_cmp_gt_u32_e32 vcc_lo, 0x8000000, v3
	s_delay_alu instid0(VALU_DEP_2) | instskip(NEXT) | instid1(VALU_DEP_1)
	v_or_b32_e32 v5, 0x70000000, v5
	v_mul_f32_e32 v5, 0x7800000, v5
	s_delay_alu instid0(VALU_DEP_1) | instskip(NEXT) | instid1(VALU_DEP_1)
	v_cndmask_b32_e32 v3, v5, v7, vcc_lo
	v_and_or_b32 v1, 0x80000000, v1, v3
	s_delay_alu instid0(VALU_DEP_1) | instskip(NEXT) | instid1(VALU_DEP_1)
	v_trunc_f32_e32 v1, v1
	v_mul_f32_e64 v3, 0x2f800000, |v1|
	s_wait_xcnt 0x1
	v_ashrrev_i32_e32 v20, 31, v1
	s_delay_alu instid0(VALU_DEP_2) | instskip(NEXT) | instid1(VALU_DEP_2)
	v_floor_f32_e32 v3, v3
	v_mov_b32_e32 v21, v20
	s_delay_alu instid0(VALU_DEP_2) | instskip(SKIP_1) | instid1(VALU_DEP_2)
	v_fma_f32 v5, 0xcf800000, v3, |v1|
	v_cvt_u32_f32_e32 v1, v3
	v_cvt_u32_f32_e32 v3, v5
	s_delay_alu instid0(VALU_DEP_2) | instskip(NEXT) | instid1(VALU_DEP_2)
	v_xor_b32_e32 v23, v1, v20
	v_xor_b32_e32 v22, v3, v20
	s_delay_alu instid0(VALU_DEP_1)
	v_sub_nc_u64_e32 v[20:21], v[22:23], v[20:21]
.LBB31_2343:
	s_mov_b32 s14, 0
	s_mov_b32 s15, -1
.LBB31_2344:
	s_and_not1_b32 vcc_lo, exec_lo, s14
	s_mov_b32 s14, 0
	s_cbranch_vccnz .LBB31_2355
; %bb.2345:
	s_cmp_gt_i32 s13, 14
	s_cbranch_scc0 .LBB31_2348
; %bb.2346:
	s_cmp_eq_u32 s13, 15
	s_cbranch_scc0 .LBB31_2351
; %bb.2347:
	global_load_u16 v1, v[16:17], off
	s_mov_b32 s0, 0
	s_mov_b32 s15, -1
	s_wait_loadcnt 0x0
	v_lshlrev_b32_e32 v1, 16, v1
	s_delay_alu instid0(VALU_DEP_1) | instskip(NEXT) | instid1(VALU_DEP_1)
	v_trunc_f32_e32 v1, v1
	v_mul_f32_e64 v3, 0x2f800000, |v1|
	s_wait_xcnt 0x1
	v_ashrrev_i32_e32 v20, 31, v1
	s_delay_alu instid0(VALU_DEP_2) | instskip(NEXT) | instid1(VALU_DEP_2)
	v_floor_f32_e32 v3, v3
	v_mov_b32_e32 v21, v20
	s_delay_alu instid0(VALU_DEP_2) | instskip(SKIP_1) | instid1(VALU_DEP_2)
	v_fma_f32 v5, 0xcf800000, v3, |v1|
	v_cvt_u32_f32_e32 v1, v3
	v_cvt_u32_f32_e32 v3, v5
	s_delay_alu instid0(VALU_DEP_2) | instskip(NEXT) | instid1(VALU_DEP_2)
	v_xor_b32_e32 v23, v1, v20
	v_xor_b32_e32 v22, v3, v20
	s_delay_alu instid0(VALU_DEP_1)
	v_sub_nc_u64_e32 v[20:21], v[22:23], v[20:21]
	s_branch .LBB31_2353
.LBB31_2348:
	s_mov_b32 s14, -1
	s_branch .LBB31_2352
.LBB31_2349:
	s_and_not1_saveexec_b32 s14, s14
	s_cbranch_execz .LBB31_2330
.LBB31_2350:
	v_cmp_ne_u16_e32 vcc_lo, 0, v1
	s_and_not1_b32 s15, s15, exec_lo
	s_and_b32 s16, vcc_lo, exec_lo
	s_delay_alu instid0(SALU_CYCLE_1)
	s_or_b32 s15, s15, s16
	s_or_b32 exec_lo, exec_lo, s14
	v_mov_b64_e32 v[20:21], 0
	s_and_saveexec_b32 s14, s15
	s_cbranch_execnz .LBB31_2331
	s_branch .LBB31_2332
.LBB31_2351:
	s_mov_b32 s0, -1
.LBB31_2352:
                                        ; implicit-def: $vgpr20_vgpr21
.LBB31_2353:
	s_and_b32 vcc_lo, exec_lo, s14
	s_mov_b32 s14, 0
	s_cbranch_vccz .LBB31_2355
; %bb.2354:
	s_cmp_lg_u32 s13, 11
	s_mov_b32 s14, -1
	s_cselect_b32 s0, -1, 0
.LBB31_2355:
	s_delay_alu instid0(SALU_CYCLE_1)
	s_and_b32 vcc_lo, exec_lo, s0
	s_cbranch_vccnz .LBB31_2428
; %bb.2356:
	s_and_not1_b32 vcc_lo, exec_lo, s14
	s_cbranch_vccnz .LBB31_2358
.LBB31_2357:
	global_load_u8 v1, v[16:17], off
	s_mov_b32 s0, 0
	s_mov_b32 s15, -1
	s_wait_loadcnt 0x1
	s_wait_xcnt 0x1
	v_mov_b32_e32 v21, s0
	s_wait_loadcnt 0x0
	v_cmp_ne_u16_e32 vcc_lo, 0, v1
	v_cndmask_b32_e64 v20, 0, 1, vcc_lo
.LBB31_2358:
	s_mov_b32 s0, 0
.LBB31_2359:
	s_delay_alu instid0(SALU_CYCLE_1)
	s_and_b32 vcc_lo, exec_lo, s0
	s_cbranch_vccz .LBB31_2408
; %bb.2360:
	s_cmp_lt_i32 s13, 5
	s_cbranch_scc1 .LBB31_2365
; %bb.2361:
	s_cmp_lt_i32 s13, 8
	s_cbranch_scc1 .LBB31_2366
	;; [unrolled: 3-line block ×3, first 2 shown]
; %bb.2363:
	s_cmp_gt_i32 s13, 9
	s_cbranch_scc0 .LBB31_2368
; %bb.2364:
	s_wait_loadcnt 0x0
	global_load_b64 v[20:21], v[16:17], off
	s_mov_b32 s0, 0
	s_wait_loadcnt 0x0
	v_trunc_f64_e32 v[20:21], v[20:21]
	s_delay_alu instid0(VALU_DEP_1) | instskip(NEXT) | instid1(VALU_DEP_1)
	v_ldexp_f64 v[22:23], v[20:21], 0xffffffe0
	v_floor_f64_e32 v[22:23], v[22:23]
	s_delay_alu instid0(VALU_DEP_1) | instskip(SKIP_1) | instid1(VALU_DEP_2)
	v_fmamk_f64 v[24:25], v[22:23], 0xc1f00000, v[20:21]
	v_cvt_i32_f64_e32 v21, v[22:23]
	v_cvt_u32_f64_e32 v20, v[24:25]
	s_branch .LBB31_2369
.LBB31_2365:
	s_mov_b32 s0, -1
                                        ; implicit-def: $vgpr20_vgpr21
	s_branch .LBB31_2387
.LBB31_2366:
	s_mov_b32 s0, -1
                                        ; implicit-def: $vgpr20_vgpr21
	s_branch .LBB31_2375
.LBB31_2367:
	s_mov_b32 s0, -1
                                        ; implicit-def: $vgpr20_vgpr21
	s_branch .LBB31_2372
.LBB31_2368:
	s_mov_b32 s0, -1
                                        ; implicit-def: $vgpr20_vgpr21
.LBB31_2369:
	s_delay_alu instid0(SALU_CYCLE_1)
	s_and_not1_b32 vcc_lo, exec_lo, s0
	s_cbranch_vccnz .LBB31_2371
; %bb.2370:
	global_load_b32 v1, v[16:17], off
	s_wait_loadcnt 0x0
	v_trunc_f32_e32 v1, v1
	s_delay_alu instid0(VALU_DEP_1) | instskip(SKIP_2) | instid1(VALU_DEP_2)
	v_mul_f32_e64 v3, 0x2f800000, |v1|
	s_wait_xcnt 0x1
	v_ashrrev_i32_e32 v20, 31, v1
	v_floor_f32_e32 v3, v3
	s_delay_alu instid0(VALU_DEP_1) | instskip(SKIP_1) | instid1(VALU_DEP_4)
	v_fma_f32 v5, 0xcf800000, v3, |v1|
	v_cvt_u32_f32_e32 v1, v3
	v_mov_b32_e32 v21, v20
	s_delay_alu instid0(VALU_DEP_3) | instskip(NEXT) | instid1(VALU_DEP_3)
	v_cvt_u32_f32_e32 v3, v5
	v_xor_b32_e32 v23, v1, v20
	s_delay_alu instid0(VALU_DEP_2) | instskip(NEXT) | instid1(VALU_DEP_1)
	v_xor_b32_e32 v22, v3, v20
	v_sub_nc_u64_e32 v[20:21], v[22:23], v[20:21]
.LBB31_2371:
	s_mov_b32 s0, 0
.LBB31_2372:
	s_delay_alu instid0(SALU_CYCLE_1)
	s_and_not1_b32 vcc_lo, exec_lo, s0
	s_cbranch_vccnz .LBB31_2374
; %bb.2373:
	global_load_b32 v1, v[16:17], off
	s_wait_loadcnt 0x0
	v_cvt_f32_f16_e32 v1, v1
	s_wait_xcnt 0x1
	s_delay_alu instid0(VALU_DEP_1) | instskip(NEXT) | instid1(VALU_DEP_1)
	v_cvt_i32_f32_e32 v20, v1
	v_ashrrev_i32_e32 v21, 31, v20
.LBB31_2374:
	s_mov_b32 s0, 0
.LBB31_2375:
	s_delay_alu instid0(SALU_CYCLE_1)
	s_and_not1_b32 vcc_lo, exec_lo, s0
	s_cbranch_vccnz .LBB31_2386
; %bb.2376:
	s_cmp_lt_i32 s13, 6
	s_cbranch_scc1 .LBB31_2379
; %bb.2377:
	s_cmp_gt_i32 s13, 6
	s_cbranch_scc0 .LBB31_2380
; %bb.2378:
	s_wait_loadcnt 0x0
	global_load_b64 v[20:21], v[16:17], off
	s_mov_b32 s0, 0
	s_wait_loadcnt 0x0
	v_trunc_f64_e32 v[20:21], v[20:21]
	s_delay_alu instid0(VALU_DEP_1) | instskip(NEXT) | instid1(VALU_DEP_1)
	v_ldexp_f64 v[22:23], v[20:21], 0xffffffe0
	v_floor_f64_e32 v[22:23], v[22:23]
	s_delay_alu instid0(VALU_DEP_1) | instskip(SKIP_1) | instid1(VALU_DEP_2)
	v_fmamk_f64 v[24:25], v[22:23], 0xc1f00000, v[20:21]
	v_cvt_i32_f64_e32 v21, v[22:23]
	v_cvt_u32_f64_e32 v20, v[24:25]
	s_branch .LBB31_2381
.LBB31_2379:
	s_mov_b32 s0, -1
                                        ; implicit-def: $vgpr20_vgpr21
	s_branch .LBB31_2384
.LBB31_2380:
	s_mov_b32 s0, -1
                                        ; implicit-def: $vgpr20_vgpr21
.LBB31_2381:
	s_delay_alu instid0(SALU_CYCLE_1)
	s_and_not1_b32 vcc_lo, exec_lo, s0
	s_cbranch_vccnz .LBB31_2383
; %bb.2382:
	global_load_b32 v1, v[16:17], off
	s_wait_loadcnt 0x0
	v_trunc_f32_e32 v1, v1
	s_delay_alu instid0(VALU_DEP_1) | instskip(SKIP_2) | instid1(VALU_DEP_2)
	v_mul_f32_e64 v3, 0x2f800000, |v1|
	s_wait_xcnt 0x1
	v_ashrrev_i32_e32 v20, 31, v1
	v_floor_f32_e32 v3, v3
	s_delay_alu instid0(VALU_DEP_1) | instskip(SKIP_1) | instid1(VALU_DEP_4)
	v_fma_f32 v5, 0xcf800000, v3, |v1|
	v_cvt_u32_f32_e32 v1, v3
	v_mov_b32_e32 v21, v20
	s_delay_alu instid0(VALU_DEP_3) | instskip(NEXT) | instid1(VALU_DEP_3)
	v_cvt_u32_f32_e32 v3, v5
	v_xor_b32_e32 v23, v1, v20
	s_delay_alu instid0(VALU_DEP_2) | instskip(NEXT) | instid1(VALU_DEP_1)
	v_xor_b32_e32 v22, v3, v20
	v_sub_nc_u64_e32 v[20:21], v[22:23], v[20:21]
.LBB31_2383:
	s_mov_b32 s0, 0
.LBB31_2384:
	s_delay_alu instid0(SALU_CYCLE_1)
	s_and_not1_b32 vcc_lo, exec_lo, s0
	s_cbranch_vccnz .LBB31_2386
; %bb.2385:
	global_load_u16 v1, v[16:17], off
	s_wait_loadcnt 0x0
	v_cvt_f32_f16_e32 v1, v1
	s_wait_xcnt 0x1
	s_delay_alu instid0(VALU_DEP_1) | instskip(NEXT) | instid1(VALU_DEP_1)
	v_cvt_i32_f32_e32 v20, v1
	v_ashrrev_i32_e32 v21, 31, v20
.LBB31_2386:
	s_mov_b32 s0, 0
.LBB31_2387:
	s_delay_alu instid0(SALU_CYCLE_1)
	s_and_not1_b32 vcc_lo, exec_lo, s0
	s_cbranch_vccnz .LBB31_2407
; %bb.2388:
	s_cmp_lt_i32 s13, 2
	s_cbranch_scc1 .LBB31_2392
; %bb.2389:
	s_cmp_lt_i32 s13, 3
	s_cbranch_scc1 .LBB31_2393
; %bb.2390:
	s_cmp_gt_i32 s13, 3
	s_cbranch_scc0 .LBB31_2394
; %bb.2391:
	s_wait_loadcnt 0x0
	global_load_b64 v[20:21], v[16:17], off
	s_mov_b32 s0, 0
	s_branch .LBB31_2395
.LBB31_2392:
	s_mov_b32 s0, -1
                                        ; implicit-def: $vgpr20_vgpr21
	s_branch .LBB31_2401
.LBB31_2393:
	s_mov_b32 s0, -1
                                        ; implicit-def: $vgpr20_vgpr21
	s_branch .LBB31_2398
.LBB31_2394:
	s_mov_b32 s0, -1
                                        ; implicit-def: $vgpr20_vgpr21
.LBB31_2395:
	s_delay_alu instid0(SALU_CYCLE_1)
	s_and_not1_b32 vcc_lo, exec_lo, s0
	s_cbranch_vccnz .LBB31_2397
; %bb.2396:
	s_wait_loadcnt 0x0
	global_load_b32 v20, v[16:17], off
	s_wait_loadcnt 0x0
	v_ashrrev_i32_e32 v21, 31, v20
.LBB31_2397:
	s_mov_b32 s0, 0
.LBB31_2398:
	s_delay_alu instid0(SALU_CYCLE_1)
	s_and_not1_b32 vcc_lo, exec_lo, s0
	s_cbranch_vccnz .LBB31_2400
; %bb.2399:
	global_load_u16 v1, v[16:17], off
	s_wait_loadcnt 0x0
	s_wait_xcnt 0x1
	v_bfe_i32 v20, v1, 0, 16
	s_delay_alu instid0(VALU_DEP_1)
	v_ashrrev_i32_e32 v21, 31, v20
.LBB31_2400:
	s_mov_b32 s0, 0
.LBB31_2401:
	s_delay_alu instid0(SALU_CYCLE_1)
	s_and_not1_b32 vcc_lo, exec_lo, s0
	s_cbranch_vccnz .LBB31_2407
; %bb.2402:
	s_cmp_gt_i32 s13, 0
	s_mov_b32 s0, 0
	s_cbranch_scc0 .LBB31_2404
; %bb.2403:
	global_load_i8 v1, v[16:17], off
	s_wait_loadcnt 0x0
	s_wait_xcnt 0x1
	v_bfe_i32 v20, v1, 0, 16
	s_delay_alu instid0(VALU_DEP_1)
	v_ashrrev_i32_e32 v21, 31, v20
	s_branch .LBB31_2405
.LBB31_2404:
	s_mov_b32 s0, -1
                                        ; implicit-def: $vgpr20_vgpr21
.LBB31_2405:
	s_delay_alu instid0(SALU_CYCLE_1)
	s_and_not1_b32 vcc_lo, exec_lo, s0
	s_cbranch_vccnz .LBB31_2407
; %bb.2406:
	global_load_u8 v1, v[16:17], off
	s_mov_b32 s0, 0
	s_wait_loadcnt 0x1
	s_wait_xcnt 0x1
	v_mov_b32_e32 v21, s0
	s_wait_loadcnt 0x0
	v_and_b32_e32 v20, 0xffff, v1
.LBB31_2407:
	s_mov_b32 s15, -1
.LBB31_2408:
	s_delay_alu instid0(SALU_CYCLE_1)
	s_and_not1_b32 vcc_lo, exec_lo, s15
	s_cbranch_vccnz .LBB31_2673
; %bb.2409:
	s_wait_loadcnt 0x0
	s_delay_alu instid0(VALU_DEP_1) | instskip(SKIP_1) | instid1(VALU_DEP_1)
	v_sub_nc_u64_e32 v[16:17], 0, v[20:21]
	s_mov_b32 s14, exec_lo
	v_max_i64 v[16:17], v[20:21], v[16:17]
	v_cmpx_ne_u64_e32 0, v[18:19]
	s_cbranch_execz .LBB31_2417
; %bb.2410:
	v_sub_nc_u64_e32 v[20:21], 0, v[18:19]
	s_mov_b32 s15, 0
	s_delay_alu instid0(VALU_DEP_1)
	v_max_i64 v[22:23], v[18:19], v[20:21]
	v_mov_b32_e32 v18, 0
	s_branch .LBB31_2412
.LBB31_2411:                            ;   in Loop: Header=BB31_2412 Depth=1
	s_or_b32 exec_lo, exec_lo, s0
	s_delay_alu instid0(VALU_DEP_1) | instskip(SKIP_2) | instid1(SALU_CYCLE_1)
	v_cmp_eq_u64_e32 vcc_lo, 0, v[22:23]
	v_mov_b64_e32 v[16:17], v[20:21]
	s_or_b32 s15, vcc_lo, s15
	s_and_not1_b32 exec_lo, exec_lo, s15
	s_cbranch_execz .LBB31_2416
.LBB31_2412:                            ; =>This Inner Loop Header: Depth=1
	s_delay_alu instid0(VALU_DEP_2) | instskip(SKIP_1) | instid1(VALU_DEP_1)
	v_mov_b64_e32 v[20:21], v[22:23]
                                        ; implicit-def: $vgpr22_vgpr23
	s_mov_b32 s0, exec_lo
	v_or_b32_e32 v19, v17, v21
	s_delay_alu instid0(VALU_DEP_1)
	v_cmpx_ne_u64_e32 0, v[18:19]
	s_xor_b32 s16, exec_lo, s0
	s_cbranch_execz .LBB31_2414
; %bb.2413:                             ;   in Loop: Header=BB31_2412 Depth=1
	s_delay_alu instid0(VALU_DEP_3) | instskip(SKIP_4) | instid1(VALU_DEP_4)
	v_cvt_f32_u32_e32 v1, v20
	v_cvt_f32_u32_e32 v3, v21
	v_sub_nc_u64_e32 v[24:25], 0, v[20:21]
	v_dual_mov_b32 v23, v18 :: v_dual_mov_b32 v31, v18
	v_mov_b32_e32 v33, v18
	v_fmac_f32_e32 v1, 0x4f800000, v3
	s_delay_alu instid0(VALU_DEP_1) | instskip(SKIP_1) | instid1(TRANS32_DEP_1)
	v_rcp_f32_e32 v1, v1
	v_nop
	v_mul_f32_e32 v1, 0x5f7ffffc, v1
	s_delay_alu instid0(VALU_DEP_1) | instskip(NEXT) | instid1(VALU_DEP_1)
	v_mul_f32_e32 v3, 0x2f800000, v1
	v_trunc_f32_e32 v3, v3
	s_delay_alu instid0(VALU_DEP_1) | instskip(SKIP_1) | instid1(VALU_DEP_2)
	v_fmac_f32_e32 v1, 0xcf800000, v3
	v_cvt_u32_f32_e32 v27, v3
	v_cvt_u32_f32_e32 v22, v1
	s_delay_alu instid0(VALU_DEP_1) | instskip(NEXT) | instid1(VALU_DEP_1)
	v_dual_mov_b32 v32, v27 :: v_dual_mov_b32 v26, v22
	v_mul_u64_e32 v[28:29], v[24:25], v[26:27]
	s_delay_alu instid0(VALU_DEP_1) | instskip(NEXT) | instid1(VALU_DEP_1)
	v_dual_mov_b32 v30, v29 :: v_dual_mov_b32 v29, v18
	v_mul_u64_e32 v[34:35], v[22:23], v[30:31]
	s_delay_alu instid0(VALU_DEP_2) | instskip(SKIP_2) | instid1(VALU_DEP_1)
	v_mul_u64_e32 v[36:37], v[32:33], v[28:29]
	v_mul_u64_e32 v[30:31], v[32:33], v[30:31]
	v_mul_hi_u32 v28, v22, v28
	v_add_nc_u64_e32 v[28:29], v[28:29], v[34:35]
	s_delay_alu instid0(VALU_DEP_1) | instskip(NEXT) | instid1(VALU_DEP_2)
	v_add_co_u32 v1, vcc_lo, v28, v36
	v_add_co_ci_u32_e32 v32, vcc_lo, v29, v37, vcc_lo
	v_add_co_ci_u32_e32 v31, vcc_lo, 0, v31, vcc_lo
	s_delay_alu instid0(VALU_DEP_1) | instskip(NEXT) | instid1(VALU_DEP_1)
	v_add_nc_u64_e32 v[28:29], v[32:33], v[30:31]
	v_add_co_u32 v22, vcc_lo, v22, v28
	s_delay_alu instid0(VALU_DEP_1) | instskip(SKIP_1) | instid1(VALU_DEP_2)
	v_add_co_ci_u32_e64 v26, null, v27, v29, vcc_lo
	v_dual_mov_b32 v29, v18 :: v_dual_mov_b32 v27, v18
	v_mov_b32_e32 v23, v26
	s_delay_alu instid0(VALU_DEP_1) | instskip(NEXT) | instid1(VALU_DEP_1)
	v_mul_u64_e32 v[24:25], v[24:25], v[22:23]
	v_dual_mov_b32 v23, v18 :: v_dual_mov_b32 v28, v25
	s_delay_alu instid0(VALU_DEP_2) | instskip(SKIP_1) | instid1(VALU_DEP_3)
	v_dual_mov_b32 v32, v24 :: v_dual_mov_b32 v25, v18
	v_mul_hi_u32 v24, v22, v24
	v_mul_u64_e32 v[30:31], v[22:23], v[28:29]
	s_delay_alu instid0(VALU_DEP_3) | instskip(SKIP_1) | instid1(VALU_DEP_3)
	v_mul_u64_e32 v[32:33], v[26:27], v[32:33]
	v_mul_u64_e32 v[28:29], v[26:27], v[28:29]
	v_add_nc_u64_e32 v[24:25], v[24:25], v[30:31]
	v_mov_b32_e32 v31, v18
	s_delay_alu instid0(VALU_DEP_2) | instskip(NEXT) | instid1(VALU_DEP_3)
	v_add_co_u32 v1, vcc_lo, v24, v32
	v_add_co_ci_u32_e32 v30, vcc_lo, v25, v33, vcc_lo
	v_add_co_ci_u32_e32 v29, vcc_lo, 0, v29, vcc_lo
	s_delay_alu instid0(VALU_DEP_1) | instskip(SKIP_1) | instid1(VALU_DEP_2)
	v_add_nc_u64_e32 v[24:25], v[30:31], v[28:29]
	v_dual_mov_b32 v28, v16 :: v_dual_mov_b32 v29, v18
	v_add_co_u32 v24, vcc_lo, v22, v24
	s_delay_alu instid0(VALU_DEP_1) | instskip(SKIP_1) | instid1(VALU_DEP_2)
	v_add_co_ci_u32_e64 v22, null, v26, v25, vcc_lo
	v_dual_mov_b32 v26, v17 :: v_dual_mov_b32 v25, v18
	v_mul_u64_e32 v[28:29], v[28:29], v[22:23]
	s_delay_alu instid0(VALU_DEP_2) | instskip(NEXT) | instid1(VALU_DEP_3)
	v_mul_u64_e32 v[22:23], v[26:27], v[22:23]
	v_mul_u64_e32 v[30:31], v[26:27], v[24:25]
	v_mul_hi_u32 v24, v16, v24
	s_delay_alu instid0(VALU_DEP_1) | instskip(NEXT) | instid1(VALU_DEP_1)
	v_add_nc_u64_e32 v[24:25], v[24:25], v[28:29]
	v_add_co_u32 v1, vcc_lo, v24, v30
	s_delay_alu instid0(VALU_DEP_2) | instskip(SKIP_1) | instid1(VALU_DEP_1)
	v_add_co_ci_u32_e32 v26, vcc_lo, v25, v31, vcc_lo
	v_add_co_ci_u32_e32 v23, vcc_lo, 0, v23, vcc_lo
	v_add_nc_u64_e32 v[22:23], v[26:27], v[22:23]
	s_delay_alu instid0(VALU_DEP_1) | instskip(NEXT) | instid1(VALU_DEP_1)
	v_mul_u64_e32 v[22:23], v[20:21], v[22:23]
	v_sub_nc_u32_e32 v1, v17, v23
	s_delay_alu instid0(VALU_DEP_2) | instskip(NEXT) | instid1(VALU_DEP_1)
	v_sub_co_u32 v3, vcc_lo, v16, v22
	v_sub_co_ci_u32_e64 v5, null, v17, v23, vcc_lo
	s_delay_alu instid0(VALU_DEP_3) | instskip(NEXT) | instid1(VALU_DEP_3)
	v_sub_co_ci_u32_e64 v1, null, v1, v21, vcc_lo
	v_sub_co_u32 v7, vcc_lo, v3, v20
	v_cmp_ge_u32_e64 s0, v3, v20
	s_delay_alu instid0(VALU_DEP_3) | instskip(SKIP_1) | instid1(VALU_DEP_3)
	v_subrev_co_ci_u32_e64 v9, null, 0, v1, vcc_lo
	v_sub_co_ci_u32_e64 v1, null, v1, v21, vcc_lo
	v_cndmask_b32_e64 v13, 0, -1, s0
	v_cmp_ge_u32_e64 s0, v7, v20
	v_cmp_ge_u32_e32 vcc_lo, v5, v21
	s_delay_alu instid0(VALU_DEP_2) | instskip(SKIP_3) | instid1(VALU_DEP_3)
	v_cndmask_b32_e64 v16, 0, -1, s0
	v_cmp_ge_u32_e64 s0, v9, v21
	v_cndmask_b32_e64 v19, 0, -1, vcc_lo
	v_cmp_eq_u32_e32 vcc_lo, v9, v21
	v_cndmask_b32_e64 v17, 0, -1, s0
	v_cmp_eq_u32_e64 s0, v5, v21
	s_delay_alu instid0(VALU_DEP_1) | instskip(SKIP_1) | instid1(VALU_DEP_1)
	v_dual_cndmask_b32 v16, v17, v16, vcc_lo :: v_dual_cndmask_b32 v13, v19, v13, s0
	v_sub_co_u32 v17, vcc_lo, v7, v20
	v_subrev_co_ci_u32_e64 v1, null, 0, v1, vcc_lo
	s_delay_alu instid0(VALU_DEP_3) | instskip(NEXT) | instid1(VALU_DEP_3)
	v_cmp_ne_u32_e32 vcc_lo, 0, v16
	v_cndmask_b32_e32 v7, v7, v17, vcc_lo
	s_delay_alu instid0(VALU_DEP_3) | instskip(SKIP_1) | instid1(VALU_DEP_2)
	v_cndmask_b32_e32 v1, v9, v1, vcc_lo
	v_cmp_ne_u32_e32 vcc_lo, 0, v13
                                        ; implicit-def: $vgpr16_vgpr17
	v_dual_cndmask_b32 v22, v3, v7 :: v_dual_cndmask_b32 v23, v5, v1
.LBB31_2414:                            ;   in Loop: Header=BB31_2412 Depth=1
	s_and_not1_saveexec_b32 s0, s16
	s_cbranch_execz .LBB31_2411
; %bb.2415:                             ;   in Loop: Header=BB31_2412 Depth=1
	v_cvt_f32_u32_e32 v1, v20
	v_dual_sub_nc_u32 v3, 0, v20 :: v_dual_mov_b32 v23, v18
	s_delay_alu instid0(VALU_DEP_2) | instskip(SKIP_1) | instid1(TRANS32_DEP_1)
	v_rcp_iflag_f32_e32 v1, v1
	v_nop
	v_mul_f32_e32 v1, 0x4f7ffffe, v1
	s_delay_alu instid0(VALU_DEP_1) | instskip(NEXT) | instid1(VALU_DEP_1)
	v_cvt_u32_f32_e32 v1, v1
	v_mul_lo_u32 v3, v3, v1
	s_delay_alu instid0(VALU_DEP_1) | instskip(NEXT) | instid1(VALU_DEP_1)
	v_mul_hi_u32 v3, v1, v3
	v_add_nc_u32_e32 v1, v1, v3
	s_delay_alu instid0(VALU_DEP_1) | instskip(NEXT) | instid1(VALU_DEP_1)
	v_mul_hi_u32 v1, v16, v1
	v_mul_lo_u32 v1, v1, v20
	s_delay_alu instid0(VALU_DEP_1) | instskip(NEXT) | instid1(VALU_DEP_1)
	v_sub_nc_u32_e32 v1, v16, v1
	v_sub_nc_u32_e32 v3, v1, v20
	v_cmp_ge_u32_e32 vcc_lo, v1, v20
	s_delay_alu instid0(VALU_DEP_2) | instskip(NEXT) | instid1(VALU_DEP_1)
	v_cndmask_b32_e32 v1, v1, v3, vcc_lo
	v_sub_nc_u32_e32 v3, v1, v20
	v_cmp_ge_u32_e32 vcc_lo, v1, v20
	s_delay_alu instid0(VALU_DEP_2)
	v_cndmask_b32_e32 v22, v1, v3, vcc_lo
	s_branch .LBB31_2411
.LBB31_2416:
	s_or_b32 exec_lo, exec_lo, s15
	v_mov_b64_e32 v[16:17], v[20:21]
.LBB31_2417:
	s_or_b32 exec_lo, exec_lo, s14
	v_mov_b32_e32 v13, 0
	s_cmp_lt_i32 s12, 11
	s_delay_alu instid0(VALU_DEP_1)
	v_add_nc_u64_e32 v[18:19], s[6:7], v[12:13]
	s_cbranch_scc1 .LBB31_2424
; %bb.2418:
	s_cmp_gt_i32 s12, 25
	s_mov_b32 s6, 0
	s_cbranch_scc0 .LBB31_2425
; %bb.2419:
	s_cmp_gt_i32 s12, 28
	s_cbranch_scc0 .LBB31_2426
; %bb.2420:
	s_cmp_gt_i32 s12, 43
	;; [unrolled: 3-line block ×3, first 2 shown]
	s_cbranch_scc0 .LBB31_2429
; %bb.2422:
	s_cmp_eq_u32 s12, 46
	s_mov_b32 s14, 0
	s_cbranch_scc0 .LBB31_2430
; %bb.2423:
	global_load_b32 v1, v[18:19], off
	s_mov_b32 s0, 0
	s_mov_b32 s7, -1
	s_wait_loadcnt 0x0
	v_lshlrev_b32_e32 v1, 16, v1
	s_delay_alu instid0(VALU_DEP_1) | instskip(NEXT) | instid1(VALU_DEP_1)
	v_trunc_f32_e32 v1, v1
	v_mul_f32_e64 v3, 0x2f800000, |v1|
	v_ashrrev_i32_e32 v12, 31, v1
	s_delay_alu instid0(VALU_DEP_2) | instskip(NEXT) | instid1(VALU_DEP_2)
	v_floor_f32_e32 v3, v3
	v_mov_b32_e32 v13, v12
	s_delay_alu instid0(VALU_DEP_2) | instskip(SKIP_1) | instid1(VALU_DEP_2)
	v_fma_f32 v5, 0xcf800000, v3, |v1|
	v_cvt_u32_f32_e32 v1, v3
	v_cvt_u32_f32_e32 v3, v5
	s_delay_alu instid0(VALU_DEP_2) | instskip(NEXT) | instid1(VALU_DEP_2)
	v_xor_b32_e32 v21, v1, v12
	v_xor_b32_e32 v20, v3, v12
	s_delay_alu instid0(VALU_DEP_1)
	v_sub_nc_u64_e32 v[12:13], v[20:21], v[12:13]
	s_branch .LBB31_2432
.LBB31_2424:
	s_mov_b32 s0, -1
	s_mov_b32 s7, 0
                                        ; implicit-def: $vgpr12_vgpr13
	s_branch .LBB31_2494
.LBB31_2425:
	s_mov_b32 s14, -1
	s_mov_b32 s7, 0
	s_mov_b32 s0, 0
                                        ; implicit-def: $vgpr12_vgpr13
	s_branch .LBB31_2459
.LBB31_2426:
	s_mov_b32 s14, -1
	s_mov_b32 s7, 0
	s_mov_b32 s0, 0
                                        ; implicit-def: $vgpr12_vgpr13
	s_branch .LBB31_2442
.LBB31_2427:
	s_mov_b32 s14, -1
	s_mov_b32 s7, 0
	s_mov_b32 s0, 0
                                        ; implicit-def: $vgpr12_vgpr13
	s_branch .LBB31_2437
.LBB31_2428:
	s_or_b32 s1, s1, exec_lo
	s_trap 2
	s_cbranch_execz .LBB31_2357
	s_branch .LBB31_2358
.LBB31_2429:
	s_mov_b32 s14, -1
	s_mov_b32 s7, 0
	s_mov_b32 s0, 0
	s_branch .LBB31_2431
.LBB31_2430:
	s_mov_b32 s0, -1
	s_mov_b32 s7, 0
.LBB31_2431:
                                        ; implicit-def: $vgpr12_vgpr13
.LBB31_2432:
	s_and_b32 vcc_lo, exec_lo, s14
	s_cbranch_vccz .LBB31_2436
; %bb.2433:
	s_cmp_eq_u32 s12, 44
	s_cbranch_scc0 .LBB31_2435
; %bb.2434:
	global_load_u8 v1, v[18:19], off
	s_mov_b32 s0, 0
	s_mov_b32 s7, -1
	s_wait_loadcnt 0x0
	v_lshlrev_b32_e32 v3, 23, v1
	v_cmp_ne_u32_e32 vcc_lo, 0, v1
	s_delay_alu instid0(VALU_DEP_2) | instskip(NEXT) | instid1(VALU_DEP_1)
	v_trunc_f32_e32 v3, v3
	v_mul_f32_e64 v5, 0x2f800000, |v3|
	v_ashrrev_i32_e32 v12, 31, v3
	s_delay_alu instid0(VALU_DEP_2) | instskip(NEXT) | instid1(VALU_DEP_2)
	v_floor_f32_e32 v5, v5
	v_mov_b32_e32 v13, v12
	s_delay_alu instid0(VALU_DEP_2) | instskip(SKIP_1) | instid1(VALU_DEP_2)
	v_fma_f32 v7, 0xcf800000, v5, |v3|
	v_cvt_u32_f32_e32 v3, v5
	v_cvt_u32_f32_e32 v5, v7
	s_delay_alu instid0(VALU_DEP_2) | instskip(NEXT) | instid1(VALU_DEP_2)
	v_xor_b32_e32 v21, v3, v12
	v_xor_b32_e32 v20, v5, v12
	s_delay_alu instid0(VALU_DEP_1) | instskip(NEXT) | instid1(VALU_DEP_1)
	v_sub_nc_u64_e32 v[12:13], v[20:21], v[12:13]
	v_dual_cndmask_b32 v13, 0, v13 :: v_dual_cndmask_b32 v12, 0, v12
	s_branch .LBB31_2436
.LBB31_2435:
	s_mov_b32 s0, -1
                                        ; implicit-def: $vgpr12_vgpr13
.LBB31_2436:
	s_mov_b32 s14, 0
.LBB31_2437:
	s_delay_alu instid0(SALU_CYCLE_1)
	s_and_b32 vcc_lo, exec_lo, s14
	s_cbranch_vccz .LBB31_2441
; %bb.2438:
	s_cmp_eq_u32 s12, 29
	s_cbranch_scc0 .LBB31_2440
; %bb.2439:
	global_load_b64 v[12:13], v[18:19], off
	s_mov_b32 s0, 0
	s_mov_b32 s7, -1
	s_branch .LBB31_2441
.LBB31_2440:
	s_mov_b32 s0, -1
                                        ; implicit-def: $vgpr12_vgpr13
.LBB31_2441:
	s_mov_b32 s14, 0
.LBB31_2442:
	s_delay_alu instid0(SALU_CYCLE_1)
	s_and_b32 vcc_lo, exec_lo, s14
	s_cbranch_vccz .LBB31_2458
; %bb.2443:
	s_cmp_lt_i32 s12, 27
	s_cbranch_scc1 .LBB31_2446
; %bb.2444:
	s_cmp_gt_i32 s12, 27
	s_cbranch_scc0 .LBB31_2447
; %bb.2445:
	s_wait_loadcnt 0x0
	global_load_b32 v12, v[18:19], off
	v_mov_b32_e32 v13, 0
	s_mov_b32 s7, 0
	s_branch .LBB31_2448
.LBB31_2446:
	s_mov_b32 s7, -1
                                        ; implicit-def: $vgpr12_vgpr13
	s_branch .LBB31_2451
.LBB31_2447:
	s_mov_b32 s7, -1
                                        ; implicit-def: $vgpr12_vgpr13
.LBB31_2448:
	s_delay_alu instid0(SALU_CYCLE_1)
	s_and_not1_b32 vcc_lo, exec_lo, s7
	s_cbranch_vccnz .LBB31_2450
; %bb.2449:
	global_load_u16 v1, v[18:19], off
	s_mov_b32 s7, 0
	s_wait_loadcnt 0x1
	v_mov_b32_e32 v13, s7
	s_wait_loadcnt 0x0
	v_and_b32_e32 v12, 0xffff, v1
.LBB31_2450:
	s_mov_b32 s7, 0
.LBB31_2451:
	s_delay_alu instid0(SALU_CYCLE_1)
	s_and_not1_b32 vcc_lo, exec_lo, s7
	s_cbranch_vccnz .LBB31_2457
; %bb.2452:
	global_load_u8 v1, v[18:19], off
	s_mov_b32 s14, 0
	s_mov_b32 s7, exec_lo
	s_wait_loadcnt 0x0
	v_cmpx_lt_i16_e32 0x7f, v1
	s_xor_b32 s7, exec_lo, s7
	s_cbranch_execz .LBB31_2469
; %bb.2453:
	v_cmp_ne_u16_e32 vcc_lo, 0x80, v1
	s_and_b32 s14, vcc_lo, exec_lo
	s_and_not1_saveexec_b32 s7, s7
	s_cbranch_execnz .LBB31_2470
.LBB31_2454:
	s_or_b32 exec_lo, exec_lo, s7
	v_mov_b64_e32 v[12:13], 0
	s_and_saveexec_b32 s7, s14
	s_cbranch_execz .LBB31_2456
.LBB31_2455:
	v_and_b32_e32 v3, 0xffff, v1
	s_delay_alu instid0(VALU_DEP_1) | instskip(SKIP_1) | instid1(VALU_DEP_2)
	v_dual_lshlrev_b32 v1, 24, v1 :: v_dual_bitop2_b32 v5, 7, v3 bitop3:0x40
	v_bfe_u32 v12, v3, 3, 4
	v_and_b32_e32 v1, 0x80000000, v1
	s_delay_alu instid0(VALU_DEP_3) | instskip(NEXT) | instid1(VALU_DEP_3)
	v_clz_i32_u32_e32 v7, v5
	v_cmp_eq_u32_e32 vcc_lo, 0, v12
	s_delay_alu instid0(VALU_DEP_2) | instskip(NEXT) | instid1(VALU_DEP_1)
	v_min_u32_e32 v7, 32, v7
	v_subrev_nc_u32_e32 v9, 28, v7
	v_sub_nc_u32_e32 v7, 29, v7
	s_delay_alu instid0(VALU_DEP_2) | instskip(NEXT) | instid1(VALU_DEP_2)
	v_lshlrev_b32_e32 v3, v9, v3
	v_cndmask_b32_e32 v7, v12, v7, vcc_lo
	s_delay_alu instid0(VALU_DEP_2) | instskip(NEXT) | instid1(VALU_DEP_1)
	v_and_b32_e32 v3, 7, v3
	v_cndmask_b32_e32 v3, v5, v3, vcc_lo
	s_delay_alu instid0(VALU_DEP_3) | instskip(NEXT) | instid1(VALU_DEP_2)
	v_lshl_add_u32 v5, v7, 23, 0x3b800000
	v_lshlrev_b32_e32 v3, 20, v3
	s_delay_alu instid0(VALU_DEP_1) | instskip(NEXT) | instid1(VALU_DEP_1)
	v_or3_b32 v1, v1, v5, v3
	v_trunc_f32_e32 v1, v1
	s_delay_alu instid0(VALU_DEP_1) | instskip(SKIP_1) | instid1(VALU_DEP_2)
	v_mul_f32_e64 v3, 0x2f800000, |v1|
	v_ashrrev_i32_e32 v12, 31, v1
	v_floor_f32_e32 v3, v3
	s_delay_alu instid0(VALU_DEP_2) | instskip(NEXT) | instid1(VALU_DEP_2)
	v_mov_b32_e32 v13, v12
	v_fma_f32 v5, 0xcf800000, v3, |v1|
	v_cvt_u32_f32_e32 v1, v3
	s_delay_alu instid0(VALU_DEP_2) | instskip(NEXT) | instid1(VALU_DEP_2)
	v_cvt_u32_f32_e32 v3, v5
	v_xor_b32_e32 v21, v1, v12
	s_delay_alu instid0(VALU_DEP_2) | instskip(NEXT) | instid1(VALU_DEP_1)
	v_xor_b32_e32 v20, v3, v12
	v_sub_nc_u64_e32 v[12:13], v[20:21], v[12:13]
.LBB31_2456:
	s_or_b32 exec_lo, exec_lo, s7
.LBB31_2457:
	s_mov_b32 s7, -1
.LBB31_2458:
	s_mov_b32 s14, 0
.LBB31_2459:
	s_delay_alu instid0(SALU_CYCLE_1)
	s_and_b32 vcc_lo, exec_lo, s14
	s_cbranch_vccz .LBB31_2490
; %bb.2460:
	s_cmp_gt_i32 s12, 22
	s_cbranch_scc0 .LBB31_2468
; %bb.2461:
	s_cmp_lt_i32 s12, 24
	s_cbranch_scc1 .LBB31_2471
; %bb.2462:
	s_cmp_gt_i32 s12, 24
	s_cbranch_scc0 .LBB31_2472
; %bb.2463:
	global_load_u8 v1, v[18:19], off
	s_mov_b32 s7, 0
	s_mov_b32 s6, exec_lo
	s_wait_loadcnt 0x0
	v_cmpx_lt_i16_e32 0x7f, v1
	s_xor_b32 s6, exec_lo, s6
	s_cbranch_execz .LBB31_2484
; %bb.2464:
	v_cmp_ne_u16_e32 vcc_lo, 0x80, v1
	s_and_b32 s7, vcc_lo, exec_lo
	s_and_not1_saveexec_b32 s6, s6
	s_cbranch_execnz .LBB31_2485
.LBB31_2465:
	s_or_b32 exec_lo, exec_lo, s6
	v_mov_b64_e32 v[12:13], 0
	s_and_saveexec_b32 s6, s7
	s_cbranch_execz .LBB31_2467
.LBB31_2466:
	v_and_b32_e32 v3, 0xffff, v1
	s_delay_alu instid0(VALU_DEP_1) | instskip(SKIP_1) | instid1(VALU_DEP_2)
	v_dual_lshlrev_b32 v1, 24, v1 :: v_dual_bitop2_b32 v5, 3, v3 bitop3:0x40
	v_bfe_u32 v12, v3, 2, 5
	v_and_b32_e32 v1, 0x80000000, v1
	s_delay_alu instid0(VALU_DEP_3) | instskip(NEXT) | instid1(VALU_DEP_3)
	v_clz_i32_u32_e32 v7, v5
	v_cmp_eq_u32_e32 vcc_lo, 0, v12
	s_delay_alu instid0(VALU_DEP_2) | instskip(NEXT) | instid1(VALU_DEP_1)
	v_min_u32_e32 v7, 32, v7
	v_subrev_nc_u32_e32 v9, 29, v7
	v_sub_nc_u32_e32 v7, 30, v7
	s_delay_alu instid0(VALU_DEP_2) | instskip(NEXT) | instid1(VALU_DEP_2)
	v_lshlrev_b32_e32 v3, v9, v3
	v_cndmask_b32_e32 v7, v12, v7, vcc_lo
	s_delay_alu instid0(VALU_DEP_2) | instskip(NEXT) | instid1(VALU_DEP_1)
	v_and_b32_e32 v3, 3, v3
	v_cndmask_b32_e32 v3, v5, v3, vcc_lo
	s_delay_alu instid0(VALU_DEP_3) | instskip(NEXT) | instid1(VALU_DEP_2)
	v_lshl_add_u32 v5, v7, 23, 0x37800000
	v_lshlrev_b32_e32 v3, 21, v3
	s_delay_alu instid0(VALU_DEP_1) | instskip(NEXT) | instid1(VALU_DEP_1)
	v_or3_b32 v1, v1, v5, v3
	v_trunc_f32_e32 v1, v1
	s_delay_alu instid0(VALU_DEP_1) | instskip(SKIP_1) | instid1(VALU_DEP_2)
	v_mul_f32_e64 v3, 0x2f800000, |v1|
	v_ashrrev_i32_e32 v12, 31, v1
	v_floor_f32_e32 v3, v3
	s_delay_alu instid0(VALU_DEP_2) | instskip(NEXT) | instid1(VALU_DEP_2)
	v_mov_b32_e32 v13, v12
	v_fma_f32 v5, 0xcf800000, v3, |v1|
	v_cvt_u32_f32_e32 v1, v3
	s_delay_alu instid0(VALU_DEP_2) | instskip(NEXT) | instid1(VALU_DEP_2)
	v_cvt_u32_f32_e32 v3, v5
	v_xor_b32_e32 v21, v1, v12
	s_delay_alu instid0(VALU_DEP_2) | instskip(NEXT) | instid1(VALU_DEP_1)
	v_xor_b32_e32 v20, v3, v12
	v_sub_nc_u64_e32 v[12:13], v[20:21], v[12:13]
.LBB31_2467:
	s_or_b32 exec_lo, exec_lo, s6
	s_mov_b32 s6, 0
	s_branch .LBB31_2473
.LBB31_2468:
	s_mov_b32 s6, -1
                                        ; implicit-def: $vgpr12_vgpr13
	s_branch .LBB31_2479
.LBB31_2469:
	s_and_not1_saveexec_b32 s7, s7
	s_cbranch_execz .LBB31_2454
.LBB31_2470:
	v_cmp_ne_u16_e32 vcc_lo, 0, v1
	s_and_not1_b32 s14, s14, exec_lo
	s_and_b32 s15, vcc_lo, exec_lo
	s_delay_alu instid0(SALU_CYCLE_1)
	s_or_b32 s14, s14, s15
	s_or_b32 exec_lo, exec_lo, s7
	v_mov_b64_e32 v[12:13], 0
	s_and_saveexec_b32 s7, s14
	s_cbranch_execnz .LBB31_2455
	s_branch .LBB31_2456
.LBB31_2471:
	s_mov_b32 s6, -1
                                        ; implicit-def: $vgpr12_vgpr13
	s_branch .LBB31_2476
.LBB31_2472:
	s_mov_b32 s6, -1
                                        ; implicit-def: $vgpr12_vgpr13
.LBB31_2473:
	s_delay_alu instid0(SALU_CYCLE_1)
	s_and_b32 vcc_lo, exec_lo, s6
	s_cbranch_vccz .LBB31_2475
; %bb.2474:
	global_load_u8 v1, v[18:19], off
	s_wait_loadcnt 0x0
	v_lshlrev_b32_e32 v1, 24, v1
	s_delay_alu instid0(VALU_DEP_1) | instskip(NEXT) | instid1(VALU_DEP_1)
	v_and_b32_e32 v3, 0x7f000000, v1
	v_clz_i32_u32_e32 v5, v3
	v_add_nc_u32_e32 v9, 0x1000000, v3
	v_cmp_ne_u32_e32 vcc_lo, 0, v3
	s_delay_alu instid0(VALU_DEP_3) | instskip(NEXT) | instid1(VALU_DEP_1)
	v_min_u32_e32 v5, 32, v5
	v_sub_nc_u32_e64 v5, v5, 4 clamp
	s_delay_alu instid0(VALU_DEP_1) | instskip(NEXT) | instid1(VALU_DEP_1)
	v_dual_lshlrev_b32 v7, v5, v3 :: v_dual_lshlrev_b32 v5, 23, v5
	v_lshrrev_b32_e32 v7, 4, v7
	s_delay_alu instid0(VALU_DEP_1) | instskip(SKIP_1) | instid1(VALU_DEP_2)
	v_sub_nc_u32_e32 v5, v7, v5
	v_ashrrev_i32_e32 v7, 8, v9
	v_add_nc_u32_e32 v5, 0x3c000000, v5
	s_delay_alu instid0(VALU_DEP_1) | instskip(NEXT) | instid1(VALU_DEP_1)
	v_and_or_b32 v5, 0x7f800000, v7, v5
	v_cndmask_b32_e32 v3, 0, v5, vcc_lo
	s_delay_alu instid0(VALU_DEP_1) | instskip(NEXT) | instid1(VALU_DEP_1)
	v_and_or_b32 v1, 0x80000000, v1, v3
	v_trunc_f32_e32 v1, v1
	s_delay_alu instid0(VALU_DEP_1) | instskip(SKIP_1) | instid1(VALU_DEP_2)
	v_mul_f32_e64 v3, 0x2f800000, |v1|
	v_ashrrev_i32_e32 v12, 31, v1
	v_floor_f32_e32 v3, v3
	s_delay_alu instid0(VALU_DEP_2) | instskip(NEXT) | instid1(VALU_DEP_2)
	v_mov_b32_e32 v13, v12
	v_fma_f32 v5, 0xcf800000, v3, |v1|
	v_cvt_u32_f32_e32 v1, v3
	s_delay_alu instid0(VALU_DEP_2) | instskip(NEXT) | instid1(VALU_DEP_2)
	v_cvt_u32_f32_e32 v3, v5
	v_xor_b32_e32 v21, v1, v12
	s_delay_alu instid0(VALU_DEP_2) | instskip(NEXT) | instid1(VALU_DEP_1)
	v_xor_b32_e32 v20, v3, v12
	v_sub_nc_u64_e32 v[12:13], v[20:21], v[12:13]
.LBB31_2475:
	s_mov_b32 s6, 0
.LBB31_2476:
	s_delay_alu instid0(SALU_CYCLE_1)
	s_and_not1_b32 vcc_lo, exec_lo, s6
	s_cbranch_vccnz .LBB31_2478
; %bb.2477:
	global_load_u8 v1, v[18:19], off
	s_wait_loadcnt 0x0
	v_lshlrev_b32_e32 v3, 25, v1
	v_lshlrev_b16 v1, 8, v1
	s_delay_alu instid0(VALU_DEP_1) | instskip(SKIP_1) | instid1(VALU_DEP_2)
	v_and_or_b32 v7, 0x7f00, v1, 0.5
	v_bfe_i32 v1, v1, 0, 16
	v_add_f32_e32 v7, -0.5, v7
	v_lshrrev_b32_e32 v5, 4, v3
	v_cmp_gt_u32_e32 vcc_lo, 0x8000000, v3
	s_delay_alu instid0(VALU_DEP_2) | instskip(NEXT) | instid1(VALU_DEP_1)
	v_or_b32_e32 v5, 0x70000000, v5
	v_mul_f32_e32 v5, 0x7800000, v5
	s_delay_alu instid0(VALU_DEP_1) | instskip(NEXT) | instid1(VALU_DEP_1)
	v_cndmask_b32_e32 v3, v5, v7, vcc_lo
	v_and_or_b32 v1, 0x80000000, v1, v3
	s_delay_alu instid0(VALU_DEP_1) | instskip(NEXT) | instid1(VALU_DEP_1)
	v_trunc_f32_e32 v1, v1
	v_mul_f32_e64 v3, 0x2f800000, |v1|
	v_ashrrev_i32_e32 v12, 31, v1
	s_delay_alu instid0(VALU_DEP_2) | instskip(NEXT) | instid1(VALU_DEP_2)
	v_floor_f32_e32 v3, v3
	v_mov_b32_e32 v13, v12
	s_delay_alu instid0(VALU_DEP_2) | instskip(SKIP_1) | instid1(VALU_DEP_2)
	v_fma_f32 v5, 0xcf800000, v3, |v1|
	v_cvt_u32_f32_e32 v1, v3
	v_cvt_u32_f32_e32 v3, v5
	s_delay_alu instid0(VALU_DEP_2) | instskip(NEXT) | instid1(VALU_DEP_2)
	v_xor_b32_e32 v21, v1, v12
	v_xor_b32_e32 v20, v3, v12
	s_delay_alu instid0(VALU_DEP_1)
	v_sub_nc_u64_e32 v[12:13], v[20:21], v[12:13]
.LBB31_2478:
	s_mov_b32 s6, 0
	s_mov_b32 s7, -1
.LBB31_2479:
	s_and_not1_b32 vcc_lo, exec_lo, s6
	s_mov_b32 s6, 0
	s_cbranch_vccnz .LBB31_2490
; %bb.2480:
	s_cmp_gt_i32 s12, 14
	s_cbranch_scc0 .LBB31_2483
; %bb.2481:
	s_cmp_eq_u32 s12, 15
	s_cbranch_scc0 .LBB31_2486
; %bb.2482:
	global_load_u16 v1, v[18:19], off
	s_mov_b32 s0, 0
	s_mov_b32 s7, -1
	s_wait_loadcnt 0x0
	v_lshlrev_b32_e32 v1, 16, v1
	s_delay_alu instid0(VALU_DEP_1) | instskip(NEXT) | instid1(VALU_DEP_1)
	v_trunc_f32_e32 v1, v1
	v_mul_f32_e64 v3, 0x2f800000, |v1|
	v_ashrrev_i32_e32 v12, 31, v1
	s_delay_alu instid0(VALU_DEP_2) | instskip(NEXT) | instid1(VALU_DEP_2)
	v_floor_f32_e32 v3, v3
	v_mov_b32_e32 v13, v12
	s_delay_alu instid0(VALU_DEP_2) | instskip(SKIP_1) | instid1(VALU_DEP_2)
	v_fma_f32 v5, 0xcf800000, v3, |v1|
	v_cvt_u32_f32_e32 v1, v3
	v_cvt_u32_f32_e32 v3, v5
	s_delay_alu instid0(VALU_DEP_2) | instskip(NEXT) | instid1(VALU_DEP_2)
	v_xor_b32_e32 v21, v1, v12
	v_xor_b32_e32 v20, v3, v12
	s_delay_alu instid0(VALU_DEP_1)
	v_sub_nc_u64_e32 v[12:13], v[20:21], v[12:13]
	s_branch .LBB31_2488
.LBB31_2483:
	s_mov_b32 s6, -1
	s_branch .LBB31_2487
.LBB31_2484:
	s_and_not1_saveexec_b32 s6, s6
	s_cbranch_execz .LBB31_2465
.LBB31_2485:
	v_cmp_ne_u16_e32 vcc_lo, 0, v1
	s_and_not1_b32 s7, s7, exec_lo
	s_and_b32 s14, vcc_lo, exec_lo
	s_delay_alu instid0(SALU_CYCLE_1)
	s_or_b32 s7, s7, s14
	s_or_b32 exec_lo, exec_lo, s6
	v_mov_b64_e32 v[12:13], 0
	s_and_saveexec_b32 s6, s7
	s_cbranch_execnz .LBB31_2466
	s_branch .LBB31_2467
.LBB31_2486:
	s_mov_b32 s0, -1
.LBB31_2487:
                                        ; implicit-def: $vgpr12_vgpr13
.LBB31_2488:
	s_and_b32 vcc_lo, exec_lo, s6
	s_mov_b32 s6, 0
	s_cbranch_vccz .LBB31_2490
; %bb.2489:
	s_cmp_lg_u32 s12, 11
	s_mov_b32 s6, -1
	s_cselect_b32 s0, -1, 0
.LBB31_2490:
	s_delay_alu instid0(SALU_CYCLE_1)
	s_and_b32 vcc_lo, exec_lo, s0
	s_cbranch_vccnz .LBB31_2555
; %bb.2491:
	s_and_not1_b32 vcc_lo, exec_lo, s6
	s_cbranch_vccnz .LBB31_2493
.LBB31_2492:
	global_load_u8 v1, v[18:19], off
	s_mov_b32 s0, 0
	s_mov_b32 s7, -1
	s_wait_loadcnt 0x1
	v_mov_b32_e32 v13, s0
	s_wait_loadcnt 0x0
	v_cmp_ne_u16_e32 vcc_lo, 0, v1
	v_cndmask_b32_e64 v12, 0, 1, vcc_lo
.LBB31_2493:
	s_mov_b32 s0, 0
.LBB31_2494:
	s_delay_alu instid0(SALU_CYCLE_1)
	s_and_b32 vcc_lo, exec_lo, s0
	s_cbranch_vccz .LBB31_2543
; %bb.2495:
	s_cmp_lt_i32 s12, 5
	s_cbranch_scc1 .LBB31_2500
; %bb.2496:
	s_cmp_lt_i32 s12, 8
	s_cbranch_scc1 .LBB31_2501
	;; [unrolled: 3-line block ×3, first 2 shown]
; %bb.2498:
	s_cmp_gt_i32 s12, 9
	s_cbranch_scc0 .LBB31_2503
; %bb.2499:
	s_wait_loadcnt 0x0
	global_load_b64 v[12:13], v[18:19], off
	s_mov_b32 s0, 0
	s_wait_loadcnt 0x0
	v_trunc_f64_e32 v[12:13], v[12:13]
	s_delay_alu instid0(VALU_DEP_1) | instskip(NEXT) | instid1(VALU_DEP_1)
	v_ldexp_f64 v[20:21], v[12:13], 0xffffffe0
	v_floor_f64_e32 v[20:21], v[20:21]
	s_delay_alu instid0(VALU_DEP_1) | instskip(SKIP_1) | instid1(VALU_DEP_2)
	v_fmamk_f64 v[22:23], v[20:21], 0xc1f00000, v[12:13]
	v_cvt_i32_f64_e32 v13, v[20:21]
	v_cvt_u32_f64_e32 v12, v[22:23]
	s_branch .LBB31_2504
.LBB31_2500:
	s_mov_b32 s0, -1
                                        ; implicit-def: $vgpr12_vgpr13
	s_branch .LBB31_2522
.LBB31_2501:
	s_mov_b32 s0, -1
                                        ; implicit-def: $vgpr12_vgpr13
	s_branch .LBB31_2510
.LBB31_2502:
	s_mov_b32 s0, -1
                                        ; implicit-def: $vgpr12_vgpr13
	s_branch .LBB31_2507
.LBB31_2503:
	s_mov_b32 s0, -1
                                        ; implicit-def: $vgpr12_vgpr13
.LBB31_2504:
	s_delay_alu instid0(SALU_CYCLE_1)
	s_and_not1_b32 vcc_lo, exec_lo, s0
	s_cbranch_vccnz .LBB31_2506
; %bb.2505:
	global_load_b32 v1, v[18:19], off
	s_wait_loadcnt 0x0
	v_trunc_f32_e32 v1, v1
	s_delay_alu instid0(VALU_DEP_1) | instskip(SKIP_1) | instid1(VALU_DEP_2)
	v_mul_f32_e64 v3, 0x2f800000, |v1|
	v_ashrrev_i32_e32 v12, 31, v1
	v_floor_f32_e32 v3, v3
	s_delay_alu instid0(VALU_DEP_1) | instskip(SKIP_1) | instid1(VALU_DEP_4)
	v_fma_f32 v5, 0xcf800000, v3, |v1|
	v_cvt_u32_f32_e32 v1, v3
	v_mov_b32_e32 v13, v12
	s_delay_alu instid0(VALU_DEP_3) | instskip(NEXT) | instid1(VALU_DEP_3)
	v_cvt_u32_f32_e32 v3, v5
	v_xor_b32_e32 v21, v1, v12
	s_delay_alu instid0(VALU_DEP_2) | instskip(NEXT) | instid1(VALU_DEP_1)
	v_xor_b32_e32 v20, v3, v12
	v_sub_nc_u64_e32 v[12:13], v[20:21], v[12:13]
.LBB31_2506:
	s_mov_b32 s0, 0
.LBB31_2507:
	s_delay_alu instid0(SALU_CYCLE_1)
	s_and_not1_b32 vcc_lo, exec_lo, s0
	s_cbranch_vccnz .LBB31_2509
; %bb.2508:
	global_load_b32 v1, v[18:19], off
	s_wait_loadcnt 0x0
	v_cvt_f32_f16_e32 v1, v1
	s_delay_alu instid0(VALU_DEP_1) | instskip(NEXT) | instid1(VALU_DEP_1)
	v_cvt_i32_f32_e32 v12, v1
	v_ashrrev_i32_e32 v13, 31, v12
.LBB31_2509:
	s_mov_b32 s0, 0
.LBB31_2510:
	s_delay_alu instid0(SALU_CYCLE_1)
	s_and_not1_b32 vcc_lo, exec_lo, s0
	s_cbranch_vccnz .LBB31_2521
; %bb.2511:
	s_cmp_lt_i32 s12, 6
	s_cbranch_scc1 .LBB31_2514
; %bb.2512:
	s_cmp_gt_i32 s12, 6
	s_cbranch_scc0 .LBB31_2515
; %bb.2513:
	s_wait_loadcnt 0x0
	global_load_b64 v[12:13], v[18:19], off
	s_mov_b32 s0, 0
	s_wait_loadcnt 0x0
	v_trunc_f64_e32 v[12:13], v[12:13]
	s_delay_alu instid0(VALU_DEP_1) | instskip(NEXT) | instid1(VALU_DEP_1)
	v_ldexp_f64 v[20:21], v[12:13], 0xffffffe0
	v_floor_f64_e32 v[20:21], v[20:21]
	s_delay_alu instid0(VALU_DEP_1) | instskip(SKIP_1) | instid1(VALU_DEP_2)
	v_fmamk_f64 v[22:23], v[20:21], 0xc1f00000, v[12:13]
	v_cvt_i32_f64_e32 v13, v[20:21]
	v_cvt_u32_f64_e32 v12, v[22:23]
	s_branch .LBB31_2516
.LBB31_2514:
	s_mov_b32 s0, -1
                                        ; implicit-def: $vgpr12_vgpr13
	s_branch .LBB31_2519
.LBB31_2515:
	s_mov_b32 s0, -1
                                        ; implicit-def: $vgpr12_vgpr13
.LBB31_2516:
	s_delay_alu instid0(SALU_CYCLE_1)
	s_and_not1_b32 vcc_lo, exec_lo, s0
	s_cbranch_vccnz .LBB31_2518
; %bb.2517:
	global_load_b32 v1, v[18:19], off
	s_wait_loadcnt 0x0
	v_trunc_f32_e32 v1, v1
	s_delay_alu instid0(VALU_DEP_1) | instskip(SKIP_1) | instid1(VALU_DEP_2)
	v_mul_f32_e64 v3, 0x2f800000, |v1|
	v_ashrrev_i32_e32 v12, 31, v1
	v_floor_f32_e32 v3, v3
	s_delay_alu instid0(VALU_DEP_1) | instskip(SKIP_1) | instid1(VALU_DEP_4)
	v_fma_f32 v5, 0xcf800000, v3, |v1|
	v_cvt_u32_f32_e32 v1, v3
	v_mov_b32_e32 v13, v12
	s_delay_alu instid0(VALU_DEP_3) | instskip(NEXT) | instid1(VALU_DEP_3)
	v_cvt_u32_f32_e32 v3, v5
	v_xor_b32_e32 v21, v1, v12
	s_delay_alu instid0(VALU_DEP_2) | instskip(NEXT) | instid1(VALU_DEP_1)
	v_xor_b32_e32 v20, v3, v12
	v_sub_nc_u64_e32 v[12:13], v[20:21], v[12:13]
.LBB31_2518:
	s_mov_b32 s0, 0
.LBB31_2519:
	s_delay_alu instid0(SALU_CYCLE_1)
	s_and_not1_b32 vcc_lo, exec_lo, s0
	s_cbranch_vccnz .LBB31_2521
; %bb.2520:
	global_load_u16 v1, v[18:19], off
	s_wait_loadcnt 0x0
	v_cvt_f32_f16_e32 v1, v1
	s_delay_alu instid0(VALU_DEP_1) | instskip(NEXT) | instid1(VALU_DEP_1)
	v_cvt_i32_f32_e32 v12, v1
	v_ashrrev_i32_e32 v13, 31, v12
.LBB31_2521:
	s_mov_b32 s0, 0
.LBB31_2522:
	s_delay_alu instid0(SALU_CYCLE_1)
	s_and_not1_b32 vcc_lo, exec_lo, s0
	s_cbranch_vccnz .LBB31_2542
; %bb.2523:
	s_cmp_lt_i32 s12, 2
	s_cbranch_scc1 .LBB31_2527
; %bb.2524:
	s_cmp_lt_i32 s12, 3
	s_cbranch_scc1 .LBB31_2528
; %bb.2525:
	s_cmp_gt_i32 s12, 3
	s_cbranch_scc0 .LBB31_2529
; %bb.2526:
	s_wait_loadcnt 0x0
	global_load_b64 v[12:13], v[18:19], off
	s_mov_b32 s0, 0
	s_branch .LBB31_2530
.LBB31_2527:
	s_mov_b32 s0, -1
                                        ; implicit-def: $vgpr12_vgpr13
	s_branch .LBB31_2536
.LBB31_2528:
	s_mov_b32 s0, -1
                                        ; implicit-def: $vgpr12_vgpr13
	s_branch .LBB31_2533
.LBB31_2529:
	s_mov_b32 s0, -1
                                        ; implicit-def: $vgpr12_vgpr13
.LBB31_2530:
	s_delay_alu instid0(SALU_CYCLE_1)
	s_and_not1_b32 vcc_lo, exec_lo, s0
	s_cbranch_vccnz .LBB31_2532
; %bb.2531:
	s_wait_loadcnt 0x0
	global_load_b32 v12, v[18:19], off
	s_wait_loadcnt 0x0
	v_ashrrev_i32_e32 v13, 31, v12
.LBB31_2532:
	s_mov_b32 s0, 0
.LBB31_2533:
	s_delay_alu instid0(SALU_CYCLE_1)
	s_and_not1_b32 vcc_lo, exec_lo, s0
	s_cbranch_vccnz .LBB31_2535
; %bb.2534:
	global_load_u16 v1, v[18:19], off
	s_wait_loadcnt 0x0
	v_bfe_i32 v12, v1, 0, 16
	s_delay_alu instid0(VALU_DEP_1)
	v_ashrrev_i32_e32 v13, 31, v12
.LBB31_2535:
	s_mov_b32 s0, 0
.LBB31_2536:
	s_delay_alu instid0(SALU_CYCLE_1)
	s_and_not1_b32 vcc_lo, exec_lo, s0
	s_cbranch_vccnz .LBB31_2542
; %bb.2537:
	s_cmp_gt_i32 s12, 0
	s_mov_b32 s0, 0
	s_cbranch_scc0 .LBB31_2539
; %bb.2538:
	global_load_i8 v1, v[18:19], off
	s_wait_loadcnt 0x0
	v_bfe_i32 v12, v1, 0, 16
	s_delay_alu instid0(VALU_DEP_1)
	v_ashrrev_i32_e32 v13, 31, v12
	s_branch .LBB31_2540
.LBB31_2539:
	s_mov_b32 s0, -1
                                        ; implicit-def: $vgpr12_vgpr13
.LBB31_2540:
	s_delay_alu instid0(SALU_CYCLE_1)
	s_and_not1_b32 vcc_lo, exec_lo, s0
	s_cbranch_vccnz .LBB31_2542
; %bb.2541:
	global_load_u8 v1, v[18:19], off
	s_mov_b32 s0, 0
	s_wait_loadcnt 0x1
	v_mov_b32_e32 v13, s0
	s_wait_loadcnt 0x0
	v_and_b32_e32 v12, 0xffff, v1
.LBB31_2542:
	s_mov_b32 s7, -1
.LBB31_2543:
	s_delay_alu instid0(SALU_CYCLE_1)
	s_and_not1_b32 vcc_lo, exec_lo, s7
	s_cbranch_vccnz .LBB31_2673
; %bb.2544:
	v_mov_b32_e32 v9, 0
	s_cmp_lt_i32 s13, 11
	s_delay_alu instid0(VALU_DEP_1)
	v_add_nc_u64_e32 v[8:9], s[8:9], v[8:9]
	s_cbranch_scc1 .LBB31_2551
; %bb.2545:
	s_cmp_gt_i32 s13, 25
	s_mov_b32 s6, 0
	s_cbranch_scc0 .LBB31_2552
; %bb.2546:
	s_cmp_gt_i32 s13, 28
	s_cbranch_scc0 .LBB31_2553
; %bb.2547:
	s_cmp_gt_i32 s13, 43
	;; [unrolled: 3-line block ×3, first 2 shown]
	s_cbranch_scc0 .LBB31_2556
; %bb.2549:
	s_cmp_eq_u32 s13, 46
	s_mov_b32 s8, 0
	s_cbranch_scc0 .LBB31_2557
; %bb.2550:
	global_load_b32 v1, v[8:9], off
	s_mov_b32 s0, 0
	s_mov_b32 s7, -1
	s_wait_loadcnt 0x0
	v_lshlrev_b32_e32 v1, 16, v1
	s_delay_alu instid0(VALU_DEP_1) | instskip(NEXT) | instid1(VALU_DEP_1)
	v_trunc_f32_e32 v1, v1
	v_mul_f32_e64 v3, 0x2f800000, |v1|
	s_wait_xcnt 0x1
	v_ashrrev_i32_e32 v18, 31, v1
	s_delay_alu instid0(VALU_DEP_2) | instskip(NEXT) | instid1(VALU_DEP_2)
	v_floor_f32_e32 v3, v3
	v_mov_b32_e32 v19, v18
	s_delay_alu instid0(VALU_DEP_2) | instskip(SKIP_1) | instid1(VALU_DEP_2)
	v_fma_f32 v5, 0xcf800000, v3, |v1|
	v_cvt_u32_f32_e32 v1, v3
	v_cvt_u32_f32_e32 v3, v5
	s_delay_alu instid0(VALU_DEP_2) | instskip(NEXT) | instid1(VALU_DEP_2)
	v_xor_b32_e32 v21, v1, v18
	v_xor_b32_e32 v20, v3, v18
	s_delay_alu instid0(VALU_DEP_1)
	v_sub_nc_u64_e32 v[18:19], v[20:21], v[18:19]
	s_branch .LBB31_2559
.LBB31_2551:
	s_mov_b32 s0, -1
	s_mov_b32 s7, 0
                                        ; implicit-def: $vgpr18_vgpr19
	s_branch .LBB31_2621
.LBB31_2552:
	s_mov_b32 s8, -1
	s_mov_b32 s7, 0
	s_mov_b32 s0, 0
                                        ; implicit-def: $vgpr18_vgpr19
	s_branch .LBB31_2586
.LBB31_2553:
	s_mov_b32 s8, -1
	s_mov_b32 s7, 0
	s_mov_b32 s0, 0
                                        ; implicit-def: $vgpr18_vgpr19
	s_branch .LBB31_2569
.LBB31_2554:
	s_mov_b32 s8, -1
	s_mov_b32 s7, 0
	s_mov_b32 s0, 0
                                        ; implicit-def: $vgpr18_vgpr19
	s_branch .LBB31_2564
.LBB31_2555:
	s_or_b32 s1, s1, exec_lo
	s_trap 2
	s_cbranch_execz .LBB31_2492
	s_branch .LBB31_2493
.LBB31_2556:
	s_mov_b32 s8, -1
	s_mov_b32 s7, 0
	s_mov_b32 s0, 0
	s_branch .LBB31_2558
.LBB31_2557:
	s_mov_b32 s0, -1
	s_mov_b32 s7, 0
.LBB31_2558:
                                        ; implicit-def: $vgpr18_vgpr19
.LBB31_2559:
	s_and_b32 vcc_lo, exec_lo, s8
	s_cbranch_vccz .LBB31_2563
; %bb.2560:
	s_cmp_eq_u32 s13, 44
	s_cbranch_scc0 .LBB31_2562
; %bb.2561:
	global_load_u8 v1, v[8:9], off
	s_mov_b32 s0, 0
	s_mov_b32 s7, -1
	s_wait_loadcnt 0x0
	v_lshlrev_b32_e32 v3, 23, v1
	v_cmp_ne_u32_e32 vcc_lo, 0, v1
	s_delay_alu instid0(VALU_DEP_2) | instskip(NEXT) | instid1(VALU_DEP_1)
	v_trunc_f32_e32 v3, v3
	v_mul_f32_e64 v5, 0x2f800000, |v3|
	s_wait_xcnt 0x1
	v_ashrrev_i32_e32 v18, 31, v3
	s_delay_alu instid0(VALU_DEP_2) | instskip(NEXT) | instid1(VALU_DEP_2)
	v_floor_f32_e32 v5, v5
	v_mov_b32_e32 v19, v18
	s_delay_alu instid0(VALU_DEP_2) | instskip(SKIP_1) | instid1(VALU_DEP_2)
	v_fma_f32 v7, 0xcf800000, v5, |v3|
	v_cvt_u32_f32_e32 v3, v5
	v_cvt_u32_f32_e32 v5, v7
	s_delay_alu instid0(VALU_DEP_2) | instskip(NEXT) | instid1(VALU_DEP_2)
	v_xor_b32_e32 v21, v3, v18
	v_xor_b32_e32 v20, v5, v18
	s_delay_alu instid0(VALU_DEP_1) | instskip(NEXT) | instid1(VALU_DEP_1)
	v_sub_nc_u64_e32 v[18:19], v[20:21], v[18:19]
	v_dual_cndmask_b32 v19, 0, v19 :: v_dual_cndmask_b32 v18, 0, v18
	s_branch .LBB31_2563
.LBB31_2562:
	s_mov_b32 s0, -1
                                        ; implicit-def: $vgpr18_vgpr19
.LBB31_2563:
	s_mov_b32 s8, 0
.LBB31_2564:
	s_delay_alu instid0(SALU_CYCLE_1)
	s_and_b32 vcc_lo, exec_lo, s8
	s_cbranch_vccz .LBB31_2568
; %bb.2565:
	s_cmp_eq_u32 s13, 29
	s_cbranch_scc0 .LBB31_2567
; %bb.2566:
	global_load_b64 v[18:19], v[8:9], off
	s_mov_b32 s0, 0
	s_mov_b32 s7, -1
	s_branch .LBB31_2568
.LBB31_2567:
	s_mov_b32 s0, -1
                                        ; implicit-def: $vgpr18_vgpr19
.LBB31_2568:
	s_mov_b32 s8, 0
.LBB31_2569:
	s_delay_alu instid0(SALU_CYCLE_1)
	s_and_b32 vcc_lo, exec_lo, s8
	s_cbranch_vccz .LBB31_2585
; %bb.2570:
	s_cmp_lt_i32 s13, 27
	s_cbranch_scc1 .LBB31_2573
; %bb.2571:
	s_cmp_gt_i32 s13, 27
	s_cbranch_scc0 .LBB31_2574
; %bb.2572:
	s_wait_loadcnt 0x0
	global_load_b32 v18, v[8:9], off
	v_mov_b32_e32 v19, 0
	s_mov_b32 s7, 0
	s_branch .LBB31_2575
.LBB31_2573:
	s_mov_b32 s7, -1
                                        ; implicit-def: $vgpr18_vgpr19
	s_branch .LBB31_2578
.LBB31_2574:
	s_mov_b32 s7, -1
                                        ; implicit-def: $vgpr18_vgpr19
.LBB31_2575:
	s_delay_alu instid0(SALU_CYCLE_1)
	s_and_not1_b32 vcc_lo, exec_lo, s7
	s_cbranch_vccnz .LBB31_2577
; %bb.2576:
	global_load_u16 v1, v[8:9], off
	s_mov_b32 s7, 0
	s_wait_loadcnt 0x1
	s_wait_xcnt 0x1
	v_mov_b32_e32 v19, s7
	s_wait_loadcnt 0x0
	v_and_b32_e32 v18, 0xffff, v1
.LBB31_2577:
	s_mov_b32 s7, 0
.LBB31_2578:
	s_delay_alu instid0(SALU_CYCLE_1)
	s_and_not1_b32 vcc_lo, exec_lo, s7
	s_cbranch_vccnz .LBB31_2584
; %bb.2579:
	global_load_u8 v1, v[8:9], off
	s_mov_b32 s8, 0
	s_mov_b32 s7, exec_lo
	s_wait_loadcnt 0x0
	v_cmpx_lt_i16_e32 0x7f, v1
	s_xor_b32 s7, exec_lo, s7
	s_cbranch_execz .LBB31_2596
; %bb.2580:
	v_cmp_ne_u16_e32 vcc_lo, 0x80, v1
	s_and_b32 s8, vcc_lo, exec_lo
	s_and_not1_saveexec_b32 s7, s7
	s_cbranch_execnz .LBB31_2597
.LBB31_2581:
	s_or_b32 exec_lo, exec_lo, s7
	v_mov_b64_e32 v[18:19], 0
	s_and_saveexec_b32 s7, s8
	s_cbranch_execz .LBB31_2583
.LBB31_2582:
	v_and_b32_e32 v3, 0xffff, v1
	s_delay_alu instid0(VALU_DEP_1) | instskip(SKIP_1) | instid1(VALU_DEP_2)
	v_dual_lshlrev_b32 v1, 24, v1 :: v_dual_bitop2_b32 v5, 7, v3 bitop3:0x40
	v_bfe_u32 v19, v3, 3, 4
	v_and_b32_e32 v1, 0x80000000, v1
	s_delay_alu instid0(VALU_DEP_3) | instskip(NEXT) | instid1(VALU_DEP_3)
	v_clz_i32_u32_e32 v7, v5
	v_cmp_eq_u32_e32 vcc_lo, 0, v19
	s_delay_alu instid0(VALU_DEP_2) | instskip(NEXT) | instid1(VALU_DEP_1)
	v_min_u32_e32 v7, 32, v7
	v_subrev_nc_u32_e32 v18, 28, v7
	v_sub_nc_u32_e32 v7, 29, v7
	s_delay_alu instid0(VALU_DEP_2) | instskip(NEXT) | instid1(VALU_DEP_2)
	v_lshlrev_b32_e32 v3, v18, v3
	v_cndmask_b32_e32 v7, v19, v7, vcc_lo
	s_delay_alu instid0(VALU_DEP_2) | instskip(NEXT) | instid1(VALU_DEP_1)
	v_and_b32_e32 v3, 7, v3
	v_cndmask_b32_e32 v3, v5, v3, vcc_lo
	s_delay_alu instid0(VALU_DEP_3) | instskip(NEXT) | instid1(VALU_DEP_2)
	v_lshl_add_u32 v5, v7, 23, 0x3b800000
	v_lshlrev_b32_e32 v3, 20, v3
	s_delay_alu instid0(VALU_DEP_1) | instskip(NEXT) | instid1(VALU_DEP_1)
	v_or3_b32 v1, v1, v5, v3
	v_trunc_f32_e32 v1, v1
	s_delay_alu instid0(VALU_DEP_1) | instskip(SKIP_1) | instid1(VALU_DEP_2)
	v_mul_f32_e64 v3, 0x2f800000, |v1|
	v_ashrrev_i32_e32 v18, 31, v1
	v_floor_f32_e32 v3, v3
	s_delay_alu instid0(VALU_DEP_2) | instskip(NEXT) | instid1(VALU_DEP_2)
	v_mov_b32_e32 v19, v18
	v_fma_f32 v5, 0xcf800000, v3, |v1|
	v_cvt_u32_f32_e32 v1, v3
	s_delay_alu instid0(VALU_DEP_2) | instskip(NEXT) | instid1(VALU_DEP_2)
	v_cvt_u32_f32_e32 v3, v5
	v_xor_b32_e32 v21, v1, v18
	s_delay_alu instid0(VALU_DEP_2) | instskip(NEXT) | instid1(VALU_DEP_1)
	v_xor_b32_e32 v20, v3, v18
	v_sub_nc_u64_e32 v[18:19], v[20:21], v[18:19]
.LBB31_2583:
	s_or_b32 exec_lo, exec_lo, s7
.LBB31_2584:
	s_mov_b32 s7, -1
.LBB31_2585:
	s_mov_b32 s8, 0
.LBB31_2586:
	s_delay_alu instid0(SALU_CYCLE_1)
	s_and_b32 vcc_lo, exec_lo, s8
	s_cbranch_vccz .LBB31_2617
; %bb.2587:
	s_cmp_gt_i32 s13, 22
	s_cbranch_scc0 .LBB31_2595
; %bb.2588:
	s_cmp_lt_i32 s13, 24
	s_cbranch_scc1 .LBB31_2598
; %bb.2589:
	s_cmp_gt_i32 s13, 24
	s_cbranch_scc0 .LBB31_2599
; %bb.2590:
	global_load_u8 v1, v[8:9], off
	s_mov_b32 s7, 0
	s_mov_b32 s6, exec_lo
	s_wait_loadcnt 0x0
	v_cmpx_lt_i16_e32 0x7f, v1
	s_xor_b32 s6, exec_lo, s6
	s_cbranch_execz .LBB31_2611
; %bb.2591:
	v_cmp_ne_u16_e32 vcc_lo, 0x80, v1
	s_and_b32 s7, vcc_lo, exec_lo
	s_and_not1_saveexec_b32 s6, s6
	s_cbranch_execnz .LBB31_2612
.LBB31_2592:
	s_or_b32 exec_lo, exec_lo, s6
	v_mov_b64_e32 v[18:19], 0
	s_and_saveexec_b32 s6, s7
	s_cbranch_execz .LBB31_2594
.LBB31_2593:
	v_and_b32_e32 v3, 0xffff, v1
	s_delay_alu instid0(VALU_DEP_1) | instskip(SKIP_1) | instid1(VALU_DEP_2)
	v_dual_lshlrev_b32 v1, 24, v1 :: v_dual_bitop2_b32 v5, 3, v3 bitop3:0x40
	v_bfe_u32 v19, v3, 2, 5
	v_and_b32_e32 v1, 0x80000000, v1
	s_delay_alu instid0(VALU_DEP_3) | instskip(NEXT) | instid1(VALU_DEP_3)
	v_clz_i32_u32_e32 v7, v5
	v_cmp_eq_u32_e32 vcc_lo, 0, v19
	s_delay_alu instid0(VALU_DEP_2) | instskip(NEXT) | instid1(VALU_DEP_1)
	v_min_u32_e32 v7, 32, v7
	v_subrev_nc_u32_e32 v18, 29, v7
	v_sub_nc_u32_e32 v7, 30, v7
	s_delay_alu instid0(VALU_DEP_2) | instskip(NEXT) | instid1(VALU_DEP_2)
	v_lshlrev_b32_e32 v3, v18, v3
	v_cndmask_b32_e32 v7, v19, v7, vcc_lo
	s_delay_alu instid0(VALU_DEP_2) | instskip(NEXT) | instid1(VALU_DEP_1)
	v_and_b32_e32 v3, 3, v3
	v_cndmask_b32_e32 v3, v5, v3, vcc_lo
	s_delay_alu instid0(VALU_DEP_3) | instskip(NEXT) | instid1(VALU_DEP_2)
	v_lshl_add_u32 v5, v7, 23, 0x37800000
	v_lshlrev_b32_e32 v3, 21, v3
	s_delay_alu instid0(VALU_DEP_1) | instskip(NEXT) | instid1(VALU_DEP_1)
	v_or3_b32 v1, v1, v5, v3
	v_trunc_f32_e32 v1, v1
	s_delay_alu instid0(VALU_DEP_1) | instskip(SKIP_1) | instid1(VALU_DEP_2)
	v_mul_f32_e64 v3, 0x2f800000, |v1|
	v_ashrrev_i32_e32 v18, 31, v1
	v_floor_f32_e32 v3, v3
	s_delay_alu instid0(VALU_DEP_2) | instskip(NEXT) | instid1(VALU_DEP_2)
	v_mov_b32_e32 v19, v18
	v_fma_f32 v5, 0xcf800000, v3, |v1|
	v_cvt_u32_f32_e32 v1, v3
	s_delay_alu instid0(VALU_DEP_2) | instskip(NEXT) | instid1(VALU_DEP_2)
	v_cvt_u32_f32_e32 v3, v5
	v_xor_b32_e32 v21, v1, v18
	s_delay_alu instid0(VALU_DEP_2) | instskip(NEXT) | instid1(VALU_DEP_1)
	v_xor_b32_e32 v20, v3, v18
	v_sub_nc_u64_e32 v[18:19], v[20:21], v[18:19]
.LBB31_2594:
	s_or_b32 exec_lo, exec_lo, s6
	s_mov_b32 s6, 0
	s_branch .LBB31_2600
.LBB31_2595:
	s_mov_b32 s6, -1
                                        ; implicit-def: $vgpr18_vgpr19
	s_branch .LBB31_2606
.LBB31_2596:
	s_and_not1_saveexec_b32 s7, s7
	s_cbranch_execz .LBB31_2581
.LBB31_2597:
	v_cmp_ne_u16_e32 vcc_lo, 0, v1
	s_and_not1_b32 s8, s8, exec_lo
	s_and_b32 s9, vcc_lo, exec_lo
	s_delay_alu instid0(SALU_CYCLE_1)
	s_or_b32 s8, s8, s9
	s_or_b32 exec_lo, exec_lo, s7
	v_mov_b64_e32 v[18:19], 0
	s_and_saveexec_b32 s7, s8
	s_cbranch_execnz .LBB31_2582
	s_branch .LBB31_2583
.LBB31_2598:
	s_mov_b32 s6, -1
                                        ; implicit-def: $vgpr18_vgpr19
	s_branch .LBB31_2603
.LBB31_2599:
	s_mov_b32 s6, -1
                                        ; implicit-def: $vgpr18_vgpr19
.LBB31_2600:
	s_delay_alu instid0(SALU_CYCLE_1)
	s_and_b32 vcc_lo, exec_lo, s6
	s_cbranch_vccz .LBB31_2602
; %bb.2601:
	global_load_u8 v1, v[8:9], off
	s_wait_loadcnt 0x0
	v_lshlrev_b32_e32 v1, 24, v1
	s_delay_alu instid0(VALU_DEP_1) | instskip(NEXT) | instid1(VALU_DEP_1)
	v_and_b32_e32 v3, 0x7f000000, v1
	v_clz_i32_u32_e32 v5, v3
	v_cmp_ne_u32_e32 vcc_lo, 0, v3
	s_wait_xcnt 0x1
	v_add_nc_u32_e32 v18, 0x1000000, v3
	s_delay_alu instid0(VALU_DEP_3) | instskip(NEXT) | instid1(VALU_DEP_1)
	v_min_u32_e32 v5, 32, v5
	v_sub_nc_u32_e64 v5, v5, 4 clamp
	s_delay_alu instid0(VALU_DEP_1) | instskip(NEXT) | instid1(VALU_DEP_1)
	v_dual_lshlrev_b32 v7, v5, v3 :: v_dual_lshlrev_b32 v5, 23, v5
	v_lshrrev_b32_e32 v7, 4, v7
	s_delay_alu instid0(VALU_DEP_1) | instskip(NEXT) | instid1(VALU_DEP_1)
	v_dual_sub_nc_u32 v5, v7, v5 :: v_dual_ashrrev_i32 v7, 8, v18
	v_add_nc_u32_e32 v5, 0x3c000000, v5
	s_delay_alu instid0(VALU_DEP_1) | instskip(NEXT) | instid1(VALU_DEP_1)
	v_and_or_b32 v5, 0x7f800000, v7, v5
	v_cndmask_b32_e32 v3, 0, v5, vcc_lo
	s_delay_alu instid0(VALU_DEP_1) | instskip(NEXT) | instid1(VALU_DEP_1)
	v_and_or_b32 v1, 0x80000000, v1, v3
	v_trunc_f32_e32 v1, v1
	s_delay_alu instid0(VALU_DEP_1) | instskip(SKIP_1) | instid1(VALU_DEP_2)
	v_mul_f32_e64 v3, 0x2f800000, |v1|
	v_ashrrev_i32_e32 v18, 31, v1
	v_floor_f32_e32 v3, v3
	s_delay_alu instid0(VALU_DEP_1) | instskip(SKIP_1) | instid1(VALU_DEP_4)
	v_fma_f32 v5, 0xcf800000, v3, |v1|
	v_cvt_u32_f32_e32 v1, v3
	v_mov_b32_e32 v19, v18
	s_delay_alu instid0(VALU_DEP_3) | instskip(NEXT) | instid1(VALU_DEP_3)
	v_cvt_u32_f32_e32 v3, v5
	v_xor_b32_e32 v21, v1, v18
	s_delay_alu instid0(VALU_DEP_2) | instskip(NEXT) | instid1(VALU_DEP_1)
	v_xor_b32_e32 v20, v3, v18
	v_sub_nc_u64_e32 v[18:19], v[20:21], v[18:19]
.LBB31_2602:
	s_mov_b32 s6, 0
.LBB31_2603:
	s_delay_alu instid0(SALU_CYCLE_1)
	s_and_not1_b32 vcc_lo, exec_lo, s6
	s_cbranch_vccnz .LBB31_2605
; %bb.2604:
	global_load_u8 v1, v[8:9], off
	s_wait_loadcnt 0x0
	v_lshlrev_b32_e32 v3, 25, v1
	v_lshlrev_b16 v1, 8, v1
	s_delay_alu instid0(VALU_DEP_1) | instskip(SKIP_1) | instid1(VALU_DEP_2)
	v_and_or_b32 v7, 0x7f00, v1, 0.5
	v_bfe_i32 v1, v1, 0, 16
	v_add_f32_e32 v7, -0.5, v7
	v_lshrrev_b32_e32 v5, 4, v3
	v_cmp_gt_u32_e32 vcc_lo, 0x8000000, v3
	s_delay_alu instid0(VALU_DEP_2) | instskip(NEXT) | instid1(VALU_DEP_1)
	v_or_b32_e32 v5, 0x70000000, v5
	v_mul_f32_e32 v5, 0x7800000, v5
	s_delay_alu instid0(VALU_DEP_1) | instskip(NEXT) | instid1(VALU_DEP_1)
	v_cndmask_b32_e32 v3, v5, v7, vcc_lo
	v_and_or_b32 v1, 0x80000000, v1, v3
	s_delay_alu instid0(VALU_DEP_1) | instskip(NEXT) | instid1(VALU_DEP_1)
	v_trunc_f32_e32 v1, v1
	v_mul_f32_e64 v3, 0x2f800000, |v1|
	s_wait_xcnt 0x1
	v_ashrrev_i32_e32 v18, 31, v1
	s_delay_alu instid0(VALU_DEP_2) | instskip(NEXT) | instid1(VALU_DEP_2)
	v_floor_f32_e32 v3, v3
	v_mov_b32_e32 v19, v18
	s_delay_alu instid0(VALU_DEP_2) | instskip(SKIP_1) | instid1(VALU_DEP_2)
	v_fma_f32 v5, 0xcf800000, v3, |v1|
	v_cvt_u32_f32_e32 v1, v3
	v_cvt_u32_f32_e32 v3, v5
	s_delay_alu instid0(VALU_DEP_2) | instskip(NEXT) | instid1(VALU_DEP_2)
	v_xor_b32_e32 v21, v1, v18
	v_xor_b32_e32 v20, v3, v18
	s_delay_alu instid0(VALU_DEP_1)
	v_sub_nc_u64_e32 v[18:19], v[20:21], v[18:19]
.LBB31_2605:
	s_mov_b32 s6, 0
	s_mov_b32 s7, -1
.LBB31_2606:
	s_and_not1_b32 vcc_lo, exec_lo, s6
	s_mov_b32 s6, 0
	s_cbranch_vccnz .LBB31_2617
; %bb.2607:
	s_cmp_gt_i32 s13, 14
	s_cbranch_scc0 .LBB31_2610
; %bb.2608:
	s_cmp_eq_u32 s13, 15
	s_cbranch_scc0 .LBB31_2613
; %bb.2609:
	global_load_u16 v1, v[8:9], off
	s_mov_b32 s0, 0
	s_mov_b32 s7, -1
	s_wait_loadcnt 0x0
	v_lshlrev_b32_e32 v1, 16, v1
	s_delay_alu instid0(VALU_DEP_1) | instskip(NEXT) | instid1(VALU_DEP_1)
	v_trunc_f32_e32 v1, v1
	v_mul_f32_e64 v3, 0x2f800000, |v1|
	s_wait_xcnt 0x1
	v_ashrrev_i32_e32 v18, 31, v1
	s_delay_alu instid0(VALU_DEP_2) | instskip(NEXT) | instid1(VALU_DEP_2)
	v_floor_f32_e32 v3, v3
	v_mov_b32_e32 v19, v18
	s_delay_alu instid0(VALU_DEP_2) | instskip(SKIP_1) | instid1(VALU_DEP_2)
	v_fma_f32 v5, 0xcf800000, v3, |v1|
	v_cvt_u32_f32_e32 v1, v3
	v_cvt_u32_f32_e32 v3, v5
	s_delay_alu instid0(VALU_DEP_2) | instskip(NEXT) | instid1(VALU_DEP_2)
	v_xor_b32_e32 v21, v1, v18
	v_xor_b32_e32 v20, v3, v18
	s_delay_alu instid0(VALU_DEP_1)
	v_sub_nc_u64_e32 v[18:19], v[20:21], v[18:19]
	s_branch .LBB31_2615
.LBB31_2610:
	s_mov_b32 s6, -1
	s_branch .LBB31_2614
.LBB31_2611:
	s_and_not1_saveexec_b32 s6, s6
	s_cbranch_execz .LBB31_2592
.LBB31_2612:
	v_cmp_ne_u16_e32 vcc_lo, 0, v1
	s_and_not1_b32 s7, s7, exec_lo
	s_and_b32 s8, vcc_lo, exec_lo
	s_delay_alu instid0(SALU_CYCLE_1)
	s_or_b32 s7, s7, s8
	s_or_b32 exec_lo, exec_lo, s6
	v_mov_b64_e32 v[18:19], 0
	s_and_saveexec_b32 s6, s7
	s_cbranch_execnz .LBB31_2593
	s_branch .LBB31_2594
.LBB31_2613:
	s_mov_b32 s0, -1
.LBB31_2614:
                                        ; implicit-def: $vgpr18_vgpr19
.LBB31_2615:
	s_and_b32 vcc_lo, exec_lo, s6
	s_mov_b32 s6, 0
	s_cbranch_vccz .LBB31_2617
; %bb.2616:
	s_cmp_lg_u32 s13, 11
	s_mov_b32 s6, -1
	s_cselect_b32 s0, -1, 0
.LBB31_2617:
	s_delay_alu instid0(SALU_CYCLE_1)
	s_and_b32 vcc_lo, exec_lo, s0
	s_cbranch_vccnz .LBB31_3159
; %bb.2618:
	s_and_not1_b32 vcc_lo, exec_lo, s6
	s_cbranch_vccnz .LBB31_2620
.LBB31_2619:
	global_load_u8 v1, v[8:9], off
	s_mov_b32 s0, 0
	s_mov_b32 s7, -1
	s_wait_loadcnt 0x1
	s_wait_xcnt 0x1
	v_mov_b32_e32 v19, s0
	s_wait_loadcnt 0x0
	v_cmp_ne_u16_e32 vcc_lo, 0, v1
	v_cndmask_b32_e64 v18, 0, 1, vcc_lo
.LBB31_2620:
	s_mov_b32 s0, 0
.LBB31_2621:
	s_delay_alu instid0(SALU_CYCLE_1)
	s_and_b32 vcc_lo, exec_lo, s0
	s_cbranch_vccz .LBB31_2670
; %bb.2622:
	s_cmp_lt_i32 s13, 5
	s_cbranch_scc1 .LBB31_2627
; %bb.2623:
	s_cmp_lt_i32 s13, 8
	s_cbranch_scc1 .LBB31_2628
	;; [unrolled: 3-line block ×3, first 2 shown]
; %bb.2625:
	s_cmp_gt_i32 s13, 9
	s_cbranch_scc0 .LBB31_2630
; %bb.2626:
	s_wait_loadcnt 0x0
	global_load_b64 v[18:19], v[8:9], off
	s_mov_b32 s0, 0
	s_wait_loadcnt 0x0
	v_trunc_f64_e32 v[18:19], v[18:19]
	s_delay_alu instid0(VALU_DEP_1) | instskip(NEXT) | instid1(VALU_DEP_1)
	v_ldexp_f64 v[20:21], v[18:19], 0xffffffe0
	v_floor_f64_e32 v[20:21], v[20:21]
	s_delay_alu instid0(VALU_DEP_1) | instskip(SKIP_1) | instid1(VALU_DEP_2)
	v_fmamk_f64 v[22:23], v[20:21], 0xc1f00000, v[18:19]
	v_cvt_i32_f64_e32 v19, v[20:21]
	v_cvt_u32_f64_e32 v18, v[22:23]
	s_branch .LBB31_2631
.LBB31_2627:
	s_mov_b32 s0, -1
                                        ; implicit-def: $vgpr18_vgpr19
	s_branch .LBB31_2649
.LBB31_2628:
	s_mov_b32 s0, -1
                                        ; implicit-def: $vgpr18_vgpr19
	s_branch .LBB31_2637
.LBB31_2629:
	s_mov_b32 s0, -1
                                        ; implicit-def: $vgpr18_vgpr19
	s_branch .LBB31_2634
.LBB31_2630:
	s_mov_b32 s0, -1
                                        ; implicit-def: $vgpr18_vgpr19
.LBB31_2631:
	s_delay_alu instid0(SALU_CYCLE_1)
	s_and_not1_b32 vcc_lo, exec_lo, s0
	s_cbranch_vccnz .LBB31_2633
; %bb.2632:
	global_load_b32 v1, v[8:9], off
	s_wait_loadcnt 0x0
	v_trunc_f32_e32 v1, v1
	s_delay_alu instid0(VALU_DEP_1) | instskip(SKIP_2) | instid1(VALU_DEP_2)
	v_mul_f32_e64 v3, 0x2f800000, |v1|
	s_wait_xcnt 0x1
	v_ashrrev_i32_e32 v18, 31, v1
	v_floor_f32_e32 v3, v3
	s_delay_alu instid0(VALU_DEP_1) | instskip(SKIP_1) | instid1(VALU_DEP_4)
	v_fma_f32 v5, 0xcf800000, v3, |v1|
	v_cvt_u32_f32_e32 v1, v3
	v_mov_b32_e32 v19, v18
	s_delay_alu instid0(VALU_DEP_3) | instskip(NEXT) | instid1(VALU_DEP_3)
	v_cvt_u32_f32_e32 v3, v5
	v_xor_b32_e32 v21, v1, v18
	s_delay_alu instid0(VALU_DEP_2) | instskip(NEXT) | instid1(VALU_DEP_1)
	v_xor_b32_e32 v20, v3, v18
	v_sub_nc_u64_e32 v[18:19], v[20:21], v[18:19]
.LBB31_2633:
	s_mov_b32 s0, 0
.LBB31_2634:
	s_delay_alu instid0(SALU_CYCLE_1)
	s_and_not1_b32 vcc_lo, exec_lo, s0
	s_cbranch_vccnz .LBB31_2636
; %bb.2635:
	global_load_b32 v1, v[8:9], off
	s_wait_loadcnt 0x0
	v_cvt_f32_f16_e32 v1, v1
	s_wait_xcnt 0x1
	s_delay_alu instid0(VALU_DEP_1) | instskip(NEXT) | instid1(VALU_DEP_1)
	v_cvt_i32_f32_e32 v18, v1
	v_ashrrev_i32_e32 v19, 31, v18
.LBB31_2636:
	s_mov_b32 s0, 0
.LBB31_2637:
	s_delay_alu instid0(SALU_CYCLE_1)
	s_and_not1_b32 vcc_lo, exec_lo, s0
	s_cbranch_vccnz .LBB31_2648
; %bb.2638:
	s_cmp_lt_i32 s13, 6
	s_cbranch_scc1 .LBB31_2641
; %bb.2639:
	s_cmp_gt_i32 s13, 6
	s_cbranch_scc0 .LBB31_2642
; %bb.2640:
	s_wait_loadcnt 0x0
	global_load_b64 v[18:19], v[8:9], off
	s_mov_b32 s0, 0
	s_wait_loadcnt 0x0
	v_trunc_f64_e32 v[18:19], v[18:19]
	s_delay_alu instid0(VALU_DEP_1) | instskip(NEXT) | instid1(VALU_DEP_1)
	v_ldexp_f64 v[20:21], v[18:19], 0xffffffe0
	v_floor_f64_e32 v[20:21], v[20:21]
	s_delay_alu instid0(VALU_DEP_1) | instskip(SKIP_1) | instid1(VALU_DEP_2)
	v_fmamk_f64 v[22:23], v[20:21], 0xc1f00000, v[18:19]
	v_cvt_i32_f64_e32 v19, v[20:21]
	v_cvt_u32_f64_e32 v18, v[22:23]
	s_branch .LBB31_2643
.LBB31_2641:
	s_mov_b32 s0, -1
                                        ; implicit-def: $vgpr18_vgpr19
	s_branch .LBB31_2646
.LBB31_2642:
	s_mov_b32 s0, -1
                                        ; implicit-def: $vgpr18_vgpr19
.LBB31_2643:
	s_delay_alu instid0(SALU_CYCLE_1)
	s_and_not1_b32 vcc_lo, exec_lo, s0
	s_cbranch_vccnz .LBB31_2645
; %bb.2644:
	global_load_b32 v1, v[8:9], off
	s_wait_loadcnt 0x0
	v_trunc_f32_e32 v1, v1
	s_delay_alu instid0(VALU_DEP_1) | instskip(SKIP_2) | instid1(VALU_DEP_2)
	v_mul_f32_e64 v3, 0x2f800000, |v1|
	s_wait_xcnt 0x1
	v_ashrrev_i32_e32 v18, 31, v1
	v_floor_f32_e32 v3, v3
	s_delay_alu instid0(VALU_DEP_1) | instskip(SKIP_1) | instid1(VALU_DEP_4)
	v_fma_f32 v5, 0xcf800000, v3, |v1|
	v_cvt_u32_f32_e32 v1, v3
	v_mov_b32_e32 v19, v18
	s_delay_alu instid0(VALU_DEP_3) | instskip(NEXT) | instid1(VALU_DEP_3)
	v_cvt_u32_f32_e32 v3, v5
	v_xor_b32_e32 v21, v1, v18
	s_delay_alu instid0(VALU_DEP_2) | instskip(NEXT) | instid1(VALU_DEP_1)
	v_xor_b32_e32 v20, v3, v18
	v_sub_nc_u64_e32 v[18:19], v[20:21], v[18:19]
.LBB31_2645:
	s_mov_b32 s0, 0
.LBB31_2646:
	s_delay_alu instid0(SALU_CYCLE_1)
	s_and_not1_b32 vcc_lo, exec_lo, s0
	s_cbranch_vccnz .LBB31_2648
; %bb.2647:
	global_load_u16 v1, v[8:9], off
	s_wait_loadcnt 0x0
	v_cvt_f32_f16_e32 v1, v1
	s_wait_xcnt 0x1
	s_delay_alu instid0(VALU_DEP_1) | instskip(NEXT) | instid1(VALU_DEP_1)
	v_cvt_i32_f32_e32 v18, v1
	v_ashrrev_i32_e32 v19, 31, v18
.LBB31_2648:
	s_mov_b32 s0, 0
.LBB31_2649:
	s_delay_alu instid0(SALU_CYCLE_1)
	s_and_not1_b32 vcc_lo, exec_lo, s0
	s_cbranch_vccnz .LBB31_2669
; %bb.2650:
	s_cmp_lt_i32 s13, 2
	s_cbranch_scc1 .LBB31_2654
; %bb.2651:
	s_cmp_lt_i32 s13, 3
	s_cbranch_scc1 .LBB31_2655
; %bb.2652:
	s_cmp_gt_i32 s13, 3
	s_cbranch_scc0 .LBB31_2656
; %bb.2653:
	s_wait_loadcnt 0x0
	global_load_b64 v[18:19], v[8:9], off
	s_mov_b32 s0, 0
	s_branch .LBB31_2657
.LBB31_2654:
	s_mov_b32 s0, -1
                                        ; implicit-def: $vgpr18_vgpr19
	s_branch .LBB31_2663
.LBB31_2655:
	s_mov_b32 s0, -1
                                        ; implicit-def: $vgpr18_vgpr19
	s_branch .LBB31_2660
.LBB31_2656:
	s_mov_b32 s0, -1
                                        ; implicit-def: $vgpr18_vgpr19
.LBB31_2657:
	s_delay_alu instid0(SALU_CYCLE_1)
	s_and_not1_b32 vcc_lo, exec_lo, s0
	s_cbranch_vccnz .LBB31_2659
; %bb.2658:
	s_wait_loadcnt 0x0
	global_load_b32 v18, v[8:9], off
	s_wait_loadcnt 0x0
	v_ashrrev_i32_e32 v19, 31, v18
.LBB31_2659:
	s_mov_b32 s0, 0
.LBB31_2660:
	s_delay_alu instid0(SALU_CYCLE_1)
	s_and_not1_b32 vcc_lo, exec_lo, s0
	s_cbranch_vccnz .LBB31_2662
; %bb.2661:
	global_load_u16 v1, v[8:9], off
	s_wait_loadcnt 0x0
	s_wait_xcnt 0x1
	v_bfe_i32 v18, v1, 0, 16
	s_delay_alu instid0(VALU_DEP_1)
	v_ashrrev_i32_e32 v19, 31, v18
.LBB31_2662:
	s_mov_b32 s0, 0
.LBB31_2663:
	s_delay_alu instid0(SALU_CYCLE_1)
	s_and_not1_b32 vcc_lo, exec_lo, s0
	s_cbranch_vccnz .LBB31_2669
; %bb.2664:
	s_cmp_gt_i32 s13, 0
	s_mov_b32 s0, 0
	s_cbranch_scc0 .LBB31_2666
; %bb.2665:
	global_load_i8 v1, v[8:9], off
	s_wait_loadcnt 0x0
	s_wait_xcnt 0x1
	v_bfe_i32 v18, v1, 0, 16
	s_delay_alu instid0(VALU_DEP_1)
	v_ashrrev_i32_e32 v19, 31, v18
	s_branch .LBB31_2667
.LBB31_2666:
	s_mov_b32 s0, -1
                                        ; implicit-def: $vgpr18_vgpr19
.LBB31_2667:
	s_delay_alu instid0(SALU_CYCLE_1)
	s_and_not1_b32 vcc_lo, exec_lo, s0
	s_cbranch_vccnz .LBB31_2669
; %bb.2668:
	global_load_u8 v1, v[8:9], off
	s_mov_b32 s0, 0
	s_wait_loadcnt 0x1
	s_wait_xcnt 0x1
	v_mov_b32_e32 v19, s0
	s_wait_loadcnt 0x0
	v_and_b32_e32 v18, 0xffff, v1
.LBB31_2669:
	s_mov_b32 s7, -1
.LBB31_2670:
	s_delay_alu instid0(SALU_CYCLE_1)
	s_and_not1_b32 vcc_lo, exec_lo, s7
	s_cbranch_vccnz .LBB31_2673
; %bb.2671:
	s_wait_loadcnt 0x0
	s_delay_alu instid0(VALU_DEP_1) | instskip(SKIP_1) | instid1(VALU_DEP_1)
	v_sub_nc_u64_e32 v[8:9], 0, v[18:19]
	s_mov_b32 s6, exec_lo
	v_max_i64 v[8:9], v[18:19], v[8:9]
	v_cmpx_ne_u64_e32 0, v[12:13]
	s_cbranch_execz .LBB31_2724
; %bb.2672:
	v_sub_nc_u64_e32 v[18:19], 0, v[12:13]
	s_mov_b32 s7, 0
	s_delay_alu instid0(VALU_DEP_1)
	v_max_i64 v[20:21], v[12:13], v[18:19]
	v_mov_b32_e32 v12, 0
	s_branch .LBB31_2719
.LBB31_2673:
	s_mov_b32 s0, 0
	s_wait_xcnt 0x0
	s_mov_b32 s3, 0
                                        ; implicit-def: $vgpr2_vgpr3
                                        ; implicit-def: $sgpr6
                                        ; implicit-def: $vgpr8_vgpr9
.LBB31_2674:
	s_and_not1_b32 s2, s10, exec_lo
	s_and_b32 s1, s1, exec_lo
	s_and_b32 s0, s0, exec_lo
	;; [unrolled: 1-line block ×3, first 2 shown]
	s_or_b32 s10, s2, s1
.LBB31_2675:
	s_wait_xcnt 0x0
	s_or_b32 exec_lo, exec_lo, s11
	s_and_saveexec_b32 s1, s10
	s_cbranch_execz .LBB31_2678
; %bb.2676:
	; divergent unreachable
	s_or_b32 exec_lo, exec_lo, s1
	s_and_saveexec_b32 s1, s28
	s_delay_alu instid0(SALU_CYCLE_1)
	s_xor_b32 s1, exec_lo, s1
	s_cbranch_execnz .LBB31_2679
.LBB31_2677:
	s_or_b32 exec_lo, exec_lo, s1
	s_and_saveexec_b32 s1, s0
	s_cbranch_execnz .LBB31_2680
	s_branch .LBB31_2717
.LBB31_2678:
	s_or_b32 exec_lo, exec_lo, s1
	s_and_saveexec_b32 s1, s28
	s_delay_alu instid0(SALU_CYCLE_1)
	s_xor_b32 s1, exec_lo, s1
	s_cbranch_execz .LBB31_2677
.LBB31_2679:
	s_wait_loadcnt 0x0
	v_cmp_ne_u64_e32 vcc_lo, 0, v[8:9]
	v_cndmask_b32_e64 v0, 0, 1, vcc_lo
	global_store_b8 v[2:3], v0, off
	s_wait_xcnt 0x0
	s_or_b32 exec_lo, exec_lo, s1
	s_and_saveexec_b32 s1, s0
	s_cbranch_execz .LBB31_2717
.LBB31_2680:
	s_sext_i32_i16 s1, s6
	s_mov_b32 s0, -1
	s_cmp_lt_i32 s1, 5
	s_cbranch_scc1 .LBB31_2701
; %bb.2681:
	s_cmp_lt_i32 s1, 8
	s_cbranch_scc1 .LBB31_2691
; %bb.2682:
	;; [unrolled: 3-line block ×3, first 2 shown]
	s_cmp_gt_i32 s1, 9
	s_cbranch_scc0 .LBB31_2685
; %bb.2684:
	s_wait_loadcnt 0x0
	v_cvt_f64_u32_e32 v[0:1], v9
	v_cvt_f64_u32_e32 v[4:5], v8
	s_mov_b32 s0, 0
	v_mov_b32_e32 v6, 0
	s_delay_alu instid0(VALU_DEP_1) | instskip(NEXT) | instid1(VALU_DEP_4)
	v_mov_b32_e32 v7, v6
	v_ldexp_f64 v[0:1], v[0:1], 32
	s_delay_alu instid0(VALU_DEP_1)
	v_add_f64_e32 v[4:5], v[0:1], v[4:5]
	global_store_b128 v[2:3], v[4:7], off
.LBB31_2685:
	s_and_not1_b32 vcc_lo, exec_lo, s0
	s_cbranch_vccnz .LBB31_2687
; %bb.2686:
	s_wait_loadcnt 0x0
	v_clz_i32_u32_e32 v0, v9
	s_wait_xcnt 0x0
	s_delay_alu instid0(VALU_DEP_1) | instskip(NEXT) | instid1(VALU_DEP_1)
	v_min_u32_e32 v4, 32, v0
	v_lshlrev_b64_e32 v[0:1], v4, v[8:9]
	s_delay_alu instid0(VALU_DEP_1) | instskip(NEXT) | instid1(VALU_DEP_1)
	v_min_u32_e32 v0, 1, v0
	v_or_b32_e32 v0, v1, v0
	v_sub_nc_u32_e32 v1, 32, v4
	s_delay_alu instid0(VALU_DEP_2) | instskip(NEXT) | instid1(VALU_DEP_1)
	v_cvt_f32_u32_e32 v0, v0
	v_ldexp_f32 v0, v0, v1
	v_mov_b32_e32 v1, 0
	global_store_b64 v[2:3], v[0:1], off
.LBB31_2687:
	s_mov_b32 s0, 0
.LBB31_2688:
	s_delay_alu instid0(SALU_CYCLE_1)
	s_and_not1_b32 vcc_lo, exec_lo, s0
	s_cbranch_vccnz .LBB31_2690
; %bb.2689:
	s_wait_loadcnt 0x0
	v_clz_i32_u32_e32 v0, v9
	s_delay_alu instid0(VALU_DEP_1) | instskip(NEXT) | instid1(VALU_DEP_1)
	v_min_u32_e32 v4, 32, v0
	v_lshlrev_b64_e32 v[0:1], v4, v[8:9]
	s_delay_alu instid0(VALU_DEP_1) | instskip(NEXT) | instid1(VALU_DEP_1)
	v_min_u32_e32 v0, 1, v0
	v_or_b32_e32 v0, v1, v0
	v_sub_nc_u32_e32 v1, 32, v4
	s_delay_alu instid0(VALU_DEP_2) | instskip(NEXT) | instid1(VALU_DEP_1)
	v_cvt_f32_u32_e32 v0, v0
	v_ldexp_f32 v0, v0, v1
	s_delay_alu instid0(VALU_DEP_1) | instskip(NEXT) | instid1(VALU_DEP_1)
	v_cvt_f16_f32_e32 v0, v0
	v_and_b32_e32 v0, 0xffff, v0
	global_store_b32 v[2:3], v0, off
.LBB31_2690:
	s_mov_b32 s0, 0
.LBB31_2691:
	s_delay_alu instid0(SALU_CYCLE_1)
	s_and_not1_b32 vcc_lo, exec_lo, s0
	s_cbranch_vccnz .LBB31_2700
; %bb.2692:
	s_sext_i32_i16 s1, s6
	s_mov_b32 s0, -1
	s_cmp_lt_i32 s1, 6
	s_cbranch_scc1 .LBB31_2698
; %bb.2693:
	s_cmp_gt_i32 s1, 6
	s_cbranch_scc0 .LBB31_2695
; %bb.2694:
	s_wait_loadcnt 0x0
	v_cvt_f64_u32_e32 v[0:1], v9
	v_cvt_f64_u32_e32 v[4:5], v8
	s_mov_b32 s0, 0
	s_delay_alu instid0(VALU_DEP_2) | instskip(NEXT) | instid1(VALU_DEP_1)
	v_ldexp_f64 v[0:1], v[0:1], 32
	v_add_f64_e32 v[0:1], v[0:1], v[4:5]
	global_store_b64 v[2:3], v[0:1], off
.LBB31_2695:
	s_and_not1_b32 vcc_lo, exec_lo, s0
	s_cbranch_vccnz .LBB31_2697
; %bb.2696:
	s_wait_loadcnt 0x0
	v_clz_i32_u32_e32 v0, v9
	s_delay_alu instid0(VALU_DEP_1) | instskip(NEXT) | instid1(VALU_DEP_1)
	v_min_u32_e32 v4, 32, v0
	v_lshlrev_b64_e32 v[0:1], v4, v[8:9]
	s_delay_alu instid0(VALU_DEP_1) | instskip(NEXT) | instid1(VALU_DEP_1)
	v_min_u32_e32 v0, 1, v0
	v_or_b32_e32 v0, v1, v0
	v_sub_nc_u32_e32 v1, 32, v4
	s_delay_alu instid0(VALU_DEP_2) | instskip(NEXT) | instid1(VALU_DEP_1)
	v_cvt_f32_u32_e32 v0, v0
	v_ldexp_f32 v0, v0, v1
	global_store_b32 v[2:3], v0, off
.LBB31_2697:
	s_mov_b32 s0, 0
.LBB31_2698:
	s_delay_alu instid0(SALU_CYCLE_1)
	s_and_not1_b32 vcc_lo, exec_lo, s0
	s_cbranch_vccnz .LBB31_2700
; %bb.2699:
	s_wait_loadcnt 0x0
	v_clz_i32_u32_e32 v0, v9
	s_delay_alu instid0(VALU_DEP_1) | instskip(NEXT) | instid1(VALU_DEP_1)
	v_min_u32_e32 v4, 32, v0
	v_lshlrev_b64_e32 v[0:1], v4, v[8:9]
	s_delay_alu instid0(VALU_DEP_1) | instskip(NEXT) | instid1(VALU_DEP_1)
	v_min_u32_e32 v0, 1, v0
	v_or_b32_e32 v0, v1, v0
	v_sub_nc_u32_e32 v1, 32, v4
	s_delay_alu instid0(VALU_DEP_2) | instskip(NEXT) | instid1(VALU_DEP_1)
	v_cvt_f32_u32_e32 v0, v0
	v_ldexp_f32 v0, v0, v1
	s_delay_alu instid0(VALU_DEP_1)
	v_cvt_f16_f32_e32 v0, v0
	global_store_b16 v[2:3], v0, off
.LBB31_2700:
	s_mov_b32 s0, 0
.LBB31_2701:
	s_delay_alu instid0(SALU_CYCLE_1)
	s_and_not1_b32 vcc_lo, exec_lo, s0
	s_cbranch_vccnz .LBB31_2717
; %bb.2702:
	s_sext_i32_i16 s1, s6
	s_mov_b32 s0, -1
	s_cmp_lt_i32 s1, 2
	s_cbranch_scc1 .LBB31_2712
; %bb.2703:
	s_cmp_lt_i32 s1, 3
	s_cbranch_scc1 .LBB31_2709
; %bb.2704:
	s_cmp_gt_i32 s1, 3
	s_cbranch_scc0 .LBB31_2706
; %bb.2705:
	s_mov_b32 s0, 0
	s_wait_loadcnt 0x0
	global_store_b64 v[2:3], v[8:9], off
.LBB31_2706:
	s_and_not1_b32 vcc_lo, exec_lo, s0
	s_cbranch_vccnz .LBB31_2708
; %bb.2707:
	s_wait_loadcnt 0x0
	global_store_b32 v[2:3], v8, off
.LBB31_2708:
	s_mov_b32 s0, 0
.LBB31_2709:
	s_delay_alu instid0(SALU_CYCLE_1)
	s_and_not1_b32 vcc_lo, exec_lo, s0
	s_cbranch_vccnz .LBB31_2711
; %bb.2710:
	s_wait_loadcnt 0x0
	global_store_b16 v[2:3], v8, off
.LBB31_2711:
	s_mov_b32 s0, 0
.LBB31_2712:
	s_delay_alu instid0(SALU_CYCLE_1)
	s_and_not1_b32 vcc_lo, exec_lo, s0
	s_cbranch_vccnz .LBB31_2717
; %bb.2713:
	s_sext_i32_i16 s0, s6
	s_delay_alu instid0(SALU_CYCLE_1)
	s_cmp_gt_i32 s0, 0
	s_mov_b32 s0, -1
	s_cbranch_scc0 .LBB31_2715
; %bb.2714:
	s_mov_b32 s0, 0
	s_wait_loadcnt 0x0
	global_store_b8 v[2:3], v8, off
.LBB31_2715:
	s_and_not1_b32 vcc_lo, exec_lo, s0
	s_cbranch_vccnz .LBB31_2717
; %bb.2716:
	s_wait_loadcnt 0x0
	global_store_b8 v[2:3], v8, off
	s_endpgm
.LBB31_2717:
	s_endpgm
.LBB31_2718:                            ;   in Loop: Header=BB31_2719 Depth=1
	s_or_b32 exec_lo, exec_lo, s0
	s_delay_alu instid0(VALU_DEP_1) | instskip(SKIP_2) | instid1(SALU_CYCLE_1)
	v_cmp_eq_u64_e32 vcc_lo, 0, v[20:21]
	v_mov_b64_e32 v[8:9], v[18:19]
	s_or_b32 s7, vcc_lo, s7
	s_and_not1_b32 exec_lo, exec_lo, s7
	s_cbranch_execz .LBB31_2723
.LBB31_2719:                            ; =>This Inner Loop Header: Depth=1
	s_delay_alu instid0(VALU_DEP_2) | instskip(SKIP_1) | instid1(VALU_DEP_1)
	v_mov_b64_e32 v[18:19], v[20:21]
                                        ; implicit-def: $vgpr20_vgpr21
	s_mov_b32 s0, exec_lo
	v_or_b32_e32 v13, v9, v19
	s_delay_alu instid0(VALU_DEP_1)
	v_cmpx_ne_u64_e32 0, v[12:13]
	s_xor_b32 s8, exec_lo, s0
	s_cbranch_execz .LBB31_2721
; %bb.2720:                             ;   in Loop: Header=BB31_2719 Depth=1
	s_delay_alu instid0(VALU_DEP_3) | instskip(SKIP_4) | instid1(VALU_DEP_4)
	v_cvt_f32_u32_e32 v1, v18
	v_cvt_f32_u32_e32 v3, v19
	v_sub_nc_u64_e32 v[22:23], 0, v[18:19]
	v_dual_mov_b32 v21, v12 :: v_dual_mov_b32 v29, v12
	v_mov_b32_e32 v31, v12
	v_fmac_f32_e32 v1, 0x4f800000, v3
	s_delay_alu instid0(VALU_DEP_1) | instskip(SKIP_1) | instid1(TRANS32_DEP_1)
	v_rcp_f32_e32 v1, v1
	v_nop
	v_mul_f32_e32 v1, 0x5f7ffffc, v1
	s_delay_alu instid0(VALU_DEP_1) | instskip(NEXT) | instid1(VALU_DEP_1)
	v_mul_f32_e32 v3, 0x2f800000, v1
	v_trunc_f32_e32 v3, v3
	s_delay_alu instid0(VALU_DEP_1) | instskip(SKIP_1) | instid1(VALU_DEP_2)
	v_fmac_f32_e32 v1, 0xcf800000, v3
	v_cvt_u32_f32_e32 v25, v3
	v_cvt_u32_f32_e32 v20, v1
	s_delay_alu instid0(VALU_DEP_1) | instskip(NEXT) | instid1(VALU_DEP_1)
	v_dual_mov_b32 v30, v25 :: v_dual_mov_b32 v24, v20
	v_mul_u64_e32 v[26:27], v[22:23], v[24:25]
	s_delay_alu instid0(VALU_DEP_1) | instskip(NEXT) | instid1(VALU_DEP_1)
	v_dual_mov_b32 v28, v27 :: v_dual_mov_b32 v27, v12
	v_mul_u64_e32 v[32:33], v[20:21], v[28:29]
	s_delay_alu instid0(VALU_DEP_2) | instskip(SKIP_2) | instid1(VALU_DEP_1)
	v_mul_u64_e32 v[34:35], v[30:31], v[26:27]
	v_mul_u64_e32 v[28:29], v[30:31], v[28:29]
	v_mul_hi_u32 v26, v20, v26
	v_add_nc_u64_e32 v[26:27], v[26:27], v[32:33]
	s_delay_alu instid0(VALU_DEP_1) | instskip(NEXT) | instid1(VALU_DEP_2)
	v_add_co_u32 v1, vcc_lo, v26, v34
	v_add_co_ci_u32_e32 v30, vcc_lo, v27, v35, vcc_lo
	v_add_co_ci_u32_e32 v29, vcc_lo, 0, v29, vcc_lo
	s_delay_alu instid0(VALU_DEP_1) | instskip(NEXT) | instid1(VALU_DEP_1)
	v_add_nc_u64_e32 v[26:27], v[30:31], v[28:29]
	v_add_co_u32 v20, vcc_lo, v20, v26
	s_delay_alu instid0(VALU_DEP_1) | instskip(SKIP_1) | instid1(VALU_DEP_2)
	v_add_co_ci_u32_e64 v24, null, v25, v27, vcc_lo
	v_dual_mov_b32 v27, v12 :: v_dual_mov_b32 v25, v12
	v_mov_b32_e32 v21, v24
	s_delay_alu instid0(VALU_DEP_1) | instskip(NEXT) | instid1(VALU_DEP_1)
	v_mul_u64_e32 v[22:23], v[22:23], v[20:21]
	v_dual_mov_b32 v21, v12 :: v_dual_mov_b32 v26, v23
	s_delay_alu instid0(VALU_DEP_2) | instskip(SKIP_1) | instid1(VALU_DEP_3)
	v_dual_mov_b32 v30, v22 :: v_dual_mov_b32 v23, v12
	v_mul_hi_u32 v22, v20, v22
	v_mul_u64_e32 v[28:29], v[20:21], v[26:27]
	s_delay_alu instid0(VALU_DEP_3) | instskip(SKIP_1) | instid1(VALU_DEP_3)
	v_mul_u64_e32 v[30:31], v[24:25], v[30:31]
	v_mul_u64_e32 v[26:27], v[24:25], v[26:27]
	v_add_nc_u64_e32 v[22:23], v[22:23], v[28:29]
	v_mov_b32_e32 v29, v12
	s_delay_alu instid0(VALU_DEP_2) | instskip(NEXT) | instid1(VALU_DEP_3)
	v_add_co_u32 v1, vcc_lo, v22, v30
	v_add_co_ci_u32_e32 v28, vcc_lo, v23, v31, vcc_lo
	v_add_co_ci_u32_e32 v27, vcc_lo, 0, v27, vcc_lo
	s_delay_alu instid0(VALU_DEP_1) | instskip(SKIP_1) | instid1(VALU_DEP_2)
	v_add_nc_u64_e32 v[22:23], v[28:29], v[26:27]
	v_dual_mov_b32 v26, v8 :: v_dual_mov_b32 v27, v12
	v_add_co_u32 v22, vcc_lo, v20, v22
	s_delay_alu instid0(VALU_DEP_1) | instskip(SKIP_1) | instid1(VALU_DEP_2)
	v_add_co_ci_u32_e64 v20, null, v24, v23, vcc_lo
	v_dual_mov_b32 v24, v9 :: v_dual_mov_b32 v23, v12
	v_mul_u64_e32 v[26:27], v[26:27], v[20:21]
	s_delay_alu instid0(VALU_DEP_2) | instskip(NEXT) | instid1(VALU_DEP_3)
	v_mul_u64_e32 v[20:21], v[24:25], v[20:21]
	v_mul_u64_e32 v[28:29], v[24:25], v[22:23]
	v_mul_hi_u32 v22, v8, v22
	s_delay_alu instid0(VALU_DEP_1) | instskip(NEXT) | instid1(VALU_DEP_1)
	v_add_nc_u64_e32 v[22:23], v[22:23], v[26:27]
	v_add_co_u32 v1, vcc_lo, v22, v28
	s_delay_alu instid0(VALU_DEP_2) | instskip(SKIP_1) | instid1(VALU_DEP_1)
	v_add_co_ci_u32_e32 v24, vcc_lo, v23, v29, vcc_lo
	v_add_co_ci_u32_e32 v21, vcc_lo, 0, v21, vcc_lo
	v_add_nc_u64_e32 v[20:21], v[24:25], v[20:21]
	s_delay_alu instid0(VALU_DEP_1) | instskip(NEXT) | instid1(VALU_DEP_1)
	v_mul_u64_e32 v[20:21], v[18:19], v[20:21]
	v_sub_nc_u32_e32 v1, v9, v21
	s_delay_alu instid0(VALU_DEP_2) | instskip(NEXT) | instid1(VALU_DEP_1)
	v_sub_co_u32 v3, vcc_lo, v8, v20
	v_sub_co_ci_u32_e64 v5, null, v9, v21, vcc_lo
	s_delay_alu instid0(VALU_DEP_3) | instskip(NEXT) | instid1(VALU_DEP_3)
	v_sub_co_ci_u32_e64 v1, null, v1, v19, vcc_lo
	v_sub_co_u32 v7, vcc_lo, v3, v18
	v_cmp_ge_u32_e64 s0, v3, v18
	s_delay_alu instid0(VALU_DEP_3) | instskip(SKIP_1) | instid1(VALU_DEP_3)
	v_subrev_co_ci_u32_e64 v8, null, 0, v1, vcc_lo
	v_sub_co_ci_u32_e64 v1, null, v1, v19, vcc_lo
	v_cndmask_b32_e64 v9, 0, -1, s0
	v_cmp_ge_u32_e64 s0, v7, v18
	v_cmp_ge_u32_e32 vcc_lo, v5, v19
	s_delay_alu instid0(VALU_DEP_2) | instskip(SKIP_3) | instid1(VALU_DEP_3)
	v_cndmask_b32_e64 v13, 0, -1, s0
	v_cmp_ge_u32_e64 s0, v8, v19
	v_cndmask_b32_e64 v21, 0, -1, vcc_lo
	v_cmp_eq_u32_e32 vcc_lo, v8, v19
	v_cndmask_b32_e64 v20, 0, -1, s0
	v_cmp_eq_u32_e64 s0, v5, v19
	s_delay_alu instid0(VALU_DEP_2) | instskip(SKIP_1) | instid1(VALU_DEP_1)
	v_cndmask_b32_e32 v13, v20, v13, vcc_lo
	v_sub_co_u32 v20, vcc_lo, v7, v18
	v_subrev_co_ci_u32_e64 v1, null, 0, v1, vcc_lo
	s_delay_alu instid0(VALU_DEP_3) | instskip(NEXT) | instid1(VALU_DEP_3)
	v_cmp_ne_u32_e32 vcc_lo, 0, v13
	v_dual_cndmask_b32 v7, v7, v20, vcc_lo :: v_dual_cndmask_b32 v9, v21, v9, s0
	s_delay_alu instid0(VALU_DEP_3) | instskip(NEXT) | instid1(VALU_DEP_2)
	v_cndmask_b32_e32 v1, v8, v1, vcc_lo
	v_cmp_ne_u32_e32 vcc_lo, 0, v9
                                        ; implicit-def: $vgpr8_vgpr9
	s_delay_alu instid0(VALU_DEP_2)
	v_dual_cndmask_b32 v21, v5, v1 :: v_dual_cndmask_b32 v20, v3, v7
.LBB31_2721:                            ;   in Loop: Header=BB31_2719 Depth=1
	s_and_not1_saveexec_b32 s0, s8
	s_cbranch_execz .LBB31_2718
; %bb.2722:                             ;   in Loop: Header=BB31_2719 Depth=1
	v_cvt_f32_u32_e32 v1, v18
	v_dual_sub_nc_u32 v3, 0, v18 :: v_dual_mov_b32 v21, v12
	s_delay_alu instid0(VALU_DEP_2) | instskip(SKIP_1) | instid1(TRANS32_DEP_1)
	v_rcp_iflag_f32_e32 v1, v1
	v_nop
	v_mul_f32_e32 v1, 0x4f7ffffe, v1
	s_delay_alu instid0(VALU_DEP_1) | instskip(NEXT) | instid1(VALU_DEP_1)
	v_cvt_u32_f32_e32 v1, v1
	v_mul_lo_u32 v3, v3, v1
	s_delay_alu instid0(VALU_DEP_1) | instskip(NEXT) | instid1(VALU_DEP_1)
	v_mul_hi_u32 v3, v1, v3
	v_add_nc_u32_e32 v1, v1, v3
	s_delay_alu instid0(VALU_DEP_1) | instskip(NEXT) | instid1(VALU_DEP_1)
	v_mul_hi_u32 v1, v8, v1
	v_mul_lo_u32 v1, v1, v18
	s_delay_alu instid0(VALU_DEP_1) | instskip(NEXT) | instid1(VALU_DEP_1)
	v_sub_nc_u32_e32 v1, v8, v1
	v_sub_nc_u32_e32 v3, v1, v18
	v_cmp_ge_u32_e32 vcc_lo, v1, v18
	s_delay_alu instid0(VALU_DEP_2) | instskip(NEXT) | instid1(VALU_DEP_1)
	v_cndmask_b32_e32 v1, v1, v3, vcc_lo
	v_sub_nc_u32_e32 v3, v1, v18
	v_cmp_ge_u32_e32 vcc_lo, v1, v18
	s_delay_alu instid0(VALU_DEP_2)
	v_cndmask_b32_e32 v20, v1, v3, vcc_lo
	s_branch .LBB31_2718
.LBB31_2723:
	s_or_b32 exec_lo, exec_lo, s7
	v_mov_b64_e32 v[8:9], v[18:19]
.LBB31_2724:
	s_or_b32 exec_lo, exec_lo, s6
	v_mov_b32_e32 v7, 0
	global_load_u8 v1, v7, s[2:3] offset:417
	s_wait_xcnt 0x0
	v_add_nc_u64_e32 v[6:7], s[4:5], v[6:7]
	s_wait_loadcnt 0x0
	v_and_b32_e32 v3, 0xffff, v1
	v_readfirstlane_b32 s6, v1
	s_delay_alu instid0(VALU_DEP_2)
	v_cmp_gt_i32_e32 vcc_lo, 11, v3
	s_cbranch_vccnz .LBB31_2802
; %bb.2725:
	s_and_b32 s2, 0xffff, s6
	s_mov_b32 s8, -1
	s_mov_b32 s3, 0
	s_cmp_gt_i32 s2, 25
	s_mov_b32 s7, 0
	s_mov_b32 s0, 0
	s_cbranch_scc0 .LBB31_2758
; %bb.2726:
	s_cmp_gt_i32 s2, 28
	s_cbranch_scc0 .LBB31_2741
; %bb.2727:
	s_cmp_gt_i32 s2, 43
	;; [unrolled: 3-line block ×3, first 2 shown]
	s_cbranch_scc0 .LBB31_2731
; %bb.2729:
	s_mov_b32 s0, -1
	s_mov_b32 s8, 0
	s_cmp_eq_u32 s2, 46
	s_cbranch_scc0 .LBB31_2731
; %bb.2730:
	v_clz_i32_u32_e32 v1, v11
	s_mov_b32 s0, 0
	s_mov_b32 s7, -1
	s_delay_alu instid0(VALU_DEP_1) | instskip(NEXT) | instid1(VALU_DEP_1)
	v_min_u32_e32 v1, 32, v1
	v_lshlrev_b64_e32 v[12:13], v1, v[10:11]
	v_sub_nc_u32_e32 v1, 32, v1
	s_delay_alu instid0(VALU_DEP_2) | instskip(NEXT) | instid1(VALU_DEP_1)
	v_min_u32_e32 v3, 1, v12
	v_or_b32_e32 v3, v13, v3
	s_delay_alu instid0(VALU_DEP_1) | instskip(NEXT) | instid1(VALU_DEP_1)
	v_cvt_f32_u32_e32 v3, v3
	v_ldexp_f32 v1, v3, v1
	s_delay_alu instid0(VALU_DEP_1) | instskip(NEXT) | instid1(VALU_DEP_1)
	v_bfe_u32 v3, v1, 16, 1
	v_add3_u32 v1, v1, v3, 0x7fff
	s_delay_alu instid0(VALU_DEP_1)
	v_lshrrev_b32_e32 v1, 16, v1
	global_store_b32 v[6:7], v1, off
.LBB31_2731:
	s_and_b32 vcc_lo, exec_lo, s8
	s_cbranch_vccz .LBB31_2736
; %bb.2732:
	s_cmp_eq_u32 s2, 44
	s_mov_b32 s0, -1
	s_cbranch_scc0 .LBB31_2736
; %bb.2733:
	s_wait_xcnt 0x0
	v_clz_i32_u32_e32 v1, v11
	s_mov_b32 s7, exec_lo
	s_delay_alu instid0(VALU_DEP_1) | instskip(NEXT) | instid1(VALU_DEP_1)
	v_min_u32_e32 v1, 32, v1
	v_lshlrev_b64_e32 v[12:13], v1, v[10:11]
	v_sub_nc_u32_e32 v1, 32, v1
	s_delay_alu instid0(VALU_DEP_2) | instskip(NEXT) | instid1(VALU_DEP_1)
	v_min_u32_e32 v3, 1, v12
	v_or_b32_e32 v3, v13, v3
	s_delay_alu instid0(VALU_DEP_1) | instskip(NEXT) | instid1(VALU_DEP_1)
	v_cvt_f32_u32_e32 v3, v3
	v_ldexp_f32 v5, v3, v1
	v_mov_b32_e32 v3, 0xff
	s_delay_alu instid0(VALU_DEP_2) | instskip(NEXT) | instid1(VALU_DEP_1)
	v_lshrrev_b32_e32 v1, 23, v5
	v_cmpx_ne_u32_e32 0xff, v1
; %bb.2734:
	v_and_b32_e32 v3, 0x400000, v5
	v_and_or_b32 v5, 0x3fffff, v5, v1
	s_delay_alu instid0(VALU_DEP_2) | instskip(NEXT) | instid1(VALU_DEP_2)
	v_cmp_ne_u32_e32 vcc_lo, 0, v3
	v_cmp_ne_u32_e64 s0, 0, v5
	s_and_b32 s0, vcc_lo, s0
	s_delay_alu instid0(SALU_CYCLE_1) | instskip(NEXT) | instid1(VALU_DEP_1)
	v_cndmask_b32_e64 v3, 0, 1, s0
	v_add_nc_u32_e32 v3, v1, v3
; %bb.2735:
	s_or_b32 exec_lo, exec_lo, s7
	s_mov_b32 s0, 0
	s_mov_b32 s7, -1
	global_store_b8 v[6:7], v3, off
.LBB31_2736:
	s_mov_b32 s8, 0
.LBB31_2737:
	s_delay_alu instid0(SALU_CYCLE_1)
	s_and_b32 vcc_lo, exec_lo, s8
	s_cbranch_vccz .LBB31_2740
; %bb.2738:
	s_cmp_eq_u32 s2, 29
	s_mov_b32 s0, -1
	s_cbranch_scc0 .LBB31_2740
; %bb.2739:
	s_mov_b32 s0, 0
	s_mov_b32 s7, -1
	global_store_b64 v[6:7], v[10:11], off
.LBB31_2740:
	s_mov_b32 s8, 0
.LBB31_2741:
	s_delay_alu instid0(SALU_CYCLE_1)
	s_and_b32 vcc_lo, exec_lo, s8
	s_cbranch_vccz .LBB31_2757
; %bb.2742:
	s_cmp_lt_i32 s2, 27
	s_mov_b32 s7, -1
	s_cbranch_scc1 .LBB31_2748
; %bb.2743:
	s_cmp_gt_i32 s2, 27
	s_cbranch_scc0 .LBB31_2745
; %bb.2744:
	s_mov_b32 s7, 0
	global_store_b32 v[6:7], v10, off
.LBB31_2745:
	s_and_not1_b32 vcc_lo, exec_lo, s7
	s_cbranch_vccnz .LBB31_2747
; %bb.2746:
	global_store_b16 v[6:7], v10, off
.LBB31_2747:
	s_mov_b32 s7, 0
.LBB31_2748:
	s_delay_alu instid0(SALU_CYCLE_1)
	s_and_not1_b32 vcc_lo, exec_lo, s7
	s_cbranch_vccnz .LBB31_2756
; %bb.2749:
	s_wait_xcnt 0x0
	v_clz_i32_u32_e32 v1, v11
	v_mov_b32_e32 v5, 0x80
	s_mov_b32 s7, exec_lo
	s_delay_alu instid0(VALU_DEP_2) | instskip(NEXT) | instid1(VALU_DEP_1)
	v_min_u32_e32 v1, 32, v1
	v_lshlrev_b64_e32 v[12:13], v1, v[10:11]
	v_sub_nc_u32_e32 v1, 32, v1
	s_delay_alu instid0(VALU_DEP_2) | instskip(NEXT) | instid1(VALU_DEP_1)
	v_min_u32_e32 v3, 1, v12
	v_or_b32_e32 v3, v13, v3
	s_delay_alu instid0(VALU_DEP_1) | instskip(NEXT) | instid1(VALU_DEP_1)
	v_cvt_f32_u32_e32 v3, v3
	v_ldexp_f32 v3, v3, v1
	s_delay_alu instid0(VALU_DEP_1)
	v_cmpx_gt_u32_e32 0x43800000, v3
	s_cbranch_execz .LBB31_2755
; %bb.2750:
	s_mov_b32 s8, 0
	s_mov_b32 s9, exec_lo
                                        ; implicit-def: $vgpr1
	v_cmpx_lt_u32_e32 0x3bffffff, v3
	s_xor_b32 s9, exec_lo, s9
	s_cbranch_execz .LBB31_3160
; %bb.2751:
	v_bfe_u32 v1, v3, 20, 1
	s_mov_b32 s8, exec_lo
	s_delay_alu instid0(VALU_DEP_1) | instskip(NEXT) | instid1(VALU_DEP_1)
	v_add3_u32 v1, v3, v1, 0x487ffff
                                        ; implicit-def: $vgpr3
	v_lshrrev_b32_e32 v1, 20, v1
	s_and_not1_saveexec_b32 s9, s9
	s_cbranch_execnz .LBB31_3161
.LBB31_2752:
	s_or_b32 exec_lo, exec_lo, s9
	v_mov_b32_e32 v5, 0
	s_and_saveexec_b32 s9, s8
.LBB31_2753:
	v_mov_b32_e32 v5, v1
.LBB31_2754:
	s_or_b32 exec_lo, exec_lo, s9
.LBB31_2755:
	s_delay_alu instid0(SALU_CYCLE_1)
	s_or_b32 exec_lo, exec_lo, s7
	global_store_b8 v[6:7], v5, off
.LBB31_2756:
	s_mov_b32 s7, -1
.LBB31_2757:
	s_mov_b32 s8, 0
.LBB31_2758:
	s_delay_alu instid0(SALU_CYCLE_1)
	s_and_b32 vcc_lo, exec_lo, s8
	s_cbranch_vccz .LBB31_2798
; %bb.2759:
	s_cmp_gt_i32 s2, 22
	s_mov_b32 s3, -1
	s_cbranch_scc0 .LBB31_2791
; %bb.2760:
	s_cmp_lt_i32 s2, 24
	s_cbranch_scc1 .LBB31_2780
; %bb.2761:
	s_cmp_gt_i32 s2, 24
	s_cbranch_scc0 .LBB31_2769
; %bb.2762:
	s_wait_xcnt 0x0
	v_clz_i32_u32_e32 v1, v11
	v_mov_b32_e32 v5, 0x80
	s_mov_b32 s3, exec_lo
	s_delay_alu instid0(VALU_DEP_2) | instskip(NEXT) | instid1(VALU_DEP_1)
	v_min_u32_e32 v1, 32, v1
	v_lshlrev_b64_e32 v[12:13], v1, v[10:11]
	v_sub_nc_u32_e32 v1, 32, v1
	s_delay_alu instid0(VALU_DEP_2) | instskip(NEXT) | instid1(VALU_DEP_1)
	v_min_u32_e32 v3, 1, v12
	v_or_b32_e32 v3, v13, v3
	s_delay_alu instid0(VALU_DEP_1) | instskip(NEXT) | instid1(VALU_DEP_1)
	v_cvt_f32_u32_e32 v3, v3
	v_ldexp_f32 v3, v3, v1
	s_delay_alu instid0(VALU_DEP_1)
	v_cmpx_gt_u32_e32 0x47800000, v3
	s_cbranch_execz .LBB31_2768
; %bb.2763:
	s_mov_b32 s7, 0
	s_mov_b32 s8, exec_lo
                                        ; implicit-def: $vgpr1
	v_cmpx_lt_u32_e32 0x37ffffff, v3
	s_xor_b32 s8, exec_lo, s8
	s_cbranch_execz .LBB31_3163
; %bb.2764:
	v_bfe_u32 v1, v3, 21, 1
	s_mov_b32 s7, exec_lo
	s_delay_alu instid0(VALU_DEP_1) | instskip(NEXT) | instid1(VALU_DEP_1)
	v_add3_u32 v1, v3, v1, 0x88fffff
                                        ; implicit-def: $vgpr3
	v_lshrrev_b32_e32 v1, 21, v1
	s_and_not1_saveexec_b32 s8, s8
	s_cbranch_execnz .LBB31_3164
.LBB31_2765:
	s_or_b32 exec_lo, exec_lo, s8
	v_mov_b32_e32 v5, 0
	s_and_saveexec_b32 s8, s7
.LBB31_2766:
	v_mov_b32_e32 v5, v1
.LBB31_2767:
	s_or_b32 exec_lo, exec_lo, s8
.LBB31_2768:
	s_delay_alu instid0(SALU_CYCLE_1)
	s_or_b32 exec_lo, exec_lo, s3
	s_mov_b32 s3, 0
	global_store_b8 v[6:7], v5, off
.LBB31_2769:
	s_and_b32 vcc_lo, exec_lo, s3
	s_cbranch_vccz .LBB31_2779
; %bb.2770:
	s_wait_xcnt 0x0
	v_clz_i32_u32_e32 v1, v11
	s_mov_b32 s3, exec_lo
	s_delay_alu instid0(VALU_DEP_1) | instskip(NEXT) | instid1(VALU_DEP_1)
	v_min_u32_e32 v1, 32, v1
	v_lshlrev_b64_e32 v[12:13], v1, v[10:11]
	v_sub_nc_u32_e32 v1, 32, v1
	s_delay_alu instid0(VALU_DEP_2) | instskip(NEXT) | instid1(VALU_DEP_1)
	v_min_u32_e32 v3, 1, v12
	v_or_b32_e32 v3, v13, v3
	s_delay_alu instid0(VALU_DEP_1) | instskip(NEXT) | instid1(VALU_DEP_1)
	v_cvt_f32_u32_e32 v3, v3
	v_ldexp_f32 v3, v3, v1
                                        ; implicit-def: $vgpr1
	s_delay_alu instid0(VALU_DEP_1)
	v_cmpx_gt_u32_e32 0x43f00000, v3
	s_xor_b32 s3, exec_lo, s3
	s_cbranch_execz .LBB31_2776
; %bb.2771:
	s_mov_b32 s7, exec_lo
                                        ; implicit-def: $vgpr1
	v_cmpx_lt_u32_e32 0x3c7fffff, v3
	s_xor_b32 s7, exec_lo, s7
; %bb.2772:
	v_bfe_u32 v1, v3, 20, 1
	s_delay_alu instid0(VALU_DEP_1) | instskip(NEXT) | instid1(VALU_DEP_1)
	v_add3_u32 v1, v3, v1, 0x407ffff
	v_and_b32_e32 v3, 0xff00000, v1
	v_lshrrev_b32_e32 v1, 20, v1
	s_delay_alu instid0(VALU_DEP_2) | instskip(NEXT) | instid1(VALU_DEP_2)
	v_cmp_ne_u32_e32 vcc_lo, 0x7f00000, v3
                                        ; implicit-def: $vgpr3
	v_cndmask_b32_e32 v1, 0x7e, v1, vcc_lo
; %bb.2773:
	s_and_not1_saveexec_b32 s7, s7
; %bb.2774:
	v_add_f32_e32 v1, 0x46800000, v3
; %bb.2775:
	s_or_b32 exec_lo, exec_lo, s7
                                        ; implicit-def: $vgpr3
.LBB31_2776:
	s_and_not1_saveexec_b32 s3, s3
; %bb.2777:
	v_mov_b32_e32 v1, 0x7f
	v_cmp_lt_u32_e32 vcc_lo, 0x7f800000, v3
	s_delay_alu instid0(VALU_DEP_2)
	v_cndmask_b32_e32 v1, 0x7e, v1, vcc_lo
; %bb.2778:
	s_or_b32 exec_lo, exec_lo, s3
	global_store_b8 v[6:7], v1, off
.LBB31_2779:
	s_mov_b32 s3, 0
.LBB31_2780:
	s_delay_alu instid0(SALU_CYCLE_1)
	s_and_not1_b32 vcc_lo, exec_lo, s3
	s_cbranch_vccnz .LBB31_2790
; %bb.2781:
	s_wait_xcnt 0x0
	v_clz_i32_u32_e32 v1, v11
	s_mov_b32 s3, exec_lo
	s_delay_alu instid0(VALU_DEP_1) | instskip(NEXT) | instid1(VALU_DEP_1)
	v_min_u32_e32 v1, 32, v1
	v_lshlrev_b64_e32 v[12:13], v1, v[10:11]
	v_sub_nc_u32_e32 v1, 32, v1
	s_delay_alu instid0(VALU_DEP_2) | instskip(NEXT) | instid1(VALU_DEP_1)
	v_min_u32_e32 v3, 1, v12
	v_or_b32_e32 v3, v13, v3
	s_delay_alu instid0(VALU_DEP_1) | instskip(NEXT) | instid1(VALU_DEP_1)
	v_cvt_f32_u32_e32 v3, v3
	v_ldexp_f32 v3, v3, v1
                                        ; implicit-def: $vgpr1
	s_delay_alu instid0(VALU_DEP_1)
	v_cmpx_gt_u32_e32 0x47800000, v3
	s_xor_b32 s3, exec_lo, s3
	s_cbranch_execz .LBB31_2787
; %bb.2782:
	s_mov_b32 s7, exec_lo
                                        ; implicit-def: $vgpr1
	v_cmpx_lt_u32_e32 0x387fffff, v3
	s_xor_b32 s7, exec_lo, s7
; %bb.2783:
	v_bfe_u32 v1, v3, 21, 1
	s_delay_alu instid0(VALU_DEP_1) | instskip(NEXT) | instid1(VALU_DEP_1)
	v_add3_u32 v1, v3, v1, 0x80fffff
                                        ; implicit-def: $vgpr3
	v_lshrrev_b32_e32 v1, 21, v1
; %bb.2784:
	s_and_not1_saveexec_b32 s7, s7
; %bb.2785:
	v_add_f32_e32 v1, 0x43000000, v3
; %bb.2786:
	s_or_b32 exec_lo, exec_lo, s7
                                        ; implicit-def: $vgpr3
.LBB31_2787:
	s_and_not1_saveexec_b32 s3, s3
; %bb.2788:
	v_mov_b32_e32 v1, 0x7f
	v_cmp_lt_u32_e32 vcc_lo, 0x7f800000, v3
	s_delay_alu instid0(VALU_DEP_2)
	v_cndmask_b32_e32 v1, 0x7c, v1, vcc_lo
; %bb.2789:
	s_or_b32 exec_lo, exec_lo, s3
	global_store_b8 v[6:7], v1, off
.LBB31_2790:
	s_mov_b32 s3, 0
	s_mov_b32 s7, -1
.LBB31_2791:
	s_and_not1_b32 vcc_lo, exec_lo, s3
	s_mov_b32 s3, 0
	s_cbranch_vccnz .LBB31_2798
; %bb.2792:
	s_cmp_gt_i32 s2, 14
	s_mov_b32 s3, -1
	s_cbranch_scc0 .LBB31_2796
; %bb.2793:
	s_cmp_eq_u32 s2, 15
	s_mov_b32 s0, -1
	s_cbranch_scc0 .LBB31_2795
; %bb.2794:
	s_wait_xcnt 0x0
	v_clz_i32_u32_e32 v1, v11
	s_mov_b32 s0, 0
	s_mov_b32 s7, -1
	s_delay_alu instid0(VALU_DEP_1) | instskip(NEXT) | instid1(VALU_DEP_1)
	v_min_u32_e32 v1, 32, v1
	v_lshlrev_b64_e32 v[12:13], v1, v[10:11]
	v_sub_nc_u32_e32 v1, 32, v1
	s_delay_alu instid0(VALU_DEP_2) | instskip(NEXT) | instid1(VALU_DEP_1)
	v_min_u32_e32 v3, 1, v12
	v_or_b32_e32 v3, v13, v3
	s_delay_alu instid0(VALU_DEP_1) | instskip(NEXT) | instid1(VALU_DEP_1)
	v_cvt_f32_u32_e32 v3, v3
	v_ldexp_f32 v1, v3, v1
	s_delay_alu instid0(VALU_DEP_1) | instskip(NEXT) | instid1(VALU_DEP_1)
	v_bfe_u32 v3, v1, 16, 1
	v_add3_u32 v1, v1, v3, 0x7fff
	global_store_d16_hi_b16 v[6:7], v1, off
.LBB31_2795:
	s_mov_b32 s3, 0
.LBB31_2796:
	s_delay_alu instid0(SALU_CYCLE_1)
	s_and_b32 vcc_lo, exec_lo, s3
	s_mov_b32 s3, 0
	s_cbranch_vccz .LBB31_2798
; %bb.2797:
	s_cmp_lg_u32 s2, 11
	s_mov_b32 s3, -1
	s_cselect_b32 s0, -1, 0
.LBB31_2798:
	s_delay_alu instid0(SALU_CYCLE_1)
	s_and_b32 vcc_lo, exec_lo, s0
	s_cbranch_vccnz .LBB31_3162
; %bb.2799:
	s_and_not1_b32 vcc_lo, exec_lo, s3
	s_cbranch_vccnz .LBB31_2801
.LBB31_2800:
	v_cmp_ne_u64_e32 vcc_lo, 0, v[10:11]
	s_mov_b32 s7, -1
	s_wait_xcnt 0x0
	v_cndmask_b32_e64 v1, 0, 1, vcc_lo
	global_store_b8 v[6:7], v1, off
.LBB31_2801:
	s_mov_b32 s0, 0
	s_branch .LBB31_2803
.LBB31_2802:
	s_mov_b32 s0, -1
	s_mov_b32 s7, 0
.LBB31_2803:
	s_and_b32 vcc_lo, exec_lo, s0
	s_cbranch_vccz .LBB31_2842
; %bb.2804:
	s_and_b32 s0, 0xffff, s6
	s_mov_b32 s2, -1
	s_cmp_lt_i32 s0, 5
	s_cbranch_scc1 .LBB31_2825
; %bb.2805:
	s_cmp_lt_i32 s0, 8
	s_cbranch_scc1 .LBB31_2815
; %bb.2806:
	;; [unrolled: 3-line block ×3, first 2 shown]
	s_cmp_gt_i32 s0, 9
	s_cbranch_scc0 .LBB31_2809
; %bb.2808:
	v_cvt_f64_u32_e32 v[12:13], v11
	v_cvt_f64_u32_e32 v[18:19], v10
	s_mov_b32 s2, 0
	v_mov_b32_e32 v20, 0
	s_delay_alu instid0(VALU_DEP_1) | instskip(NEXT) | instid1(VALU_DEP_4)
	v_mov_b32_e32 v21, v20
	v_ldexp_f64 v[12:13], v[12:13], 32
	s_delay_alu instid0(VALU_DEP_1)
	v_add_f64_e32 v[18:19], v[12:13], v[18:19]
	global_store_b128 v[6:7], v[18:21], off
.LBB31_2809:
	s_and_not1_b32 vcc_lo, exec_lo, s2
	s_cbranch_vccnz .LBB31_2811
; %bb.2810:
	s_wait_xcnt 0x0
	v_clz_i32_u32_e32 v1, v11
	s_delay_alu instid0(VALU_DEP_1) | instskip(NEXT) | instid1(VALU_DEP_1)
	v_min_u32_e32 v1, 32, v1
	v_lshlrev_b64_e32 v[12:13], v1, v[10:11]
	v_sub_nc_u32_e32 v1, 32, v1
	s_delay_alu instid0(VALU_DEP_2) | instskip(NEXT) | instid1(VALU_DEP_1)
	v_min_u32_e32 v3, 1, v12
	v_dual_mov_b32 v13, 0 :: v_dual_bitop2_b32 v3, v13, v3 bitop3:0x54
	s_delay_alu instid0(VALU_DEP_1) | instskip(NEXT) | instid1(VALU_DEP_1)
	v_cvt_f32_u32_e32 v3, v3
	v_ldexp_f32 v12, v3, v1
	global_store_b64 v[6:7], v[12:13], off
.LBB31_2811:
	s_mov_b32 s2, 0
.LBB31_2812:
	s_delay_alu instid0(SALU_CYCLE_1)
	s_and_not1_b32 vcc_lo, exec_lo, s2
	s_cbranch_vccnz .LBB31_2814
; %bb.2813:
	s_wait_xcnt 0x0
	v_clz_i32_u32_e32 v1, v11
	s_delay_alu instid0(VALU_DEP_1) | instskip(NEXT) | instid1(VALU_DEP_1)
	v_min_u32_e32 v1, 32, v1
	v_lshlrev_b64_e32 v[12:13], v1, v[10:11]
	v_sub_nc_u32_e32 v1, 32, v1
	s_delay_alu instid0(VALU_DEP_2) | instskip(NEXT) | instid1(VALU_DEP_1)
	v_min_u32_e32 v3, 1, v12
	v_or_b32_e32 v3, v13, v3
	s_delay_alu instid0(VALU_DEP_1) | instskip(NEXT) | instid1(VALU_DEP_1)
	v_cvt_f32_u32_e32 v3, v3
	v_ldexp_f32 v1, v3, v1
	s_delay_alu instid0(VALU_DEP_1) | instskip(NEXT) | instid1(VALU_DEP_1)
	v_cvt_f16_f32_e32 v1, v1
	v_and_b32_e32 v1, 0xffff, v1
	global_store_b32 v[6:7], v1, off
.LBB31_2814:
	s_mov_b32 s2, 0
.LBB31_2815:
	s_delay_alu instid0(SALU_CYCLE_1)
	s_and_not1_b32 vcc_lo, exec_lo, s2
	s_cbranch_vccnz .LBB31_2824
; %bb.2816:
	s_cmp_lt_i32 s0, 6
	s_mov_b32 s2, -1
	s_cbranch_scc1 .LBB31_2822
; %bb.2817:
	s_cmp_gt_i32 s0, 6
	s_cbranch_scc0 .LBB31_2819
; %bb.2818:
	s_wait_xcnt 0x0
	v_cvt_f64_u32_e32 v[12:13], v11
	v_cvt_f64_u32_e32 v[18:19], v10
	s_mov_b32 s2, 0
	s_delay_alu instid0(VALU_DEP_2) | instskip(NEXT) | instid1(VALU_DEP_1)
	v_ldexp_f64 v[12:13], v[12:13], 32
	v_add_f64_e32 v[12:13], v[12:13], v[18:19]
	global_store_b64 v[6:7], v[12:13], off
.LBB31_2819:
	s_and_not1_b32 vcc_lo, exec_lo, s2
	s_cbranch_vccnz .LBB31_2821
; %bb.2820:
	s_wait_xcnt 0x0
	v_clz_i32_u32_e32 v1, v11
	s_delay_alu instid0(VALU_DEP_1) | instskip(NEXT) | instid1(VALU_DEP_1)
	v_min_u32_e32 v1, 32, v1
	v_lshlrev_b64_e32 v[12:13], v1, v[10:11]
	v_sub_nc_u32_e32 v1, 32, v1
	s_delay_alu instid0(VALU_DEP_2) | instskip(NEXT) | instid1(VALU_DEP_1)
	v_min_u32_e32 v3, 1, v12
	v_or_b32_e32 v3, v13, v3
	s_delay_alu instid0(VALU_DEP_1) | instskip(NEXT) | instid1(VALU_DEP_1)
	v_cvt_f32_u32_e32 v3, v3
	v_ldexp_f32 v1, v3, v1
	global_store_b32 v[6:7], v1, off
.LBB31_2821:
	s_mov_b32 s2, 0
.LBB31_2822:
	s_delay_alu instid0(SALU_CYCLE_1)
	s_and_not1_b32 vcc_lo, exec_lo, s2
	s_cbranch_vccnz .LBB31_2824
; %bb.2823:
	s_wait_xcnt 0x0
	v_clz_i32_u32_e32 v1, v11
	s_delay_alu instid0(VALU_DEP_1) | instskip(NEXT) | instid1(VALU_DEP_1)
	v_min_u32_e32 v1, 32, v1
	v_lshlrev_b64_e32 v[12:13], v1, v[10:11]
	v_sub_nc_u32_e32 v1, 32, v1
	s_delay_alu instid0(VALU_DEP_2) | instskip(NEXT) | instid1(VALU_DEP_1)
	v_min_u32_e32 v3, 1, v12
	v_or_b32_e32 v3, v13, v3
	s_delay_alu instid0(VALU_DEP_1) | instskip(NEXT) | instid1(VALU_DEP_1)
	v_cvt_f32_u32_e32 v3, v3
	v_ldexp_f32 v1, v3, v1
	s_delay_alu instid0(VALU_DEP_1)
	v_cvt_f16_f32_e32 v1, v1
	global_store_b16 v[6:7], v1, off
.LBB31_2824:
	s_mov_b32 s2, 0
.LBB31_2825:
	s_delay_alu instid0(SALU_CYCLE_1)
	s_and_not1_b32 vcc_lo, exec_lo, s2
	s_cbranch_vccnz .LBB31_2841
; %bb.2826:
	s_cmp_lt_i32 s0, 2
	s_mov_b32 s2, -1
	s_cbranch_scc1 .LBB31_2836
; %bb.2827:
	s_cmp_lt_i32 s0, 3
	s_cbranch_scc1 .LBB31_2833
; %bb.2828:
	s_cmp_gt_i32 s0, 3
	s_cbranch_scc0 .LBB31_2830
; %bb.2829:
	s_mov_b32 s2, 0
	global_store_b64 v[6:7], v[10:11], off
.LBB31_2830:
	s_and_not1_b32 vcc_lo, exec_lo, s2
	s_cbranch_vccnz .LBB31_2832
; %bb.2831:
	global_store_b32 v[6:7], v10, off
.LBB31_2832:
	s_mov_b32 s2, 0
.LBB31_2833:
	s_delay_alu instid0(SALU_CYCLE_1)
	s_and_not1_b32 vcc_lo, exec_lo, s2
	s_cbranch_vccnz .LBB31_2835
; %bb.2834:
	global_store_b16 v[6:7], v10, off
.LBB31_2835:
	s_mov_b32 s2, 0
.LBB31_2836:
	s_delay_alu instid0(SALU_CYCLE_1)
	s_and_not1_b32 vcc_lo, exec_lo, s2
	s_cbranch_vccnz .LBB31_2841
; %bb.2837:
	s_cmp_gt_i32 s0, 0
	s_mov_b32 s0, -1
	s_cbranch_scc0 .LBB31_2839
; %bb.2838:
	s_mov_b32 s0, 0
	global_store_b8 v[6:7], v10, off
.LBB31_2839:
	s_and_not1_b32 vcc_lo, exec_lo, s0
	s_cbranch_vccnz .LBB31_2841
; %bb.2840:
	global_store_b8 v[6:7], v10, off
.LBB31_2841:
	s_mov_b32 s7, -1
.LBB31_2842:
	s_delay_alu instid0(SALU_CYCLE_1)
	s_and_not1_b32 vcc_lo, exec_lo, s7
	s_cbranch_vccnz .LBB31_3157
; %bb.2843:
	s_wait_xcnt 0x0
	v_mov_b32_e32 v5, 0
	s_and_b32 s2, 0xffff, s6
	s_delay_alu instid0(SALU_CYCLE_1) | instskip(NEXT) | instid1(VALU_DEP_1)
	s_cmp_lt_i32 s2, 11
	v_add_nc_u64_e32 v[4:5], s[4:5], v[4:5]
	s_cbranch_scc1 .LBB31_2921
; %bb.2844:
	s_mov_b32 s8, -1
	s_mov_b32 s3, 0
	s_cmp_gt_i32 s2, 25
	s_mov_b32 s7, 0
	s_mov_b32 s0, 0
	s_cbranch_scc0 .LBB31_2877
; %bb.2845:
	s_cmp_gt_i32 s2, 28
	s_cbranch_scc0 .LBB31_2860
; %bb.2846:
	s_cmp_gt_i32 s2, 43
	;; [unrolled: 3-line block ×3, first 2 shown]
	s_cbranch_scc0 .LBB31_2850
; %bb.2848:
	s_mov_b32 s0, -1
	s_mov_b32 s8, 0
	s_cmp_eq_u32 s2, 46
	s_cbranch_scc0 .LBB31_2850
; %bb.2849:
	v_clz_i32_u32_e32 v1, v15
	s_mov_b32 s0, 0
	s_mov_b32 s7, -1
	s_delay_alu instid0(VALU_DEP_1) | instskip(NEXT) | instid1(VALU_DEP_1)
	v_min_u32_e32 v1, 32, v1
	v_lshlrev_b64_e32 v[6:7], v1, v[14:15]
	v_sub_nc_u32_e32 v1, 32, v1
	s_delay_alu instid0(VALU_DEP_2) | instskip(NEXT) | instid1(VALU_DEP_1)
	v_min_u32_e32 v3, 1, v6
	v_or_b32_e32 v3, v7, v3
	s_delay_alu instid0(VALU_DEP_1) | instskip(NEXT) | instid1(VALU_DEP_1)
	v_cvt_f32_u32_e32 v3, v3
	v_ldexp_f32 v1, v3, v1
	s_delay_alu instid0(VALU_DEP_1) | instskip(NEXT) | instid1(VALU_DEP_1)
	v_bfe_u32 v3, v1, 16, 1
	v_add3_u32 v1, v1, v3, 0x7fff
	s_delay_alu instid0(VALU_DEP_1)
	v_lshrrev_b32_e32 v1, 16, v1
	global_store_b32 v[4:5], v1, off
.LBB31_2850:
	s_and_b32 vcc_lo, exec_lo, s8
	s_cbranch_vccz .LBB31_2855
; %bb.2851:
	s_cmp_eq_u32 s2, 44
	s_mov_b32 s0, -1
	s_cbranch_scc0 .LBB31_2855
; %bb.2852:
	s_wait_xcnt 0x0
	v_clz_i32_u32_e32 v1, v15
	s_mov_b32 s7, exec_lo
	s_delay_alu instid0(VALU_DEP_1) | instskip(NEXT) | instid1(VALU_DEP_1)
	v_min_u32_e32 v1, 32, v1
	v_lshlrev_b64_e32 v[6:7], v1, v[14:15]
	v_sub_nc_u32_e32 v1, 32, v1
	s_delay_alu instid0(VALU_DEP_2) | instskip(NEXT) | instid1(VALU_DEP_1)
	v_min_u32_e32 v3, 1, v6
	v_or_b32_e32 v3, v7, v3
	s_delay_alu instid0(VALU_DEP_1) | instskip(NEXT) | instid1(VALU_DEP_1)
	v_cvt_f32_u32_e32 v3, v3
	v_ldexp_f32 v6, v3, v1
	v_mov_b32_e32 v3, 0xff
	s_delay_alu instid0(VALU_DEP_2) | instskip(NEXT) | instid1(VALU_DEP_1)
	v_lshrrev_b32_e32 v1, 23, v6
	v_cmpx_ne_u32_e32 0xff, v1
; %bb.2853:
	v_and_b32_e32 v3, 0x400000, v6
	v_and_or_b32 v6, 0x3fffff, v6, v1
	s_delay_alu instid0(VALU_DEP_2) | instskip(NEXT) | instid1(VALU_DEP_2)
	v_cmp_ne_u32_e32 vcc_lo, 0, v3
	v_cmp_ne_u32_e64 s0, 0, v6
	s_and_b32 s0, vcc_lo, s0
	s_delay_alu instid0(SALU_CYCLE_1) | instskip(NEXT) | instid1(VALU_DEP_1)
	v_cndmask_b32_e64 v3, 0, 1, s0
	v_add_nc_u32_e32 v3, v1, v3
; %bb.2854:
	s_or_b32 exec_lo, exec_lo, s7
	s_mov_b32 s0, 0
	s_mov_b32 s7, -1
	global_store_b8 v[4:5], v3, off
.LBB31_2855:
	s_mov_b32 s8, 0
.LBB31_2856:
	s_delay_alu instid0(SALU_CYCLE_1)
	s_and_b32 vcc_lo, exec_lo, s8
	s_cbranch_vccz .LBB31_2859
; %bb.2857:
	s_cmp_eq_u32 s2, 29
	s_mov_b32 s0, -1
	s_cbranch_scc0 .LBB31_2859
; %bb.2858:
	s_mov_b32 s0, 0
	s_mov_b32 s7, -1
	global_store_b64 v[4:5], v[14:15], off
.LBB31_2859:
	s_mov_b32 s8, 0
.LBB31_2860:
	s_delay_alu instid0(SALU_CYCLE_1)
	s_and_b32 vcc_lo, exec_lo, s8
	s_cbranch_vccz .LBB31_2876
; %bb.2861:
	s_cmp_lt_i32 s2, 27
	s_mov_b32 s7, -1
	s_cbranch_scc1 .LBB31_2867
; %bb.2862:
	s_cmp_gt_i32 s2, 27
	s_cbranch_scc0 .LBB31_2864
; %bb.2863:
	s_mov_b32 s7, 0
	global_store_b32 v[4:5], v14, off
.LBB31_2864:
	s_and_not1_b32 vcc_lo, exec_lo, s7
	s_cbranch_vccnz .LBB31_2866
; %bb.2865:
	global_store_b16 v[4:5], v14, off
.LBB31_2866:
	s_mov_b32 s7, 0
.LBB31_2867:
	s_delay_alu instid0(SALU_CYCLE_1)
	s_and_not1_b32 vcc_lo, exec_lo, s7
	s_cbranch_vccnz .LBB31_2875
; %bb.2868:
	s_wait_xcnt 0x0
	v_clz_i32_u32_e32 v1, v15
	s_mov_b32 s7, exec_lo
	s_delay_alu instid0(VALU_DEP_1) | instskip(NEXT) | instid1(VALU_DEP_1)
	v_min_u32_e32 v1, 32, v1
	v_lshlrev_b64_e32 v[6:7], v1, v[14:15]
	v_sub_nc_u32_e32 v1, 32, v1
	s_delay_alu instid0(VALU_DEP_2) | instskip(SKIP_1) | instid1(VALU_DEP_2)
	v_min_u32_e32 v3, 1, v6
	v_mov_b32_e32 v6, 0x80
	v_or_b32_e32 v3, v7, v3
	s_delay_alu instid0(VALU_DEP_1) | instskip(NEXT) | instid1(VALU_DEP_1)
	v_cvt_f32_u32_e32 v3, v3
	v_ldexp_f32 v3, v3, v1
	s_delay_alu instid0(VALU_DEP_1)
	v_cmpx_gt_u32_e32 0x43800000, v3
	s_cbranch_execz .LBB31_2874
; %bb.2869:
	s_mov_b32 s8, 0
	s_mov_b32 s9, exec_lo
                                        ; implicit-def: $vgpr1
	v_cmpx_lt_u32_e32 0x3bffffff, v3
	s_xor_b32 s9, exec_lo, s9
	s_cbranch_execz .LBB31_3165
; %bb.2870:
	v_bfe_u32 v1, v3, 20, 1
	s_mov_b32 s8, exec_lo
	s_delay_alu instid0(VALU_DEP_1) | instskip(NEXT) | instid1(VALU_DEP_1)
	v_add3_u32 v1, v3, v1, 0x487ffff
                                        ; implicit-def: $vgpr3
	v_lshrrev_b32_e32 v1, 20, v1
	s_and_not1_saveexec_b32 s9, s9
	s_cbranch_execnz .LBB31_3166
.LBB31_2871:
	s_or_b32 exec_lo, exec_lo, s9
	v_mov_b32_e32 v6, 0
	s_and_saveexec_b32 s9, s8
.LBB31_2872:
	v_mov_b32_e32 v6, v1
.LBB31_2873:
	s_or_b32 exec_lo, exec_lo, s9
.LBB31_2874:
	s_delay_alu instid0(SALU_CYCLE_1)
	s_or_b32 exec_lo, exec_lo, s7
	global_store_b8 v[4:5], v6, off
.LBB31_2875:
	s_mov_b32 s7, -1
.LBB31_2876:
	s_mov_b32 s8, 0
.LBB31_2877:
	s_delay_alu instid0(SALU_CYCLE_1)
	s_and_b32 vcc_lo, exec_lo, s8
	s_cbranch_vccz .LBB31_2917
; %bb.2878:
	s_cmp_gt_i32 s2, 22
	s_mov_b32 s3, -1
	s_cbranch_scc0 .LBB31_2910
; %bb.2879:
	s_cmp_lt_i32 s2, 24
	s_cbranch_scc1 .LBB31_2899
; %bb.2880:
	s_cmp_gt_i32 s2, 24
	s_cbranch_scc0 .LBB31_2888
; %bb.2881:
	s_wait_xcnt 0x0
	v_clz_i32_u32_e32 v1, v15
	s_mov_b32 s3, exec_lo
	s_delay_alu instid0(VALU_DEP_1) | instskip(NEXT) | instid1(VALU_DEP_1)
	v_min_u32_e32 v1, 32, v1
	v_lshlrev_b64_e32 v[6:7], v1, v[14:15]
	v_sub_nc_u32_e32 v1, 32, v1
	s_delay_alu instid0(VALU_DEP_2) | instskip(SKIP_1) | instid1(VALU_DEP_2)
	v_min_u32_e32 v3, 1, v6
	v_mov_b32_e32 v6, 0x80
	v_or_b32_e32 v3, v7, v3
	s_delay_alu instid0(VALU_DEP_1) | instskip(NEXT) | instid1(VALU_DEP_1)
	v_cvt_f32_u32_e32 v3, v3
	v_ldexp_f32 v3, v3, v1
	s_delay_alu instid0(VALU_DEP_1)
	v_cmpx_gt_u32_e32 0x47800000, v3
	s_cbranch_execz .LBB31_2887
; %bb.2882:
	s_mov_b32 s7, 0
	s_mov_b32 s8, exec_lo
                                        ; implicit-def: $vgpr1
	v_cmpx_lt_u32_e32 0x37ffffff, v3
	s_xor_b32 s8, exec_lo, s8
	s_cbranch_execz .LBB31_3168
; %bb.2883:
	v_bfe_u32 v1, v3, 21, 1
	s_mov_b32 s7, exec_lo
	s_delay_alu instid0(VALU_DEP_1) | instskip(NEXT) | instid1(VALU_DEP_1)
	v_add3_u32 v1, v3, v1, 0x88fffff
                                        ; implicit-def: $vgpr3
	v_lshrrev_b32_e32 v1, 21, v1
	s_and_not1_saveexec_b32 s8, s8
	s_cbranch_execnz .LBB31_3169
.LBB31_2884:
	s_or_b32 exec_lo, exec_lo, s8
	v_mov_b32_e32 v6, 0
	s_and_saveexec_b32 s8, s7
.LBB31_2885:
	v_mov_b32_e32 v6, v1
.LBB31_2886:
	s_or_b32 exec_lo, exec_lo, s8
.LBB31_2887:
	s_delay_alu instid0(SALU_CYCLE_1)
	s_or_b32 exec_lo, exec_lo, s3
	s_mov_b32 s3, 0
	global_store_b8 v[4:5], v6, off
.LBB31_2888:
	s_and_b32 vcc_lo, exec_lo, s3
	s_cbranch_vccz .LBB31_2898
; %bb.2889:
	s_wait_xcnt 0x0
	v_clz_i32_u32_e32 v1, v15
	s_mov_b32 s3, exec_lo
	s_delay_alu instid0(VALU_DEP_1) | instskip(NEXT) | instid1(VALU_DEP_1)
	v_min_u32_e32 v1, 32, v1
	v_lshlrev_b64_e32 v[6:7], v1, v[14:15]
	v_sub_nc_u32_e32 v1, 32, v1
	s_delay_alu instid0(VALU_DEP_2) | instskip(NEXT) | instid1(VALU_DEP_1)
	v_min_u32_e32 v3, 1, v6
	v_or_b32_e32 v3, v7, v3
	s_delay_alu instid0(VALU_DEP_1) | instskip(NEXT) | instid1(VALU_DEP_1)
	v_cvt_f32_u32_e32 v3, v3
	v_ldexp_f32 v3, v3, v1
                                        ; implicit-def: $vgpr1
	s_delay_alu instid0(VALU_DEP_1)
	v_cmpx_gt_u32_e32 0x43f00000, v3
	s_xor_b32 s3, exec_lo, s3
	s_cbranch_execz .LBB31_2895
; %bb.2890:
	s_mov_b32 s7, exec_lo
                                        ; implicit-def: $vgpr1
	v_cmpx_lt_u32_e32 0x3c7fffff, v3
	s_xor_b32 s7, exec_lo, s7
; %bb.2891:
	v_bfe_u32 v1, v3, 20, 1
	s_delay_alu instid0(VALU_DEP_1) | instskip(NEXT) | instid1(VALU_DEP_1)
	v_add3_u32 v1, v3, v1, 0x407ffff
	v_and_b32_e32 v3, 0xff00000, v1
	v_lshrrev_b32_e32 v1, 20, v1
	s_delay_alu instid0(VALU_DEP_2) | instskip(NEXT) | instid1(VALU_DEP_2)
	v_cmp_ne_u32_e32 vcc_lo, 0x7f00000, v3
                                        ; implicit-def: $vgpr3
	v_cndmask_b32_e32 v1, 0x7e, v1, vcc_lo
; %bb.2892:
	s_and_not1_saveexec_b32 s7, s7
; %bb.2893:
	v_add_f32_e32 v1, 0x46800000, v3
; %bb.2894:
	s_or_b32 exec_lo, exec_lo, s7
                                        ; implicit-def: $vgpr3
.LBB31_2895:
	s_and_not1_saveexec_b32 s3, s3
; %bb.2896:
	v_mov_b32_e32 v1, 0x7f
	v_cmp_lt_u32_e32 vcc_lo, 0x7f800000, v3
	s_delay_alu instid0(VALU_DEP_2)
	v_cndmask_b32_e32 v1, 0x7e, v1, vcc_lo
; %bb.2897:
	s_or_b32 exec_lo, exec_lo, s3
	global_store_b8 v[4:5], v1, off
.LBB31_2898:
	s_mov_b32 s3, 0
.LBB31_2899:
	s_delay_alu instid0(SALU_CYCLE_1)
	s_and_not1_b32 vcc_lo, exec_lo, s3
	s_cbranch_vccnz .LBB31_2909
; %bb.2900:
	s_wait_xcnt 0x0
	v_clz_i32_u32_e32 v1, v15
	s_mov_b32 s3, exec_lo
	s_delay_alu instid0(VALU_DEP_1) | instskip(NEXT) | instid1(VALU_DEP_1)
	v_min_u32_e32 v1, 32, v1
	v_lshlrev_b64_e32 v[6:7], v1, v[14:15]
	v_sub_nc_u32_e32 v1, 32, v1
	s_delay_alu instid0(VALU_DEP_2) | instskip(NEXT) | instid1(VALU_DEP_1)
	v_min_u32_e32 v3, 1, v6
	v_or_b32_e32 v3, v7, v3
	s_delay_alu instid0(VALU_DEP_1) | instskip(NEXT) | instid1(VALU_DEP_1)
	v_cvt_f32_u32_e32 v3, v3
	v_ldexp_f32 v3, v3, v1
                                        ; implicit-def: $vgpr1
	s_delay_alu instid0(VALU_DEP_1)
	v_cmpx_gt_u32_e32 0x47800000, v3
	s_xor_b32 s3, exec_lo, s3
	s_cbranch_execz .LBB31_2906
; %bb.2901:
	s_mov_b32 s7, exec_lo
                                        ; implicit-def: $vgpr1
	v_cmpx_lt_u32_e32 0x387fffff, v3
	s_xor_b32 s7, exec_lo, s7
; %bb.2902:
	v_bfe_u32 v1, v3, 21, 1
	s_delay_alu instid0(VALU_DEP_1) | instskip(NEXT) | instid1(VALU_DEP_1)
	v_add3_u32 v1, v3, v1, 0x80fffff
                                        ; implicit-def: $vgpr3
	v_lshrrev_b32_e32 v1, 21, v1
; %bb.2903:
	s_and_not1_saveexec_b32 s7, s7
; %bb.2904:
	v_add_f32_e32 v1, 0x43000000, v3
; %bb.2905:
	s_or_b32 exec_lo, exec_lo, s7
                                        ; implicit-def: $vgpr3
.LBB31_2906:
	s_and_not1_saveexec_b32 s3, s3
; %bb.2907:
	v_mov_b32_e32 v1, 0x7f
	v_cmp_lt_u32_e32 vcc_lo, 0x7f800000, v3
	s_delay_alu instid0(VALU_DEP_2)
	v_cndmask_b32_e32 v1, 0x7c, v1, vcc_lo
; %bb.2908:
	s_or_b32 exec_lo, exec_lo, s3
	global_store_b8 v[4:5], v1, off
.LBB31_2909:
	s_mov_b32 s3, 0
	s_mov_b32 s7, -1
.LBB31_2910:
	s_and_not1_b32 vcc_lo, exec_lo, s3
	s_mov_b32 s3, 0
	s_cbranch_vccnz .LBB31_2917
; %bb.2911:
	s_cmp_gt_i32 s2, 14
	s_mov_b32 s3, -1
	s_cbranch_scc0 .LBB31_2915
; %bb.2912:
	s_cmp_eq_u32 s2, 15
	s_mov_b32 s0, -1
	s_cbranch_scc0 .LBB31_2914
; %bb.2913:
	s_wait_xcnt 0x0
	v_clz_i32_u32_e32 v1, v15
	s_mov_b32 s0, 0
	s_mov_b32 s7, -1
	s_delay_alu instid0(VALU_DEP_1) | instskip(NEXT) | instid1(VALU_DEP_1)
	v_min_u32_e32 v1, 32, v1
	v_lshlrev_b64_e32 v[6:7], v1, v[14:15]
	v_sub_nc_u32_e32 v1, 32, v1
	s_delay_alu instid0(VALU_DEP_2) | instskip(NEXT) | instid1(VALU_DEP_1)
	v_min_u32_e32 v3, 1, v6
	v_or_b32_e32 v3, v7, v3
	s_delay_alu instid0(VALU_DEP_1) | instskip(NEXT) | instid1(VALU_DEP_1)
	v_cvt_f32_u32_e32 v3, v3
	v_ldexp_f32 v1, v3, v1
	s_delay_alu instid0(VALU_DEP_1) | instskip(NEXT) | instid1(VALU_DEP_1)
	v_bfe_u32 v3, v1, 16, 1
	v_add3_u32 v1, v1, v3, 0x7fff
	global_store_d16_hi_b16 v[4:5], v1, off
.LBB31_2914:
	s_mov_b32 s3, 0
.LBB31_2915:
	s_delay_alu instid0(SALU_CYCLE_1)
	s_and_b32 vcc_lo, exec_lo, s3
	s_mov_b32 s3, 0
	s_cbranch_vccz .LBB31_2917
; %bb.2916:
	s_cmp_lg_u32 s2, 11
	s_mov_b32 s3, -1
	s_cselect_b32 s0, -1, 0
.LBB31_2917:
	s_delay_alu instid0(SALU_CYCLE_1)
	s_and_b32 vcc_lo, exec_lo, s0
	s_cbranch_vccnz .LBB31_3167
; %bb.2918:
	s_and_not1_b32 vcc_lo, exec_lo, s3
	s_cbranch_vccnz .LBB31_2920
.LBB31_2919:
	v_cmp_ne_u64_e32 vcc_lo, 0, v[14:15]
	s_mov_b32 s7, -1
	s_wait_xcnt 0x0
	v_cndmask_b32_e64 v1, 0, 1, vcc_lo
	global_store_b8 v[4:5], v1, off
.LBB31_2920:
	s_mov_b32 s0, 0
	s_branch .LBB31_2922
.LBB31_2921:
	s_mov_b32 s0, -1
	s_mov_b32 s7, 0
.LBB31_2922:
	s_and_b32 vcc_lo, exec_lo, s0
	s_cbranch_vccz .LBB31_2961
; %bb.2923:
	s_cmp_lt_i32 s2, 5
	s_mov_b32 s0, -1
	s_cbranch_scc1 .LBB31_2944
; %bb.2924:
	s_cmp_lt_i32 s2, 8
	s_cbranch_scc1 .LBB31_2934
; %bb.2925:
	s_cmp_lt_i32 s2, 9
	s_cbranch_scc1 .LBB31_2931
; %bb.2926:
	s_cmp_gt_i32 s2, 9
	s_cbranch_scc0 .LBB31_2928
; %bb.2927:
	s_wait_xcnt 0x0
	v_cvt_f64_u32_e32 v[6:7], v15
	v_cvt_f64_u32_e32 v[10:11], v14
	s_mov_b32 s0, 0
	v_mov_b32_e32 v12, 0
	s_delay_alu instid0(VALU_DEP_1) | instskip(NEXT) | instid1(VALU_DEP_4)
	v_mov_b32_e32 v13, v12
	v_ldexp_f64 v[6:7], v[6:7], 32
	s_delay_alu instid0(VALU_DEP_1)
	v_add_f64_e32 v[10:11], v[6:7], v[10:11]
	global_store_b128 v[4:5], v[10:13], off
.LBB31_2928:
	s_and_not1_b32 vcc_lo, exec_lo, s0
	s_cbranch_vccnz .LBB31_2930
; %bb.2929:
	s_wait_xcnt 0x0
	v_clz_i32_u32_e32 v1, v15
	s_delay_alu instid0(VALU_DEP_1) | instskip(NEXT) | instid1(VALU_DEP_1)
	v_min_u32_e32 v1, 32, v1
	v_lshlrev_b64_e32 v[6:7], v1, v[14:15]
	v_sub_nc_u32_e32 v1, 32, v1
	s_delay_alu instid0(VALU_DEP_2) | instskip(NEXT) | instid1(VALU_DEP_1)
	v_min_u32_e32 v3, 1, v6
	v_dual_mov_b32 v7, 0 :: v_dual_bitop2_b32 v3, v7, v3 bitop3:0x54
	s_delay_alu instid0(VALU_DEP_1) | instskip(NEXT) | instid1(VALU_DEP_1)
	v_cvt_f32_u32_e32 v3, v3
	v_ldexp_f32 v6, v3, v1
	global_store_b64 v[4:5], v[6:7], off
.LBB31_2930:
	s_mov_b32 s0, 0
.LBB31_2931:
	s_delay_alu instid0(SALU_CYCLE_1)
	s_and_not1_b32 vcc_lo, exec_lo, s0
	s_cbranch_vccnz .LBB31_2933
; %bb.2932:
	s_wait_xcnt 0x0
	v_clz_i32_u32_e32 v1, v15
	s_delay_alu instid0(VALU_DEP_1) | instskip(NEXT) | instid1(VALU_DEP_1)
	v_min_u32_e32 v1, 32, v1
	v_lshlrev_b64_e32 v[6:7], v1, v[14:15]
	v_sub_nc_u32_e32 v1, 32, v1
	s_delay_alu instid0(VALU_DEP_2) | instskip(NEXT) | instid1(VALU_DEP_1)
	v_min_u32_e32 v3, 1, v6
	v_or_b32_e32 v3, v7, v3
	s_delay_alu instid0(VALU_DEP_1) | instskip(NEXT) | instid1(VALU_DEP_1)
	v_cvt_f32_u32_e32 v3, v3
	v_ldexp_f32 v1, v3, v1
	s_delay_alu instid0(VALU_DEP_1) | instskip(NEXT) | instid1(VALU_DEP_1)
	v_cvt_f16_f32_e32 v1, v1
	v_and_b32_e32 v1, 0xffff, v1
	global_store_b32 v[4:5], v1, off
.LBB31_2933:
	s_mov_b32 s0, 0
.LBB31_2934:
	s_delay_alu instid0(SALU_CYCLE_1)
	s_and_not1_b32 vcc_lo, exec_lo, s0
	s_cbranch_vccnz .LBB31_2943
; %bb.2935:
	s_cmp_lt_i32 s2, 6
	s_mov_b32 s0, -1
	s_cbranch_scc1 .LBB31_2941
; %bb.2936:
	s_cmp_gt_i32 s2, 6
	s_cbranch_scc0 .LBB31_2938
; %bb.2937:
	s_wait_xcnt 0x0
	v_cvt_f64_u32_e32 v[6:7], v15
	v_cvt_f64_u32_e32 v[10:11], v14
	s_mov_b32 s0, 0
	s_delay_alu instid0(VALU_DEP_2) | instskip(NEXT) | instid1(VALU_DEP_1)
	v_ldexp_f64 v[6:7], v[6:7], 32
	v_add_f64_e32 v[6:7], v[6:7], v[10:11]
	global_store_b64 v[4:5], v[6:7], off
.LBB31_2938:
	s_and_not1_b32 vcc_lo, exec_lo, s0
	s_cbranch_vccnz .LBB31_2940
; %bb.2939:
	s_wait_xcnt 0x0
	v_clz_i32_u32_e32 v1, v15
	s_delay_alu instid0(VALU_DEP_1) | instskip(NEXT) | instid1(VALU_DEP_1)
	v_min_u32_e32 v1, 32, v1
	v_lshlrev_b64_e32 v[6:7], v1, v[14:15]
	v_sub_nc_u32_e32 v1, 32, v1
	s_delay_alu instid0(VALU_DEP_2) | instskip(NEXT) | instid1(VALU_DEP_1)
	v_min_u32_e32 v3, 1, v6
	v_or_b32_e32 v3, v7, v3
	s_delay_alu instid0(VALU_DEP_1) | instskip(NEXT) | instid1(VALU_DEP_1)
	v_cvt_f32_u32_e32 v3, v3
	v_ldexp_f32 v1, v3, v1
	global_store_b32 v[4:5], v1, off
.LBB31_2940:
	s_mov_b32 s0, 0
.LBB31_2941:
	s_delay_alu instid0(SALU_CYCLE_1)
	s_and_not1_b32 vcc_lo, exec_lo, s0
	s_cbranch_vccnz .LBB31_2943
; %bb.2942:
	s_wait_xcnt 0x0
	v_clz_i32_u32_e32 v1, v15
	s_delay_alu instid0(VALU_DEP_1) | instskip(NEXT) | instid1(VALU_DEP_1)
	v_min_u32_e32 v1, 32, v1
	v_lshlrev_b64_e32 v[6:7], v1, v[14:15]
	v_sub_nc_u32_e32 v1, 32, v1
	s_delay_alu instid0(VALU_DEP_2) | instskip(NEXT) | instid1(VALU_DEP_1)
	v_min_u32_e32 v3, 1, v6
	v_or_b32_e32 v3, v7, v3
	s_delay_alu instid0(VALU_DEP_1) | instskip(NEXT) | instid1(VALU_DEP_1)
	v_cvt_f32_u32_e32 v3, v3
	v_ldexp_f32 v1, v3, v1
	s_delay_alu instid0(VALU_DEP_1)
	v_cvt_f16_f32_e32 v1, v1
	global_store_b16 v[4:5], v1, off
.LBB31_2943:
	s_mov_b32 s0, 0
.LBB31_2944:
	s_delay_alu instid0(SALU_CYCLE_1)
	s_and_not1_b32 vcc_lo, exec_lo, s0
	s_cbranch_vccnz .LBB31_2960
; %bb.2945:
	s_cmp_lt_i32 s2, 2
	s_mov_b32 s0, -1
	s_cbranch_scc1 .LBB31_2955
; %bb.2946:
	s_cmp_lt_i32 s2, 3
	s_cbranch_scc1 .LBB31_2952
; %bb.2947:
	s_cmp_gt_i32 s2, 3
	s_cbranch_scc0 .LBB31_2949
; %bb.2948:
	s_mov_b32 s0, 0
	global_store_b64 v[4:5], v[14:15], off
.LBB31_2949:
	s_and_not1_b32 vcc_lo, exec_lo, s0
	s_cbranch_vccnz .LBB31_2951
; %bb.2950:
	global_store_b32 v[4:5], v14, off
.LBB31_2951:
	s_mov_b32 s0, 0
.LBB31_2952:
	s_delay_alu instid0(SALU_CYCLE_1)
	s_and_not1_b32 vcc_lo, exec_lo, s0
	s_cbranch_vccnz .LBB31_2954
; %bb.2953:
	global_store_b16 v[4:5], v14, off
.LBB31_2954:
	s_mov_b32 s0, 0
.LBB31_2955:
	s_delay_alu instid0(SALU_CYCLE_1)
	s_and_not1_b32 vcc_lo, exec_lo, s0
	s_cbranch_vccnz .LBB31_2960
; %bb.2956:
	s_cmp_gt_i32 s2, 0
	s_mov_b32 s0, -1
	s_cbranch_scc0 .LBB31_2958
; %bb.2957:
	s_mov_b32 s0, 0
	global_store_b8 v[4:5], v14, off
.LBB31_2958:
	s_and_not1_b32 vcc_lo, exec_lo, s0
	s_cbranch_vccnz .LBB31_2960
; %bb.2959:
	global_store_b8 v[4:5], v14, off
.LBB31_2960:
	s_mov_b32 s7, -1
.LBB31_2961:
	s_delay_alu instid0(SALU_CYCLE_1)
	s_and_not1_b32 vcc_lo, exec_lo, s7
	s_cbranch_vccnz .LBB31_3157
; %bb.2962:
	s_wait_xcnt 0x0
	v_mov_b32_e32 v3, 0
	s_cmp_lt_i32 s2, 11
	s_delay_alu instid0(VALU_DEP_1)
	v_add_nc_u64_e32 v[2:3], s[4:5], v[2:3]
	s_cbranch_scc1 .LBB31_3040
; %bb.2963:
	s_mov_b32 s8, -1
	s_mov_b32 s3, 0
	s_cmp_gt_i32 s2, 25
	s_mov_b32 s7, 0
	s_mov_b32 s0, 0
	s_cbranch_scc0 .LBB31_2996
; %bb.2964:
	s_cmp_gt_i32 s2, 28
	s_cbranch_scc0 .LBB31_2979
; %bb.2965:
	s_cmp_gt_i32 s2, 43
	;; [unrolled: 3-line block ×3, first 2 shown]
	s_cbranch_scc0 .LBB31_2969
; %bb.2967:
	s_mov_b32 s0, -1
	s_mov_b32 s8, 0
	s_cmp_eq_u32 s2, 46
	s_cbranch_scc0 .LBB31_2969
; %bb.2968:
	v_clz_i32_u32_e32 v1, v17
	s_mov_b32 s0, 0
	s_mov_b32 s7, -1
	s_delay_alu instid0(VALU_DEP_1) | instskip(NEXT) | instid1(VALU_DEP_1)
	v_min_u32_e32 v1, 32, v1
	v_lshlrev_b64_e32 v[4:5], v1, v[16:17]
	v_sub_nc_u32_e32 v1, 32, v1
	s_delay_alu instid0(VALU_DEP_2) | instskip(NEXT) | instid1(VALU_DEP_1)
	v_min_u32_e32 v4, 1, v4
	v_or_b32_e32 v4, v5, v4
	s_delay_alu instid0(VALU_DEP_1) | instskip(NEXT) | instid1(VALU_DEP_1)
	v_cvt_f32_u32_e32 v4, v4
	v_ldexp_f32 v1, v4, v1
	s_delay_alu instid0(VALU_DEP_1) | instskip(NEXT) | instid1(VALU_DEP_1)
	v_bfe_u32 v4, v1, 16, 1
	v_add3_u32 v1, v1, v4, 0x7fff
	s_delay_alu instid0(VALU_DEP_1)
	v_lshrrev_b32_e32 v1, 16, v1
	global_store_b32 v[2:3], v1, off
.LBB31_2969:
	s_and_b32 vcc_lo, exec_lo, s8
	s_cbranch_vccz .LBB31_2974
; %bb.2970:
	s_cmp_eq_u32 s2, 44
	s_mov_b32 s0, -1
	s_cbranch_scc0 .LBB31_2974
; %bb.2971:
	s_wait_xcnt 0x0
	v_clz_i32_u32_e32 v1, v17
	s_mov_b32 s7, exec_lo
	s_delay_alu instid0(VALU_DEP_1) | instskip(NEXT) | instid1(VALU_DEP_1)
	v_min_u32_e32 v1, 32, v1
	v_lshlrev_b64_e32 v[4:5], v1, v[16:17]
	v_sub_nc_u32_e32 v1, 32, v1
	s_delay_alu instid0(VALU_DEP_2) | instskip(NEXT) | instid1(VALU_DEP_1)
	v_min_u32_e32 v4, 1, v4
	v_or_b32_e32 v4, v5, v4
	s_delay_alu instid0(VALU_DEP_1) | instskip(NEXT) | instid1(VALU_DEP_1)
	v_cvt_f32_u32_e32 v4, v4
	v_ldexp_f32 v5, v4, v1
	s_delay_alu instid0(VALU_DEP_1) | instskip(NEXT) | instid1(VALU_DEP_1)
	v_dual_mov_b32 v4, 0xff :: v_dual_lshrrev_b32 v1, 23, v5
	v_cmpx_ne_u32_e32 0xff, v1
; %bb.2972:
	v_and_b32_e32 v4, 0x400000, v5
	v_and_or_b32 v5, 0x3fffff, v5, v1
	s_delay_alu instid0(VALU_DEP_2) | instskip(NEXT) | instid1(VALU_DEP_2)
	v_cmp_ne_u32_e32 vcc_lo, 0, v4
	v_cmp_ne_u32_e64 s0, 0, v5
	s_and_b32 s0, vcc_lo, s0
	s_delay_alu instid0(SALU_CYCLE_1) | instskip(NEXT) | instid1(VALU_DEP_1)
	v_cndmask_b32_e64 v4, 0, 1, s0
	v_add_nc_u32_e32 v4, v1, v4
; %bb.2973:
	s_or_b32 exec_lo, exec_lo, s7
	s_mov_b32 s0, 0
	s_mov_b32 s7, -1
	global_store_b8 v[2:3], v4, off
.LBB31_2974:
	s_mov_b32 s8, 0
.LBB31_2975:
	s_delay_alu instid0(SALU_CYCLE_1)
	s_and_b32 vcc_lo, exec_lo, s8
	s_cbranch_vccz .LBB31_2978
; %bb.2976:
	s_cmp_eq_u32 s2, 29
	s_mov_b32 s0, -1
	s_cbranch_scc0 .LBB31_2978
; %bb.2977:
	s_mov_b32 s0, 0
	s_mov_b32 s7, -1
	global_store_b64 v[2:3], v[16:17], off
.LBB31_2978:
	s_mov_b32 s8, 0
.LBB31_2979:
	s_delay_alu instid0(SALU_CYCLE_1)
	s_and_b32 vcc_lo, exec_lo, s8
	s_cbranch_vccz .LBB31_2995
; %bb.2980:
	s_cmp_lt_i32 s2, 27
	s_mov_b32 s7, -1
	s_cbranch_scc1 .LBB31_2986
; %bb.2981:
	s_cmp_gt_i32 s2, 27
	s_cbranch_scc0 .LBB31_2983
; %bb.2982:
	s_mov_b32 s7, 0
	global_store_b32 v[2:3], v16, off
.LBB31_2983:
	s_and_not1_b32 vcc_lo, exec_lo, s7
	s_cbranch_vccnz .LBB31_2985
; %bb.2984:
	global_store_b16 v[2:3], v16, off
.LBB31_2985:
	s_mov_b32 s7, 0
.LBB31_2986:
	s_delay_alu instid0(SALU_CYCLE_1)
	s_and_not1_b32 vcc_lo, exec_lo, s7
	s_cbranch_vccnz .LBB31_2994
; %bb.2987:
	s_wait_xcnt 0x0
	v_clz_i32_u32_e32 v1, v17
	s_mov_b32 s7, exec_lo
	s_delay_alu instid0(VALU_DEP_1) | instskip(NEXT) | instid1(VALU_DEP_1)
	v_min_u32_e32 v1, 32, v1
	v_lshlrev_b64_e32 v[4:5], v1, v[16:17]
	v_sub_nc_u32_e32 v1, 32, v1
	s_delay_alu instid0(VALU_DEP_2) | instskip(NEXT) | instid1(VALU_DEP_1)
	v_min_u32_e32 v4, 1, v4
	v_or_b32_e32 v4, v5, v4
	v_mov_b32_e32 v5, 0x80
	s_delay_alu instid0(VALU_DEP_2) | instskip(NEXT) | instid1(VALU_DEP_1)
	v_cvt_f32_u32_e32 v4, v4
	v_ldexp_f32 v4, v4, v1
	s_delay_alu instid0(VALU_DEP_1)
	v_cmpx_gt_u32_e32 0x43800000, v4
	s_cbranch_execz .LBB31_2993
; %bb.2988:
	s_mov_b32 s8, 0
	s_mov_b32 s9, exec_lo
                                        ; implicit-def: $vgpr1
	v_cmpx_lt_u32_e32 0x3bffffff, v4
	s_xor_b32 s9, exec_lo, s9
	s_cbranch_execz .LBB31_3170
; %bb.2989:
	v_bfe_u32 v1, v4, 20, 1
	s_mov_b32 s8, exec_lo
	s_delay_alu instid0(VALU_DEP_1) | instskip(NEXT) | instid1(VALU_DEP_1)
	v_add3_u32 v1, v4, v1, 0x487ffff
                                        ; implicit-def: $vgpr4
	v_lshrrev_b32_e32 v1, 20, v1
	s_and_not1_saveexec_b32 s9, s9
	s_cbranch_execnz .LBB31_3171
.LBB31_2990:
	s_or_b32 exec_lo, exec_lo, s9
	v_mov_b32_e32 v5, 0
	s_and_saveexec_b32 s9, s8
.LBB31_2991:
	v_mov_b32_e32 v5, v1
.LBB31_2992:
	s_or_b32 exec_lo, exec_lo, s9
.LBB31_2993:
	s_delay_alu instid0(SALU_CYCLE_1)
	s_or_b32 exec_lo, exec_lo, s7
	global_store_b8 v[2:3], v5, off
.LBB31_2994:
	s_mov_b32 s7, -1
.LBB31_2995:
	s_mov_b32 s8, 0
.LBB31_2996:
	s_delay_alu instid0(SALU_CYCLE_1)
	s_and_b32 vcc_lo, exec_lo, s8
	s_cbranch_vccz .LBB31_3036
; %bb.2997:
	s_cmp_gt_i32 s2, 22
	s_mov_b32 s3, -1
	s_cbranch_scc0 .LBB31_3029
; %bb.2998:
	s_cmp_lt_i32 s2, 24
	s_cbranch_scc1 .LBB31_3018
; %bb.2999:
	s_cmp_gt_i32 s2, 24
	s_cbranch_scc0 .LBB31_3007
; %bb.3000:
	s_wait_xcnt 0x0
	v_clz_i32_u32_e32 v1, v17
	s_mov_b32 s3, exec_lo
	s_delay_alu instid0(VALU_DEP_1) | instskip(NEXT) | instid1(VALU_DEP_1)
	v_min_u32_e32 v1, 32, v1
	v_lshlrev_b64_e32 v[4:5], v1, v[16:17]
	v_sub_nc_u32_e32 v1, 32, v1
	s_delay_alu instid0(VALU_DEP_2) | instskip(NEXT) | instid1(VALU_DEP_1)
	v_min_u32_e32 v4, 1, v4
	v_or_b32_e32 v4, v5, v4
	v_mov_b32_e32 v5, 0x80
	s_delay_alu instid0(VALU_DEP_2) | instskip(NEXT) | instid1(VALU_DEP_1)
	v_cvt_f32_u32_e32 v4, v4
	v_ldexp_f32 v4, v4, v1
	s_delay_alu instid0(VALU_DEP_1)
	v_cmpx_gt_u32_e32 0x47800000, v4
	s_cbranch_execz .LBB31_3006
; %bb.3001:
	s_mov_b32 s7, 0
	s_mov_b32 s8, exec_lo
                                        ; implicit-def: $vgpr1
	v_cmpx_lt_u32_e32 0x37ffffff, v4
	s_xor_b32 s8, exec_lo, s8
	s_cbranch_execz .LBB31_3173
; %bb.3002:
	v_bfe_u32 v1, v4, 21, 1
	s_mov_b32 s7, exec_lo
	s_delay_alu instid0(VALU_DEP_1) | instskip(NEXT) | instid1(VALU_DEP_1)
	v_add3_u32 v1, v4, v1, 0x88fffff
                                        ; implicit-def: $vgpr4
	v_lshrrev_b32_e32 v1, 21, v1
	s_and_not1_saveexec_b32 s8, s8
	s_cbranch_execnz .LBB31_3174
.LBB31_3003:
	s_or_b32 exec_lo, exec_lo, s8
	v_mov_b32_e32 v5, 0
	s_and_saveexec_b32 s8, s7
.LBB31_3004:
	v_mov_b32_e32 v5, v1
.LBB31_3005:
	s_or_b32 exec_lo, exec_lo, s8
.LBB31_3006:
	s_delay_alu instid0(SALU_CYCLE_1)
	s_or_b32 exec_lo, exec_lo, s3
	s_mov_b32 s3, 0
	global_store_b8 v[2:3], v5, off
.LBB31_3007:
	s_and_b32 vcc_lo, exec_lo, s3
	s_cbranch_vccz .LBB31_3017
; %bb.3008:
	s_wait_xcnt 0x0
	v_clz_i32_u32_e32 v1, v17
	s_mov_b32 s3, exec_lo
	s_delay_alu instid0(VALU_DEP_1) | instskip(NEXT) | instid1(VALU_DEP_1)
	v_min_u32_e32 v1, 32, v1
	v_lshlrev_b64_e32 v[4:5], v1, v[16:17]
	v_sub_nc_u32_e32 v1, 32, v1
	s_delay_alu instid0(VALU_DEP_2) | instskip(NEXT) | instid1(VALU_DEP_1)
	v_min_u32_e32 v4, 1, v4
	v_or_b32_e32 v4, v5, v4
	s_delay_alu instid0(VALU_DEP_1) | instskip(NEXT) | instid1(VALU_DEP_1)
	v_cvt_f32_u32_e32 v4, v4
	v_ldexp_f32 v4, v4, v1
                                        ; implicit-def: $vgpr1
	s_delay_alu instid0(VALU_DEP_1)
	v_cmpx_gt_u32_e32 0x43f00000, v4
	s_xor_b32 s3, exec_lo, s3
	s_cbranch_execz .LBB31_3014
; %bb.3009:
	s_mov_b32 s7, exec_lo
                                        ; implicit-def: $vgpr1
	v_cmpx_lt_u32_e32 0x3c7fffff, v4
	s_xor_b32 s7, exec_lo, s7
; %bb.3010:
	v_bfe_u32 v1, v4, 20, 1
	s_delay_alu instid0(VALU_DEP_1) | instskip(NEXT) | instid1(VALU_DEP_1)
	v_add3_u32 v1, v4, v1, 0x407ffff
	v_and_b32_e32 v4, 0xff00000, v1
	v_lshrrev_b32_e32 v1, 20, v1
	s_delay_alu instid0(VALU_DEP_2) | instskip(NEXT) | instid1(VALU_DEP_2)
	v_cmp_ne_u32_e32 vcc_lo, 0x7f00000, v4
                                        ; implicit-def: $vgpr4
	v_cndmask_b32_e32 v1, 0x7e, v1, vcc_lo
; %bb.3011:
	s_and_not1_saveexec_b32 s7, s7
; %bb.3012:
	v_add_f32_e32 v1, 0x46800000, v4
; %bb.3013:
	s_or_b32 exec_lo, exec_lo, s7
                                        ; implicit-def: $vgpr4
.LBB31_3014:
	s_and_not1_saveexec_b32 s3, s3
; %bb.3015:
	v_mov_b32_e32 v1, 0x7f
	v_cmp_lt_u32_e32 vcc_lo, 0x7f800000, v4
	s_delay_alu instid0(VALU_DEP_2)
	v_cndmask_b32_e32 v1, 0x7e, v1, vcc_lo
; %bb.3016:
	s_or_b32 exec_lo, exec_lo, s3
	global_store_b8 v[2:3], v1, off
.LBB31_3017:
	s_mov_b32 s3, 0
.LBB31_3018:
	s_delay_alu instid0(SALU_CYCLE_1)
	s_and_not1_b32 vcc_lo, exec_lo, s3
	s_cbranch_vccnz .LBB31_3028
; %bb.3019:
	s_wait_xcnt 0x0
	v_clz_i32_u32_e32 v1, v17
	s_mov_b32 s3, exec_lo
	s_delay_alu instid0(VALU_DEP_1) | instskip(NEXT) | instid1(VALU_DEP_1)
	v_min_u32_e32 v1, 32, v1
	v_lshlrev_b64_e32 v[4:5], v1, v[16:17]
	v_sub_nc_u32_e32 v1, 32, v1
	s_delay_alu instid0(VALU_DEP_2) | instskip(NEXT) | instid1(VALU_DEP_1)
	v_min_u32_e32 v4, 1, v4
	v_or_b32_e32 v4, v5, v4
	s_delay_alu instid0(VALU_DEP_1) | instskip(NEXT) | instid1(VALU_DEP_1)
	v_cvt_f32_u32_e32 v4, v4
	v_ldexp_f32 v4, v4, v1
                                        ; implicit-def: $vgpr1
	s_delay_alu instid0(VALU_DEP_1)
	v_cmpx_gt_u32_e32 0x47800000, v4
	s_xor_b32 s3, exec_lo, s3
	s_cbranch_execz .LBB31_3025
; %bb.3020:
	s_mov_b32 s7, exec_lo
                                        ; implicit-def: $vgpr1
	v_cmpx_lt_u32_e32 0x387fffff, v4
	s_xor_b32 s7, exec_lo, s7
; %bb.3021:
	v_bfe_u32 v1, v4, 21, 1
	s_delay_alu instid0(VALU_DEP_1) | instskip(NEXT) | instid1(VALU_DEP_1)
	v_add3_u32 v1, v4, v1, 0x80fffff
                                        ; implicit-def: $vgpr4
	v_lshrrev_b32_e32 v1, 21, v1
; %bb.3022:
	s_and_not1_saveexec_b32 s7, s7
; %bb.3023:
	v_add_f32_e32 v1, 0x43000000, v4
; %bb.3024:
	s_or_b32 exec_lo, exec_lo, s7
                                        ; implicit-def: $vgpr4
.LBB31_3025:
	s_and_not1_saveexec_b32 s3, s3
; %bb.3026:
	v_mov_b32_e32 v1, 0x7f
	v_cmp_lt_u32_e32 vcc_lo, 0x7f800000, v4
	s_delay_alu instid0(VALU_DEP_2)
	v_cndmask_b32_e32 v1, 0x7c, v1, vcc_lo
; %bb.3027:
	s_or_b32 exec_lo, exec_lo, s3
	global_store_b8 v[2:3], v1, off
.LBB31_3028:
	s_mov_b32 s3, 0
	s_mov_b32 s7, -1
.LBB31_3029:
	s_and_not1_b32 vcc_lo, exec_lo, s3
	s_mov_b32 s3, 0
	s_cbranch_vccnz .LBB31_3036
; %bb.3030:
	s_cmp_gt_i32 s2, 14
	s_mov_b32 s3, -1
	s_cbranch_scc0 .LBB31_3034
; %bb.3031:
	s_cmp_eq_u32 s2, 15
	s_mov_b32 s0, -1
	s_cbranch_scc0 .LBB31_3033
; %bb.3032:
	s_wait_xcnt 0x0
	v_clz_i32_u32_e32 v1, v17
	s_mov_b32 s0, 0
	s_mov_b32 s7, -1
	s_delay_alu instid0(VALU_DEP_1) | instskip(NEXT) | instid1(VALU_DEP_1)
	v_min_u32_e32 v1, 32, v1
	v_lshlrev_b64_e32 v[4:5], v1, v[16:17]
	v_sub_nc_u32_e32 v1, 32, v1
	s_delay_alu instid0(VALU_DEP_2) | instskip(NEXT) | instid1(VALU_DEP_1)
	v_min_u32_e32 v4, 1, v4
	v_or_b32_e32 v4, v5, v4
	s_delay_alu instid0(VALU_DEP_1) | instskip(NEXT) | instid1(VALU_DEP_1)
	v_cvt_f32_u32_e32 v4, v4
	v_ldexp_f32 v1, v4, v1
	s_delay_alu instid0(VALU_DEP_1) | instskip(NEXT) | instid1(VALU_DEP_1)
	v_bfe_u32 v4, v1, 16, 1
	v_add3_u32 v1, v1, v4, 0x7fff
	global_store_d16_hi_b16 v[2:3], v1, off
.LBB31_3033:
	s_mov_b32 s3, 0
.LBB31_3034:
	s_delay_alu instid0(SALU_CYCLE_1)
	s_and_b32 vcc_lo, exec_lo, s3
	s_mov_b32 s3, 0
	s_cbranch_vccz .LBB31_3036
; %bb.3035:
	s_cmp_lg_u32 s2, 11
	s_mov_b32 s3, -1
	s_cselect_b32 s0, -1, 0
.LBB31_3036:
	s_delay_alu instid0(SALU_CYCLE_1)
	s_and_b32 vcc_lo, exec_lo, s0
	s_cbranch_vccnz .LBB31_3172
; %bb.3037:
	s_and_not1_b32 vcc_lo, exec_lo, s3
	s_cbranch_vccnz .LBB31_3039
.LBB31_3038:
	v_cmp_ne_u64_e32 vcc_lo, 0, v[16:17]
	s_mov_b32 s7, -1
	s_wait_xcnt 0x0
	v_cndmask_b32_e64 v1, 0, 1, vcc_lo
	global_store_b8 v[2:3], v1, off
.LBB31_3039:
	s_mov_b32 s0, 0
	s_branch .LBB31_3041
.LBB31_3040:
	s_mov_b32 s0, -1
	s_mov_b32 s7, 0
.LBB31_3041:
	s_and_b32 vcc_lo, exec_lo, s0
	s_cbranch_vccz .LBB31_3080
; %bb.3042:
	s_cmp_lt_i32 s2, 5
	s_mov_b32 s0, -1
	s_cbranch_scc1 .LBB31_3063
; %bb.3043:
	s_cmp_lt_i32 s2, 8
	s_cbranch_scc1 .LBB31_3053
; %bb.3044:
	s_cmp_lt_i32 s2, 9
	s_cbranch_scc1 .LBB31_3050
; %bb.3045:
	s_cmp_gt_i32 s2, 9
	s_cbranch_scc0 .LBB31_3047
; %bb.3046:
	s_wait_xcnt 0x0
	v_cvt_f64_u32_e32 v[4:5], v17
	v_cvt_f64_u32_e32 v[6:7], v16
	s_mov_b32 s0, 0
	s_delay_alu instid0(VALU_DEP_2) | instskip(NEXT) | instid1(VALU_DEP_1)
	v_ldexp_f64 v[4:5], v[4:5], 32
	v_dual_add_f64 v[4:5], v[4:5], v[6:7] :: v_dual_mov_b32 v6, 0
	s_delay_alu instid0(VALU_DEP_1)
	v_mov_b32_e32 v7, v6
	global_store_b128 v[2:3], v[4:7], off
.LBB31_3047:
	s_and_not1_b32 vcc_lo, exec_lo, s0
	s_cbranch_vccnz .LBB31_3049
; %bb.3048:
	s_wait_xcnt 0x0
	v_clz_i32_u32_e32 v1, v17
	s_delay_alu instid0(VALU_DEP_1) | instskip(NEXT) | instid1(VALU_DEP_1)
	v_min_u32_e32 v1, 32, v1
	v_lshlrev_b64_e32 v[4:5], v1, v[16:17]
	v_sub_nc_u32_e32 v1, 32, v1
	s_delay_alu instid0(VALU_DEP_2) | instskip(NEXT) | instid1(VALU_DEP_1)
	v_min_u32_e32 v4, 1, v4
	v_dual_mov_b32 v5, 0 :: v_dual_bitop2_b32 v4, v5, v4 bitop3:0x54
	s_delay_alu instid0(VALU_DEP_1) | instskip(NEXT) | instid1(VALU_DEP_1)
	v_cvt_f32_u32_e32 v4, v4
	v_ldexp_f32 v4, v4, v1
	global_store_b64 v[2:3], v[4:5], off
.LBB31_3049:
	s_mov_b32 s0, 0
.LBB31_3050:
	s_delay_alu instid0(SALU_CYCLE_1)
	s_and_not1_b32 vcc_lo, exec_lo, s0
	s_cbranch_vccnz .LBB31_3052
; %bb.3051:
	s_wait_xcnt 0x0
	v_clz_i32_u32_e32 v1, v17
	s_delay_alu instid0(VALU_DEP_1) | instskip(NEXT) | instid1(VALU_DEP_1)
	v_min_u32_e32 v1, 32, v1
	v_lshlrev_b64_e32 v[4:5], v1, v[16:17]
	v_sub_nc_u32_e32 v1, 32, v1
	s_delay_alu instid0(VALU_DEP_2) | instskip(NEXT) | instid1(VALU_DEP_1)
	v_min_u32_e32 v4, 1, v4
	v_or_b32_e32 v4, v5, v4
	s_delay_alu instid0(VALU_DEP_1) | instskip(NEXT) | instid1(VALU_DEP_1)
	v_cvt_f32_u32_e32 v4, v4
	v_ldexp_f32 v1, v4, v1
	s_delay_alu instid0(VALU_DEP_1) | instskip(NEXT) | instid1(VALU_DEP_1)
	v_cvt_f16_f32_e32 v1, v1
	v_and_b32_e32 v1, 0xffff, v1
	global_store_b32 v[2:3], v1, off
.LBB31_3052:
	s_mov_b32 s0, 0
.LBB31_3053:
	s_delay_alu instid0(SALU_CYCLE_1)
	s_and_not1_b32 vcc_lo, exec_lo, s0
	s_cbranch_vccnz .LBB31_3062
; %bb.3054:
	s_cmp_lt_i32 s2, 6
	s_mov_b32 s0, -1
	s_cbranch_scc1 .LBB31_3060
; %bb.3055:
	s_cmp_gt_i32 s2, 6
	s_cbranch_scc0 .LBB31_3057
; %bb.3056:
	s_wait_xcnt 0x0
	v_cvt_f64_u32_e32 v[4:5], v17
	v_cvt_f64_u32_e32 v[6:7], v16
	s_mov_b32 s0, 0
	s_delay_alu instid0(VALU_DEP_2) | instskip(NEXT) | instid1(VALU_DEP_1)
	v_ldexp_f64 v[4:5], v[4:5], 32
	v_add_f64_e32 v[4:5], v[4:5], v[6:7]
	global_store_b64 v[2:3], v[4:5], off
.LBB31_3057:
	s_and_not1_b32 vcc_lo, exec_lo, s0
	s_cbranch_vccnz .LBB31_3059
; %bb.3058:
	s_wait_xcnt 0x0
	v_clz_i32_u32_e32 v1, v17
	s_delay_alu instid0(VALU_DEP_1) | instskip(NEXT) | instid1(VALU_DEP_1)
	v_min_u32_e32 v1, 32, v1
	v_lshlrev_b64_e32 v[4:5], v1, v[16:17]
	v_sub_nc_u32_e32 v1, 32, v1
	s_delay_alu instid0(VALU_DEP_2) | instskip(NEXT) | instid1(VALU_DEP_1)
	v_min_u32_e32 v4, 1, v4
	v_or_b32_e32 v4, v5, v4
	s_delay_alu instid0(VALU_DEP_1) | instskip(NEXT) | instid1(VALU_DEP_1)
	v_cvt_f32_u32_e32 v4, v4
	v_ldexp_f32 v1, v4, v1
	global_store_b32 v[2:3], v1, off
.LBB31_3059:
	s_mov_b32 s0, 0
.LBB31_3060:
	s_delay_alu instid0(SALU_CYCLE_1)
	s_and_not1_b32 vcc_lo, exec_lo, s0
	s_cbranch_vccnz .LBB31_3062
; %bb.3061:
	s_wait_xcnt 0x0
	v_clz_i32_u32_e32 v1, v17
	s_delay_alu instid0(VALU_DEP_1) | instskip(NEXT) | instid1(VALU_DEP_1)
	v_min_u32_e32 v1, 32, v1
	v_lshlrev_b64_e32 v[4:5], v1, v[16:17]
	v_sub_nc_u32_e32 v1, 32, v1
	s_delay_alu instid0(VALU_DEP_2) | instskip(NEXT) | instid1(VALU_DEP_1)
	v_min_u32_e32 v4, 1, v4
	v_or_b32_e32 v4, v5, v4
	s_delay_alu instid0(VALU_DEP_1) | instskip(NEXT) | instid1(VALU_DEP_1)
	v_cvt_f32_u32_e32 v4, v4
	v_ldexp_f32 v1, v4, v1
	s_delay_alu instid0(VALU_DEP_1)
	v_cvt_f16_f32_e32 v1, v1
	global_store_b16 v[2:3], v1, off
.LBB31_3062:
	s_mov_b32 s0, 0
.LBB31_3063:
	s_delay_alu instid0(SALU_CYCLE_1)
	s_and_not1_b32 vcc_lo, exec_lo, s0
	s_cbranch_vccnz .LBB31_3079
; %bb.3064:
	s_cmp_lt_i32 s2, 2
	s_mov_b32 s0, -1
	s_cbranch_scc1 .LBB31_3074
; %bb.3065:
	s_cmp_lt_i32 s2, 3
	s_cbranch_scc1 .LBB31_3071
; %bb.3066:
	s_cmp_gt_i32 s2, 3
	s_cbranch_scc0 .LBB31_3068
; %bb.3067:
	s_mov_b32 s0, 0
	global_store_b64 v[2:3], v[16:17], off
.LBB31_3068:
	s_and_not1_b32 vcc_lo, exec_lo, s0
	s_cbranch_vccnz .LBB31_3070
; %bb.3069:
	global_store_b32 v[2:3], v16, off
.LBB31_3070:
	s_mov_b32 s0, 0
.LBB31_3071:
	s_delay_alu instid0(SALU_CYCLE_1)
	s_and_not1_b32 vcc_lo, exec_lo, s0
	s_cbranch_vccnz .LBB31_3073
; %bb.3072:
	global_store_b16 v[2:3], v16, off
.LBB31_3073:
	s_mov_b32 s0, 0
.LBB31_3074:
	s_delay_alu instid0(SALU_CYCLE_1)
	s_and_not1_b32 vcc_lo, exec_lo, s0
	s_cbranch_vccnz .LBB31_3079
; %bb.3075:
	s_cmp_gt_i32 s2, 0
	s_mov_b32 s0, -1
	s_cbranch_scc0 .LBB31_3077
; %bb.3076:
	s_mov_b32 s0, 0
	global_store_b8 v[2:3], v16, off
.LBB31_3077:
	s_and_not1_b32 vcc_lo, exec_lo, s0
	s_cbranch_vccnz .LBB31_3079
; %bb.3078:
	global_store_b8 v[2:3], v16, off
.LBB31_3079:
	s_mov_b32 s7, -1
.LBB31_3080:
	s_delay_alu instid0(SALU_CYCLE_1)
	s_and_not1_b32 vcc_lo, exec_lo, s7
	s_cbranch_vccnz .LBB31_3157
; %bb.3081:
	s_wait_xcnt 0x0
	v_mov_b32_e32 v1, 0
	s_cmp_lt_i32 s2, 11
	s_delay_alu instid0(VALU_DEP_1)
	v_add_nc_u64_e32 v[2:3], s[4:5], v[0:1]
	s_cbranch_scc1 .LBB31_3158
; %bb.3082:
	s_mov_b32 s4, -1
	s_mov_b32 s3, 0
	s_cmp_gt_i32 s2, 25
	s_mov_b32 s0, 0
	s_cbranch_scc0 .LBB31_3115
; %bb.3083:
	s_cmp_gt_i32 s2, 28
	s_cbranch_scc0 .LBB31_3099
; %bb.3084:
	s_cmp_gt_i32 s2, 43
	;; [unrolled: 3-line block ×3, first 2 shown]
	s_cbranch_scc0 .LBB31_3089
; %bb.3086:
	s_cmp_eq_u32 s2, 46
	s_mov_b32 s0, -1
	s_cbranch_scc0 .LBB31_3088
; %bb.3087:
	v_clz_i32_u32_e32 v0, v9
	s_mov_b32 s0, 0
	s_delay_alu instid0(VALU_DEP_1) | instskip(NEXT) | instid1(VALU_DEP_1)
	v_min_u32_e32 v4, 32, v0
	v_lshlrev_b64_e32 v[0:1], v4, v[8:9]
	s_delay_alu instid0(VALU_DEP_1) | instskip(NEXT) | instid1(VALU_DEP_1)
	v_min_u32_e32 v0, 1, v0
	v_or_b32_e32 v0, v1, v0
	v_sub_nc_u32_e32 v1, 32, v4
	s_delay_alu instid0(VALU_DEP_2) | instskip(NEXT) | instid1(VALU_DEP_1)
	v_cvt_f32_u32_e32 v0, v0
	v_ldexp_f32 v0, v0, v1
	s_delay_alu instid0(VALU_DEP_1) | instskip(NEXT) | instid1(VALU_DEP_1)
	v_bfe_u32 v1, v0, 16, 1
	v_add3_u32 v0, v0, v1, 0x7fff
	s_delay_alu instid0(VALU_DEP_1)
	v_lshrrev_b32_e32 v0, 16, v0
	global_store_b32 v[2:3], v0, off
.LBB31_3088:
	s_mov_b32 s4, 0
.LBB31_3089:
	s_delay_alu instid0(SALU_CYCLE_1)
	s_and_b32 vcc_lo, exec_lo, s4
	s_cbranch_vccz .LBB31_3094
; %bb.3090:
	s_cmp_eq_u32 s2, 44
	s_mov_b32 s0, -1
	s_cbranch_scc0 .LBB31_3094
; %bb.3091:
	s_wait_xcnt 0x0
	v_clz_i32_u32_e32 v0, v9
	s_mov_b32 s4, exec_lo
	s_delay_alu instid0(VALU_DEP_1) | instskip(NEXT) | instid1(VALU_DEP_1)
	v_min_u32_e32 v4, 32, v0
	v_lshlrev_b64_e32 v[0:1], v4, v[8:9]
	s_delay_alu instid0(VALU_DEP_1) | instskip(NEXT) | instid1(VALU_DEP_1)
	v_min_u32_e32 v0, 1, v0
	v_or_b32_e32 v0, v1, v0
	v_sub_nc_u32_e32 v1, 32, v4
	s_delay_alu instid0(VALU_DEP_2) | instskip(NEXT) | instid1(VALU_DEP_1)
	v_cvt_f32_u32_e32 v0, v0
	v_ldexp_f32 v4, v0, v1
	s_delay_alu instid0(VALU_DEP_1) | instskip(NEXT) | instid1(VALU_DEP_1)
	v_dual_mov_b32 v1, 0xff :: v_dual_lshrrev_b32 v0, 23, v4
	v_cmpx_ne_u32_e32 0xff, v0
; %bb.3092:
	v_and_b32_e32 v1, 0x400000, v4
	v_and_or_b32 v4, 0x3fffff, v4, v0
	s_delay_alu instid0(VALU_DEP_2) | instskip(NEXT) | instid1(VALU_DEP_2)
	v_cmp_ne_u32_e32 vcc_lo, 0, v1
	v_cmp_ne_u32_e64 s0, 0, v4
	s_and_b32 s0, vcc_lo, s0
	s_delay_alu instid0(SALU_CYCLE_1) | instskip(NEXT) | instid1(VALU_DEP_1)
	v_cndmask_b32_e64 v1, 0, 1, s0
	v_add_nc_u32_e32 v1, v0, v1
; %bb.3093:
	s_or_b32 exec_lo, exec_lo, s4
	s_mov_b32 s0, 0
	global_store_b8 v[2:3], v1, off
.LBB31_3094:
	s_mov_b32 s4, 0
.LBB31_3095:
	s_delay_alu instid0(SALU_CYCLE_1)
	s_and_b32 vcc_lo, exec_lo, s4
	s_cbranch_vccz .LBB31_3098
; %bb.3096:
	s_cmp_eq_u32 s2, 29
	s_mov_b32 s0, -1
	s_cbranch_scc0 .LBB31_3098
; %bb.3097:
	s_mov_b32 s0, 0
	global_store_b64 v[2:3], v[8:9], off
.LBB31_3098:
	s_mov_b32 s4, 0
.LBB31_3099:
	s_delay_alu instid0(SALU_CYCLE_1)
	s_and_b32 vcc_lo, exec_lo, s4
	s_cbranch_vccz .LBB31_3114
; %bb.3100:
	s_cmp_lt_i32 s2, 27
	s_mov_b32 s4, -1
	s_cbranch_scc1 .LBB31_3106
; %bb.3101:
	s_cmp_gt_i32 s2, 27
	s_cbranch_scc0 .LBB31_3103
; %bb.3102:
	s_mov_b32 s4, 0
	global_store_b32 v[2:3], v8, off
.LBB31_3103:
	s_and_not1_b32 vcc_lo, exec_lo, s4
	s_cbranch_vccnz .LBB31_3105
; %bb.3104:
	global_store_b16 v[2:3], v8, off
.LBB31_3105:
	s_mov_b32 s4, 0
.LBB31_3106:
	s_delay_alu instid0(SALU_CYCLE_1)
	s_and_not1_b32 vcc_lo, exec_lo, s4
	s_cbranch_vccnz .LBB31_3114
; %bb.3107:
	s_wait_xcnt 0x0
	v_clz_i32_u32_e32 v0, v9
	s_mov_b32 s4, exec_lo
	s_delay_alu instid0(VALU_DEP_1) | instskip(NEXT) | instid1(VALU_DEP_1)
	v_min_u32_e32 v4, 32, v0
	v_lshlrev_b64_e32 v[0:1], v4, v[8:9]
	s_delay_alu instid0(VALU_DEP_1) | instskip(NEXT) | instid1(VALU_DEP_1)
	v_min_u32_e32 v0, 1, v0
	v_or_b32_e32 v0, v1, v0
	v_dual_mov_b32 v4, 0x80 :: v_dual_sub_nc_u32 v1, 32, v4
	s_delay_alu instid0(VALU_DEP_2) | instskip(NEXT) | instid1(VALU_DEP_1)
	v_cvt_f32_u32_e32 v0, v0
	v_ldexp_f32 v1, v0, v1
	s_delay_alu instid0(VALU_DEP_1)
	v_cmpx_gt_u32_e32 0x43800000, v1
	s_cbranch_execz .LBB31_3113
; %bb.3108:
	s_mov_b32 s5, 0
	s_mov_b32 s7, exec_lo
                                        ; implicit-def: $vgpr0
	v_cmpx_lt_u32_e32 0x3bffffff, v1
	s_xor_b32 s7, exec_lo, s7
	s_cbranch_execz .LBB31_3175
; %bb.3109:
	v_bfe_u32 v0, v1, 20, 1
	s_mov_b32 s5, exec_lo
	s_delay_alu instid0(VALU_DEP_1) | instskip(NEXT) | instid1(VALU_DEP_1)
	v_add3_u32 v0, v1, v0, 0x487ffff
                                        ; implicit-def: $vgpr1
	v_lshrrev_b32_e32 v0, 20, v0
	s_and_not1_saveexec_b32 s7, s7
	s_cbranch_execnz .LBB31_3176
.LBB31_3110:
	s_or_b32 exec_lo, exec_lo, s7
	v_mov_b32_e32 v4, 0
	s_and_saveexec_b32 s7, s5
.LBB31_3111:
	v_mov_b32_e32 v4, v0
.LBB31_3112:
	s_or_b32 exec_lo, exec_lo, s7
.LBB31_3113:
	s_delay_alu instid0(SALU_CYCLE_1)
	s_or_b32 exec_lo, exec_lo, s4
	global_store_b8 v[2:3], v4, off
.LBB31_3114:
	s_mov_b32 s4, 0
.LBB31_3115:
	s_delay_alu instid0(SALU_CYCLE_1)
	s_and_b32 vcc_lo, exec_lo, s4
	s_cbranch_vccz .LBB31_3155
; %bb.3116:
	s_cmp_gt_i32 s2, 22
	s_mov_b32 s3, -1
	s_cbranch_scc0 .LBB31_3148
; %bb.3117:
	s_cmp_lt_i32 s2, 24
	s_cbranch_scc1 .LBB31_3137
; %bb.3118:
	s_cmp_gt_i32 s2, 24
	s_cbranch_scc0 .LBB31_3126
; %bb.3119:
	s_wait_xcnt 0x0
	v_clz_i32_u32_e32 v0, v9
	s_mov_b32 s3, exec_lo
	s_delay_alu instid0(VALU_DEP_1) | instskip(NEXT) | instid1(VALU_DEP_1)
	v_min_u32_e32 v4, 32, v0
	v_lshlrev_b64_e32 v[0:1], v4, v[8:9]
	s_delay_alu instid0(VALU_DEP_1) | instskip(NEXT) | instid1(VALU_DEP_1)
	v_min_u32_e32 v0, 1, v0
	v_or_b32_e32 v0, v1, v0
	v_dual_mov_b32 v4, 0x80 :: v_dual_sub_nc_u32 v1, 32, v4
	s_delay_alu instid0(VALU_DEP_2) | instskip(NEXT) | instid1(VALU_DEP_1)
	v_cvt_f32_u32_e32 v0, v0
	v_ldexp_f32 v1, v0, v1
	s_delay_alu instid0(VALU_DEP_1)
	v_cmpx_gt_u32_e32 0x47800000, v1
	s_cbranch_execz .LBB31_3125
; %bb.3120:
	s_mov_b32 s4, 0
	s_mov_b32 s5, exec_lo
                                        ; implicit-def: $vgpr0
	v_cmpx_lt_u32_e32 0x37ffffff, v1
	s_xor_b32 s5, exec_lo, s5
	s_cbranch_execz .LBB31_3178
; %bb.3121:
	v_bfe_u32 v0, v1, 21, 1
	s_mov_b32 s4, exec_lo
	s_delay_alu instid0(VALU_DEP_1) | instskip(NEXT) | instid1(VALU_DEP_1)
	v_add3_u32 v0, v1, v0, 0x88fffff
                                        ; implicit-def: $vgpr1
	v_lshrrev_b32_e32 v0, 21, v0
	s_and_not1_saveexec_b32 s5, s5
	s_cbranch_execnz .LBB31_3179
.LBB31_3122:
	s_or_b32 exec_lo, exec_lo, s5
	v_mov_b32_e32 v4, 0
	s_and_saveexec_b32 s5, s4
.LBB31_3123:
	v_mov_b32_e32 v4, v0
.LBB31_3124:
	s_or_b32 exec_lo, exec_lo, s5
.LBB31_3125:
	s_delay_alu instid0(SALU_CYCLE_1)
	s_or_b32 exec_lo, exec_lo, s3
	s_mov_b32 s3, 0
	global_store_b8 v[2:3], v4, off
.LBB31_3126:
	s_and_b32 vcc_lo, exec_lo, s3
	s_cbranch_vccz .LBB31_3136
; %bb.3127:
	s_wait_xcnt 0x0
	v_clz_i32_u32_e32 v0, v9
	s_mov_b32 s3, exec_lo
	s_delay_alu instid0(VALU_DEP_1) | instskip(NEXT) | instid1(VALU_DEP_1)
	v_min_u32_e32 v4, 32, v0
	v_lshlrev_b64_e32 v[0:1], v4, v[8:9]
	s_delay_alu instid0(VALU_DEP_1) | instskip(NEXT) | instid1(VALU_DEP_1)
	v_min_u32_e32 v0, 1, v0
	v_or_b32_e32 v0, v1, v0
	v_sub_nc_u32_e32 v1, 32, v4
	s_delay_alu instid0(VALU_DEP_2) | instskip(NEXT) | instid1(VALU_DEP_1)
	v_cvt_f32_u32_e32 v0, v0
	v_ldexp_f32 v1, v0, v1
                                        ; implicit-def: $vgpr0
	s_delay_alu instid0(VALU_DEP_1)
	v_cmpx_gt_u32_e32 0x43f00000, v1
	s_xor_b32 s3, exec_lo, s3
	s_cbranch_execz .LBB31_3133
; %bb.3128:
	s_mov_b32 s4, exec_lo
                                        ; implicit-def: $vgpr0
	v_cmpx_lt_u32_e32 0x3c7fffff, v1
	s_xor_b32 s4, exec_lo, s4
; %bb.3129:
	v_bfe_u32 v0, v1, 20, 1
	s_delay_alu instid0(VALU_DEP_1) | instskip(NEXT) | instid1(VALU_DEP_1)
	v_add3_u32 v0, v1, v0, 0x407ffff
	v_and_b32_e32 v1, 0xff00000, v0
	v_lshrrev_b32_e32 v0, 20, v0
	s_delay_alu instid0(VALU_DEP_2) | instskip(NEXT) | instid1(VALU_DEP_2)
	v_cmp_ne_u32_e32 vcc_lo, 0x7f00000, v1
                                        ; implicit-def: $vgpr1
	v_cndmask_b32_e32 v0, 0x7e, v0, vcc_lo
; %bb.3130:
	s_and_not1_saveexec_b32 s4, s4
; %bb.3131:
	v_add_f32_e32 v0, 0x46800000, v1
; %bb.3132:
	s_or_b32 exec_lo, exec_lo, s4
                                        ; implicit-def: $vgpr1
.LBB31_3133:
	s_and_not1_saveexec_b32 s3, s3
; %bb.3134:
	v_mov_b32_e32 v0, 0x7f
	v_cmp_lt_u32_e32 vcc_lo, 0x7f800000, v1
	s_delay_alu instid0(VALU_DEP_2)
	v_cndmask_b32_e32 v0, 0x7e, v0, vcc_lo
; %bb.3135:
	s_or_b32 exec_lo, exec_lo, s3
	global_store_b8 v[2:3], v0, off
.LBB31_3136:
	s_mov_b32 s3, 0
.LBB31_3137:
	s_delay_alu instid0(SALU_CYCLE_1)
	s_and_not1_b32 vcc_lo, exec_lo, s3
	s_cbranch_vccnz .LBB31_3147
; %bb.3138:
	s_wait_xcnt 0x0
	v_clz_i32_u32_e32 v0, v9
	s_mov_b32 s3, exec_lo
	s_delay_alu instid0(VALU_DEP_1) | instskip(NEXT) | instid1(VALU_DEP_1)
	v_min_u32_e32 v4, 32, v0
	v_lshlrev_b64_e32 v[0:1], v4, v[8:9]
	s_delay_alu instid0(VALU_DEP_1) | instskip(NEXT) | instid1(VALU_DEP_1)
	v_min_u32_e32 v0, 1, v0
	v_or_b32_e32 v0, v1, v0
	v_sub_nc_u32_e32 v1, 32, v4
	s_delay_alu instid0(VALU_DEP_2) | instskip(NEXT) | instid1(VALU_DEP_1)
	v_cvt_f32_u32_e32 v0, v0
	v_ldexp_f32 v1, v0, v1
                                        ; implicit-def: $vgpr0
	s_delay_alu instid0(VALU_DEP_1)
	v_cmpx_gt_u32_e32 0x47800000, v1
	s_xor_b32 s3, exec_lo, s3
	s_cbranch_execz .LBB31_3144
; %bb.3139:
	s_mov_b32 s4, exec_lo
                                        ; implicit-def: $vgpr0
	v_cmpx_lt_u32_e32 0x387fffff, v1
	s_xor_b32 s4, exec_lo, s4
; %bb.3140:
	v_bfe_u32 v0, v1, 21, 1
	s_delay_alu instid0(VALU_DEP_1) | instskip(NEXT) | instid1(VALU_DEP_1)
	v_add3_u32 v0, v1, v0, 0x80fffff
                                        ; implicit-def: $vgpr1
	v_lshrrev_b32_e32 v0, 21, v0
; %bb.3141:
	s_and_not1_saveexec_b32 s4, s4
; %bb.3142:
	v_add_f32_e32 v0, 0x43000000, v1
; %bb.3143:
	s_or_b32 exec_lo, exec_lo, s4
                                        ; implicit-def: $vgpr1
.LBB31_3144:
	s_and_not1_saveexec_b32 s3, s3
; %bb.3145:
	v_mov_b32_e32 v0, 0x7f
	v_cmp_lt_u32_e32 vcc_lo, 0x7f800000, v1
	s_delay_alu instid0(VALU_DEP_2)
	v_cndmask_b32_e32 v0, 0x7c, v0, vcc_lo
; %bb.3146:
	s_or_b32 exec_lo, exec_lo, s3
	global_store_b8 v[2:3], v0, off
.LBB31_3147:
	s_mov_b32 s3, 0
.LBB31_3148:
	s_delay_alu instid0(SALU_CYCLE_1)
	s_and_not1_b32 vcc_lo, exec_lo, s3
	s_mov_b32 s3, 0
	s_cbranch_vccnz .LBB31_3155
; %bb.3149:
	s_cmp_gt_i32 s2, 14
	s_mov_b32 s3, -1
	s_cbranch_scc0 .LBB31_3153
; %bb.3150:
	s_cmp_eq_u32 s2, 15
	s_mov_b32 s0, -1
	s_cbranch_scc0 .LBB31_3152
; %bb.3151:
	s_wait_xcnt 0x0
	v_clz_i32_u32_e32 v0, v9
	s_mov_b32 s0, 0
	s_delay_alu instid0(VALU_DEP_1) | instskip(NEXT) | instid1(VALU_DEP_1)
	v_min_u32_e32 v4, 32, v0
	v_lshlrev_b64_e32 v[0:1], v4, v[8:9]
	s_delay_alu instid0(VALU_DEP_1) | instskip(NEXT) | instid1(VALU_DEP_1)
	v_min_u32_e32 v0, 1, v0
	v_or_b32_e32 v0, v1, v0
	v_sub_nc_u32_e32 v1, 32, v4
	s_delay_alu instid0(VALU_DEP_2) | instskip(NEXT) | instid1(VALU_DEP_1)
	v_cvt_f32_u32_e32 v0, v0
	v_ldexp_f32 v0, v0, v1
	s_delay_alu instid0(VALU_DEP_1) | instskip(NEXT) | instid1(VALU_DEP_1)
	v_bfe_u32 v1, v0, 16, 1
	v_add3_u32 v0, v0, v1, 0x7fff
	global_store_d16_hi_b16 v[2:3], v0, off
.LBB31_3152:
	s_mov_b32 s3, 0
.LBB31_3153:
	s_delay_alu instid0(SALU_CYCLE_1)
	s_and_b32 vcc_lo, exec_lo, s3
	s_mov_b32 s3, 0
	s_cbranch_vccz .LBB31_3155
; %bb.3154:
	s_cmp_lg_u32 s2, 11
	s_mov_b32 s3, -1
	s_cselect_b32 s0, -1, 0
.LBB31_3155:
	s_delay_alu instid0(SALU_CYCLE_1)
	s_and_b32 vcc_lo, exec_lo, s0
	s_cbranch_vccnz .LBB31_3177
.LBB31_3156:
	s_mov_b32 s0, 0
	s_branch .LBB31_2674
.LBB31_3157:
	s_mov_b32 s0, 0
	s_mov_b32 s3, 0
                                        ; implicit-def: $vgpr2_vgpr3
                                        ; implicit-def: $sgpr6
	s_branch .LBB31_2674
.LBB31_3158:
	s_mov_b32 s3, 0
	s_mov_b32 s0, -1
	s_branch .LBB31_2674
.LBB31_3159:
	s_or_b32 s1, s1, exec_lo
	s_trap 2
	s_cbranch_execz .LBB31_2619
	s_branch .LBB31_2620
.LBB31_3160:
	s_and_not1_saveexec_b32 s9, s9
	s_cbranch_execz .LBB31_2752
.LBB31_3161:
	v_add_f32_e32 v1, 0x46000000, v3
	s_and_not1_b32 s8, s8, exec_lo
	s_delay_alu instid0(VALU_DEP_1) | instskip(NEXT) | instid1(VALU_DEP_1)
	v_and_b32_e32 v1, 0xff, v1
	v_cmp_ne_u32_e32 vcc_lo, 0, v1
	s_and_b32 s12, vcc_lo, exec_lo
	s_delay_alu instid0(SALU_CYCLE_1)
	s_or_b32 s8, s8, s12
	s_or_b32 exec_lo, exec_lo, s9
	v_mov_b32_e32 v5, 0
	s_and_saveexec_b32 s9, s8
	s_cbranch_execnz .LBB31_2753
	s_branch .LBB31_2754
.LBB31_3162:
	s_or_b32 s1, s1, exec_lo
	s_trap 2
	s_cbranch_execz .LBB31_2800
	s_branch .LBB31_2801
.LBB31_3163:
	s_and_not1_saveexec_b32 s8, s8
	s_cbranch_execz .LBB31_2765
.LBB31_3164:
	v_add_f32_e32 v1, 0x42800000, v3
	s_and_not1_b32 s7, s7, exec_lo
	s_delay_alu instid0(VALU_DEP_1) | instskip(NEXT) | instid1(VALU_DEP_1)
	v_and_b32_e32 v1, 0xff, v1
	v_cmp_ne_u32_e32 vcc_lo, 0, v1
	s_and_b32 s9, vcc_lo, exec_lo
	s_delay_alu instid0(SALU_CYCLE_1)
	s_or_b32 s7, s7, s9
	s_or_b32 exec_lo, exec_lo, s8
	v_mov_b32_e32 v5, 0
	s_and_saveexec_b32 s8, s7
	s_cbranch_execnz .LBB31_2766
	s_branch .LBB31_2767
.LBB31_3165:
	s_and_not1_saveexec_b32 s9, s9
	s_cbranch_execz .LBB31_2871
.LBB31_3166:
	v_add_f32_e32 v1, 0x46000000, v3
	s_and_not1_b32 s8, s8, exec_lo
	s_delay_alu instid0(VALU_DEP_1) | instskip(NEXT) | instid1(VALU_DEP_1)
	v_and_b32_e32 v1, 0xff, v1
	v_cmp_ne_u32_e32 vcc_lo, 0, v1
	s_and_b32 s12, vcc_lo, exec_lo
	s_delay_alu instid0(SALU_CYCLE_1)
	s_or_b32 s8, s8, s12
	s_or_b32 exec_lo, exec_lo, s9
	v_mov_b32_e32 v6, 0
	s_and_saveexec_b32 s9, s8
	s_cbranch_execnz .LBB31_2872
	s_branch .LBB31_2873
.LBB31_3167:
	s_or_b32 s1, s1, exec_lo
	s_trap 2
	s_cbranch_execz .LBB31_2919
	s_branch .LBB31_2920
.LBB31_3168:
	s_and_not1_saveexec_b32 s8, s8
	s_cbranch_execz .LBB31_2884
.LBB31_3169:
	v_add_f32_e32 v1, 0x42800000, v3
	s_and_not1_b32 s7, s7, exec_lo
	s_delay_alu instid0(VALU_DEP_1) | instskip(NEXT) | instid1(VALU_DEP_1)
	v_and_b32_e32 v1, 0xff, v1
	v_cmp_ne_u32_e32 vcc_lo, 0, v1
	s_and_b32 s9, vcc_lo, exec_lo
	s_delay_alu instid0(SALU_CYCLE_1)
	s_or_b32 s7, s7, s9
	s_or_b32 exec_lo, exec_lo, s8
	v_mov_b32_e32 v6, 0
	s_and_saveexec_b32 s8, s7
	s_cbranch_execnz .LBB31_2885
	s_branch .LBB31_2886
.LBB31_3170:
	s_and_not1_saveexec_b32 s9, s9
	s_cbranch_execz .LBB31_2990
.LBB31_3171:
	v_add_f32_e32 v1, 0x46000000, v4
	s_and_not1_b32 s8, s8, exec_lo
	s_delay_alu instid0(VALU_DEP_1) | instskip(NEXT) | instid1(VALU_DEP_1)
	v_and_b32_e32 v1, 0xff, v1
	v_cmp_ne_u32_e32 vcc_lo, 0, v1
	s_and_b32 s12, vcc_lo, exec_lo
	s_delay_alu instid0(SALU_CYCLE_1)
	s_or_b32 s8, s8, s12
	s_or_b32 exec_lo, exec_lo, s9
	v_mov_b32_e32 v5, 0
	s_and_saveexec_b32 s9, s8
	s_cbranch_execnz .LBB31_2991
	s_branch .LBB31_2992
.LBB31_3172:
	s_or_b32 s1, s1, exec_lo
	s_trap 2
	s_cbranch_execz .LBB31_3038
	s_branch .LBB31_3039
.LBB31_3173:
	s_and_not1_saveexec_b32 s8, s8
	s_cbranch_execz .LBB31_3003
.LBB31_3174:
	v_add_f32_e32 v1, 0x42800000, v4
	s_and_not1_b32 s7, s7, exec_lo
	s_delay_alu instid0(VALU_DEP_1) | instskip(NEXT) | instid1(VALU_DEP_1)
	v_and_b32_e32 v1, 0xff, v1
	v_cmp_ne_u32_e32 vcc_lo, 0, v1
	s_and_b32 s9, vcc_lo, exec_lo
	s_delay_alu instid0(SALU_CYCLE_1)
	s_or_b32 s7, s7, s9
	s_or_b32 exec_lo, exec_lo, s8
	v_mov_b32_e32 v5, 0
	s_and_saveexec_b32 s8, s7
	s_cbranch_execnz .LBB31_3004
	s_branch .LBB31_3005
.LBB31_3175:
	s_and_not1_saveexec_b32 s7, s7
	s_cbranch_execz .LBB31_3110
.LBB31_3176:
	v_add_f32_e32 v0, 0x46000000, v1
	s_and_not1_b32 s5, s5, exec_lo
	s_delay_alu instid0(VALU_DEP_1) | instskip(NEXT) | instid1(VALU_DEP_1)
	v_and_b32_e32 v0, 0xff, v0
	v_cmp_ne_u32_e32 vcc_lo, 0, v0
	s_and_b32 s8, vcc_lo, exec_lo
	s_delay_alu instid0(SALU_CYCLE_1)
	s_or_b32 s5, s5, s8
	s_or_b32 exec_lo, exec_lo, s7
	v_mov_b32_e32 v4, 0
	s_and_saveexec_b32 s7, s5
	s_cbranch_execnz .LBB31_3111
	s_branch .LBB31_3112
.LBB31_3177:
	s_mov_b32 s3, 0
	s_or_b32 s1, s1, exec_lo
	s_trap 2
	s_branch .LBB31_3156
.LBB31_3178:
	s_and_not1_saveexec_b32 s5, s5
	s_cbranch_execz .LBB31_3122
.LBB31_3179:
	v_add_f32_e32 v0, 0x42800000, v1
	s_and_not1_b32 s4, s4, exec_lo
	s_delay_alu instid0(VALU_DEP_1) | instskip(NEXT) | instid1(VALU_DEP_1)
	v_and_b32_e32 v0, 0xff, v0
	v_cmp_ne_u32_e32 vcc_lo, 0, v0
	s_and_b32 s7, vcc_lo, exec_lo
	s_delay_alu instid0(SALU_CYCLE_1)
	s_or_b32 s4, s4, s7
	s_or_b32 exec_lo, exec_lo, s5
	v_mov_b32_e32 v4, 0
	s_and_saveexec_b32 s5, s4
	s_cbranch_execnz .LBB31_3123
	s_branch .LBB31_3124
	.section	.rodata,"a",@progbits
	.p2align	6, 0x0
	.amdhsa_kernel _ZN2at6native32elementwise_kernel_manual_unrollILi128ELi4EZNS0_15gpu_kernel_implIZZZNS0_15gcd_kernel_cudaERNS_18TensorIteratorBaseEENKUlvE_clEvENKUlvE2_clEvEUlllE_EEvS4_RKT_EUlibE0_EEviT1_
		.amdhsa_group_segment_fixed_size 0
		.amdhsa_private_segment_fixed_size 0
		.amdhsa_kernarg_size 432
		.amdhsa_user_sgpr_count 2
		.amdhsa_user_sgpr_dispatch_ptr 0
		.amdhsa_user_sgpr_queue_ptr 0
		.amdhsa_user_sgpr_kernarg_segment_ptr 1
		.amdhsa_user_sgpr_dispatch_id 0
		.amdhsa_user_sgpr_kernarg_preload_length 0
		.amdhsa_user_sgpr_kernarg_preload_offset 0
		.amdhsa_user_sgpr_private_segment_size 0
		.amdhsa_wavefront_size32 1
		.amdhsa_uses_dynamic_stack 0
		.amdhsa_enable_private_segment 0
		.amdhsa_system_sgpr_workgroup_id_x 1
		.amdhsa_system_sgpr_workgroup_id_y 0
		.amdhsa_system_sgpr_workgroup_id_z 0
		.amdhsa_system_sgpr_workgroup_info 0
		.amdhsa_system_vgpr_workitem_id 0
		.amdhsa_next_free_vgpr 42
		.amdhsa_next_free_sgpr 60
		.amdhsa_named_barrier_count 0
		.amdhsa_reserve_vcc 1
		.amdhsa_float_round_mode_32 0
		.amdhsa_float_round_mode_16_64 0
		.amdhsa_float_denorm_mode_32 3
		.amdhsa_float_denorm_mode_16_64 3
		.amdhsa_fp16_overflow 0
		.amdhsa_memory_ordered 1
		.amdhsa_forward_progress 1
		.amdhsa_inst_pref_size 255
		.amdhsa_round_robin_scheduling 0
		.amdhsa_exception_fp_ieee_invalid_op 0
		.amdhsa_exception_fp_denorm_src 0
		.amdhsa_exception_fp_ieee_div_zero 0
		.amdhsa_exception_fp_ieee_overflow 0
		.amdhsa_exception_fp_ieee_underflow 0
		.amdhsa_exception_fp_ieee_inexact 0
		.amdhsa_exception_int_div_zero 0
	.end_amdhsa_kernel
	.section	.text._ZN2at6native32elementwise_kernel_manual_unrollILi128ELi4EZNS0_15gpu_kernel_implIZZZNS0_15gcd_kernel_cudaERNS_18TensorIteratorBaseEENKUlvE_clEvENKUlvE2_clEvEUlllE_EEvS4_RKT_EUlibE0_EEviT1_,"axG",@progbits,_ZN2at6native32elementwise_kernel_manual_unrollILi128ELi4EZNS0_15gpu_kernel_implIZZZNS0_15gcd_kernel_cudaERNS_18TensorIteratorBaseEENKUlvE_clEvENKUlvE2_clEvEUlllE_EEvS4_RKT_EUlibE0_EEviT1_,comdat
.Lfunc_end31:
	.size	_ZN2at6native32elementwise_kernel_manual_unrollILi128ELi4EZNS0_15gpu_kernel_implIZZZNS0_15gcd_kernel_cudaERNS_18TensorIteratorBaseEENKUlvE_clEvENKUlvE2_clEvEUlllE_EEvS4_RKT_EUlibE0_EEviT1_, .Lfunc_end31-_ZN2at6native32elementwise_kernel_manual_unrollILi128ELi4EZNS0_15gpu_kernel_implIZZZNS0_15gcd_kernel_cudaERNS_18TensorIteratorBaseEENKUlvE_clEvENKUlvE2_clEvEUlllE_EEvS4_RKT_EUlibE0_EEviT1_
                                        ; -- End function
	.set _ZN2at6native32elementwise_kernel_manual_unrollILi128ELi4EZNS0_15gpu_kernel_implIZZZNS0_15gcd_kernel_cudaERNS_18TensorIteratorBaseEENKUlvE_clEvENKUlvE2_clEvEUlllE_EEvS4_RKT_EUlibE0_EEviT1_.num_vgpr, 42
	.set _ZN2at6native32elementwise_kernel_manual_unrollILi128ELi4EZNS0_15gpu_kernel_implIZZZNS0_15gcd_kernel_cudaERNS_18TensorIteratorBaseEENKUlvE_clEvENKUlvE2_clEvEUlllE_EEvS4_RKT_EUlibE0_EEviT1_.num_agpr, 0
	.set _ZN2at6native32elementwise_kernel_manual_unrollILi128ELi4EZNS0_15gpu_kernel_implIZZZNS0_15gcd_kernel_cudaERNS_18TensorIteratorBaseEENKUlvE_clEvENKUlvE2_clEvEUlllE_EEvS4_RKT_EUlibE0_EEviT1_.numbered_sgpr, 60
	.set _ZN2at6native32elementwise_kernel_manual_unrollILi128ELi4EZNS0_15gpu_kernel_implIZZZNS0_15gcd_kernel_cudaERNS_18TensorIteratorBaseEENKUlvE_clEvENKUlvE2_clEvEUlllE_EEvS4_RKT_EUlibE0_EEviT1_.num_named_barrier, 0
	.set _ZN2at6native32elementwise_kernel_manual_unrollILi128ELi4EZNS0_15gpu_kernel_implIZZZNS0_15gcd_kernel_cudaERNS_18TensorIteratorBaseEENKUlvE_clEvENKUlvE2_clEvEUlllE_EEvS4_RKT_EUlibE0_EEviT1_.private_seg_size, 0
	.set _ZN2at6native32elementwise_kernel_manual_unrollILi128ELi4EZNS0_15gpu_kernel_implIZZZNS0_15gcd_kernel_cudaERNS_18TensorIteratorBaseEENKUlvE_clEvENKUlvE2_clEvEUlllE_EEvS4_RKT_EUlibE0_EEviT1_.uses_vcc, 1
	.set _ZN2at6native32elementwise_kernel_manual_unrollILi128ELi4EZNS0_15gpu_kernel_implIZZZNS0_15gcd_kernel_cudaERNS_18TensorIteratorBaseEENKUlvE_clEvENKUlvE2_clEvEUlllE_EEvS4_RKT_EUlibE0_EEviT1_.uses_flat_scratch, 0
	.set _ZN2at6native32elementwise_kernel_manual_unrollILi128ELi4EZNS0_15gpu_kernel_implIZZZNS0_15gcd_kernel_cudaERNS_18TensorIteratorBaseEENKUlvE_clEvENKUlvE2_clEvEUlllE_EEvS4_RKT_EUlibE0_EEviT1_.has_dyn_sized_stack, 0
	.set _ZN2at6native32elementwise_kernel_manual_unrollILi128ELi4EZNS0_15gpu_kernel_implIZZZNS0_15gcd_kernel_cudaERNS_18TensorIteratorBaseEENKUlvE_clEvENKUlvE2_clEvEUlllE_EEvS4_RKT_EUlibE0_EEviT1_.has_recursion, 0
	.set _ZN2at6native32elementwise_kernel_manual_unrollILi128ELi4EZNS0_15gpu_kernel_implIZZZNS0_15gcd_kernel_cudaERNS_18TensorIteratorBaseEENKUlvE_clEvENKUlvE2_clEvEUlllE_EEvS4_RKT_EUlibE0_EEviT1_.has_indirect_call, 0
	.section	.AMDGPU.csdata,"",@progbits
; Kernel info:
; codeLenInByte = 79848
; TotalNumSgprs: 62
; NumVgprs: 42
; ScratchSize: 0
; MemoryBound: 1
; FloatMode: 240
; IeeeMode: 1
; LDSByteSize: 0 bytes/workgroup (compile time only)
; SGPRBlocks: 0
; VGPRBlocks: 2
; NumSGPRsForWavesPerEU: 62
; NumVGPRsForWavesPerEU: 42
; NamedBarCnt: 0
; Occupancy: 16
; WaveLimiterHint : 1
; COMPUTE_PGM_RSRC2:SCRATCH_EN: 0
; COMPUTE_PGM_RSRC2:USER_SGPR: 2
; COMPUTE_PGM_RSRC2:TRAP_HANDLER: 0
; COMPUTE_PGM_RSRC2:TGID_X_EN: 1
; COMPUTE_PGM_RSRC2:TGID_Y_EN: 0
; COMPUTE_PGM_RSRC2:TGID_Z_EN: 0
; COMPUTE_PGM_RSRC2:TIDIG_COMP_CNT: 0
	.section	.text._ZN2at6native29vectorized_elementwise_kernelILi16EZZZNS0_15gcd_kernel_cudaERNS_18TensorIteratorBaseEENKUlvE_clEvENKUlvE3_clEvEUlssE_St5arrayIPcLm3EEEEviT0_T1_,"axG",@progbits,_ZN2at6native29vectorized_elementwise_kernelILi16EZZZNS0_15gcd_kernel_cudaERNS_18TensorIteratorBaseEENKUlvE_clEvENKUlvE3_clEvEUlssE_St5arrayIPcLm3EEEEviT0_T1_,comdat
	.globl	_ZN2at6native29vectorized_elementwise_kernelILi16EZZZNS0_15gcd_kernel_cudaERNS_18TensorIteratorBaseEENKUlvE_clEvENKUlvE3_clEvEUlssE_St5arrayIPcLm3EEEEviT0_T1_ ; -- Begin function _ZN2at6native29vectorized_elementwise_kernelILi16EZZZNS0_15gcd_kernel_cudaERNS_18TensorIteratorBaseEENKUlvE_clEvENKUlvE3_clEvEUlssE_St5arrayIPcLm3EEEEviT0_T1_
	.p2align	8
	.type	_ZN2at6native29vectorized_elementwise_kernelILi16EZZZNS0_15gcd_kernel_cudaERNS_18TensorIteratorBaseEENKUlvE_clEvENKUlvE3_clEvEUlssE_St5arrayIPcLm3EEEEviT0_T1_,@function
_ZN2at6native29vectorized_elementwise_kernelILi16EZZZNS0_15gcd_kernel_cudaERNS_18TensorIteratorBaseEENKUlvE_clEvENKUlvE3_clEvEUlssE_St5arrayIPcLm3EEEEviT0_T1_: ; @_ZN2at6native29vectorized_elementwise_kernelILi16EZZZNS0_15gcd_kernel_cudaERNS_18TensorIteratorBaseEENKUlvE_clEvENKUlvE3_clEvEUlssE_St5arrayIPcLm3EEEEviT0_T1_
; %bb.0:
	s_clause 0x2
	s_load_b32 s3, s[0:1], 0x0
	s_load_b128 s[4:7], s[0:1], 0x8
	s_load_b64 s[8:9], s[0:1], 0x18
	s_wait_xcnt 0x0
	s_bfe_u32 s0, ttmp6, 0x4000c
	s_and_b32 s1, ttmp6, 15
	s_add_co_i32 s0, s0, 1
	s_getreg_b32 s2, hwreg(HW_REG_IB_STS2, 6, 4)
	s_mul_i32 s0, ttmp9, s0
	s_delay_alu instid0(SALU_CYCLE_1) | instskip(SKIP_2) | instid1(SALU_CYCLE_1)
	s_add_co_i32 s1, s1, s0
	s_cmp_eq_u32 s2, 0
	s_cselect_b32 s0, ttmp9, s1
	s_lshl_b32 s2, s0, 11
	s_mov_b32 s0, -1
	s_wait_kmcnt 0x0
	s_sub_co_i32 s10, s3, s2
	s_delay_alu instid0(SALU_CYCLE_1)
	s_cmp_gt_i32 s10, 0x7ff
	s_cbranch_scc0 .LBB32_34
; %bb.1:
	s_ashr_i32 s3, s2, 31
	s_delay_alu instid0(SALU_CYCLE_1)
	s_lshl_b64 s[0:1], s[2:3], 1
	s_mov_b32 s3, exec_lo
	s_add_nc_u64 s[12:13], s[8:9], s[0:1]
	global_load_b128 v[6:9], v0, s[12:13] scale_offset
	s_wait_xcnt 0x0
	s_add_nc_u64 s[12:13], s[6:7], s[0:1]
	global_load_b128 v[2:5], v0, s[12:13] scale_offset
	s_wait_loadcnt 0x1
	v_sub_nc_u16 v1, 0, v6
	s_delay_alu instid0(VALU_DEP_1)
	v_max_i16 v1, v6, v1
	s_wait_loadcnt 0x0
	v_cmpx_ne_u16_e32 0, v2
	s_cbranch_execz .LBB32_5
; %bb.2:
	v_sub_nc_u16 v10, 0, v2
	s_mov_b32 s11, 0
	s_delay_alu instid0(VALU_DEP_1) | instskip(SKIP_1) | instid1(VALU_DEP_2)
	v_max_i16 v11, v2, v10
	v_and_b32_e32 v10, 0xffff, v1
	v_and_b32_e32 v11, 0xffff, v11
.LBB32_3:                               ; =>This Inner Loop Header: Depth=1
	s_delay_alu instid0(VALU_DEP_1) | instskip(NEXT) | instid1(VALU_DEP_2)
	v_bfe_i32 v13, v10, 0, 16
	v_mov_b32_e32 v1, v11
	s_delay_alu instid0(VALU_DEP_2) | instskip(NEXT) | instid1(VALU_DEP_2)
	v_cvt_f32_i32_e32 v15, v13
	v_bfe_i32 v11, v1, 0, 16
	s_delay_alu instid0(VALU_DEP_1) | instskip(SKIP_1) | instid1(VALU_DEP_2)
	v_cvt_f32_i32_e32 v12, v11
	v_xor_b32_e32 v11, v13, v11
	v_rcp_iflag_f32_e32 v14, v12
	v_nop
	s_delay_alu instid0(TRANS32_DEP_1) | instskip(NEXT) | instid1(VALU_DEP_1)
	v_dual_ashrrev_i32 v11, 30, v11 :: v_dual_mul_f32 v13, v15, v14
	v_trunc_f32_e32 v13, v13
	s_delay_alu instid0(VALU_DEP_1) | instskip(SKIP_1) | instid1(VALU_DEP_2)
	v_dual_fma_f32 v14, -v13, v12, v15 :: v_dual_bitop2_b32 v11, 1, v11 bitop3:0x54
	v_cvt_i32_f32_e32 v13, v13
	v_cmp_ge_f32_e64 vcc_lo, |v14|, |v12|
	s_delay_alu instid0(VALU_DEP_3) | instskip(NEXT) | instid1(VALU_DEP_1)
	v_cndmask_b32_e32 v11, 0, v11, vcc_lo
	v_add_nc_u32_e32 v11, v13, v11
	s_delay_alu instid0(VALU_DEP_1) | instskip(NEXT) | instid1(VALU_DEP_1)
	v_mul_lo_u32 v11, v11, v1
	v_sub_nc_u32_e32 v11, v10, v11
	s_delay_alu instid0(VALU_DEP_1) | instskip(SKIP_1) | instid1(VALU_DEP_2)
	v_and_b32_e32 v10, 0xffff, v11
	v_bfe_i32 v11, v11, 0, 16
	v_cmp_eq_u32_e32 vcc_lo, 0, v10
	v_mov_b32_e32 v10, v1
	s_or_b32 s11, vcc_lo, s11
	s_delay_alu instid0(SALU_CYCLE_1)
	s_and_not1_b32 exec_lo, exec_lo, s11
	s_cbranch_execnz .LBB32_3
; %bb.4:
	s_or_b32 exec_lo, exec_lo, s11
.LBB32_5:
	s_delay_alu instid0(SALU_CYCLE_1) | instskip(SKIP_4) | instid1(VALU_DEP_2)
	s_or_b32 exec_lo, exec_lo, s3
	v_lshrrev_b32_e32 v10, 16, v6
	v_lshrrev_b32_e32 v6, 16, v2
	s_mov_b32 s11, 0
	s_mov_b32 s3, exec_lo
	v_sub_nc_u16 v11, 0, v10
	s_delay_alu instid0(VALU_DEP_1)
	v_max_i16 v2, v10, v11
	v_cmpx_ne_u16_e32 0, v6
	s_cbranch_execz .LBB32_9
; %bb.6:
	v_sub_nc_u16 v10, 0, v6
	s_delay_alu instid0(VALU_DEP_1) | instskip(SKIP_1) | instid1(VALU_DEP_2)
	v_max_i16 v10, v6, v10
	v_and_b32_e32 v6, 0xffff, v2
	v_and_b32_e32 v10, 0xffff, v10
.LBB32_7:                               ; =>This Inner Loop Header: Depth=1
	s_delay_alu instid0(VALU_DEP_1) | instskip(NEXT) | instid1(VALU_DEP_2)
	v_bfe_i32 v12, v6, 0, 16
	v_mov_b32_e32 v2, v10
	s_delay_alu instid0(VALU_DEP_2) | instskip(NEXT) | instid1(VALU_DEP_2)
	v_cvt_f32_i32_e32 v14, v12
	v_bfe_i32 v10, v2, 0, 16
	s_delay_alu instid0(VALU_DEP_1) | instskip(SKIP_1) | instid1(VALU_DEP_2)
	v_cvt_f32_i32_e32 v11, v10
	v_xor_b32_e32 v10, v12, v10
	v_rcp_iflag_f32_e32 v13, v11
	v_nop
	s_delay_alu instid0(TRANS32_DEP_1) | instskip(NEXT) | instid1(VALU_DEP_1)
	v_dual_ashrrev_i32 v10, 30, v10 :: v_dual_mul_f32 v12, v14, v13
	v_trunc_f32_e32 v12, v12
	s_delay_alu instid0(VALU_DEP_1) | instskip(SKIP_1) | instid1(VALU_DEP_2)
	v_dual_fma_f32 v13, -v12, v11, v14 :: v_dual_bitop2_b32 v10, 1, v10 bitop3:0x54
	v_cvt_i32_f32_e32 v12, v12
	v_cmp_ge_f32_e64 vcc_lo, |v13|, |v11|
	s_delay_alu instid0(VALU_DEP_3) | instskip(NEXT) | instid1(VALU_DEP_1)
	v_cndmask_b32_e32 v10, 0, v10, vcc_lo
	v_add_nc_u32_e32 v10, v12, v10
	s_delay_alu instid0(VALU_DEP_1) | instskip(NEXT) | instid1(VALU_DEP_1)
	v_mul_lo_u32 v10, v10, v2
	v_sub_nc_u32_e32 v10, v6, v10
	s_delay_alu instid0(VALU_DEP_1) | instskip(SKIP_1) | instid1(VALU_DEP_2)
	v_and_b32_e32 v6, 0xffff, v10
	v_bfe_i32 v10, v10, 0, 16
	v_cmp_eq_u32_e32 vcc_lo, 0, v6
	v_mov_b32_e32 v6, v2
	s_or_b32 s11, vcc_lo, s11
	s_delay_alu instid0(SALU_CYCLE_1)
	s_and_not1_b32 exec_lo, exec_lo, s11
	s_cbranch_execnz .LBB32_7
; %bb.8:
	s_or_b32 exec_lo, exec_lo, s11
.LBB32_9:
	s_delay_alu instid0(SALU_CYCLE_1) | instskip(SKIP_3) | instid1(VALU_DEP_1)
	s_or_b32 exec_lo, exec_lo, s3
	v_sub_nc_u16 v6, 0, v7
	s_mov_b32 s11, 0
	s_mov_b32 s3, exec_lo
	v_max_i16 v6, v7, v6
	v_cmpx_ne_u16_e32 0, v3
	s_cbranch_execz .LBB32_13
; %bb.10:
	v_sub_nc_u16 v10, 0, v3
	s_delay_alu instid0(VALU_DEP_1) | instskip(SKIP_1) | instid1(VALU_DEP_2)
	v_max_i16 v11, v3, v10
	v_and_b32_e32 v10, 0xffff, v6
	v_and_b32_e32 v11, 0xffff, v11
.LBB32_11:                              ; =>This Inner Loop Header: Depth=1
	s_delay_alu instid0(VALU_DEP_1) | instskip(NEXT) | instid1(VALU_DEP_2)
	v_bfe_i32 v13, v10, 0, 16
	v_mov_b32_e32 v6, v11
	s_delay_alu instid0(VALU_DEP_2) | instskip(NEXT) | instid1(VALU_DEP_2)
	v_cvt_f32_i32_e32 v15, v13
	v_bfe_i32 v11, v6, 0, 16
	s_delay_alu instid0(VALU_DEP_1) | instskip(SKIP_1) | instid1(VALU_DEP_2)
	v_cvt_f32_i32_e32 v12, v11
	v_xor_b32_e32 v11, v13, v11
	v_rcp_iflag_f32_e32 v14, v12
	v_nop
	s_delay_alu instid0(TRANS32_DEP_1) | instskip(NEXT) | instid1(VALU_DEP_1)
	v_dual_ashrrev_i32 v11, 30, v11 :: v_dual_mul_f32 v13, v15, v14
	v_trunc_f32_e32 v13, v13
	s_delay_alu instid0(VALU_DEP_1) | instskip(SKIP_1) | instid1(VALU_DEP_2)
	v_dual_fma_f32 v14, -v13, v12, v15 :: v_dual_bitop2_b32 v11, 1, v11 bitop3:0x54
	v_cvt_i32_f32_e32 v13, v13
	v_cmp_ge_f32_e64 vcc_lo, |v14|, |v12|
	s_delay_alu instid0(VALU_DEP_3) | instskip(NEXT) | instid1(VALU_DEP_1)
	v_cndmask_b32_e32 v11, 0, v11, vcc_lo
	v_add_nc_u32_e32 v11, v13, v11
	s_delay_alu instid0(VALU_DEP_1) | instskip(NEXT) | instid1(VALU_DEP_1)
	v_mul_lo_u32 v11, v11, v6
	v_sub_nc_u32_e32 v11, v10, v11
	s_delay_alu instid0(VALU_DEP_1) | instskip(SKIP_1) | instid1(VALU_DEP_2)
	v_and_b32_e32 v10, 0xffff, v11
	v_bfe_i32 v11, v11, 0, 16
	v_cmp_eq_u32_e32 vcc_lo, 0, v10
	v_mov_b32_e32 v10, v6
	s_or_b32 s11, vcc_lo, s11
	s_delay_alu instid0(SALU_CYCLE_1)
	s_and_not1_b32 exec_lo, exec_lo, s11
	s_cbranch_execnz .LBB32_11
; %bb.12:
	s_or_b32 exec_lo, exec_lo, s11
.LBB32_13:
	s_delay_alu instid0(SALU_CYCLE_1) | instskip(SKIP_4) | instid1(VALU_DEP_2)
	s_or_b32 exec_lo, exec_lo, s3
	v_lshrrev_b32_e32 v10, 16, v7
	v_lshrrev_b32_e32 v7, 16, v3
	s_mov_b32 s11, 0
	s_mov_b32 s3, exec_lo
	v_sub_nc_u16 v11, 0, v10
	s_delay_alu instid0(VALU_DEP_1)
	v_max_i16 v3, v10, v11
	v_cmpx_ne_u16_e32 0, v7
	s_cbranch_execz .LBB32_17
; %bb.14:
	v_sub_nc_u16 v10, 0, v7
	s_delay_alu instid0(VALU_DEP_1) | instskip(SKIP_1) | instid1(VALU_DEP_2)
	v_max_i16 v10, v7, v10
	v_and_b32_e32 v7, 0xffff, v3
	v_and_b32_e32 v10, 0xffff, v10
.LBB32_15:                              ; =>This Inner Loop Header: Depth=1
	s_delay_alu instid0(VALU_DEP_1) | instskip(NEXT) | instid1(VALU_DEP_2)
	v_bfe_i32 v12, v7, 0, 16
	v_mov_b32_e32 v3, v10
	s_delay_alu instid0(VALU_DEP_2) | instskip(NEXT) | instid1(VALU_DEP_2)
	v_cvt_f32_i32_e32 v14, v12
	v_bfe_i32 v10, v3, 0, 16
	s_delay_alu instid0(VALU_DEP_1) | instskip(SKIP_1) | instid1(VALU_DEP_2)
	v_cvt_f32_i32_e32 v11, v10
	v_xor_b32_e32 v10, v12, v10
	v_rcp_iflag_f32_e32 v13, v11
	v_nop
	s_delay_alu instid0(TRANS32_DEP_1) | instskip(NEXT) | instid1(VALU_DEP_1)
	v_dual_ashrrev_i32 v10, 30, v10 :: v_dual_mul_f32 v12, v14, v13
	v_trunc_f32_e32 v12, v12
	s_delay_alu instid0(VALU_DEP_1) | instskip(SKIP_1) | instid1(VALU_DEP_2)
	v_dual_fma_f32 v13, -v12, v11, v14 :: v_dual_bitop2_b32 v10, 1, v10 bitop3:0x54
	v_cvt_i32_f32_e32 v12, v12
	v_cmp_ge_f32_e64 vcc_lo, |v13|, |v11|
	s_delay_alu instid0(VALU_DEP_3) | instskip(NEXT) | instid1(VALU_DEP_1)
	v_cndmask_b32_e32 v10, 0, v10, vcc_lo
	v_add_nc_u32_e32 v10, v12, v10
	s_delay_alu instid0(VALU_DEP_1) | instskip(NEXT) | instid1(VALU_DEP_1)
	v_mul_lo_u32 v10, v10, v3
	v_sub_nc_u32_e32 v10, v7, v10
	s_delay_alu instid0(VALU_DEP_1) | instskip(SKIP_1) | instid1(VALU_DEP_2)
	v_and_b32_e32 v7, 0xffff, v10
	v_bfe_i32 v10, v10, 0, 16
	v_cmp_eq_u32_e32 vcc_lo, 0, v7
	v_mov_b32_e32 v7, v3
	s_or_b32 s11, vcc_lo, s11
	s_delay_alu instid0(SALU_CYCLE_1)
	s_and_not1_b32 exec_lo, exec_lo, s11
	s_cbranch_execnz .LBB32_15
; %bb.16:
	s_or_b32 exec_lo, exec_lo, s11
.LBB32_17:
	s_delay_alu instid0(SALU_CYCLE_1) | instskip(SKIP_3) | instid1(VALU_DEP_1)
	s_or_b32 exec_lo, exec_lo, s3
	v_sub_nc_u16 v7, 0, v8
	s_mov_b32 s11, 0
	s_mov_b32 s3, exec_lo
	v_max_i16 v7, v8, v7
	v_cmpx_ne_u16_e32 0, v4
	s_cbranch_execz .LBB32_21
; %bb.18:
	v_sub_nc_u16 v10, 0, v4
	s_delay_alu instid0(VALU_DEP_1) | instskip(SKIP_1) | instid1(VALU_DEP_2)
	v_max_i16 v11, v4, v10
	v_and_b32_e32 v10, 0xffff, v7
	v_and_b32_e32 v11, 0xffff, v11
.LBB32_19:                              ; =>This Inner Loop Header: Depth=1
	s_delay_alu instid0(VALU_DEP_1) | instskip(NEXT) | instid1(VALU_DEP_2)
	v_bfe_i32 v13, v10, 0, 16
	v_mov_b32_e32 v7, v11
	s_delay_alu instid0(VALU_DEP_2) | instskip(NEXT) | instid1(VALU_DEP_2)
	v_cvt_f32_i32_e32 v15, v13
	v_bfe_i32 v11, v7, 0, 16
	s_delay_alu instid0(VALU_DEP_1) | instskip(SKIP_1) | instid1(VALU_DEP_2)
	v_cvt_f32_i32_e32 v12, v11
	v_xor_b32_e32 v11, v13, v11
	v_rcp_iflag_f32_e32 v14, v12
	v_nop
	s_delay_alu instid0(TRANS32_DEP_1) | instskip(NEXT) | instid1(VALU_DEP_1)
	v_dual_ashrrev_i32 v11, 30, v11 :: v_dual_mul_f32 v13, v15, v14
	v_trunc_f32_e32 v13, v13
	s_delay_alu instid0(VALU_DEP_1) | instskip(SKIP_1) | instid1(VALU_DEP_2)
	v_dual_fma_f32 v14, -v13, v12, v15 :: v_dual_bitop2_b32 v11, 1, v11 bitop3:0x54
	v_cvt_i32_f32_e32 v13, v13
	v_cmp_ge_f32_e64 vcc_lo, |v14|, |v12|
	s_delay_alu instid0(VALU_DEP_3) | instskip(NEXT) | instid1(VALU_DEP_1)
	v_cndmask_b32_e32 v11, 0, v11, vcc_lo
	v_add_nc_u32_e32 v11, v13, v11
	s_delay_alu instid0(VALU_DEP_1) | instskip(NEXT) | instid1(VALU_DEP_1)
	v_mul_lo_u32 v11, v11, v7
	v_sub_nc_u32_e32 v11, v10, v11
	s_delay_alu instid0(VALU_DEP_1) | instskip(SKIP_1) | instid1(VALU_DEP_2)
	v_and_b32_e32 v10, 0xffff, v11
	v_bfe_i32 v11, v11, 0, 16
	v_cmp_eq_u32_e32 vcc_lo, 0, v10
	v_mov_b32_e32 v10, v7
	s_or_b32 s11, vcc_lo, s11
	s_delay_alu instid0(SALU_CYCLE_1)
	s_and_not1_b32 exec_lo, exec_lo, s11
	s_cbranch_execnz .LBB32_19
; %bb.20:
	s_or_b32 exec_lo, exec_lo, s11
.LBB32_21:
	s_delay_alu instid0(SALU_CYCLE_1) | instskip(SKIP_4) | instid1(VALU_DEP_2)
	s_or_b32 exec_lo, exec_lo, s3
	v_lshrrev_b32_e32 v10, 16, v8
	v_lshrrev_b32_e32 v8, 16, v4
	s_mov_b32 s11, 0
	s_mov_b32 s3, exec_lo
	v_sub_nc_u16 v11, 0, v10
	s_delay_alu instid0(VALU_DEP_1)
	v_max_i16 v4, v10, v11
	v_cmpx_ne_u16_e32 0, v8
	s_cbranch_execz .LBB32_25
; %bb.22:
	v_sub_nc_u16 v10, 0, v8
	s_delay_alu instid0(VALU_DEP_1) | instskip(SKIP_1) | instid1(VALU_DEP_2)
	v_max_i16 v10, v8, v10
	v_and_b32_e32 v8, 0xffff, v4
	v_and_b32_e32 v10, 0xffff, v10
.LBB32_23:                              ; =>This Inner Loop Header: Depth=1
	s_delay_alu instid0(VALU_DEP_1) | instskip(NEXT) | instid1(VALU_DEP_2)
	v_bfe_i32 v12, v8, 0, 16
	v_mov_b32_e32 v4, v10
	s_delay_alu instid0(VALU_DEP_2) | instskip(NEXT) | instid1(VALU_DEP_2)
	v_cvt_f32_i32_e32 v14, v12
	v_bfe_i32 v10, v4, 0, 16
	s_delay_alu instid0(VALU_DEP_1) | instskip(SKIP_1) | instid1(VALU_DEP_2)
	v_cvt_f32_i32_e32 v11, v10
	v_xor_b32_e32 v10, v12, v10
	v_rcp_iflag_f32_e32 v13, v11
	v_nop
	s_delay_alu instid0(TRANS32_DEP_1) | instskip(NEXT) | instid1(VALU_DEP_1)
	v_dual_ashrrev_i32 v10, 30, v10 :: v_dual_mul_f32 v12, v14, v13
	v_trunc_f32_e32 v12, v12
	s_delay_alu instid0(VALU_DEP_1) | instskip(SKIP_1) | instid1(VALU_DEP_2)
	v_dual_fma_f32 v13, -v12, v11, v14 :: v_dual_bitop2_b32 v10, 1, v10 bitop3:0x54
	v_cvt_i32_f32_e32 v12, v12
	v_cmp_ge_f32_e64 vcc_lo, |v13|, |v11|
	s_delay_alu instid0(VALU_DEP_3) | instskip(NEXT) | instid1(VALU_DEP_1)
	v_cndmask_b32_e32 v10, 0, v10, vcc_lo
	v_add_nc_u32_e32 v10, v12, v10
	s_delay_alu instid0(VALU_DEP_1) | instskip(NEXT) | instid1(VALU_DEP_1)
	v_mul_lo_u32 v10, v10, v4
	v_sub_nc_u32_e32 v10, v8, v10
	s_delay_alu instid0(VALU_DEP_1) | instskip(SKIP_1) | instid1(VALU_DEP_2)
	v_and_b32_e32 v8, 0xffff, v10
	v_bfe_i32 v10, v10, 0, 16
	v_cmp_eq_u32_e32 vcc_lo, 0, v8
	v_mov_b32_e32 v8, v4
	s_or_b32 s11, vcc_lo, s11
	s_delay_alu instid0(SALU_CYCLE_1)
	s_and_not1_b32 exec_lo, exec_lo, s11
	s_cbranch_execnz .LBB32_23
; %bb.24:
	s_or_b32 exec_lo, exec_lo, s11
.LBB32_25:
	s_delay_alu instid0(SALU_CYCLE_1) | instskip(SKIP_3) | instid1(VALU_DEP_1)
	s_or_b32 exec_lo, exec_lo, s3
	v_sub_nc_u16 v8, 0, v9
	s_mov_b32 s11, 0
	s_mov_b32 s3, exec_lo
	v_max_i16 v8, v9, v8
	v_cmpx_ne_u16_e32 0, v5
	s_cbranch_execz .LBB32_29
; %bb.26:
	v_sub_nc_u16 v10, 0, v5
	s_delay_alu instid0(VALU_DEP_1) | instskip(SKIP_1) | instid1(VALU_DEP_2)
	v_max_i16 v11, v5, v10
	v_and_b32_e32 v10, 0xffff, v8
	v_and_b32_e32 v11, 0xffff, v11
.LBB32_27:                              ; =>This Inner Loop Header: Depth=1
	s_delay_alu instid0(VALU_DEP_1) | instskip(NEXT) | instid1(VALU_DEP_2)
	v_bfe_i32 v13, v10, 0, 16
	v_mov_b32_e32 v8, v11
	s_delay_alu instid0(VALU_DEP_2) | instskip(NEXT) | instid1(VALU_DEP_2)
	v_cvt_f32_i32_e32 v15, v13
	v_bfe_i32 v11, v8, 0, 16
	s_delay_alu instid0(VALU_DEP_1) | instskip(SKIP_1) | instid1(VALU_DEP_2)
	v_cvt_f32_i32_e32 v12, v11
	v_xor_b32_e32 v11, v13, v11
	v_rcp_iflag_f32_e32 v14, v12
	v_nop
	s_delay_alu instid0(TRANS32_DEP_1) | instskip(NEXT) | instid1(VALU_DEP_1)
	v_dual_ashrrev_i32 v11, 30, v11 :: v_dual_mul_f32 v13, v15, v14
	v_trunc_f32_e32 v13, v13
	s_delay_alu instid0(VALU_DEP_1) | instskip(SKIP_1) | instid1(VALU_DEP_2)
	v_dual_fma_f32 v14, -v13, v12, v15 :: v_dual_bitop2_b32 v11, 1, v11 bitop3:0x54
	v_cvt_i32_f32_e32 v13, v13
	v_cmp_ge_f32_e64 vcc_lo, |v14|, |v12|
	s_delay_alu instid0(VALU_DEP_3) | instskip(NEXT) | instid1(VALU_DEP_1)
	v_cndmask_b32_e32 v11, 0, v11, vcc_lo
	v_add_nc_u32_e32 v11, v13, v11
	s_delay_alu instid0(VALU_DEP_1) | instskip(NEXT) | instid1(VALU_DEP_1)
	v_mul_lo_u32 v11, v11, v8
	v_sub_nc_u32_e32 v11, v10, v11
	s_delay_alu instid0(VALU_DEP_1) | instskip(SKIP_1) | instid1(VALU_DEP_2)
	v_and_b32_e32 v10, 0xffff, v11
	v_bfe_i32 v11, v11, 0, 16
	v_cmp_eq_u32_e32 vcc_lo, 0, v10
	v_mov_b32_e32 v10, v8
	s_or_b32 s11, vcc_lo, s11
	s_delay_alu instid0(SALU_CYCLE_1)
	s_and_not1_b32 exec_lo, exec_lo, s11
	s_cbranch_execnz .LBB32_27
; %bb.28:
	s_or_b32 exec_lo, exec_lo, s11
.LBB32_29:
	s_delay_alu instid0(SALU_CYCLE_1) | instskip(SKIP_4) | instid1(VALU_DEP_2)
	s_or_b32 exec_lo, exec_lo, s3
	v_lshrrev_b32_e32 v10, 16, v9
	v_lshrrev_b32_e32 v9, 16, v5
	s_mov_b32 s11, 0
	s_mov_b32 s3, exec_lo
	v_sub_nc_u16 v11, 0, v10
	s_delay_alu instid0(VALU_DEP_1)
	v_max_i16 v5, v10, v11
	v_cmpx_ne_u16_e32 0, v9
	s_cbranch_execz .LBB32_33
; %bb.30:
	v_sub_nc_u16 v10, 0, v9
	s_delay_alu instid0(VALU_DEP_1) | instskip(SKIP_1) | instid1(VALU_DEP_2)
	v_max_i16 v10, v9, v10
	v_and_b32_e32 v9, 0xffff, v5
	v_and_b32_e32 v10, 0xffff, v10
.LBB32_31:                              ; =>This Inner Loop Header: Depth=1
	s_delay_alu instid0(VALU_DEP_1) | instskip(NEXT) | instid1(VALU_DEP_2)
	v_bfe_i32 v12, v9, 0, 16
	v_mov_b32_e32 v5, v10
	s_delay_alu instid0(VALU_DEP_2) | instskip(NEXT) | instid1(VALU_DEP_2)
	v_cvt_f32_i32_e32 v14, v12
	v_bfe_i32 v10, v5, 0, 16
	s_delay_alu instid0(VALU_DEP_1) | instskip(SKIP_1) | instid1(VALU_DEP_2)
	v_cvt_f32_i32_e32 v11, v10
	v_xor_b32_e32 v10, v12, v10
	v_rcp_iflag_f32_e32 v13, v11
	v_nop
	s_delay_alu instid0(TRANS32_DEP_1) | instskip(NEXT) | instid1(VALU_DEP_1)
	v_dual_ashrrev_i32 v10, 30, v10 :: v_dual_mul_f32 v12, v14, v13
	v_trunc_f32_e32 v12, v12
	s_delay_alu instid0(VALU_DEP_1) | instskip(SKIP_1) | instid1(VALU_DEP_2)
	v_dual_fma_f32 v13, -v12, v11, v14 :: v_dual_bitop2_b32 v10, 1, v10 bitop3:0x54
	v_cvt_i32_f32_e32 v12, v12
	v_cmp_ge_f32_e64 vcc_lo, |v13|, |v11|
	s_delay_alu instid0(VALU_DEP_3) | instskip(NEXT) | instid1(VALU_DEP_1)
	v_cndmask_b32_e32 v10, 0, v10, vcc_lo
	v_add_nc_u32_e32 v10, v12, v10
	s_delay_alu instid0(VALU_DEP_1) | instskip(NEXT) | instid1(VALU_DEP_1)
	v_mul_lo_u32 v10, v10, v5
	v_sub_nc_u32_e32 v10, v9, v10
	s_delay_alu instid0(VALU_DEP_1) | instskip(SKIP_1) | instid1(VALU_DEP_2)
	v_and_b32_e32 v9, 0xffff, v10
	v_bfe_i32 v10, v10, 0, 16
	v_cmp_eq_u32_e32 vcc_lo, 0, v9
	v_mov_b32_e32 v9, v5
	s_or_b32 s11, vcc_lo, s11
	s_delay_alu instid0(SALU_CYCLE_1)
	s_and_not1_b32 exec_lo, exec_lo, s11
	s_cbranch_execnz .LBB32_31
; %bb.32:
	s_or_b32 exec_lo, exec_lo, s11
.LBB32_33:
	s_delay_alu instid0(SALU_CYCLE_1) | instskip(NEXT) | instid1(VALU_DEP_2)
	s_or_b32 exec_lo, exec_lo, s3
	v_perm_b32 v5, v5, v8, 0x5040100
	v_perm_b32 v4, v4, v7, 0x5040100
	;; [unrolled: 1-line block ×4, first 2 shown]
	s_add_nc_u64 s[12:13], s[4:5], s[0:1]
	s_mov_b32 s0, 0
	global_store_b128 v0, v[2:5], s[12:13] scale_offset
.LBB32_34:
	s_and_b32 vcc_lo, exec_lo, s0
	s_cbranch_vccz .LBB32_103
; %bb.35:
	v_cmp_gt_i32_e32 vcc_lo, s10, v0
	s_wait_xcnt 0x0
	v_dual_mov_b32 v20, 0 :: v_dual_bitop2_b32 v5, s2, v0 bitop3:0x54
	v_or_b32_e32 v6, 0x100, v0
	v_dual_mov_b32 v22, 0 :: v_dual_mov_b32 v21, 0
	v_mov_b32_e32 v1, v0
	s_and_saveexec_b32 s0, vcc_lo
	s_cbranch_execz .LBB32_37
; %bb.36:
	s_clause 0x1
	global_load_u16 v2, v5, s[8:9] scale_offset
	global_load_u16 v22, v5, s[6:7] scale_offset
	v_or_b32_e32 v1, 0x100, v0
	s_wait_loadcnt 0x1
	v_sub_nc_u16 v3, 0, v2
	s_delay_alu instid0(VALU_DEP_1)
	v_max_i16 v21, v2, v3
.LBB32_37:
	s_wait_xcnt 0x0
	s_or_b32 exec_lo, exec_lo, s0
	v_mov_b32_e32 v19, 0
	s_mov_b32 s1, exec_lo
	v_cmpx_gt_i32_e64 s10, v1
	s_cbranch_execz .LBB32_39
; %bb.38:
	v_add_nc_u32_e32 v2, s2, v1
	v_add_nc_u32_e32 v1, 0x100, v1
	s_clause 0x1
	global_load_u16 v3, v2, s[8:9] scale_offset
	global_load_u16 v20, v2, s[6:7] scale_offset
	s_wait_loadcnt 0x1
	s_wait_xcnt 0x0
	v_sub_nc_u16 v2, 0, v3
	s_delay_alu instid0(VALU_DEP_1)
	v_max_i16 v19, v3, v2
.LBB32_39:
	s_or_b32 exec_lo, exec_lo, s1
	v_dual_mov_b32 v16, 0 :: v_dual_mov_b32 v18, 0
	v_mov_b32_e32 v17, 0
	s_mov_b32 s1, exec_lo
	v_cmpx_gt_i32_e64 s10, v1
	s_cbranch_execz .LBB32_41
; %bb.40:
	v_add_nc_u32_e32 v2, s2, v1
	v_add_nc_u32_e32 v1, 0x100, v1
	s_clause 0x1
	global_load_u16 v3, v2, s[8:9] scale_offset
	global_load_u16 v18, v2, s[6:7] scale_offset
	s_wait_loadcnt 0x1
	s_wait_xcnt 0x0
	v_sub_nc_u16 v2, 0, v3
	s_delay_alu instid0(VALU_DEP_1)
	v_max_i16 v17, v3, v2
.LBB32_41:
	s_or_b32 exec_lo, exec_lo, s1
	v_mov_b32_e32 v15, 0
	s_mov_b32 s1, exec_lo
	v_cmpx_gt_i32_e64 s10, v1
	s_cbranch_execz .LBB32_43
; %bb.42:
	v_add_nc_u32_e32 v2, s2, v1
	v_add_nc_u32_e32 v1, 0x100, v1
	s_clause 0x1
	global_load_u16 v3, v2, s[8:9] scale_offset
	global_load_u16 v16, v2, s[6:7] scale_offset
	s_wait_loadcnt 0x1
	s_wait_xcnt 0x0
	v_sub_nc_u16 v2, 0, v3
	s_delay_alu instid0(VALU_DEP_1)
	v_max_i16 v15, v3, v2
.LBB32_43:
	s_or_b32 exec_lo, exec_lo, s1
	v_dual_mov_b32 v12, 0 :: v_dual_mov_b32 v14, 0
	v_mov_b32_e32 v13, 0
	s_mov_b32 s1, exec_lo
	v_cmpx_gt_i32_e64 s10, v1
	s_cbranch_execz .LBB32_45
; %bb.44:
	v_add_nc_u32_e32 v2, s2, v1
	v_add_nc_u32_e32 v1, 0x100, v1
	s_clause 0x1
	global_load_u16 v3, v2, s[8:9] scale_offset
	global_load_u16 v14, v2, s[6:7] scale_offset
	s_wait_loadcnt 0x1
	s_wait_xcnt 0x0
	v_sub_nc_u16 v2, 0, v3
	s_delay_alu instid0(VALU_DEP_1)
	v_max_i16 v13, v3, v2
.LBB32_45:
	;; [unrolled: 35-line block ×3, first 2 shown]
	s_or_b32 exec_lo, exec_lo, s1
	v_mov_b32_e32 v7, 0
	s_mov_b32 s1, exec_lo
	v_cmpx_gt_i32_e64 s10, v1
	s_cbranch_execz .LBB32_51
; %bb.50:
	v_add_nc_u32_e32 v1, s2, v1
	s_clause 0x1
	global_load_u16 v2, v1, s[8:9] scale_offset
	global_load_u16 v8, v1, s[6:7] scale_offset
	s_wait_loadcnt 0x1
	s_wait_xcnt 0x0
	v_sub_nc_u16 v1, 0, v2
	s_delay_alu instid0(VALU_DEP_1)
	v_max_i16 v7, v2, v1
.LBB32_51:
	s_or_b32 exec_lo, exec_lo, s1
	v_mov_b32_e32 v4, 0
	s_delay_alu instid0(VALU_DEP_1)
	v_dual_mov_b32 v1, v4 :: v_dual_mov_b32 v2, v4
	v_mov_b32_e32 v3, v4
	s_and_saveexec_b32 s1, vcc_lo
	s_cbranch_execz .LBB32_57
; %bb.52:
	s_mov_b32 s3, exec_lo
	s_wait_loadcnt 0x0
	v_cmpx_ne_u16_e32 0, v22
	s_cbranch_execz .LBB32_56
; %bb.53:
	v_sub_nc_u16 v1, 0, v22
	s_mov_b32 s6, 0
	s_delay_alu instid0(VALU_DEP_1) | instskip(SKIP_1) | instid1(VALU_DEP_2)
	v_max_i16 v2, v22, v1
	v_and_b32_e32 v1, 0xffff, v21
	v_and_b32_e32 v2, 0xffff, v2
.LBB32_54:                              ; =>This Inner Loop Header: Depth=1
	s_delay_alu instid0(VALU_DEP_1) | instskip(NEXT) | instid1(VALU_DEP_2)
	v_bfe_i32 v4, v1, 0, 16
	v_mov_b32_e32 v21, v2
	s_delay_alu instid0(VALU_DEP_2) | instskip(NEXT) | instid1(VALU_DEP_2)
	v_cvt_f32_i32_e32 v23, v4
	v_bfe_i32 v2, v21, 0, 16
	s_delay_alu instid0(VALU_DEP_1) | instskip(SKIP_1) | instid1(VALU_DEP_2)
	v_cvt_f32_i32_e32 v3, v2
	v_xor_b32_e32 v2, v4, v2
	v_rcp_iflag_f32_e32 v22, v3
	v_nop
	s_delay_alu instid0(TRANS32_DEP_1) | instskip(NEXT) | instid1(VALU_DEP_1)
	v_mul_f32_e32 v4, v23, v22
	v_trunc_f32_e32 v4, v4
	s_delay_alu instid0(VALU_DEP_1) | instskip(NEXT) | instid1(VALU_DEP_1)
	v_dual_ashrrev_i32 v2, 30, v2 :: v_dual_fma_f32 v22, -v4, v3, v23
	v_or_b32_e32 v2, 1, v2
	v_cvt_i32_f32_e32 v4, v4
	s_delay_alu instid0(VALU_DEP_3) | instskip(NEXT) | instid1(VALU_DEP_1)
	v_cmp_ge_f32_e64 s0, |v22|, |v3|
	v_cndmask_b32_e64 v2, 0, v2, s0
	s_delay_alu instid0(VALU_DEP_1) | instskip(NEXT) | instid1(VALU_DEP_1)
	v_add_nc_u32_e32 v2, v4, v2
	v_mul_lo_u32 v2, v2, v21
	s_delay_alu instid0(VALU_DEP_1) | instskip(NEXT) | instid1(VALU_DEP_1)
	v_sub_nc_u32_e32 v2, v1, v2
	v_and_b32_e32 v1, 0xffff, v2
	v_bfe_i32 v2, v2, 0, 16
	s_delay_alu instid0(VALU_DEP_2) | instskip(SKIP_2) | instid1(SALU_CYCLE_1)
	v_cmp_eq_u32_e64 s0, 0, v1
	v_mov_b32_e32 v1, v21
	s_or_b32 s6, s0, s6
	s_and_not1_b32 exec_lo, exec_lo, s6
	s_cbranch_execnz .LBB32_54
; %bb.55:
	s_or_b32 exec_lo, exec_lo, s6
.LBB32_56:
	s_delay_alu instid0(SALU_CYCLE_1) | instskip(SKIP_2) | instid1(VALU_DEP_2)
	s_or_b32 exec_lo, exec_lo, s3
	v_mov_b32_e32 v1, 0
	v_and_b32_e32 v4, 0xffff, v21
	v_dual_mov_b32 v2, v1 :: v_dual_mov_b32 v3, v1
.LBB32_57:
	s_or_b32 exec_lo, exec_lo, s1
	s_delay_alu instid0(SALU_CYCLE_1)
	s_mov_b32 s1, exec_lo
	v_cmpx_gt_i32_e64 s10, v6
	s_cbranch_execz .LBB32_63
; %bb.58:
	s_mov_b32 s6, 0
	s_mov_b32 s3, exec_lo
	s_wait_loadcnt 0x0
	v_cmpx_ne_u16_e32 0, v20
	s_cbranch_execz .LBB32_62
; %bb.59:
	v_sub_nc_u16 v21, 0, v20
	s_delay_alu instid0(VALU_DEP_1) | instskip(SKIP_1) | instid1(VALU_DEP_2)
	v_max_i16 v21, v20, v21
	v_and_b32_e32 v20, 0xffff, v19
	v_and_b32_e32 v21, 0xffff, v21
.LBB32_60:                              ; =>This Inner Loop Header: Depth=1
	s_delay_alu instid0(VALU_DEP_1) | instskip(NEXT) | instid1(VALU_DEP_2)
	v_bfe_i32 v23, v20, 0, 16
	v_mov_b32_e32 v19, v21
	s_delay_alu instid0(VALU_DEP_2) | instskip(NEXT) | instid1(VALU_DEP_2)
	v_cvt_f32_i32_e32 v25, v23
	v_bfe_i32 v21, v19, 0, 16
	s_delay_alu instid0(VALU_DEP_1) | instskip(SKIP_1) | instid1(VALU_DEP_2)
	v_cvt_f32_i32_e32 v22, v21
	v_xor_b32_e32 v21, v23, v21
	v_rcp_iflag_f32_e32 v24, v22
	v_nop
	s_delay_alu instid0(TRANS32_DEP_1) | instskip(NEXT) | instid1(VALU_DEP_1)
	v_dual_ashrrev_i32 v21, 30, v21 :: v_dual_mul_f32 v23, v25, v24
	v_trunc_f32_e32 v23, v23
	s_delay_alu instid0(VALU_DEP_1) | instskip(SKIP_1) | instid1(VALU_DEP_2)
	v_dual_fma_f32 v24, -v23, v22, v25 :: v_dual_bitop2_b32 v21, 1, v21 bitop3:0x54
	v_cvt_i32_f32_e32 v23, v23
	v_cmp_ge_f32_e64 s0, |v24|, |v22|
	s_delay_alu instid0(VALU_DEP_1) | instskip(NEXT) | instid1(VALU_DEP_1)
	v_cndmask_b32_e64 v21, 0, v21, s0
	v_add_nc_u32_e32 v21, v23, v21
	s_delay_alu instid0(VALU_DEP_1) | instskip(NEXT) | instid1(VALU_DEP_1)
	v_mul_lo_u32 v21, v21, v19
	v_sub_nc_u32_e32 v21, v20, v21
	s_delay_alu instid0(VALU_DEP_1) | instskip(SKIP_1) | instid1(VALU_DEP_2)
	v_and_b32_e32 v20, 0xffff, v21
	v_bfe_i32 v21, v21, 0, 16
	v_cmp_eq_u32_e64 s0, 0, v20
	v_mov_b32_e32 v20, v19
	s_or_b32 s6, s0, s6
	s_delay_alu instid0(SALU_CYCLE_1)
	s_and_not1_b32 exec_lo, exec_lo, s6
	s_cbranch_execnz .LBB32_60
; %bb.61:
	s_or_b32 exec_lo, exec_lo, s6
.LBB32_62:
	s_delay_alu instid0(SALU_CYCLE_1)
	s_or_b32 exec_lo, exec_lo, s3
	v_perm_b32 v4, v19, v4, 0x5040100
.LBB32_63:
	s_or_b32 exec_lo, exec_lo, s1
	v_or_b32_e32 v19, 0x200, v0
	s_mov_b32 s1, exec_lo
	s_delay_alu instid0(VALU_DEP_1)
	v_cmpx_gt_i32_e64 s10, v19
	s_cbranch_execz .LBB32_69
; %bb.64:
	s_mov_b32 s6, 0
	s_mov_b32 s3, exec_lo
	s_wait_loadcnt 0x0
	v_cmpx_ne_u16_e32 0, v18
	s_cbranch_execz .LBB32_68
; %bb.65:
	v_sub_nc_u16 v19, 0, v18
	s_delay_alu instid0(VALU_DEP_1) | instskip(SKIP_1) | instid1(VALU_DEP_2)
	v_max_i16 v19, v18, v19
	v_and_b32_e32 v18, 0xffff, v17
	v_and_b32_e32 v19, 0xffff, v19
.LBB32_66:                              ; =>This Inner Loop Header: Depth=1
	s_delay_alu instid0(VALU_DEP_1) | instskip(NEXT) | instid1(VALU_DEP_2)
	v_bfe_i32 v21, v18, 0, 16
	v_mov_b32_e32 v17, v19
	s_delay_alu instid0(VALU_DEP_2) | instskip(NEXT) | instid1(VALU_DEP_2)
	v_cvt_f32_i32_e32 v23, v21
	v_bfe_i32 v19, v17, 0, 16
	s_delay_alu instid0(VALU_DEP_1) | instskip(SKIP_1) | instid1(VALU_DEP_2)
	v_cvt_f32_i32_e32 v20, v19
	v_xor_b32_e32 v19, v21, v19
	v_rcp_iflag_f32_e32 v22, v20
	v_nop
	s_delay_alu instid0(TRANS32_DEP_1) | instskip(NEXT) | instid1(VALU_DEP_1)
	v_dual_ashrrev_i32 v19, 30, v19 :: v_dual_mul_f32 v21, v23, v22
	v_trunc_f32_e32 v21, v21
	s_delay_alu instid0(VALU_DEP_1) | instskip(SKIP_1) | instid1(VALU_DEP_2)
	v_dual_fma_f32 v22, -v21, v20, v23 :: v_dual_bitop2_b32 v19, 1, v19 bitop3:0x54
	v_cvt_i32_f32_e32 v21, v21
	v_cmp_ge_f32_e64 s0, |v22|, |v20|
	s_delay_alu instid0(VALU_DEP_1) | instskip(NEXT) | instid1(VALU_DEP_1)
	v_cndmask_b32_e64 v19, 0, v19, s0
	v_add_nc_u32_e32 v19, v21, v19
	s_delay_alu instid0(VALU_DEP_1) | instskip(NEXT) | instid1(VALU_DEP_1)
	v_mul_lo_u32 v19, v19, v17
	v_sub_nc_u32_e32 v19, v18, v19
	s_delay_alu instid0(VALU_DEP_1) | instskip(SKIP_1) | instid1(VALU_DEP_2)
	v_and_b32_e32 v18, 0xffff, v19
	v_bfe_i32 v19, v19, 0, 16
	v_cmp_eq_u32_e64 s0, 0, v18
	v_mov_b32_e32 v18, v17
	s_or_b32 s6, s0, s6
	s_delay_alu instid0(SALU_CYCLE_1)
	s_and_not1_b32 exec_lo, exec_lo, s6
	s_cbranch_execnz .LBB32_66
; %bb.67:
	s_or_b32 exec_lo, exec_lo, s6
.LBB32_68:
	s_delay_alu instid0(SALU_CYCLE_1)
	s_or_b32 exec_lo, exec_lo, s3
	v_bfi_b32 v1, 0xffff, v17, v1
.LBB32_69:
	s_or_b32 exec_lo, exec_lo, s1
	v_or_b32_e32 v17, 0x300, v0
	s_mov_b32 s1, exec_lo
	s_delay_alu instid0(VALU_DEP_1)
	v_cmpx_gt_i32_e64 s10, v17
	s_cbranch_execz .LBB32_75
; %bb.70:
	s_mov_b32 s6, 0
	s_mov_b32 s3, exec_lo
	s_wait_loadcnt 0x0
	v_cmpx_ne_u16_e32 0, v16
	s_cbranch_execz .LBB32_74
; %bb.71:
	v_sub_nc_u16 v17, 0, v16
	s_delay_alu instid0(VALU_DEP_1) | instskip(SKIP_1) | instid1(VALU_DEP_2)
	v_max_i16 v17, v16, v17
	v_and_b32_e32 v16, 0xffff, v15
	v_and_b32_e32 v17, 0xffff, v17
.LBB32_72:                              ; =>This Inner Loop Header: Depth=1
	s_delay_alu instid0(VALU_DEP_1) | instskip(NEXT) | instid1(VALU_DEP_2)
	v_bfe_i32 v19, v16, 0, 16
	v_mov_b32_e32 v15, v17
	s_delay_alu instid0(VALU_DEP_2) | instskip(NEXT) | instid1(VALU_DEP_2)
	v_cvt_f32_i32_e32 v21, v19
	v_bfe_i32 v17, v15, 0, 16
	s_delay_alu instid0(VALU_DEP_1) | instskip(SKIP_1) | instid1(VALU_DEP_2)
	v_cvt_f32_i32_e32 v18, v17
	v_xor_b32_e32 v17, v19, v17
	v_rcp_iflag_f32_e32 v20, v18
	v_nop
	s_delay_alu instid0(TRANS32_DEP_1) | instskip(NEXT) | instid1(VALU_DEP_1)
	v_dual_ashrrev_i32 v17, 30, v17 :: v_dual_mul_f32 v19, v21, v20
	v_trunc_f32_e32 v19, v19
	s_delay_alu instid0(VALU_DEP_1) | instskip(SKIP_1) | instid1(VALU_DEP_2)
	v_dual_fma_f32 v20, -v19, v18, v21 :: v_dual_bitop2_b32 v17, 1, v17 bitop3:0x54
	v_cvt_i32_f32_e32 v19, v19
	v_cmp_ge_f32_e64 s0, |v20|, |v18|
	s_delay_alu instid0(VALU_DEP_1) | instskip(NEXT) | instid1(VALU_DEP_1)
	v_cndmask_b32_e64 v17, 0, v17, s0
	v_add_nc_u32_e32 v17, v19, v17
	s_delay_alu instid0(VALU_DEP_1) | instskip(NEXT) | instid1(VALU_DEP_1)
	v_mul_lo_u32 v17, v17, v15
	v_sub_nc_u32_e32 v17, v16, v17
	s_delay_alu instid0(VALU_DEP_1) | instskip(SKIP_1) | instid1(VALU_DEP_2)
	v_and_b32_e32 v16, 0xffff, v17
	v_bfe_i32 v17, v17, 0, 16
	v_cmp_eq_u32_e64 s0, 0, v16
	v_mov_b32_e32 v16, v15
	s_or_b32 s6, s0, s6
	s_delay_alu instid0(SALU_CYCLE_1)
	s_and_not1_b32 exec_lo, exec_lo, s6
	s_cbranch_execnz .LBB32_72
; %bb.73:
	s_or_b32 exec_lo, exec_lo, s6
.LBB32_74:
	s_delay_alu instid0(SALU_CYCLE_1)
	s_or_b32 exec_lo, exec_lo, s3
	v_perm_b32 v1, v15, v1, 0x5040100
.LBB32_75:
	s_or_b32 exec_lo, exec_lo, s1
	v_or_b32_e32 v15, 0x400, v0
	s_mov_b32 s1, exec_lo
	s_delay_alu instid0(VALU_DEP_1)
	v_cmpx_gt_i32_e64 s10, v15
	s_cbranch_execz .LBB32_81
; %bb.76:
	s_mov_b32 s6, 0
	s_mov_b32 s3, exec_lo
	s_wait_loadcnt 0x0
	v_cmpx_ne_u16_e32 0, v14
	s_cbranch_execz .LBB32_80
; %bb.77:
	v_sub_nc_u16 v15, 0, v14
	s_delay_alu instid0(VALU_DEP_1) | instskip(SKIP_1) | instid1(VALU_DEP_2)
	v_max_i16 v15, v14, v15
	v_and_b32_e32 v14, 0xffff, v13
	v_and_b32_e32 v15, 0xffff, v15
.LBB32_78:                              ; =>This Inner Loop Header: Depth=1
	s_delay_alu instid0(VALU_DEP_1) | instskip(NEXT) | instid1(VALU_DEP_2)
	v_bfe_i32 v17, v14, 0, 16
	v_mov_b32_e32 v13, v15
	s_delay_alu instid0(VALU_DEP_2) | instskip(NEXT) | instid1(VALU_DEP_2)
	v_cvt_f32_i32_e32 v19, v17
	v_bfe_i32 v15, v13, 0, 16
	s_delay_alu instid0(VALU_DEP_1) | instskip(SKIP_1) | instid1(VALU_DEP_2)
	v_cvt_f32_i32_e32 v16, v15
	v_xor_b32_e32 v15, v17, v15
	v_rcp_iflag_f32_e32 v18, v16
	v_nop
	s_delay_alu instid0(TRANS32_DEP_1) | instskip(NEXT) | instid1(VALU_DEP_1)
	v_dual_ashrrev_i32 v15, 30, v15 :: v_dual_mul_f32 v17, v19, v18
	v_trunc_f32_e32 v17, v17
	s_delay_alu instid0(VALU_DEP_1) | instskip(SKIP_1) | instid1(VALU_DEP_2)
	v_dual_fma_f32 v18, -v17, v16, v19 :: v_dual_bitop2_b32 v15, 1, v15 bitop3:0x54
	v_cvt_i32_f32_e32 v17, v17
	v_cmp_ge_f32_e64 s0, |v18|, |v16|
	s_delay_alu instid0(VALU_DEP_1) | instskip(NEXT) | instid1(VALU_DEP_1)
	v_cndmask_b32_e64 v15, 0, v15, s0
	v_add_nc_u32_e32 v15, v17, v15
	s_delay_alu instid0(VALU_DEP_1) | instskip(NEXT) | instid1(VALU_DEP_1)
	v_mul_lo_u32 v15, v15, v13
	v_sub_nc_u32_e32 v15, v14, v15
	s_delay_alu instid0(VALU_DEP_1) | instskip(SKIP_1) | instid1(VALU_DEP_2)
	v_and_b32_e32 v14, 0xffff, v15
	v_bfe_i32 v15, v15, 0, 16
	v_cmp_eq_u32_e64 s0, 0, v14
	v_mov_b32_e32 v14, v13
	s_or_b32 s6, s0, s6
	s_delay_alu instid0(SALU_CYCLE_1)
	s_and_not1_b32 exec_lo, exec_lo, s6
	s_cbranch_execnz .LBB32_78
; %bb.79:
	s_or_b32 exec_lo, exec_lo, s6
.LBB32_80:
	s_delay_alu instid0(SALU_CYCLE_1)
	s_or_b32 exec_lo, exec_lo, s3
	v_bfi_b32 v2, 0xffff, v13, v2
.LBB32_81:
	s_or_b32 exec_lo, exec_lo, s1
	v_or_b32_e32 v13, 0x500, v0
	s_mov_b32 s1, exec_lo
	s_delay_alu instid0(VALU_DEP_1)
	v_cmpx_gt_i32_e64 s10, v13
	s_cbranch_execz .LBB32_87
; %bb.82:
	s_mov_b32 s6, 0
	s_mov_b32 s3, exec_lo
	s_wait_loadcnt 0x0
	v_cmpx_ne_u16_e32 0, v12
	s_cbranch_execz .LBB32_86
; %bb.83:
	v_sub_nc_u16 v13, 0, v12
	s_delay_alu instid0(VALU_DEP_1) | instskip(SKIP_1) | instid1(VALU_DEP_2)
	v_max_i16 v13, v12, v13
	v_and_b32_e32 v12, 0xffff, v11
	v_and_b32_e32 v13, 0xffff, v13
.LBB32_84:                              ; =>This Inner Loop Header: Depth=1
	s_delay_alu instid0(VALU_DEP_1) | instskip(NEXT) | instid1(VALU_DEP_2)
	v_bfe_i32 v15, v12, 0, 16
	v_mov_b32_e32 v11, v13
	s_delay_alu instid0(VALU_DEP_2) | instskip(NEXT) | instid1(VALU_DEP_2)
	v_cvt_f32_i32_e32 v17, v15
	v_bfe_i32 v13, v11, 0, 16
	s_delay_alu instid0(VALU_DEP_1) | instskip(SKIP_1) | instid1(VALU_DEP_2)
	v_cvt_f32_i32_e32 v14, v13
	v_xor_b32_e32 v13, v15, v13
	v_rcp_iflag_f32_e32 v16, v14
	v_nop
	s_delay_alu instid0(TRANS32_DEP_1) | instskip(NEXT) | instid1(VALU_DEP_1)
	v_dual_ashrrev_i32 v13, 30, v13 :: v_dual_mul_f32 v15, v17, v16
	v_trunc_f32_e32 v15, v15
	s_delay_alu instid0(VALU_DEP_1) | instskip(SKIP_1) | instid1(VALU_DEP_2)
	v_dual_fma_f32 v16, -v15, v14, v17 :: v_dual_bitop2_b32 v13, 1, v13 bitop3:0x54
	v_cvt_i32_f32_e32 v15, v15
	v_cmp_ge_f32_e64 s0, |v16|, |v14|
	s_delay_alu instid0(VALU_DEP_1) | instskip(NEXT) | instid1(VALU_DEP_1)
	v_cndmask_b32_e64 v13, 0, v13, s0
	v_add_nc_u32_e32 v13, v15, v13
	s_delay_alu instid0(VALU_DEP_1) | instskip(NEXT) | instid1(VALU_DEP_1)
	v_mul_lo_u32 v13, v13, v11
	v_sub_nc_u32_e32 v13, v12, v13
	s_delay_alu instid0(VALU_DEP_1) | instskip(SKIP_1) | instid1(VALU_DEP_2)
	v_and_b32_e32 v12, 0xffff, v13
	v_bfe_i32 v13, v13, 0, 16
	v_cmp_eq_u32_e64 s0, 0, v12
	v_mov_b32_e32 v12, v11
	s_or_b32 s6, s0, s6
	s_delay_alu instid0(SALU_CYCLE_1)
	s_and_not1_b32 exec_lo, exec_lo, s6
	s_cbranch_execnz .LBB32_84
; %bb.85:
	s_or_b32 exec_lo, exec_lo, s6
.LBB32_86:
	s_delay_alu instid0(SALU_CYCLE_1)
	s_or_b32 exec_lo, exec_lo, s3
	v_perm_b32 v2, v11, v2, 0x5040100
.LBB32_87:
	s_or_b32 exec_lo, exec_lo, s1
	v_or_b32_e32 v11, 0x600, v0
	s_mov_b32 s1, exec_lo
	s_delay_alu instid0(VALU_DEP_1)
	v_cmpx_gt_i32_e64 s10, v11
	s_cbranch_execz .LBB32_93
; %bb.88:
	s_mov_b32 s6, 0
	s_mov_b32 s3, exec_lo
	s_wait_loadcnt 0x0
	v_cmpx_ne_u16_e32 0, v10
	s_cbranch_execz .LBB32_92
; %bb.89:
	v_sub_nc_u16 v11, 0, v10
	s_delay_alu instid0(VALU_DEP_1) | instskip(SKIP_1) | instid1(VALU_DEP_2)
	v_max_i16 v11, v10, v11
	v_and_b32_e32 v10, 0xffff, v9
	v_and_b32_e32 v11, 0xffff, v11
.LBB32_90:                              ; =>This Inner Loop Header: Depth=1
	s_delay_alu instid0(VALU_DEP_1) | instskip(NEXT) | instid1(VALU_DEP_2)
	v_bfe_i32 v13, v10, 0, 16
	v_mov_b32_e32 v9, v11
	s_delay_alu instid0(VALU_DEP_2) | instskip(NEXT) | instid1(VALU_DEP_2)
	v_cvt_f32_i32_e32 v15, v13
	v_bfe_i32 v11, v9, 0, 16
	s_delay_alu instid0(VALU_DEP_1) | instskip(SKIP_1) | instid1(VALU_DEP_2)
	v_cvt_f32_i32_e32 v12, v11
	v_xor_b32_e32 v11, v13, v11
	v_rcp_iflag_f32_e32 v14, v12
	v_nop
	s_delay_alu instid0(TRANS32_DEP_1) | instskip(NEXT) | instid1(VALU_DEP_1)
	v_dual_ashrrev_i32 v11, 30, v11 :: v_dual_mul_f32 v13, v15, v14
	v_trunc_f32_e32 v13, v13
	s_delay_alu instid0(VALU_DEP_1) | instskip(SKIP_1) | instid1(VALU_DEP_2)
	v_dual_fma_f32 v14, -v13, v12, v15 :: v_dual_bitop2_b32 v11, 1, v11 bitop3:0x54
	v_cvt_i32_f32_e32 v13, v13
	v_cmp_ge_f32_e64 s0, |v14|, |v12|
	s_delay_alu instid0(VALU_DEP_1) | instskip(NEXT) | instid1(VALU_DEP_1)
	v_cndmask_b32_e64 v11, 0, v11, s0
	v_add_nc_u32_e32 v11, v13, v11
	s_delay_alu instid0(VALU_DEP_1) | instskip(NEXT) | instid1(VALU_DEP_1)
	v_mul_lo_u32 v11, v11, v9
	v_sub_nc_u32_e32 v11, v10, v11
	s_delay_alu instid0(VALU_DEP_1) | instskip(SKIP_1) | instid1(VALU_DEP_2)
	v_and_b32_e32 v10, 0xffff, v11
	v_bfe_i32 v11, v11, 0, 16
	v_cmp_eq_u32_e64 s0, 0, v10
	v_mov_b32_e32 v10, v9
	s_or_b32 s6, s0, s6
	s_delay_alu instid0(SALU_CYCLE_1)
	s_and_not1_b32 exec_lo, exec_lo, s6
	s_cbranch_execnz .LBB32_90
; %bb.91:
	s_or_b32 exec_lo, exec_lo, s6
.LBB32_92:
	s_delay_alu instid0(SALU_CYCLE_1)
	s_or_b32 exec_lo, exec_lo, s3
	v_bfi_b32 v3, 0xffff, v9, v3
.LBB32_93:
	s_or_b32 exec_lo, exec_lo, s1
	v_or_b32_e32 v9, 0x700, v0
	s_mov_b32 s1, exec_lo
	s_delay_alu instid0(VALU_DEP_1)
	v_cmpx_gt_i32_e64 s10, v9
	s_cbranch_execnz .LBB32_104
; %bb.94:
	s_or_b32 exec_lo, exec_lo, s1
	s_and_saveexec_b32 s0, vcc_lo
	s_delay_alu instid0(SALU_CYCLE_1)
	s_xor_b32 s0, exec_lo, s0
	s_cbranch_execnz .LBB32_109
.LBB32_95:
	s_or_b32 exec_lo, exec_lo, s0
	s_delay_alu instid0(SALU_CYCLE_1)
	s_mov_b32 s0, exec_lo
	v_cmpx_gt_i32_e64 s10, v0
	s_cbranch_execnz .LBB32_110
.LBB32_96:
	s_or_b32 exec_lo, exec_lo, s0
	s_delay_alu instid0(SALU_CYCLE_1)
	s_mov_b32 s0, exec_lo
	v_cmpx_gt_i32_e64 s10, v0
	s_cbranch_execnz .LBB32_111
.LBB32_97:
	s_or_b32 exec_lo, exec_lo, s0
	s_delay_alu instid0(SALU_CYCLE_1)
	s_mov_b32 s0, exec_lo
	v_cmpx_gt_i32_e64 s10, v0
	s_cbranch_execnz .LBB32_112
.LBB32_98:
	s_or_b32 exec_lo, exec_lo, s0
	s_delay_alu instid0(SALU_CYCLE_1)
	s_mov_b32 s0, exec_lo
	v_cmpx_gt_i32_e64 s10, v0
	s_cbranch_execnz .LBB32_113
.LBB32_99:
	s_or_b32 exec_lo, exec_lo, s0
	s_delay_alu instid0(SALU_CYCLE_1)
	s_mov_b32 s0, exec_lo
	v_cmpx_gt_i32_e64 s10, v0
	s_cbranch_execnz .LBB32_114
.LBB32_100:
	s_or_b32 exec_lo, exec_lo, s0
	s_delay_alu instid0(SALU_CYCLE_1)
	s_mov_b32 s0, exec_lo
	v_cmpx_gt_i32_e64 s10, v0
	s_cbranch_execnz .LBB32_115
.LBB32_101:
	s_or_b32 exec_lo, exec_lo, s0
	s_delay_alu instid0(SALU_CYCLE_1)
	s_mov_b32 s0, exec_lo
	v_cmpx_gt_i32_e64 s10, v0
	s_cbranch_execz .LBB32_103
.LBB32_102:
	v_add_nc_u32_e32 v0, s2, v0
	global_store_d16_hi_b16 v0, v3, s[4:5] scale_offset
.LBB32_103:
	s_endpgm
.LBB32_104:
	s_mov_b32 s6, 0
	s_mov_b32 s3, exec_lo
	s_wait_loadcnt 0x0
	v_cmpx_ne_u16_e32 0, v8
	s_cbranch_execz .LBB32_108
; %bb.105:
	v_sub_nc_u16 v9, 0, v8
	s_delay_alu instid0(VALU_DEP_1) | instskip(SKIP_1) | instid1(VALU_DEP_2)
	v_max_i16 v9, v8, v9
	v_and_b32_e32 v8, 0xffff, v7
	v_and_b32_e32 v9, 0xffff, v9
.LBB32_106:                             ; =>This Inner Loop Header: Depth=1
	s_delay_alu instid0(VALU_DEP_1) | instskip(NEXT) | instid1(VALU_DEP_2)
	v_bfe_i32 v11, v8, 0, 16
	v_mov_b32_e32 v7, v9
	s_delay_alu instid0(VALU_DEP_2) | instskip(NEXT) | instid1(VALU_DEP_2)
	v_cvt_f32_i32_e32 v13, v11
	v_bfe_i32 v9, v7, 0, 16
	s_delay_alu instid0(VALU_DEP_1) | instskip(SKIP_1) | instid1(VALU_DEP_2)
	v_cvt_f32_i32_e32 v10, v9
	v_xor_b32_e32 v9, v11, v9
	v_rcp_iflag_f32_e32 v12, v10
	v_nop
	s_delay_alu instid0(TRANS32_DEP_1) | instskip(NEXT) | instid1(VALU_DEP_1)
	v_dual_ashrrev_i32 v9, 30, v9 :: v_dual_mul_f32 v11, v13, v12
	v_trunc_f32_e32 v11, v11
	s_delay_alu instid0(VALU_DEP_1) | instskip(SKIP_1) | instid1(VALU_DEP_2)
	v_dual_fma_f32 v12, -v11, v10, v13 :: v_dual_bitop2_b32 v9, 1, v9 bitop3:0x54
	v_cvt_i32_f32_e32 v11, v11
	v_cmp_ge_f32_e64 s0, |v12|, |v10|
	s_delay_alu instid0(VALU_DEP_1) | instskip(NEXT) | instid1(VALU_DEP_1)
	v_cndmask_b32_e64 v9, 0, v9, s0
	v_add_nc_u32_e32 v9, v11, v9
	s_delay_alu instid0(VALU_DEP_1) | instskip(NEXT) | instid1(VALU_DEP_1)
	v_mul_lo_u32 v9, v9, v7
	v_sub_nc_u32_e32 v9, v8, v9
	s_delay_alu instid0(VALU_DEP_1) | instskip(SKIP_1) | instid1(VALU_DEP_2)
	v_and_b32_e32 v8, 0xffff, v9
	v_bfe_i32 v9, v9, 0, 16
	v_cmp_eq_u32_e64 s0, 0, v8
	v_mov_b32_e32 v8, v7
	s_or_b32 s6, s0, s6
	s_delay_alu instid0(SALU_CYCLE_1)
	s_and_not1_b32 exec_lo, exec_lo, s6
	s_cbranch_execnz .LBB32_106
; %bb.107:
	s_or_b32 exec_lo, exec_lo, s6
.LBB32_108:
	s_delay_alu instid0(SALU_CYCLE_1) | instskip(SKIP_3) | instid1(SALU_CYCLE_1)
	s_or_b32 exec_lo, exec_lo, s3
	v_perm_b32 v3, v7, v3, 0x5040100
	s_or_b32 exec_lo, exec_lo, s1
	s_and_saveexec_b32 s0, vcc_lo
	s_xor_b32 s0, exec_lo, s0
	s_cbranch_execz .LBB32_95
.LBB32_109:
	v_mov_b32_e32 v0, v6
	global_store_b16 v5, v4, s[4:5] scale_offset
	s_wait_xcnt 0x0
	s_or_b32 exec_lo, exec_lo, s0
	s_delay_alu instid0(SALU_CYCLE_1)
	s_mov_b32 s0, exec_lo
	v_cmpx_gt_i32_e64 s10, v0
	s_cbranch_execz .LBB32_96
.LBB32_110:
	v_add_nc_u32_e32 v5, s2, v0
	v_add_nc_u32_e32 v0, 0x100, v0
	global_store_d16_hi_b16 v5, v4, s[4:5] scale_offset
	s_wait_xcnt 0x0
	s_or_b32 exec_lo, exec_lo, s0
	s_delay_alu instid0(SALU_CYCLE_1)
	s_mov_b32 s0, exec_lo
	v_cmpx_gt_i32_e64 s10, v0
	s_cbranch_execz .LBB32_97
.LBB32_111:
	v_add_nc_u32_e32 v4, s2, v0
	v_add_nc_u32_e32 v0, 0x100, v0
	global_store_b16 v4, v1, s[4:5] scale_offset
	s_wait_xcnt 0x0
	s_or_b32 exec_lo, exec_lo, s0
	s_delay_alu instid0(SALU_CYCLE_1)
	s_mov_b32 s0, exec_lo
	v_cmpx_gt_i32_e64 s10, v0
	s_cbranch_execz .LBB32_98
.LBB32_112:
	v_add_nc_u32_e32 v4, s2, v0
	v_add_nc_u32_e32 v0, 0x100, v0
	global_store_d16_hi_b16 v4, v1, s[4:5] scale_offset
	s_wait_xcnt 0x0
	s_or_b32 exec_lo, exec_lo, s0
	s_delay_alu instid0(SALU_CYCLE_1)
	s_mov_b32 s0, exec_lo
	v_cmpx_gt_i32_e64 s10, v0
	s_cbranch_execz .LBB32_99
.LBB32_113:
	v_add_nc_u32_e32 v1, s2, v0
	v_add_nc_u32_e32 v0, 0x100, v0
	global_store_b16 v1, v2, s[4:5] scale_offset
	s_wait_xcnt 0x0
	s_or_b32 exec_lo, exec_lo, s0
	s_delay_alu instid0(SALU_CYCLE_1)
	s_mov_b32 s0, exec_lo
	v_cmpx_gt_i32_e64 s10, v0
	s_cbranch_execz .LBB32_100
.LBB32_114:
	v_add_nc_u32_e32 v1, s2, v0
	v_add_nc_u32_e32 v0, 0x100, v0
	global_store_d16_hi_b16 v1, v2, s[4:5] scale_offset
	s_wait_xcnt 0x0
	s_or_b32 exec_lo, exec_lo, s0
	s_delay_alu instid0(SALU_CYCLE_1)
	s_mov_b32 s0, exec_lo
	v_cmpx_gt_i32_e64 s10, v0
	s_cbranch_execz .LBB32_101
.LBB32_115:
	v_add_nc_u32_e32 v1, s2, v0
	v_add_nc_u32_e32 v0, 0x100, v0
	global_store_b16 v1, v3, s[4:5] scale_offset
	s_wait_xcnt 0x0
	s_or_b32 exec_lo, exec_lo, s0
	s_delay_alu instid0(SALU_CYCLE_1)
	s_mov_b32 s0, exec_lo
	v_cmpx_gt_i32_e64 s10, v0
	s_cbranch_execnz .LBB32_102
	s_branch .LBB32_103
	.section	.rodata,"a",@progbits
	.p2align	6, 0x0
	.amdhsa_kernel _ZN2at6native29vectorized_elementwise_kernelILi16EZZZNS0_15gcd_kernel_cudaERNS_18TensorIteratorBaseEENKUlvE_clEvENKUlvE3_clEvEUlssE_St5arrayIPcLm3EEEEviT0_T1_
		.amdhsa_group_segment_fixed_size 0
		.amdhsa_private_segment_fixed_size 0
		.amdhsa_kernarg_size 32
		.amdhsa_user_sgpr_count 2
		.amdhsa_user_sgpr_dispatch_ptr 0
		.amdhsa_user_sgpr_queue_ptr 0
		.amdhsa_user_sgpr_kernarg_segment_ptr 1
		.amdhsa_user_sgpr_dispatch_id 0
		.amdhsa_user_sgpr_kernarg_preload_length 0
		.amdhsa_user_sgpr_kernarg_preload_offset 0
		.amdhsa_user_sgpr_private_segment_size 0
		.amdhsa_wavefront_size32 1
		.amdhsa_uses_dynamic_stack 0
		.amdhsa_enable_private_segment 0
		.amdhsa_system_sgpr_workgroup_id_x 1
		.amdhsa_system_sgpr_workgroup_id_y 0
		.amdhsa_system_sgpr_workgroup_id_z 0
		.amdhsa_system_sgpr_workgroup_info 0
		.amdhsa_system_vgpr_workitem_id 0
		.amdhsa_next_free_vgpr 26
		.amdhsa_next_free_sgpr 14
		.amdhsa_named_barrier_count 0
		.amdhsa_reserve_vcc 1
		.amdhsa_float_round_mode_32 0
		.amdhsa_float_round_mode_16_64 0
		.amdhsa_float_denorm_mode_32 3
		.amdhsa_float_denorm_mode_16_64 3
		.amdhsa_fp16_overflow 0
		.amdhsa_memory_ordered 1
		.amdhsa_forward_progress 1
		.amdhsa_inst_pref_size 47
		.amdhsa_round_robin_scheduling 0
		.amdhsa_exception_fp_ieee_invalid_op 0
		.amdhsa_exception_fp_denorm_src 0
		.amdhsa_exception_fp_ieee_div_zero 0
		.amdhsa_exception_fp_ieee_overflow 0
		.amdhsa_exception_fp_ieee_underflow 0
		.amdhsa_exception_fp_ieee_inexact 0
		.amdhsa_exception_int_div_zero 0
	.end_amdhsa_kernel
	.section	.text._ZN2at6native29vectorized_elementwise_kernelILi16EZZZNS0_15gcd_kernel_cudaERNS_18TensorIteratorBaseEENKUlvE_clEvENKUlvE3_clEvEUlssE_St5arrayIPcLm3EEEEviT0_T1_,"axG",@progbits,_ZN2at6native29vectorized_elementwise_kernelILi16EZZZNS0_15gcd_kernel_cudaERNS_18TensorIteratorBaseEENKUlvE_clEvENKUlvE3_clEvEUlssE_St5arrayIPcLm3EEEEviT0_T1_,comdat
.Lfunc_end32:
	.size	_ZN2at6native29vectorized_elementwise_kernelILi16EZZZNS0_15gcd_kernel_cudaERNS_18TensorIteratorBaseEENKUlvE_clEvENKUlvE3_clEvEUlssE_St5arrayIPcLm3EEEEviT0_T1_, .Lfunc_end32-_ZN2at6native29vectorized_elementwise_kernelILi16EZZZNS0_15gcd_kernel_cudaERNS_18TensorIteratorBaseEENKUlvE_clEvENKUlvE3_clEvEUlssE_St5arrayIPcLm3EEEEviT0_T1_
                                        ; -- End function
	.set _ZN2at6native29vectorized_elementwise_kernelILi16EZZZNS0_15gcd_kernel_cudaERNS_18TensorIteratorBaseEENKUlvE_clEvENKUlvE3_clEvEUlssE_St5arrayIPcLm3EEEEviT0_T1_.num_vgpr, 26
	.set _ZN2at6native29vectorized_elementwise_kernelILi16EZZZNS0_15gcd_kernel_cudaERNS_18TensorIteratorBaseEENKUlvE_clEvENKUlvE3_clEvEUlssE_St5arrayIPcLm3EEEEviT0_T1_.num_agpr, 0
	.set _ZN2at6native29vectorized_elementwise_kernelILi16EZZZNS0_15gcd_kernel_cudaERNS_18TensorIteratorBaseEENKUlvE_clEvENKUlvE3_clEvEUlssE_St5arrayIPcLm3EEEEviT0_T1_.numbered_sgpr, 14
	.set _ZN2at6native29vectorized_elementwise_kernelILi16EZZZNS0_15gcd_kernel_cudaERNS_18TensorIteratorBaseEENKUlvE_clEvENKUlvE3_clEvEUlssE_St5arrayIPcLm3EEEEviT0_T1_.num_named_barrier, 0
	.set _ZN2at6native29vectorized_elementwise_kernelILi16EZZZNS0_15gcd_kernel_cudaERNS_18TensorIteratorBaseEENKUlvE_clEvENKUlvE3_clEvEUlssE_St5arrayIPcLm3EEEEviT0_T1_.private_seg_size, 0
	.set _ZN2at6native29vectorized_elementwise_kernelILi16EZZZNS0_15gcd_kernel_cudaERNS_18TensorIteratorBaseEENKUlvE_clEvENKUlvE3_clEvEUlssE_St5arrayIPcLm3EEEEviT0_T1_.uses_vcc, 1
	.set _ZN2at6native29vectorized_elementwise_kernelILi16EZZZNS0_15gcd_kernel_cudaERNS_18TensorIteratorBaseEENKUlvE_clEvENKUlvE3_clEvEUlssE_St5arrayIPcLm3EEEEviT0_T1_.uses_flat_scratch, 0
	.set _ZN2at6native29vectorized_elementwise_kernelILi16EZZZNS0_15gcd_kernel_cudaERNS_18TensorIteratorBaseEENKUlvE_clEvENKUlvE3_clEvEUlssE_St5arrayIPcLm3EEEEviT0_T1_.has_dyn_sized_stack, 0
	.set _ZN2at6native29vectorized_elementwise_kernelILi16EZZZNS0_15gcd_kernel_cudaERNS_18TensorIteratorBaseEENKUlvE_clEvENKUlvE3_clEvEUlssE_St5arrayIPcLm3EEEEviT0_T1_.has_recursion, 0
	.set _ZN2at6native29vectorized_elementwise_kernelILi16EZZZNS0_15gcd_kernel_cudaERNS_18TensorIteratorBaseEENKUlvE_clEvENKUlvE3_clEvEUlssE_St5arrayIPcLm3EEEEviT0_T1_.has_indirect_call, 0
	.section	.AMDGPU.csdata,"",@progbits
; Kernel info:
; codeLenInByte = 6004
; TotalNumSgprs: 16
; NumVgprs: 26
; ScratchSize: 0
; MemoryBound: 0
; FloatMode: 240
; IeeeMode: 1
; LDSByteSize: 0 bytes/workgroup (compile time only)
; SGPRBlocks: 0
; VGPRBlocks: 1
; NumSGPRsForWavesPerEU: 16
; NumVGPRsForWavesPerEU: 26
; NamedBarCnt: 0
; Occupancy: 16
; WaveLimiterHint : 0
; COMPUTE_PGM_RSRC2:SCRATCH_EN: 0
; COMPUTE_PGM_RSRC2:USER_SGPR: 2
; COMPUTE_PGM_RSRC2:TRAP_HANDLER: 0
; COMPUTE_PGM_RSRC2:TGID_X_EN: 1
; COMPUTE_PGM_RSRC2:TGID_Y_EN: 0
; COMPUTE_PGM_RSRC2:TGID_Z_EN: 0
; COMPUTE_PGM_RSRC2:TIDIG_COMP_CNT: 0
	.section	.text._ZN2at6native29vectorized_elementwise_kernelILi8EZZZNS0_15gcd_kernel_cudaERNS_18TensorIteratorBaseEENKUlvE_clEvENKUlvE3_clEvEUlssE_St5arrayIPcLm3EEEEviT0_T1_,"axG",@progbits,_ZN2at6native29vectorized_elementwise_kernelILi8EZZZNS0_15gcd_kernel_cudaERNS_18TensorIteratorBaseEENKUlvE_clEvENKUlvE3_clEvEUlssE_St5arrayIPcLm3EEEEviT0_T1_,comdat
	.globl	_ZN2at6native29vectorized_elementwise_kernelILi8EZZZNS0_15gcd_kernel_cudaERNS_18TensorIteratorBaseEENKUlvE_clEvENKUlvE3_clEvEUlssE_St5arrayIPcLm3EEEEviT0_T1_ ; -- Begin function _ZN2at6native29vectorized_elementwise_kernelILi8EZZZNS0_15gcd_kernel_cudaERNS_18TensorIteratorBaseEENKUlvE_clEvENKUlvE3_clEvEUlssE_St5arrayIPcLm3EEEEviT0_T1_
	.p2align	8
	.type	_ZN2at6native29vectorized_elementwise_kernelILi8EZZZNS0_15gcd_kernel_cudaERNS_18TensorIteratorBaseEENKUlvE_clEvENKUlvE3_clEvEUlssE_St5arrayIPcLm3EEEEviT0_T1_,@function
_ZN2at6native29vectorized_elementwise_kernelILi8EZZZNS0_15gcd_kernel_cudaERNS_18TensorIteratorBaseEENKUlvE_clEvENKUlvE3_clEvEUlssE_St5arrayIPcLm3EEEEviT0_T1_: ; @_ZN2at6native29vectorized_elementwise_kernelILi8EZZZNS0_15gcd_kernel_cudaERNS_18TensorIteratorBaseEENKUlvE_clEvENKUlvE3_clEvEUlssE_St5arrayIPcLm3EEEEviT0_T1_
; %bb.0:
	s_clause 0x2
	s_load_b32 s3, s[0:1], 0x0
	s_load_b128 s[4:7], s[0:1], 0x8
	s_load_b64 s[8:9], s[0:1], 0x18
	s_wait_xcnt 0x0
	s_bfe_u32 s0, ttmp6, 0x4000c
	s_and_b32 s1, ttmp6, 15
	s_add_co_i32 s0, s0, 1
	s_getreg_b32 s2, hwreg(HW_REG_IB_STS2, 6, 4)
	s_mul_i32 s0, ttmp9, s0
	s_delay_alu instid0(SALU_CYCLE_1) | instskip(SKIP_2) | instid1(SALU_CYCLE_1)
	s_add_co_i32 s1, s1, s0
	s_cmp_eq_u32 s2, 0
	s_cselect_b32 s0, ttmp9, s1
	s_lshl_b32 s2, s0, 11
	s_mov_b32 s0, -1
	s_wait_kmcnt 0x0
	s_sub_co_i32 s10, s3, s2
	s_delay_alu instid0(SALU_CYCLE_1)
	s_cmp_gt_i32 s10, 0x7ff
	s_cbranch_scc0 .LBB33_34
; %bb.1:
	s_ashr_i32 s3, s2, 31
	s_delay_alu instid0(SALU_CYCLE_1)
	s_lshl_b64 s[0:1], s[2:3], 1
	s_mov_b32 s3, exec_lo
	s_add_nc_u64 s[12:13], s[8:9], s[0:1]
	global_load_b128 v[6:9], v0, s[12:13] scale_offset
	s_wait_xcnt 0x0
	s_add_nc_u64 s[12:13], s[6:7], s[0:1]
	global_load_b128 v[2:5], v0, s[12:13] scale_offset
	s_wait_loadcnt 0x1
	v_sub_nc_u16 v1, 0, v6
	s_delay_alu instid0(VALU_DEP_1)
	v_max_i16 v1, v6, v1
	s_wait_loadcnt 0x0
	v_cmpx_ne_u16_e32 0, v2
	s_cbranch_execz .LBB33_5
; %bb.2:
	v_sub_nc_u16 v10, 0, v2
	s_mov_b32 s11, 0
	s_delay_alu instid0(VALU_DEP_1) | instskip(SKIP_1) | instid1(VALU_DEP_2)
	v_max_i16 v11, v2, v10
	v_and_b32_e32 v10, 0xffff, v1
	v_and_b32_e32 v11, 0xffff, v11
.LBB33_3:                               ; =>This Inner Loop Header: Depth=1
	s_delay_alu instid0(VALU_DEP_1) | instskip(NEXT) | instid1(VALU_DEP_2)
	v_bfe_i32 v13, v10, 0, 16
	v_mov_b32_e32 v1, v11
	s_delay_alu instid0(VALU_DEP_2) | instskip(NEXT) | instid1(VALU_DEP_2)
	v_cvt_f32_i32_e32 v15, v13
	v_bfe_i32 v11, v1, 0, 16
	s_delay_alu instid0(VALU_DEP_1) | instskip(SKIP_1) | instid1(VALU_DEP_2)
	v_cvt_f32_i32_e32 v12, v11
	v_xor_b32_e32 v11, v13, v11
	v_rcp_iflag_f32_e32 v14, v12
	v_nop
	s_delay_alu instid0(TRANS32_DEP_1) | instskip(NEXT) | instid1(VALU_DEP_1)
	v_dual_ashrrev_i32 v11, 30, v11 :: v_dual_mul_f32 v13, v15, v14
	v_trunc_f32_e32 v13, v13
	s_delay_alu instid0(VALU_DEP_1) | instskip(SKIP_1) | instid1(VALU_DEP_2)
	v_dual_fma_f32 v14, -v13, v12, v15 :: v_dual_bitop2_b32 v11, 1, v11 bitop3:0x54
	v_cvt_i32_f32_e32 v13, v13
	v_cmp_ge_f32_e64 vcc_lo, |v14|, |v12|
	s_delay_alu instid0(VALU_DEP_3) | instskip(NEXT) | instid1(VALU_DEP_1)
	v_cndmask_b32_e32 v11, 0, v11, vcc_lo
	v_add_nc_u32_e32 v11, v13, v11
	s_delay_alu instid0(VALU_DEP_1) | instskip(NEXT) | instid1(VALU_DEP_1)
	v_mul_lo_u32 v11, v11, v1
	v_sub_nc_u32_e32 v11, v10, v11
	s_delay_alu instid0(VALU_DEP_1) | instskip(SKIP_1) | instid1(VALU_DEP_2)
	v_and_b32_e32 v10, 0xffff, v11
	v_bfe_i32 v11, v11, 0, 16
	v_cmp_eq_u32_e32 vcc_lo, 0, v10
	v_mov_b32_e32 v10, v1
	s_or_b32 s11, vcc_lo, s11
	s_delay_alu instid0(SALU_CYCLE_1)
	s_and_not1_b32 exec_lo, exec_lo, s11
	s_cbranch_execnz .LBB33_3
; %bb.4:
	s_or_b32 exec_lo, exec_lo, s11
.LBB33_5:
	s_delay_alu instid0(SALU_CYCLE_1) | instskip(SKIP_4) | instid1(VALU_DEP_2)
	s_or_b32 exec_lo, exec_lo, s3
	v_lshrrev_b32_e32 v10, 16, v6
	v_lshrrev_b32_e32 v6, 16, v2
	s_mov_b32 s11, 0
	s_mov_b32 s3, exec_lo
	v_sub_nc_u16 v11, 0, v10
	s_delay_alu instid0(VALU_DEP_1)
	v_max_i16 v2, v10, v11
	v_cmpx_ne_u16_e32 0, v6
	s_cbranch_execz .LBB33_9
; %bb.6:
	v_sub_nc_u16 v10, 0, v6
	s_delay_alu instid0(VALU_DEP_1) | instskip(SKIP_1) | instid1(VALU_DEP_2)
	v_max_i16 v10, v6, v10
	v_and_b32_e32 v6, 0xffff, v2
	v_and_b32_e32 v10, 0xffff, v10
.LBB33_7:                               ; =>This Inner Loop Header: Depth=1
	s_delay_alu instid0(VALU_DEP_1) | instskip(NEXT) | instid1(VALU_DEP_2)
	v_bfe_i32 v12, v6, 0, 16
	v_mov_b32_e32 v2, v10
	s_delay_alu instid0(VALU_DEP_2) | instskip(NEXT) | instid1(VALU_DEP_2)
	v_cvt_f32_i32_e32 v14, v12
	v_bfe_i32 v10, v2, 0, 16
	s_delay_alu instid0(VALU_DEP_1) | instskip(SKIP_1) | instid1(VALU_DEP_2)
	v_cvt_f32_i32_e32 v11, v10
	v_xor_b32_e32 v10, v12, v10
	v_rcp_iflag_f32_e32 v13, v11
	v_nop
	s_delay_alu instid0(TRANS32_DEP_1) | instskip(NEXT) | instid1(VALU_DEP_1)
	v_dual_ashrrev_i32 v10, 30, v10 :: v_dual_mul_f32 v12, v14, v13
	v_trunc_f32_e32 v12, v12
	s_delay_alu instid0(VALU_DEP_1) | instskip(SKIP_1) | instid1(VALU_DEP_2)
	v_dual_fma_f32 v13, -v12, v11, v14 :: v_dual_bitop2_b32 v10, 1, v10 bitop3:0x54
	v_cvt_i32_f32_e32 v12, v12
	v_cmp_ge_f32_e64 vcc_lo, |v13|, |v11|
	s_delay_alu instid0(VALU_DEP_3) | instskip(NEXT) | instid1(VALU_DEP_1)
	v_cndmask_b32_e32 v10, 0, v10, vcc_lo
	v_add_nc_u32_e32 v10, v12, v10
	s_delay_alu instid0(VALU_DEP_1) | instskip(NEXT) | instid1(VALU_DEP_1)
	v_mul_lo_u32 v10, v10, v2
	v_sub_nc_u32_e32 v10, v6, v10
	s_delay_alu instid0(VALU_DEP_1) | instskip(SKIP_1) | instid1(VALU_DEP_2)
	v_and_b32_e32 v6, 0xffff, v10
	v_bfe_i32 v10, v10, 0, 16
	v_cmp_eq_u32_e32 vcc_lo, 0, v6
	v_mov_b32_e32 v6, v2
	s_or_b32 s11, vcc_lo, s11
	s_delay_alu instid0(SALU_CYCLE_1)
	s_and_not1_b32 exec_lo, exec_lo, s11
	s_cbranch_execnz .LBB33_7
; %bb.8:
	s_or_b32 exec_lo, exec_lo, s11
.LBB33_9:
	s_delay_alu instid0(SALU_CYCLE_1) | instskip(SKIP_3) | instid1(VALU_DEP_1)
	s_or_b32 exec_lo, exec_lo, s3
	v_sub_nc_u16 v6, 0, v7
	s_mov_b32 s11, 0
	s_mov_b32 s3, exec_lo
	v_max_i16 v6, v7, v6
	v_cmpx_ne_u16_e32 0, v3
	s_cbranch_execz .LBB33_13
; %bb.10:
	v_sub_nc_u16 v10, 0, v3
	s_delay_alu instid0(VALU_DEP_1) | instskip(SKIP_1) | instid1(VALU_DEP_2)
	v_max_i16 v11, v3, v10
	v_and_b32_e32 v10, 0xffff, v6
	v_and_b32_e32 v11, 0xffff, v11
.LBB33_11:                              ; =>This Inner Loop Header: Depth=1
	s_delay_alu instid0(VALU_DEP_1) | instskip(NEXT) | instid1(VALU_DEP_2)
	v_bfe_i32 v13, v10, 0, 16
	v_mov_b32_e32 v6, v11
	s_delay_alu instid0(VALU_DEP_2) | instskip(NEXT) | instid1(VALU_DEP_2)
	v_cvt_f32_i32_e32 v15, v13
	v_bfe_i32 v11, v6, 0, 16
	s_delay_alu instid0(VALU_DEP_1) | instskip(SKIP_1) | instid1(VALU_DEP_2)
	v_cvt_f32_i32_e32 v12, v11
	v_xor_b32_e32 v11, v13, v11
	v_rcp_iflag_f32_e32 v14, v12
	v_nop
	s_delay_alu instid0(TRANS32_DEP_1) | instskip(NEXT) | instid1(VALU_DEP_1)
	v_dual_ashrrev_i32 v11, 30, v11 :: v_dual_mul_f32 v13, v15, v14
	v_trunc_f32_e32 v13, v13
	s_delay_alu instid0(VALU_DEP_1) | instskip(SKIP_1) | instid1(VALU_DEP_2)
	v_dual_fma_f32 v14, -v13, v12, v15 :: v_dual_bitop2_b32 v11, 1, v11 bitop3:0x54
	v_cvt_i32_f32_e32 v13, v13
	v_cmp_ge_f32_e64 vcc_lo, |v14|, |v12|
	s_delay_alu instid0(VALU_DEP_3) | instskip(NEXT) | instid1(VALU_DEP_1)
	v_cndmask_b32_e32 v11, 0, v11, vcc_lo
	v_add_nc_u32_e32 v11, v13, v11
	s_delay_alu instid0(VALU_DEP_1) | instskip(NEXT) | instid1(VALU_DEP_1)
	v_mul_lo_u32 v11, v11, v6
	v_sub_nc_u32_e32 v11, v10, v11
	s_delay_alu instid0(VALU_DEP_1) | instskip(SKIP_1) | instid1(VALU_DEP_2)
	v_and_b32_e32 v10, 0xffff, v11
	v_bfe_i32 v11, v11, 0, 16
	v_cmp_eq_u32_e32 vcc_lo, 0, v10
	v_mov_b32_e32 v10, v6
	s_or_b32 s11, vcc_lo, s11
	s_delay_alu instid0(SALU_CYCLE_1)
	s_and_not1_b32 exec_lo, exec_lo, s11
	s_cbranch_execnz .LBB33_11
; %bb.12:
	s_or_b32 exec_lo, exec_lo, s11
.LBB33_13:
	s_delay_alu instid0(SALU_CYCLE_1) | instskip(SKIP_4) | instid1(VALU_DEP_2)
	s_or_b32 exec_lo, exec_lo, s3
	v_lshrrev_b32_e32 v10, 16, v7
	v_lshrrev_b32_e32 v7, 16, v3
	s_mov_b32 s11, 0
	s_mov_b32 s3, exec_lo
	v_sub_nc_u16 v11, 0, v10
	s_delay_alu instid0(VALU_DEP_1)
	v_max_i16 v3, v10, v11
	v_cmpx_ne_u16_e32 0, v7
	s_cbranch_execz .LBB33_17
; %bb.14:
	v_sub_nc_u16 v10, 0, v7
	s_delay_alu instid0(VALU_DEP_1) | instskip(SKIP_1) | instid1(VALU_DEP_2)
	v_max_i16 v10, v7, v10
	v_and_b32_e32 v7, 0xffff, v3
	v_and_b32_e32 v10, 0xffff, v10
.LBB33_15:                              ; =>This Inner Loop Header: Depth=1
	s_delay_alu instid0(VALU_DEP_1) | instskip(NEXT) | instid1(VALU_DEP_2)
	v_bfe_i32 v12, v7, 0, 16
	v_mov_b32_e32 v3, v10
	s_delay_alu instid0(VALU_DEP_2) | instskip(NEXT) | instid1(VALU_DEP_2)
	v_cvt_f32_i32_e32 v14, v12
	v_bfe_i32 v10, v3, 0, 16
	s_delay_alu instid0(VALU_DEP_1) | instskip(SKIP_1) | instid1(VALU_DEP_2)
	v_cvt_f32_i32_e32 v11, v10
	v_xor_b32_e32 v10, v12, v10
	v_rcp_iflag_f32_e32 v13, v11
	v_nop
	s_delay_alu instid0(TRANS32_DEP_1) | instskip(NEXT) | instid1(VALU_DEP_1)
	v_dual_ashrrev_i32 v10, 30, v10 :: v_dual_mul_f32 v12, v14, v13
	v_trunc_f32_e32 v12, v12
	s_delay_alu instid0(VALU_DEP_1) | instskip(SKIP_1) | instid1(VALU_DEP_2)
	v_dual_fma_f32 v13, -v12, v11, v14 :: v_dual_bitop2_b32 v10, 1, v10 bitop3:0x54
	v_cvt_i32_f32_e32 v12, v12
	v_cmp_ge_f32_e64 vcc_lo, |v13|, |v11|
	s_delay_alu instid0(VALU_DEP_3) | instskip(NEXT) | instid1(VALU_DEP_1)
	v_cndmask_b32_e32 v10, 0, v10, vcc_lo
	v_add_nc_u32_e32 v10, v12, v10
	s_delay_alu instid0(VALU_DEP_1) | instskip(NEXT) | instid1(VALU_DEP_1)
	v_mul_lo_u32 v10, v10, v3
	v_sub_nc_u32_e32 v10, v7, v10
	s_delay_alu instid0(VALU_DEP_1) | instskip(SKIP_1) | instid1(VALU_DEP_2)
	v_and_b32_e32 v7, 0xffff, v10
	v_bfe_i32 v10, v10, 0, 16
	v_cmp_eq_u32_e32 vcc_lo, 0, v7
	v_mov_b32_e32 v7, v3
	s_or_b32 s11, vcc_lo, s11
	s_delay_alu instid0(SALU_CYCLE_1)
	s_and_not1_b32 exec_lo, exec_lo, s11
	s_cbranch_execnz .LBB33_15
; %bb.16:
	s_or_b32 exec_lo, exec_lo, s11
.LBB33_17:
	s_delay_alu instid0(SALU_CYCLE_1) | instskip(SKIP_3) | instid1(VALU_DEP_1)
	s_or_b32 exec_lo, exec_lo, s3
	v_sub_nc_u16 v7, 0, v8
	s_mov_b32 s11, 0
	s_mov_b32 s3, exec_lo
	v_max_i16 v7, v8, v7
	v_cmpx_ne_u16_e32 0, v4
	s_cbranch_execz .LBB33_21
; %bb.18:
	v_sub_nc_u16 v10, 0, v4
	s_delay_alu instid0(VALU_DEP_1) | instskip(SKIP_1) | instid1(VALU_DEP_2)
	v_max_i16 v11, v4, v10
	v_and_b32_e32 v10, 0xffff, v7
	v_and_b32_e32 v11, 0xffff, v11
.LBB33_19:                              ; =>This Inner Loop Header: Depth=1
	s_delay_alu instid0(VALU_DEP_1) | instskip(NEXT) | instid1(VALU_DEP_2)
	v_bfe_i32 v13, v10, 0, 16
	v_mov_b32_e32 v7, v11
	s_delay_alu instid0(VALU_DEP_2) | instskip(NEXT) | instid1(VALU_DEP_2)
	v_cvt_f32_i32_e32 v15, v13
	v_bfe_i32 v11, v7, 0, 16
	s_delay_alu instid0(VALU_DEP_1) | instskip(SKIP_1) | instid1(VALU_DEP_2)
	v_cvt_f32_i32_e32 v12, v11
	v_xor_b32_e32 v11, v13, v11
	v_rcp_iflag_f32_e32 v14, v12
	v_nop
	s_delay_alu instid0(TRANS32_DEP_1) | instskip(NEXT) | instid1(VALU_DEP_1)
	v_dual_ashrrev_i32 v11, 30, v11 :: v_dual_mul_f32 v13, v15, v14
	v_trunc_f32_e32 v13, v13
	s_delay_alu instid0(VALU_DEP_1) | instskip(SKIP_1) | instid1(VALU_DEP_2)
	v_dual_fma_f32 v14, -v13, v12, v15 :: v_dual_bitop2_b32 v11, 1, v11 bitop3:0x54
	v_cvt_i32_f32_e32 v13, v13
	v_cmp_ge_f32_e64 vcc_lo, |v14|, |v12|
	s_delay_alu instid0(VALU_DEP_3) | instskip(NEXT) | instid1(VALU_DEP_1)
	v_cndmask_b32_e32 v11, 0, v11, vcc_lo
	v_add_nc_u32_e32 v11, v13, v11
	s_delay_alu instid0(VALU_DEP_1) | instskip(NEXT) | instid1(VALU_DEP_1)
	v_mul_lo_u32 v11, v11, v7
	v_sub_nc_u32_e32 v11, v10, v11
	s_delay_alu instid0(VALU_DEP_1) | instskip(SKIP_1) | instid1(VALU_DEP_2)
	v_and_b32_e32 v10, 0xffff, v11
	v_bfe_i32 v11, v11, 0, 16
	v_cmp_eq_u32_e32 vcc_lo, 0, v10
	v_mov_b32_e32 v10, v7
	s_or_b32 s11, vcc_lo, s11
	s_delay_alu instid0(SALU_CYCLE_1)
	s_and_not1_b32 exec_lo, exec_lo, s11
	s_cbranch_execnz .LBB33_19
; %bb.20:
	s_or_b32 exec_lo, exec_lo, s11
.LBB33_21:
	s_delay_alu instid0(SALU_CYCLE_1) | instskip(SKIP_4) | instid1(VALU_DEP_2)
	s_or_b32 exec_lo, exec_lo, s3
	v_lshrrev_b32_e32 v10, 16, v8
	v_lshrrev_b32_e32 v8, 16, v4
	s_mov_b32 s11, 0
	s_mov_b32 s3, exec_lo
	v_sub_nc_u16 v11, 0, v10
	s_delay_alu instid0(VALU_DEP_1)
	v_max_i16 v4, v10, v11
	v_cmpx_ne_u16_e32 0, v8
	s_cbranch_execz .LBB33_25
; %bb.22:
	v_sub_nc_u16 v10, 0, v8
	s_delay_alu instid0(VALU_DEP_1) | instskip(SKIP_1) | instid1(VALU_DEP_2)
	v_max_i16 v10, v8, v10
	v_and_b32_e32 v8, 0xffff, v4
	v_and_b32_e32 v10, 0xffff, v10
.LBB33_23:                              ; =>This Inner Loop Header: Depth=1
	s_delay_alu instid0(VALU_DEP_1) | instskip(NEXT) | instid1(VALU_DEP_2)
	v_bfe_i32 v12, v8, 0, 16
	v_mov_b32_e32 v4, v10
	s_delay_alu instid0(VALU_DEP_2) | instskip(NEXT) | instid1(VALU_DEP_2)
	v_cvt_f32_i32_e32 v14, v12
	v_bfe_i32 v10, v4, 0, 16
	s_delay_alu instid0(VALU_DEP_1) | instskip(SKIP_1) | instid1(VALU_DEP_2)
	v_cvt_f32_i32_e32 v11, v10
	v_xor_b32_e32 v10, v12, v10
	v_rcp_iflag_f32_e32 v13, v11
	v_nop
	s_delay_alu instid0(TRANS32_DEP_1) | instskip(NEXT) | instid1(VALU_DEP_1)
	v_dual_ashrrev_i32 v10, 30, v10 :: v_dual_mul_f32 v12, v14, v13
	v_trunc_f32_e32 v12, v12
	s_delay_alu instid0(VALU_DEP_1) | instskip(SKIP_1) | instid1(VALU_DEP_2)
	v_dual_fma_f32 v13, -v12, v11, v14 :: v_dual_bitop2_b32 v10, 1, v10 bitop3:0x54
	v_cvt_i32_f32_e32 v12, v12
	v_cmp_ge_f32_e64 vcc_lo, |v13|, |v11|
	s_delay_alu instid0(VALU_DEP_3) | instskip(NEXT) | instid1(VALU_DEP_1)
	v_cndmask_b32_e32 v10, 0, v10, vcc_lo
	v_add_nc_u32_e32 v10, v12, v10
	s_delay_alu instid0(VALU_DEP_1) | instskip(NEXT) | instid1(VALU_DEP_1)
	v_mul_lo_u32 v10, v10, v4
	v_sub_nc_u32_e32 v10, v8, v10
	s_delay_alu instid0(VALU_DEP_1) | instskip(SKIP_1) | instid1(VALU_DEP_2)
	v_and_b32_e32 v8, 0xffff, v10
	v_bfe_i32 v10, v10, 0, 16
	v_cmp_eq_u32_e32 vcc_lo, 0, v8
	v_mov_b32_e32 v8, v4
	s_or_b32 s11, vcc_lo, s11
	s_delay_alu instid0(SALU_CYCLE_1)
	s_and_not1_b32 exec_lo, exec_lo, s11
	s_cbranch_execnz .LBB33_23
; %bb.24:
	s_or_b32 exec_lo, exec_lo, s11
.LBB33_25:
	s_delay_alu instid0(SALU_CYCLE_1) | instskip(SKIP_3) | instid1(VALU_DEP_1)
	s_or_b32 exec_lo, exec_lo, s3
	v_sub_nc_u16 v8, 0, v9
	s_mov_b32 s11, 0
	s_mov_b32 s3, exec_lo
	v_max_i16 v8, v9, v8
	v_cmpx_ne_u16_e32 0, v5
	s_cbranch_execz .LBB33_29
; %bb.26:
	v_sub_nc_u16 v10, 0, v5
	s_delay_alu instid0(VALU_DEP_1) | instskip(SKIP_1) | instid1(VALU_DEP_2)
	v_max_i16 v11, v5, v10
	v_and_b32_e32 v10, 0xffff, v8
	v_and_b32_e32 v11, 0xffff, v11
.LBB33_27:                              ; =>This Inner Loop Header: Depth=1
	s_delay_alu instid0(VALU_DEP_1) | instskip(NEXT) | instid1(VALU_DEP_2)
	v_bfe_i32 v13, v10, 0, 16
	v_mov_b32_e32 v8, v11
	s_delay_alu instid0(VALU_DEP_2) | instskip(NEXT) | instid1(VALU_DEP_2)
	v_cvt_f32_i32_e32 v15, v13
	v_bfe_i32 v11, v8, 0, 16
	s_delay_alu instid0(VALU_DEP_1) | instskip(SKIP_1) | instid1(VALU_DEP_2)
	v_cvt_f32_i32_e32 v12, v11
	v_xor_b32_e32 v11, v13, v11
	v_rcp_iflag_f32_e32 v14, v12
	v_nop
	s_delay_alu instid0(TRANS32_DEP_1) | instskip(NEXT) | instid1(VALU_DEP_1)
	v_dual_ashrrev_i32 v11, 30, v11 :: v_dual_mul_f32 v13, v15, v14
	v_trunc_f32_e32 v13, v13
	s_delay_alu instid0(VALU_DEP_1) | instskip(SKIP_1) | instid1(VALU_DEP_2)
	v_dual_fma_f32 v14, -v13, v12, v15 :: v_dual_bitop2_b32 v11, 1, v11 bitop3:0x54
	v_cvt_i32_f32_e32 v13, v13
	v_cmp_ge_f32_e64 vcc_lo, |v14|, |v12|
	s_delay_alu instid0(VALU_DEP_3) | instskip(NEXT) | instid1(VALU_DEP_1)
	v_cndmask_b32_e32 v11, 0, v11, vcc_lo
	v_add_nc_u32_e32 v11, v13, v11
	s_delay_alu instid0(VALU_DEP_1) | instskip(NEXT) | instid1(VALU_DEP_1)
	v_mul_lo_u32 v11, v11, v8
	v_sub_nc_u32_e32 v11, v10, v11
	s_delay_alu instid0(VALU_DEP_1) | instskip(SKIP_1) | instid1(VALU_DEP_2)
	v_and_b32_e32 v10, 0xffff, v11
	v_bfe_i32 v11, v11, 0, 16
	v_cmp_eq_u32_e32 vcc_lo, 0, v10
	v_mov_b32_e32 v10, v8
	s_or_b32 s11, vcc_lo, s11
	s_delay_alu instid0(SALU_CYCLE_1)
	s_and_not1_b32 exec_lo, exec_lo, s11
	s_cbranch_execnz .LBB33_27
; %bb.28:
	s_or_b32 exec_lo, exec_lo, s11
.LBB33_29:
	s_delay_alu instid0(SALU_CYCLE_1) | instskip(SKIP_4) | instid1(VALU_DEP_2)
	s_or_b32 exec_lo, exec_lo, s3
	v_lshrrev_b32_e32 v10, 16, v9
	v_lshrrev_b32_e32 v9, 16, v5
	s_mov_b32 s11, 0
	s_mov_b32 s3, exec_lo
	v_sub_nc_u16 v11, 0, v10
	s_delay_alu instid0(VALU_DEP_1)
	v_max_i16 v5, v10, v11
	v_cmpx_ne_u16_e32 0, v9
	s_cbranch_execz .LBB33_33
; %bb.30:
	v_sub_nc_u16 v10, 0, v9
	s_delay_alu instid0(VALU_DEP_1) | instskip(SKIP_1) | instid1(VALU_DEP_2)
	v_max_i16 v10, v9, v10
	v_and_b32_e32 v9, 0xffff, v5
	v_and_b32_e32 v10, 0xffff, v10
.LBB33_31:                              ; =>This Inner Loop Header: Depth=1
	s_delay_alu instid0(VALU_DEP_1) | instskip(NEXT) | instid1(VALU_DEP_2)
	v_bfe_i32 v12, v9, 0, 16
	v_mov_b32_e32 v5, v10
	s_delay_alu instid0(VALU_DEP_2) | instskip(NEXT) | instid1(VALU_DEP_2)
	v_cvt_f32_i32_e32 v14, v12
	v_bfe_i32 v10, v5, 0, 16
	s_delay_alu instid0(VALU_DEP_1) | instskip(SKIP_1) | instid1(VALU_DEP_2)
	v_cvt_f32_i32_e32 v11, v10
	v_xor_b32_e32 v10, v12, v10
	v_rcp_iflag_f32_e32 v13, v11
	v_nop
	s_delay_alu instid0(TRANS32_DEP_1) | instskip(NEXT) | instid1(VALU_DEP_1)
	v_dual_ashrrev_i32 v10, 30, v10 :: v_dual_mul_f32 v12, v14, v13
	v_trunc_f32_e32 v12, v12
	s_delay_alu instid0(VALU_DEP_1) | instskip(SKIP_1) | instid1(VALU_DEP_2)
	v_dual_fma_f32 v13, -v12, v11, v14 :: v_dual_bitop2_b32 v10, 1, v10 bitop3:0x54
	v_cvt_i32_f32_e32 v12, v12
	v_cmp_ge_f32_e64 vcc_lo, |v13|, |v11|
	s_delay_alu instid0(VALU_DEP_3) | instskip(NEXT) | instid1(VALU_DEP_1)
	v_cndmask_b32_e32 v10, 0, v10, vcc_lo
	v_add_nc_u32_e32 v10, v12, v10
	s_delay_alu instid0(VALU_DEP_1) | instskip(NEXT) | instid1(VALU_DEP_1)
	v_mul_lo_u32 v10, v10, v5
	v_sub_nc_u32_e32 v10, v9, v10
	s_delay_alu instid0(VALU_DEP_1) | instskip(SKIP_1) | instid1(VALU_DEP_2)
	v_and_b32_e32 v9, 0xffff, v10
	v_bfe_i32 v10, v10, 0, 16
	v_cmp_eq_u32_e32 vcc_lo, 0, v9
	v_mov_b32_e32 v9, v5
	s_or_b32 s11, vcc_lo, s11
	s_delay_alu instid0(SALU_CYCLE_1)
	s_and_not1_b32 exec_lo, exec_lo, s11
	s_cbranch_execnz .LBB33_31
; %bb.32:
	s_or_b32 exec_lo, exec_lo, s11
.LBB33_33:
	s_delay_alu instid0(SALU_CYCLE_1) | instskip(NEXT) | instid1(VALU_DEP_2)
	s_or_b32 exec_lo, exec_lo, s3
	v_perm_b32 v5, v5, v8, 0x5040100
	v_perm_b32 v4, v4, v7, 0x5040100
	;; [unrolled: 1-line block ×4, first 2 shown]
	s_add_nc_u64 s[12:13], s[4:5], s[0:1]
	s_mov_b32 s0, 0
	global_store_b128 v0, v[2:5], s[12:13] scale_offset
.LBB33_34:
	s_and_b32 vcc_lo, exec_lo, s0
	s_cbranch_vccz .LBB33_103
; %bb.35:
	v_cmp_gt_i32_e32 vcc_lo, s10, v0
	s_wait_xcnt 0x0
	v_dual_mov_b32 v20, 0 :: v_dual_bitop2_b32 v5, s2, v0 bitop3:0x54
	v_or_b32_e32 v6, 0x100, v0
	v_dual_mov_b32 v22, 0 :: v_dual_mov_b32 v21, 0
	v_mov_b32_e32 v1, v0
	s_and_saveexec_b32 s0, vcc_lo
	s_cbranch_execz .LBB33_37
; %bb.36:
	s_clause 0x1
	global_load_u16 v2, v5, s[8:9] scale_offset
	global_load_u16 v22, v5, s[6:7] scale_offset
	v_or_b32_e32 v1, 0x100, v0
	s_wait_loadcnt 0x1
	v_sub_nc_u16 v3, 0, v2
	s_delay_alu instid0(VALU_DEP_1)
	v_max_i16 v21, v2, v3
.LBB33_37:
	s_wait_xcnt 0x0
	s_or_b32 exec_lo, exec_lo, s0
	v_mov_b32_e32 v19, 0
	s_mov_b32 s1, exec_lo
	v_cmpx_gt_i32_e64 s10, v1
	s_cbranch_execz .LBB33_39
; %bb.38:
	v_add_nc_u32_e32 v2, s2, v1
	v_add_nc_u32_e32 v1, 0x100, v1
	s_clause 0x1
	global_load_u16 v3, v2, s[8:9] scale_offset
	global_load_u16 v20, v2, s[6:7] scale_offset
	s_wait_loadcnt 0x1
	s_wait_xcnt 0x0
	v_sub_nc_u16 v2, 0, v3
	s_delay_alu instid0(VALU_DEP_1)
	v_max_i16 v19, v3, v2
.LBB33_39:
	s_or_b32 exec_lo, exec_lo, s1
	v_dual_mov_b32 v16, 0 :: v_dual_mov_b32 v18, 0
	v_mov_b32_e32 v17, 0
	s_mov_b32 s1, exec_lo
	v_cmpx_gt_i32_e64 s10, v1
	s_cbranch_execz .LBB33_41
; %bb.40:
	v_add_nc_u32_e32 v2, s2, v1
	v_add_nc_u32_e32 v1, 0x100, v1
	s_clause 0x1
	global_load_u16 v3, v2, s[8:9] scale_offset
	global_load_u16 v18, v2, s[6:7] scale_offset
	s_wait_loadcnt 0x1
	s_wait_xcnt 0x0
	v_sub_nc_u16 v2, 0, v3
	s_delay_alu instid0(VALU_DEP_1)
	v_max_i16 v17, v3, v2
.LBB33_41:
	s_or_b32 exec_lo, exec_lo, s1
	v_mov_b32_e32 v15, 0
	s_mov_b32 s1, exec_lo
	v_cmpx_gt_i32_e64 s10, v1
	s_cbranch_execz .LBB33_43
; %bb.42:
	v_add_nc_u32_e32 v2, s2, v1
	v_add_nc_u32_e32 v1, 0x100, v1
	s_clause 0x1
	global_load_u16 v3, v2, s[8:9] scale_offset
	global_load_u16 v16, v2, s[6:7] scale_offset
	s_wait_loadcnt 0x1
	s_wait_xcnt 0x0
	v_sub_nc_u16 v2, 0, v3
	s_delay_alu instid0(VALU_DEP_1)
	v_max_i16 v15, v3, v2
.LBB33_43:
	s_or_b32 exec_lo, exec_lo, s1
	v_dual_mov_b32 v12, 0 :: v_dual_mov_b32 v14, 0
	v_mov_b32_e32 v13, 0
	s_mov_b32 s1, exec_lo
	v_cmpx_gt_i32_e64 s10, v1
	s_cbranch_execz .LBB33_45
; %bb.44:
	v_add_nc_u32_e32 v2, s2, v1
	v_add_nc_u32_e32 v1, 0x100, v1
	s_clause 0x1
	global_load_u16 v3, v2, s[8:9] scale_offset
	global_load_u16 v14, v2, s[6:7] scale_offset
	s_wait_loadcnt 0x1
	s_wait_xcnt 0x0
	v_sub_nc_u16 v2, 0, v3
	s_delay_alu instid0(VALU_DEP_1)
	v_max_i16 v13, v3, v2
.LBB33_45:
	;; [unrolled: 35-line block ×3, first 2 shown]
	s_or_b32 exec_lo, exec_lo, s1
	v_mov_b32_e32 v7, 0
	s_mov_b32 s1, exec_lo
	v_cmpx_gt_i32_e64 s10, v1
	s_cbranch_execz .LBB33_51
; %bb.50:
	v_add_nc_u32_e32 v1, s2, v1
	s_clause 0x1
	global_load_u16 v2, v1, s[8:9] scale_offset
	global_load_u16 v8, v1, s[6:7] scale_offset
	s_wait_loadcnt 0x1
	s_wait_xcnt 0x0
	v_sub_nc_u16 v1, 0, v2
	s_delay_alu instid0(VALU_DEP_1)
	v_max_i16 v7, v2, v1
.LBB33_51:
	s_or_b32 exec_lo, exec_lo, s1
	v_mov_b32_e32 v4, 0
	s_delay_alu instid0(VALU_DEP_1)
	v_dual_mov_b32 v1, v4 :: v_dual_mov_b32 v2, v4
	v_mov_b32_e32 v3, v4
	s_and_saveexec_b32 s1, vcc_lo
	s_cbranch_execz .LBB33_57
; %bb.52:
	s_mov_b32 s3, exec_lo
	s_wait_loadcnt 0x0
	v_cmpx_ne_u16_e32 0, v22
	s_cbranch_execz .LBB33_56
; %bb.53:
	v_sub_nc_u16 v1, 0, v22
	s_mov_b32 s6, 0
	s_delay_alu instid0(VALU_DEP_1) | instskip(SKIP_1) | instid1(VALU_DEP_2)
	v_max_i16 v2, v22, v1
	v_and_b32_e32 v1, 0xffff, v21
	v_and_b32_e32 v2, 0xffff, v2
.LBB33_54:                              ; =>This Inner Loop Header: Depth=1
	s_delay_alu instid0(VALU_DEP_1) | instskip(NEXT) | instid1(VALU_DEP_2)
	v_bfe_i32 v4, v1, 0, 16
	v_mov_b32_e32 v21, v2
	s_delay_alu instid0(VALU_DEP_2) | instskip(NEXT) | instid1(VALU_DEP_2)
	v_cvt_f32_i32_e32 v23, v4
	v_bfe_i32 v2, v21, 0, 16
	s_delay_alu instid0(VALU_DEP_1) | instskip(SKIP_1) | instid1(VALU_DEP_2)
	v_cvt_f32_i32_e32 v3, v2
	v_xor_b32_e32 v2, v4, v2
	v_rcp_iflag_f32_e32 v22, v3
	v_nop
	s_delay_alu instid0(TRANS32_DEP_1) | instskip(NEXT) | instid1(VALU_DEP_1)
	v_mul_f32_e32 v4, v23, v22
	v_trunc_f32_e32 v4, v4
	s_delay_alu instid0(VALU_DEP_1) | instskip(NEXT) | instid1(VALU_DEP_1)
	v_dual_ashrrev_i32 v2, 30, v2 :: v_dual_fma_f32 v22, -v4, v3, v23
	v_or_b32_e32 v2, 1, v2
	v_cvt_i32_f32_e32 v4, v4
	s_delay_alu instid0(VALU_DEP_3) | instskip(NEXT) | instid1(VALU_DEP_1)
	v_cmp_ge_f32_e64 s0, |v22|, |v3|
	v_cndmask_b32_e64 v2, 0, v2, s0
	s_delay_alu instid0(VALU_DEP_1) | instskip(NEXT) | instid1(VALU_DEP_1)
	v_add_nc_u32_e32 v2, v4, v2
	v_mul_lo_u32 v2, v2, v21
	s_delay_alu instid0(VALU_DEP_1) | instskip(NEXT) | instid1(VALU_DEP_1)
	v_sub_nc_u32_e32 v2, v1, v2
	v_and_b32_e32 v1, 0xffff, v2
	v_bfe_i32 v2, v2, 0, 16
	s_delay_alu instid0(VALU_DEP_2) | instskip(SKIP_2) | instid1(SALU_CYCLE_1)
	v_cmp_eq_u32_e64 s0, 0, v1
	v_mov_b32_e32 v1, v21
	s_or_b32 s6, s0, s6
	s_and_not1_b32 exec_lo, exec_lo, s6
	s_cbranch_execnz .LBB33_54
; %bb.55:
	s_or_b32 exec_lo, exec_lo, s6
.LBB33_56:
	s_delay_alu instid0(SALU_CYCLE_1) | instskip(SKIP_2) | instid1(VALU_DEP_2)
	s_or_b32 exec_lo, exec_lo, s3
	v_mov_b32_e32 v1, 0
	v_and_b32_e32 v4, 0xffff, v21
	v_dual_mov_b32 v2, v1 :: v_dual_mov_b32 v3, v1
.LBB33_57:
	s_or_b32 exec_lo, exec_lo, s1
	s_delay_alu instid0(SALU_CYCLE_1)
	s_mov_b32 s1, exec_lo
	v_cmpx_gt_i32_e64 s10, v6
	s_cbranch_execz .LBB33_63
; %bb.58:
	s_mov_b32 s6, 0
	s_mov_b32 s3, exec_lo
	s_wait_loadcnt 0x0
	v_cmpx_ne_u16_e32 0, v20
	s_cbranch_execz .LBB33_62
; %bb.59:
	v_sub_nc_u16 v21, 0, v20
	s_delay_alu instid0(VALU_DEP_1) | instskip(SKIP_1) | instid1(VALU_DEP_2)
	v_max_i16 v21, v20, v21
	v_and_b32_e32 v20, 0xffff, v19
	v_and_b32_e32 v21, 0xffff, v21
.LBB33_60:                              ; =>This Inner Loop Header: Depth=1
	s_delay_alu instid0(VALU_DEP_1) | instskip(NEXT) | instid1(VALU_DEP_2)
	v_bfe_i32 v23, v20, 0, 16
	v_mov_b32_e32 v19, v21
	s_delay_alu instid0(VALU_DEP_2) | instskip(NEXT) | instid1(VALU_DEP_2)
	v_cvt_f32_i32_e32 v25, v23
	v_bfe_i32 v21, v19, 0, 16
	s_delay_alu instid0(VALU_DEP_1) | instskip(SKIP_1) | instid1(VALU_DEP_2)
	v_cvt_f32_i32_e32 v22, v21
	v_xor_b32_e32 v21, v23, v21
	v_rcp_iflag_f32_e32 v24, v22
	v_nop
	s_delay_alu instid0(TRANS32_DEP_1) | instskip(NEXT) | instid1(VALU_DEP_1)
	v_dual_ashrrev_i32 v21, 30, v21 :: v_dual_mul_f32 v23, v25, v24
	v_trunc_f32_e32 v23, v23
	s_delay_alu instid0(VALU_DEP_1) | instskip(SKIP_1) | instid1(VALU_DEP_2)
	v_dual_fma_f32 v24, -v23, v22, v25 :: v_dual_bitop2_b32 v21, 1, v21 bitop3:0x54
	v_cvt_i32_f32_e32 v23, v23
	v_cmp_ge_f32_e64 s0, |v24|, |v22|
	s_delay_alu instid0(VALU_DEP_1) | instskip(NEXT) | instid1(VALU_DEP_1)
	v_cndmask_b32_e64 v21, 0, v21, s0
	v_add_nc_u32_e32 v21, v23, v21
	s_delay_alu instid0(VALU_DEP_1) | instskip(NEXT) | instid1(VALU_DEP_1)
	v_mul_lo_u32 v21, v21, v19
	v_sub_nc_u32_e32 v21, v20, v21
	s_delay_alu instid0(VALU_DEP_1) | instskip(SKIP_1) | instid1(VALU_DEP_2)
	v_and_b32_e32 v20, 0xffff, v21
	v_bfe_i32 v21, v21, 0, 16
	v_cmp_eq_u32_e64 s0, 0, v20
	v_mov_b32_e32 v20, v19
	s_or_b32 s6, s0, s6
	s_delay_alu instid0(SALU_CYCLE_1)
	s_and_not1_b32 exec_lo, exec_lo, s6
	s_cbranch_execnz .LBB33_60
; %bb.61:
	s_or_b32 exec_lo, exec_lo, s6
.LBB33_62:
	s_delay_alu instid0(SALU_CYCLE_1)
	s_or_b32 exec_lo, exec_lo, s3
	v_perm_b32 v4, v19, v4, 0x5040100
.LBB33_63:
	s_or_b32 exec_lo, exec_lo, s1
	v_or_b32_e32 v19, 0x200, v0
	s_mov_b32 s1, exec_lo
	s_delay_alu instid0(VALU_DEP_1)
	v_cmpx_gt_i32_e64 s10, v19
	s_cbranch_execz .LBB33_69
; %bb.64:
	s_mov_b32 s6, 0
	s_mov_b32 s3, exec_lo
	s_wait_loadcnt 0x0
	v_cmpx_ne_u16_e32 0, v18
	s_cbranch_execz .LBB33_68
; %bb.65:
	v_sub_nc_u16 v19, 0, v18
	s_delay_alu instid0(VALU_DEP_1) | instskip(SKIP_1) | instid1(VALU_DEP_2)
	v_max_i16 v19, v18, v19
	v_and_b32_e32 v18, 0xffff, v17
	v_and_b32_e32 v19, 0xffff, v19
.LBB33_66:                              ; =>This Inner Loop Header: Depth=1
	s_delay_alu instid0(VALU_DEP_1) | instskip(NEXT) | instid1(VALU_DEP_2)
	v_bfe_i32 v21, v18, 0, 16
	v_mov_b32_e32 v17, v19
	s_delay_alu instid0(VALU_DEP_2) | instskip(NEXT) | instid1(VALU_DEP_2)
	v_cvt_f32_i32_e32 v23, v21
	v_bfe_i32 v19, v17, 0, 16
	s_delay_alu instid0(VALU_DEP_1) | instskip(SKIP_1) | instid1(VALU_DEP_2)
	v_cvt_f32_i32_e32 v20, v19
	v_xor_b32_e32 v19, v21, v19
	v_rcp_iflag_f32_e32 v22, v20
	v_nop
	s_delay_alu instid0(TRANS32_DEP_1) | instskip(NEXT) | instid1(VALU_DEP_1)
	v_dual_ashrrev_i32 v19, 30, v19 :: v_dual_mul_f32 v21, v23, v22
	v_trunc_f32_e32 v21, v21
	s_delay_alu instid0(VALU_DEP_1) | instskip(SKIP_1) | instid1(VALU_DEP_2)
	v_dual_fma_f32 v22, -v21, v20, v23 :: v_dual_bitop2_b32 v19, 1, v19 bitop3:0x54
	v_cvt_i32_f32_e32 v21, v21
	v_cmp_ge_f32_e64 s0, |v22|, |v20|
	s_delay_alu instid0(VALU_DEP_1) | instskip(NEXT) | instid1(VALU_DEP_1)
	v_cndmask_b32_e64 v19, 0, v19, s0
	v_add_nc_u32_e32 v19, v21, v19
	s_delay_alu instid0(VALU_DEP_1) | instskip(NEXT) | instid1(VALU_DEP_1)
	v_mul_lo_u32 v19, v19, v17
	v_sub_nc_u32_e32 v19, v18, v19
	s_delay_alu instid0(VALU_DEP_1) | instskip(SKIP_1) | instid1(VALU_DEP_2)
	v_and_b32_e32 v18, 0xffff, v19
	v_bfe_i32 v19, v19, 0, 16
	v_cmp_eq_u32_e64 s0, 0, v18
	v_mov_b32_e32 v18, v17
	s_or_b32 s6, s0, s6
	s_delay_alu instid0(SALU_CYCLE_1)
	s_and_not1_b32 exec_lo, exec_lo, s6
	s_cbranch_execnz .LBB33_66
; %bb.67:
	s_or_b32 exec_lo, exec_lo, s6
.LBB33_68:
	s_delay_alu instid0(SALU_CYCLE_1)
	s_or_b32 exec_lo, exec_lo, s3
	v_bfi_b32 v1, 0xffff, v17, v1
.LBB33_69:
	s_or_b32 exec_lo, exec_lo, s1
	v_or_b32_e32 v17, 0x300, v0
	s_mov_b32 s1, exec_lo
	s_delay_alu instid0(VALU_DEP_1)
	v_cmpx_gt_i32_e64 s10, v17
	s_cbranch_execz .LBB33_75
; %bb.70:
	s_mov_b32 s6, 0
	s_mov_b32 s3, exec_lo
	s_wait_loadcnt 0x0
	v_cmpx_ne_u16_e32 0, v16
	s_cbranch_execz .LBB33_74
; %bb.71:
	v_sub_nc_u16 v17, 0, v16
	s_delay_alu instid0(VALU_DEP_1) | instskip(SKIP_1) | instid1(VALU_DEP_2)
	v_max_i16 v17, v16, v17
	v_and_b32_e32 v16, 0xffff, v15
	v_and_b32_e32 v17, 0xffff, v17
.LBB33_72:                              ; =>This Inner Loop Header: Depth=1
	s_delay_alu instid0(VALU_DEP_1) | instskip(NEXT) | instid1(VALU_DEP_2)
	v_bfe_i32 v19, v16, 0, 16
	v_mov_b32_e32 v15, v17
	s_delay_alu instid0(VALU_DEP_2) | instskip(NEXT) | instid1(VALU_DEP_2)
	v_cvt_f32_i32_e32 v21, v19
	v_bfe_i32 v17, v15, 0, 16
	s_delay_alu instid0(VALU_DEP_1) | instskip(SKIP_1) | instid1(VALU_DEP_2)
	v_cvt_f32_i32_e32 v18, v17
	v_xor_b32_e32 v17, v19, v17
	v_rcp_iflag_f32_e32 v20, v18
	v_nop
	s_delay_alu instid0(TRANS32_DEP_1) | instskip(NEXT) | instid1(VALU_DEP_1)
	v_dual_ashrrev_i32 v17, 30, v17 :: v_dual_mul_f32 v19, v21, v20
	v_trunc_f32_e32 v19, v19
	s_delay_alu instid0(VALU_DEP_1) | instskip(SKIP_1) | instid1(VALU_DEP_2)
	v_dual_fma_f32 v20, -v19, v18, v21 :: v_dual_bitop2_b32 v17, 1, v17 bitop3:0x54
	v_cvt_i32_f32_e32 v19, v19
	v_cmp_ge_f32_e64 s0, |v20|, |v18|
	s_delay_alu instid0(VALU_DEP_1) | instskip(NEXT) | instid1(VALU_DEP_1)
	v_cndmask_b32_e64 v17, 0, v17, s0
	v_add_nc_u32_e32 v17, v19, v17
	s_delay_alu instid0(VALU_DEP_1) | instskip(NEXT) | instid1(VALU_DEP_1)
	v_mul_lo_u32 v17, v17, v15
	v_sub_nc_u32_e32 v17, v16, v17
	s_delay_alu instid0(VALU_DEP_1) | instskip(SKIP_1) | instid1(VALU_DEP_2)
	v_and_b32_e32 v16, 0xffff, v17
	v_bfe_i32 v17, v17, 0, 16
	v_cmp_eq_u32_e64 s0, 0, v16
	v_mov_b32_e32 v16, v15
	s_or_b32 s6, s0, s6
	s_delay_alu instid0(SALU_CYCLE_1)
	s_and_not1_b32 exec_lo, exec_lo, s6
	s_cbranch_execnz .LBB33_72
; %bb.73:
	s_or_b32 exec_lo, exec_lo, s6
.LBB33_74:
	s_delay_alu instid0(SALU_CYCLE_1)
	s_or_b32 exec_lo, exec_lo, s3
	v_perm_b32 v1, v15, v1, 0x5040100
.LBB33_75:
	s_or_b32 exec_lo, exec_lo, s1
	v_or_b32_e32 v15, 0x400, v0
	s_mov_b32 s1, exec_lo
	s_delay_alu instid0(VALU_DEP_1)
	v_cmpx_gt_i32_e64 s10, v15
	s_cbranch_execz .LBB33_81
; %bb.76:
	s_mov_b32 s6, 0
	s_mov_b32 s3, exec_lo
	s_wait_loadcnt 0x0
	v_cmpx_ne_u16_e32 0, v14
	s_cbranch_execz .LBB33_80
; %bb.77:
	v_sub_nc_u16 v15, 0, v14
	s_delay_alu instid0(VALU_DEP_1) | instskip(SKIP_1) | instid1(VALU_DEP_2)
	v_max_i16 v15, v14, v15
	v_and_b32_e32 v14, 0xffff, v13
	v_and_b32_e32 v15, 0xffff, v15
.LBB33_78:                              ; =>This Inner Loop Header: Depth=1
	s_delay_alu instid0(VALU_DEP_1) | instskip(NEXT) | instid1(VALU_DEP_2)
	v_bfe_i32 v17, v14, 0, 16
	v_mov_b32_e32 v13, v15
	s_delay_alu instid0(VALU_DEP_2) | instskip(NEXT) | instid1(VALU_DEP_2)
	v_cvt_f32_i32_e32 v19, v17
	v_bfe_i32 v15, v13, 0, 16
	s_delay_alu instid0(VALU_DEP_1) | instskip(SKIP_1) | instid1(VALU_DEP_2)
	v_cvt_f32_i32_e32 v16, v15
	v_xor_b32_e32 v15, v17, v15
	v_rcp_iflag_f32_e32 v18, v16
	v_nop
	s_delay_alu instid0(TRANS32_DEP_1) | instskip(NEXT) | instid1(VALU_DEP_1)
	v_dual_ashrrev_i32 v15, 30, v15 :: v_dual_mul_f32 v17, v19, v18
	v_trunc_f32_e32 v17, v17
	s_delay_alu instid0(VALU_DEP_1) | instskip(SKIP_1) | instid1(VALU_DEP_2)
	v_dual_fma_f32 v18, -v17, v16, v19 :: v_dual_bitop2_b32 v15, 1, v15 bitop3:0x54
	v_cvt_i32_f32_e32 v17, v17
	v_cmp_ge_f32_e64 s0, |v18|, |v16|
	s_delay_alu instid0(VALU_DEP_1) | instskip(NEXT) | instid1(VALU_DEP_1)
	v_cndmask_b32_e64 v15, 0, v15, s0
	v_add_nc_u32_e32 v15, v17, v15
	s_delay_alu instid0(VALU_DEP_1) | instskip(NEXT) | instid1(VALU_DEP_1)
	v_mul_lo_u32 v15, v15, v13
	v_sub_nc_u32_e32 v15, v14, v15
	s_delay_alu instid0(VALU_DEP_1) | instskip(SKIP_1) | instid1(VALU_DEP_2)
	v_and_b32_e32 v14, 0xffff, v15
	v_bfe_i32 v15, v15, 0, 16
	v_cmp_eq_u32_e64 s0, 0, v14
	v_mov_b32_e32 v14, v13
	s_or_b32 s6, s0, s6
	s_delay_alu instid0(SALU_CYCLE_1)
	s_and_not1_b32 exec_lo, exec_lo, s6
	s_cbranch_execnz .LBB33_78
; %bb.79:
	s_or_b32 exec_lo, exec_lo, s6
.LBB33_80:
	s_delay_alu instid0(SALU_CYCLE_1)
	s_or_b32 exec_lo, exec_lo, s3
	v_bfi_b32 v2, 0xffff, v13, v2
.LBB33_81:
	s_or_b32 exec_lo, exec_lo, s1
	v_or_b32_e32 v13, 0x500, v0
	s_mov_b32 s1, exec_lo
	s_delay_alu instid0(VALU_DEP_1)
	v_cmpx_gt_i32_e64 s10, v13
	s_cbranch_execz .LBB33_87
; %bb.82:
	s_mov_b32 s6, 0
	s_mov_b32 s3, exec_lo
	s_wait_loadcnt 0x0
	v_cmpx_ne_u16_e32 0, v12
	s_cbranch_execz .LBB33_86
; %bb.83:
	v_sub_nc_u16 v13, 0, v12
	s_delay_alu instid0(VALU_DEP_1) | instskip(SKIP_1) | instid1(VALU_DEP_2)
	v_max_i16 v13, v12, v13
	v_and_b32_e32 v12, 0xffff, v11
	v_and_b32_e32 v13, 0xffff, v13
.LBB33_84:                              ; =>This Inner Loop Header: Depth=1
	s_delay_alu instid0(VALU_DEP_1) | instskip(NEXT) | instid1(VALU_DEP_2)
	v_bfe_i32 v15, v12, 0, 16
	v_mov_b32_e32 v11, v13
	s_delay_alu instid0(VALU_DEP_2) | instskip(NEXT) | instid1(VALU_DEP_2)
	v_cvt_f32_i32_e32 v17, v15
	v_bfe_i32 v13, v11, 0, 16
	s_delay_alu instid0(VALU_DEP_1) | instskip(SKIP_1) | instid1(VALU_DEP_2)
	v_cvt_f32_i32_e32 v14, v13
	v_xor_b32_e32 v13, v15, v13
	v_rcp_iflag_f32_e32 v16, v14
	v_nop
	s_delay_alu instid0(TRANS32_DEP_1) | instskip(NEXT) | instid1(VALU_DEP_1)
	v_dual_ashrrev_i32 v13, 30, v13 :: v_dual_mul_f32 v15, v17, v16
	v_trunc_f32_e32 v15, v15
	s_delay_alu instid0(VALU_DEP_1) | instskip(SKIP_1) | instid1(VALU_DEP_2)
	v_dual_fma_f32 v16, -v15, v14, v17 :: v_dual_bitop2_b32 v13, 1, v13 bitop3:0x54
	v_cvt_i32_f32_e32 v15, v15
	v_cmp_ge_f32_e64 s0, |v16|, |v14|
	s_delay_alu instid0(VALU_DEP_1) | instskip(NEXT) | instid1(VALU_DEP_1)
	v_cndmask_b32_e64 v13, 0, v13, s0
	v_add_nc_u32_e32 v13, v15, v13
	s_delay_alu instid0(VALU_DEP_1) | instskip(NEXT) | instid1(VALU_DEP_1)
	v_mul_lo_u32 v13, v13, v11
	v_sub_nc_u32_e32 v13, v12, v13
	s_delay_alu instid0(VALU_DEP_1) | instskip(SKIP_1) | instid1(VALU_DEP_2)
	v_and_b32_e32 v12, 0xffff, v13
	v_bfe_i32 v13, v13, 0, 16
	v_cmp_eq_u32_e64 s0, 0, v12
	v_mov_b32_e32 v12, v11
	s_or_b32 s6, s0, s6
	s_delay_alu instid0(SALU_CYCLE_1)
	s_and_not1_b32 exec_lo, exec_lo, s6
	s_cbranch_execnz .LBB33_84
; %bb.85:
	s_or_b32 exec_lo, exec_lo, s6
.LBB33_86:
	s_delay_alu instid0(SALU_CYCLE_1)
	s_or_b32 exec_lo, exec_lo, s3
	v_perm_b32 v2, v11, v2, 0x5040100
.LBB33_87:
	s_or_b32 exec_lo, exec_lo, s1
	v_or_b32_e32 v11, 0x600, v0
	s_mov_b32 s1, exec_lo
	s_delay_alu instid0(VALU_DEP_1)
	v_cmpx_gt_i32_e64 s10, v11
	s_cbranch_execz .LBB33_93
; %bb.88:
	s_mov_b32 s6, 0
	s_mov_b32 s3, exec_lo
	s_wait_loadcnt 0x0
	v_cmpx_ne_u16_e32 0, v10
	s_cbranch_execz .LBB33_92
; %bb.89:
	v_sub_nc_u16 v11, 0, v10
	s_delay_alu instid0(VALU_DEP_1) | instskip(SKIP_1) | instid1(VALU_DEP_2)
	v_max_i16 v11, v10, v11
	v_and_b32_e32 v10, 0xffff, v9
	v_and_b32_e32 v11, 0xffff, v11
.LBB33_90:                              ; =>This Inner Loop Header: Depth=1
	s_delay_alu instid0(VALU_DEP_1) | instskip(NEXT) | instid1(VALU_DEP_2)
	v_bfe_i32 v13, v10, 0, 16
	v_mov_b32_e32 v9, v11
	s_delay_alu instid0(VALU_DEP_2) | instskip(NEXT) | instid1(VALU_DEP_2)
	v_cvt_f32_i32_e32 v15, v13
	v_bfe_i32 v11, v9, 0, 16
	s_delay_alu instid0(VALU_DEP_1) | instskip(SKIP_1) | instid1(VALU_DEP_2)
	v_cvt_f32_i32_e32 v12, v11
	v_xor_b32_e32 v11, v13, v11
	v_rcp_iflag_f32_e32 v14, v12
	v_nop
	s_delay_alu instid0(TRANS32_DEP_1) | instskip(NEXT) | instid1(VALU_DEP_1)
	v_dual_ashrrev_i32 v11, 30, v11 :: v_dual_mul_f32 v13, v15, v14
	v_trunc_f32_e32 v13, v13
	s_delay_alu instid0(VALU_DEP_1) | instskip(SKIP_1) | instid1(VALU_DEP_2)
	v_dual_fma_f32 v14, -v13, v12, v15 :: v_dual_bitop2_b32 v11, 1, v11 bitop3:0x54
	v_cvt_i32_f32_e32 v13, v13
	v_cmp_ge_f32_e64 s0, |v14|, |v12|
	s_delay_alu instid0(VALU_DEP_1) | instskip(NEXT) | instid1(VALU_DEP_1)
	v_cndmask_b32_e64 v11, 0, v11, s0
	v_add_nc_u32_e32 v11, v13, v11
	s_delay_alu instid0(VALU_DEP_1) | instskip(NEXT) | instid1(VALU_DEP_1)
	v_mul_lo_u32 v11, v11, v9
	v_sub_nc_u32_e32 v11, v10, v11
	s_delay_alu instid0(VALU_DEP_1) | instskip(SKIP_1) | instid1(VALU_DEP_2)
	v_and_b32_e32 v10, 0xffff, v11
	v_bfe_i32 v11, v11, 0, 16
	v_cmp_eq_u32_e64 s0, 0, v10
	v_mov_b32_e32 v10, v9
	s_or_b32 s6, s0, s6
	s_delay_alu instid0(SALU_CYCLE_1)
	s_and_not1_b32 exec_lo, exec_lo, s6
	s_cbranch_execnz .LBB33_90
; %bb.91:
	s_or_b32 exec_lo, exec_lo, s6
.LBB33_92:
	s_delay_alu instid0(SALU_CYCLE_1)
	s_or_b32 exec_lo, exec_lo, s3
	v_bfi_b32 v3, 0xffff, v9, v3
.LBB33_93:
	s_or_b32 exec_lo, exec_lo, s1
	v_or_b32_e32 v9, 0x700, v0
	s_mov_b32 s1, exec_lo
	s_delay_alu instid0(VALU_DEP_1)
	v_cmpx_gt_i32_e64 s10, v9
	s_cbranch_execnz .LBB33_104
; %bb.94:
	s_or_b32 exec_lo, exec_lo, s1
	s_and_saveexec_b32 s0, vcc_lo
	s_delay_alu instid0(SALU_CYCLE_1)
	s_xor_b32 s0, exec_lo, s0
	s_cbranch_execnz .LBB33_109
.LBB33_95:
	s_or_b32 exec_lo, exec_lo, s0
	s_delay_alu instid0(SALU_CYCLE_1)
	s_mov_b32 s0, exec_lo
	v_cmpx_gt_i32_e64 s10, v0
	s_cbranch_execnz .LBB33_110
.LBB33_96:
	s_or_b32 exec_lo, exec_lo, s0
	s_delay_alu instid0(SALU_CYCLE_1)
	s_mov_b32 s0, exec_lo
	v_cmpx_gt_i32_e64 s10, v0
	s_cbranch_execnz .LBB33_111
.LBB33_97:
	s_or_b32 exec_lo, exec_lo, s0
	s_delay_alu instid0(SALU_CYCLE_1)
	s_mov_b32 s0, exec_lo
	v_cmpx_gt_i32_e64 s10, v0
	s_cbranch_execnz .LBB33_112
.LBB33_98:
	s_or_b32 exec_lo, exec_lo, s0
	s_delay_alu instid0(SALU_CYCLE_1)
	s_mov_b32 s0, exec_lo
	v_cmpx_gt_i32_e64 s10, v0
	s_cbranch_execnz .LBB33_113
.LBB33_99:
	s_or_b32 exec_lo, exec_lo, s0
	s_delay_alu instid0(SALU_CYCLE_1)
	s_mov_b32 s0, exec_lo
	v_cmpx_gt_i32_e64 s10, v0
	s_cbranch_execnz .LBB33_114
.LBB33_100:
	s_or_b32 exec_lo, exec_lo, s0
	s_delay_alu instid0(SALU_CYCLE_1)
	s_mov_b32 s0, exec_lo
	v_cmpx_gt_i32_e64 s10, v0
	s_cbranch_execnz .LBB33_115
.LBB33_101:
	s_or_b32 exec_lo, exec_lo, s0
	s_delay_alu instid0(SALU_CYCLE_1)
	s_mov_b32 s0, exec_lo
	v_cmpx_gt_i32_e64 s10, v0
	s_cbranch_execz .LBB33_103
.LBB33_102:
	v_add_nc_u32_e32 v0, s2, v0
	global_store_d16_hi_b16 v0, v3, s[4:5] scale_offset
.LBB33_103:
	s_endpgm
.LBB33_104:
	s_mov_b32 s6, 0
	s_mov_b32 s3, exec_lo
	s_wait_loadcnt 0x0
	v_cmpx_ne_u16_e32 0, v8
	s_cbranch_execz .LBB33_108
; %bb.105:
	v_sub_nc_u16 v9, 0, v8
	s_delay_alu instid0(VALU_DEP_1) | instskip(SKIP_1) | instid1(VALU_DEP_2)
	v_max_i16 v9, v8, v9
	v_and_b32_e32 v8, 0xffff, v7
	v_and_b32_e32 v9, 0xffff, v9
.LBB33_106:                             ; =>This Inner Loop Header: Depth=1
	s_delay_alu instid0(VALU_DEP_1) | instskip(NEXT) | instid1(VALU_DEP_2)
	v_bfe_i32 v11, v8, 0, 16
	v_mov_b32_e32 v7, v9
	s_delay_alu instid0(VALU_DEP_2) | instskip(NEXT) | instid1(VALU_DEP_2)
	v_cvt_f32_i32_e32 v13, v11
	v_bfe_i32 v9, v7, 0, 16
	s_delay_alu instid0(VALU_DEP_1) | instskip(SKIP_1) | instid1(VALU_DEP_2)
	v_cvt_f32_i32_e32 v10, v9
	v_xor_b32_e32 v9, v11, v9
	v_rcp_iflag_f32_e32 v12, v10
	v_nop
	s_delay_alu instid0(TRANS32_DEP_1) | instskip(NEXT) | instid1(VALU_DEP_1)
	v_dual_ashrrev_i32 v9, 30, v9 :: v_dual_mul_f32 v11, v13, v12
	v_trunc_f32_e32 v11, v11
	s_delay_alu instid0(VALU_DEP_1) | instskip(SKIP_1) | instid1(VALU_DEP_2)
	v_dual_fma_f32 v12, -v11, v10, v13 :: v_dual_bitop2_b32 v9, 1, v9 bitop3:0x54
	v_cvt_i32_f32_e32 v11, v11
	v_cmp_ge_f32_e64 s0, |v12|, |v10|
	s_delay_alu instid0(VALU_DEP_1) | instskip(NEXT) | instid1(VALU_DEP_1)
	v_cndmask_b32_e64 v9, 0, v9, s0
	v_add_nc_u32_e32 v9, v11, v9
	s_delay_alu instid0(VALU_DEP_1) | instskip(NEXT) | instid1(VALU_DEP_1)
	v_mul_lo_u32 v9, v9, v7
	v_sub_nc_u32_e32 v9, v8, v9
	s_delay_alu instid0(VALU_DEP_1) | instskip(SKIP_1) | instid1(VALU_DEP_2)
	v_and_b32_e32 v8, 0xffff, v9
	v_bfe_i32 v9, v9, 0, 16
	v_cmp_eq_u32_e64 s0, 0, v8
	v_mov_b32_e32 v8, v7
	s_or_b32 s6, s0, s6
	s_delay_alu instid0(SALU_CYCLE_1)
	s_and_not1_b32 exec_lo, exec_lo, s6
	s_cbranch_execnz .LBB33_106
; %bb.107:
	s_or_b32 exec_lo, exec_lo, s6
.LBB33_108:
	s_delay_alu instid0(SALU_CYCLE_1) | instskip(SKIP_3) | instid1(SALU_CYCLE_1)
	s_or_b32 exec_lo, exec_lo, s3
	v_perm_b32 v3, v7, v3, 0x5040100
	s_or_b32 exec_lo, exec_lo, s1
	s_and_saveexec_b32 s0, vcc_lo
	s_xor_b32 s0, exec_lo, s0
	s_cbranch_execz .LBB33_95
.LBB33_109:
	v_mov_b32_e32 v0, v6
	global_store_b16 v5, v4, s[4:5] scale_offset
	s_wait_xcnt 0x0
	s_or_b32 exec_lo, exec_lo, s0
	s_delay_alu instid0(SALU_CYCLE_1)
	s_mov_b32 s0, exec_lo
	v_cmpx_gt_i32_e64 s10, v0
	s_cbranch_execz .LBB33_96
.LBB33_110:
	v_add_nc_u32_e32 v5, s2, v0
	v_add_nc_u32_e32 v0, 0x100, v0
	global_store_d16_hi_b16 v5, v4, s[4:5] scale_offset
	s_wait_xcnt 0x0
	s_or_b32 exec_lo, exec_lo, s0
	s_delay_alu instid0(SALU_CYCLE_1)
	s_mov_b32 s0, exec_lo
	v_cmpx_gt_i32_e64 s10, v0
	s_cbranch_execz .LBB33_97
.LBB33_111:
	v_add_nc_u32_e32 v4, s2, v0
	v_add_nc_u32_e32 v0, 0x100, v0
	global_store_b16 v4, v1, s[4:5] scale_offset
	s_wait_xcnt 0x0
	s_or_b32 exec_lo, exec_lo, s0
	s_delay_alu instid0(SALU_CYCLE_1)
	s_mov_b32 s0, exec_lo
	v_cmpx_gt_i32_e64 s10, v0
	s_cbranch_execz .LBB33_98
.LBB33_112:
	v_add_nc_u32_e32 v4, s2, v0
	v_add_nc_u32_e32 v0, 0x100, v0
	global_store_d16_hi_b16 v4, v1, s[4:5] scale_offset
	s_wait_xcnt 0x0
	s_or_b32 exec_lo, exec_lo, s0
	s_delay_alu instid0(SALU_CYCLE_1)
	s_mov_b32 s0, exec_lo
	v_cmpx_gt_i32_e64 s10, v0
	s_cbranch_execz .LBB33_99
.LBB33_113:
	v_add_nc_u32_e32 v1, s2, v0
	v_add_nc_u32_e32 v0, 0x100, v0
	global_store_b16 v1, v2, s[4:5] scale_offset
	s_wait_xcnt 0x0
	s_or_b32 exec_lo, exec_lo, s0
	s_delay_alu instid0(SALU_CYCLE_1)
	s_mov_b32 s0, exec_lo
	v_cmpx_gt_i32_e64 s10, v0
	s_cbranch_execz .LBB33_100
.LBB33_114:
	v_add_nc_u32_e32 v1, s2, v0
	v_add_nc_u32_e32 v0, 0x100, v0
	global_store_d16_hi_b16 v1, v2, s[4:5] scale_offset
	s_wait_xcnt 0x0
	s_or_b32 exec_lo, exec_lo, s0
	s_delay_alu instid0(SALU_CYCLE_1)
	s_mov_b32 s0, exec_lo
	v_cmpx_gt_i32_e64 s10, v0
	s_cbranch_execz .LBB33_101
.LBB33_115:
	v_add_nc_u32_e32 v1, s2, v0
	v_add_nc_u32_e32 v0, 0x100, v0
	global_store_b16 v1, v3, s[4:5] scale_offset
	s_wait_xcnt 0x0
	s_or_b32 exec_lo, exec_lo, s0
	s_delay_alu instid0(SALU_CYCLE_1)
	s_mov_b32 s0, exec_lo
	v_cmpx_gt_i32_e64 s10, v0
	s_cbranch_execnz .LBB33_102
	s_branch .LBB33_103
	.section	.rodata,"a",@progbits
	.p2align	6, 0x0
	.amdhsa_kernel _ZN2at6native29vectorized_elementwise_kernelILi8EZZZNS0_15gcd_kernel_cudaERNS_18TensorIteratorBaseEENKUlvE_clEvENKUlvE3_clEvEUlssE_St5arrayIPcLm3EEEEviT0_T1_
		.amdhsa_group_segment_fixed_size 0
		.amdhsa_private_segment_fixed_size 0
		.amdhsa_kernarg_size 32
		.amdhsa_user_sgpr_count 2
		.amdhsa_user_sgpr_dispatch_ptr 0
		.amdhsa_user_sgpr_queue_ptr 0
		.amdhsa_user_sgpr_kernarg_segment_ptr 1
		.amdhsa_user_sgpr_dispatch_id 0
		.amdhsa_user_sgpr_kernarg_preload_length 0
		.amdhsa_user_sgpr_kernarg_preload_offset 0
		.amdhsa_user_sgpr_private_segment_size 0
		.amdhsa_wavefront_size32 1
		.amdhsa_uses_dynamic_stack 0
		.amdhsa_enable_private_segment 0
		.amdhsa_system_sgpr_workgroup_id_x 1
		.amdhsa_system_sgpr_workgroup_id_y 0
		.amdhsa_system_sgpr_workgroup_id_z 0
		.amdhsa_system_sgpr_workgroup_info 0
		.amdhsa_system_vgpr_workitem_id 0
		.amdhsa_next_free_vgpr 26
		.amdhsa_next_free_sgpr 14
		.amdhsa_named_barrier_count 0
		.amdhsa_reserve_vcc 1
		.amdhsa_float_round_mode_32 0
		.amdhsa_float_round_mode_16_64 0
		.amdhsa_float_denorm_mode_32 3
		.amdhsa_float_denorm_mode_16_64 3
		.amdhsa_fp16_overflow 0
		.amdhsa_memory_ordered 1
		.amdhsa_forward_progress 1
		.amdhsa_inst_pref_size 47
		.amdhsa_round_robin_scheduling 0
		.amdhsa_exception_fp_ieee_invalid_op 0
		.amdhsa_exception_fp_denorm_src 0
		.amdhsa_exception_fp_ieee_div_zero 0
		.amdhsa_exception_fp_ieee_overflow 0
		.amdhsa_exception_fp_ieee_underflow 0
		.amdhsa_exception_fp_ieee_inexact 0
		.amdhsa_exception_int_div_zero 0
	.end_amdhsa_kernel
	.section	.text._ZN2at6native29vectorized_elementwise_kernelILi8EZZZNS0_15gcd_kernel_cudaERNS_18TensorIteratorBaseEENKUlvE_clEvENKUlvE3_clEvEUlssE_St5arrayIPcLm3EEEEviT0_T1_,"axG",@progbits,_ZN2at6native29vectorized_elementwise_kernelILi8EZZZNS0_15gcd_kernel_cudaERNS_18TensorIteratorBaseEENKUlvE_clEvENKUlvE3_clEvEUlssE_St5arrayIPcLm3EEEEviT0_T1_,comdat
.Lfunc_end33:
	.size	_ZN2at6native29vectorized_elementwise_kernelILi8EZZZNS0_15gcd_kernel_cudaERNS_18TensorIteratorBaseEENKUlvE_clEvENKUlvE3_clEvEUlssE_St5arrayIPcLm3EEEEviT0_T1_, .Lfunc_end33-_ZN2at6native29vectorized_elementwise_kernelILi8EZZZNS0_15gcd_kernel_cudaERNS_18TensorIteratorBaseEENKUlvE_clEvENKUlvE3_clEvEUlssE_St5arrayIPcLm3EEEEviT0_T1_
                                        ; -- End function
	.set _ZN2at6native29vectorized_elementwise_kernelILi8EZZZNS0_15gcd_kernel_cudaERNS_18TensorIteratorBaseEENKUlvE_clEvENKUlvE3_clEvEUlssE_St5arrayIPcLm3EEEEviT0_T1_.num_vgpr, 26
	.set _ZN2at6native29vectorized_elementwise_kernelILi8EZZZNS0_15gcd_kernel_cudaERNS_18TensorIteratorBaseEENKUlvE_clEvENKUlvE3_clEvEUlssE_St5arrayIPcLm3EEEEviT0_T1_.num_agpr, 0
	.set _ZN2at6native29vectorized_elementwise_kernelILi8EZZZNS0_15gcd_kernel_cudaERNS_18TensorIteratorBaseEENKUlvE_clEvENKUlvE3_clEvEUlssE_St5arrayIPcLm3EEEEviT0_T1_.numbered_sgpr, 14
	.set _ZN2at6native29vectorized_elementwise_kernelILi8EZZZNS0_15gcd_kernel_cudaERNS_18TensorIteratorBaseEENKUlvE_clEvENKUlvE3_clEvEUlssE_St5arrayIPcLm3EEEEviT0_T1_.num_named_barrier, 0
	.set _ZN2at6native29vectorized_elementwise_kernelILi8EZZZNS0_15gcd_kernel_cudaERNS_18TensorIteratorBaseEENKUlvE_clEvENKUlvE3_clEvEUlssE_St5arrayIPcLm3EEEEviT0_T1_.private_seg_size, 0
	.set _ZN2at6native29vectorized_elementwise_kernelILi8EZZZNS0_15gcd_kernel_cudaERNS_18TensorIteratorBaseEENKUlvE_clEvENKUlvE3_clEvEUlssE_St5arrayIPcLm3EEEEviT0_T1_.uses_vcc, 1
	.set _ZN2at6native29vectorized_elementwise_kernelILi8EZZZNS0_15gcd_kernel_cudaERNS_18TensorIteratorBaseEENKUlvE_clEvENKUlvE3_clEvEUlssE_St5arrayIPcLm3EEEEviT0_T1_.uses_flat_scratch, 0
	.set _ZN2at6native29vectorized_elementwise_kernelILi8EZZZNS0_15gcd_kernel_cudaERNS_18TensorIteratorBaseEENKUlvE_clEvENKUlvE3_clEvEUlssE_St5arrayIPcLm3EEEEviT0_T1_.has_dyn_sized_stack, 0
	.set _ZN2at6native29vectorized_elementwise_kernelILi8EZZZNS0_15gcd_kernel_cudaERNS_18TensorIteratorBaseEENKUlvE_clEvENKUlvE3_clEvEUlssE_St5arrayIPcLm3EEEEviT0_T1_.has_recursion, 0
	.set _ZN2at6native29vectorized_elementwise_kernelILi8EZZZNS0_15gcd_kernel_cudaERNS_18TensorIteratorBaseEENKUlvE_clEvENKUlvE3_clEvEUlssE_St5arrayIPcLm3EEEEviT0_T1_.has_indirect_call, 0
	.section	.AMDGPU.csdata,"",@progbits
; Kernel info:
; codeLenInByte = 6004
; TotalNumSgprs: 16
; NumVgprs: 26
; ScratchSize: 0
; MemoryBound: 0
; FloatMode: 240
; IeeeMode: 1
; LDSByteSize: 0 bytes/workgroup (compile time only)
; SGPRBlocks: 0
; VGPRBlocks: 1
; NumSGPRsForWavesPerEU: 16
; NumVGPRsForWavesPerEU: 26
; NamedBarCnt: 0
; Occupancy: 16
; WaveLimiterHint : 0
; COMPUTE_PGM_RSRC2:SCRATCH_EN: 0
; COMPUTE_PGM_RSRC2:USER_SGPR: 2
; COMPUTE_PGM_RSRC2:TRAP_HANDLER: 0
; COMPUTE_PGM_RSRC2:TGID_X_EN: 1
; COMPUTE_PGM_RSRC2:TGID_Y_EN: 0
; COMPUTE_PGM_RSRC2:TGID_Z_EN: 0
; COMPUTE_PGM_RSRC2:TIDIG_COMP_CNT: 0
	.section	.text._ZN2at6native29vectorized_elementwise_kernelILi4EZZZNS0_15gcd_kernel_cudaERNS_18TensorIteratorBaseEENKUlvE_clEvENKUlvE3_clEvEUlssE_St5arrayIPcLm3EEEEviT0_T1_,"axG",@progbits,_ZN2at6native29vectorized_elementwise_kernelILi4EZZZNS0_15gcd_kernel_cudaERNS_18TensorIteratorBaseEENKUlvE_clEvENKUlvE3_clEvEUlssE_St5arrayIPcLm3EEEEviT0_T1_,comdat
	.globl	_ZN2at6native29vectorized_elementwise_kernelILi4EZZZNS0_15gcd_kernel_cudaERNS_18TensorIteratorBaseEENKUlvE_clEvENKUlvE3_clEvEUlssE_St5arrayIPcLm3EEEEviT0_T1_ ; -- Begin function _ZN2at6native29vectorized_elementwise_kernelILi4EZZZNS0_15gcd_kernel_cudaERNS_18TensorIteratorBaseEENKUlvE_clEvENKUlvE3_clEvEUlssE_St5arrayIPcLm3EEEEviT0_T1_
	.p2align	8
	.type	_ZN2at6native29vectorized_elementwise_kernelILi4EZZZNS0_15gcd_kernel_cudaERNS_18TensorIteratorBaseEENKUlvE_clEvENKUlvE3_clEvEUlssE_St5arrayIPcLm3EEEEviT0_T1_,@function
_ZN2at6native29vectorized_elementwise_kernelILi4EZZZNS0_15gcd_kernel_cudaERNS_18TensorIteratorBaseEENKUlvE_clEvENKUlvE3_clEvEUlssE_St5arrayIPcLm3EEEEviT0_T1_: ; @_ZN2at6native29vectorized_elementwise_kernelILi4EZZZNS0_15gcd_kernel_cudaERNS_18TensorIteratorBaseEENKUlvE_clEvENKUlvE3_clEvEUlssE_St5arrayIPcLm3EEEEviT0_T1_
; %bb.0:
	s_clause 0x2
	s_load_b32 s3, s[0:1], 0x0
	s_load_b128 s[4:7], s[0:1], 0x8
	s_load_b64 s[8:9], s[0:1], 0x18
	s_wait_xcnt 0x0
	s_bfe_u32 s0, ttmp6, 0x4000c
	s_and_b32 s1, ttmp6, 15
	s_add_co_i32 s0, s0, 1
	s_getreg_b32 s2, hwreg(HW_REG_IB_STS2, 6, 4)
	s_mul_i32 s0, ttmp9, s0
	s_delay_alu instid0(SALU_CYCLE_1) | instskip(SKIP_2) | instid1(SALU_CYCLE_1)
	s_add_co_i32 s1, s1, s0
	s_cmp_eq_u32 s2, 0
	s_cselect_b32 s0, ttmp9, s1
	s_lshl_b32 s2, s0, 11
	s_mov_b32 s0, -1
	s_wait_kmcnt 0x0
	s_sub_co_i32 s10, s3, s2
	s_delay_alu instid0(SALU_CYCLE_1)
	s_cmp_gt_i32 s10, 0x7ff
	s_cbranch_scc0 .LBB34_34
; %bb.1:
	s_ashr_i32 s3, s2, 31
	s_delay_alu instid0(SALU_CYCLE_1)
	s_lshl_b64 s[0:1], s[2:3], 1
	s_mov_b32 s3, exec_lo
	s_add_nc_u64 s[12:13], s[8:9], s[0:1]
	s_add_nc_u64 s[14:15], s[6:7], s[0:1]
	s_clause 0x3
	global_load_b64 v[8:9], v0, s[12:13] scale_offset
	global_load_b64 v[6:7], v0, s[14:15] scale_offset
	global_load_b64 v[2:3], v0, s[14:15] offset:2048 scale_offset
	global_load_b64 v[4:5], v0, s[12:13] offset:2048 scale_offset
	s_wait_loadcnt 0x3
	v_sub_nc_u16 v1, 0, v8
	s_delay_alu instid0(VALU_DEP_1)
	v_max_i16 v1, v8, v1
	s_wait_loadcnt 0x2
	s_wait_xcnt 0x0
	v_cmpx_ne_u16_e32 0, v6
	s_cbranch_execz .LBB34_5
; %bb.2:
	v_sub_nc_u16 v10, 0, v6
	s_mov_b32 s11, 0
	s_delay_alu instid0(VALU_DEP_1) | instskip(SKIP_1) | instid1(VALU_DEP_2)
	v_max_i16 v11, v6, v10
	v_and_b32_e32 v10, 0xffff, v1
	v_and_b32_e32 v11, 0xffff, v11
.LBB34_3:                               ; =>This Inner Loop Header: Depth=1
	s_delay_alu instid0(VALU_DEP_1) | instskip(NEXT) | instid1(VALU_DEP_2)
	v_bfe_i32 v13, v10, 0, 16
	v_mov_b32_e32 v1, v11
	s_delay_alu instid0(VALU_DEP_2) | instskip(NEXT) | instid1(VALU_DEP_2)
	v_cvt_f32_i32_e32 v15, v13
	v_bfe_i32 v11, v1, 0, 16
	s_delay_alu instid0(VALU_DEP_1) | instskip(SKIP_1) | instid1(VALU_DEP_2)
	v_cvt_f32_i32_e32 v12, v11
	v_xor_b32_e32 v11, v13, v11
	v_rcp_iflag_f32_e32 v14, v12
	v_nop
	s_delay_alu instid0(TRANS32_DEP_1) | instskip(NEXT) | instid1(VALU_DEP_1)
	v_dual_ashrrev_i32 v11, 30, v11 :: v_dual_mul_f32 v13, v15, v14
	v_trunc_f32_e32 v13, v13
	s_delay_alu instid0(VALU_DEP_1) | instskip(SKIP_1) | instid1(VALU_DEP_2)
	v_dual_fma_f32 v14, -v13, v12, v15 :: v_dual_bitop2_b32 v11, 1, v11 bitop3:0x54
	v_cvt_i32_f32_e32 v13, v13
	v_cmp_ge_f32_e64 vcc_lo, |v14|, |v12|
	s_delay_alu instid0(VALU_DEP_3) | instskip(NEXT) | instid1(VALU_DEP_1)
	v_cndmask_b32_e32 v11, 0, v11, vcc_lo
	v_add_nc_u32_e32 v11, v13, v11
	s_delay_alu instid0(VALU_DEP_1) | instskip(NEXT) | instid1(VALU_DEP_1)
	v_mul_lo_u32 v11, v11, v1
	v_sub_nc_u32_e32 v11, v10, v11
	s_delay_alu instid0(VALU_DEP_1) | instskip(SKIP_1) | instid1(VALU_DEP_2)
	v_and_b32_e32 v10, 0xffff, v11
	v_bfe_i32 v11, v11, 0, 16
	v_cmp_eq_u32_e32 vcc_lo, 0, v10
	v_mov_b32_e32 v10, v1
	s_or_b32 s11, vcc_lo, s11
	s_delay_alu instid0(SALU_CYCLE_1)
	s_and_not1_b32 exec_lo, exec_lo, s11
	s_cbranch_execnz .LBB34_3
; %bb.4:
	s_or_b32 exec_lo, exec_lo, s11
.LBB34_5:
	s_delay_alu instid0(SALU_CYCLE_1) | instskip(SKIP_3) | instid1(VALU_DEP_1)
	s_or_b32 exec_lo, exec_lo, s3
	v_lshrrev_b32_e32 v8, 16, v8
	s_mov_b32 s11, 0
	s_mov_b32 s3, exec_lo
	v_sub_nc_u16 v10, 0, v8
	s_delay_alu instid0(VALU_DEP_1)
	v_max_i16 v8, v8, v10
	v_cmpx_lt_u32_e32 0xffff, v6
	s_cbranch_execz .LBB34_9
; %bb.6:
	v_lshrrev_b32_e32 v6, 16, v6
	s_delay_alu instid0(VALU_DEP_1) | instskip(NEXT) | instid1(VALU_DEP_1)
	v_sub_nc_u16 v10, 0, v6
	v_max_i16 v10, v6, v10
	v_and_b32_e32 v6, 0xffff, v8
	s_delay_alu instid0(VALU_DEP_2)
	v_and_b32_e32 v10, 0xffff, v10
.LBB34_7:                               ; =>This Inner Loop Header: Depth=1
	s_delay_alu instid0(VALU_DEP_1) | instskip(NEXT) | instid1(VALU_DEP_2)
	v_bfe_i32 v12, v6, 0, 16
	v_mov_b32_e32 v8, v10
	s_delay_alu instid0(VALU_DEP_2) | instskip(NEXT) | instid1(VALU_DEP_2)
	v_cvt_f32_i32_e32 v14, v12
	v_bfe_i32 v10, v8, 0, 16
	s_delay_alu instid0(VALU_DEP_1) | instskip(SKIP_1) | instid1(VALU_DEP_2)
	v_cvt_f32_i32_e32 v11, v10
	v_xor_b32_e32 v10, v12, v10
	v_rcp_iflag_f32_e32 v13, v11
	v_nop
	s_delay_alu instid0(TRANS32_DEP_1) | instskip(NEXT) | instid1(VALU_DEP_1)
	v_dual_ashrrev_i32 v10, 30, v10 :: v_dual_mul_f32 v12, v14, v13
	v_trunc_f32_e32 v12, v12
	s_delay_alu instid0(VALU_DEP_1) | instskip(SKIP_1) | instid1(VALU_DEP_2)
	v_dual_fma_f32 v13, -v12, v11, v14 :: v_dual_bitop2_b32 v10, 1, v10 bitop3:0x54
	v_cvt_i32_f32_e32 v12, v12
	v_cmp_ge_f32_e64 vcc_lo, |v13|, |v11|
	s_delay_alu instid0(VALU_DEP_3) | instskip(NEXT) | instid1(VALU_DEP_1)
	v_cndmask_b32_e32 v10, 0, v10, vcc_lo
	v_add_nc_u32_e32 v10, v12, v10
	s_delay_alu instid0(VALU_DEP_1) | instskip(NEXT) | instid1(VALU_DEP_1)
	v_mul_lo_u32 v10, v10, v8
	v_sub_nc_u32_e32 v10, v6, v10
	s_delay_alu instid0(VALU_DEP_1) | instskip(SKIP_1) | instid1(VALU_DEP_2)
	v_and_b32_e32 v6, 0xffff, v10
	v_bfe_i32 v10, v10, 0, 16
	v_cmp_eq_u32_e32 vcc_lo, 0, v6
	v_mov_b32_e32 v6, v8
	s_or_b32 s11, vcc_lo, s11
	s_delay_alu instid0(SALU_CYCLE_1)
	s_and_not1_b32 exec_lo, exec_lo, s11
	s_cbranch_execnz .LBB34_7
; %bb.8:
	s_or_b32 exec_lo, exec_lo, s11
.LBB34_9:
	s_delay_alu instid0(SALU_CYCLE_1) | instskip(SKIP_3) | instid1(VALU_DEP_1)
	s_or_b32 exec_lo, exec_lo, s3
	v_sub_nc_u16 v6, 0, v9
	s_mov_b32 s11, 0
	s_mov_b32 s3, exec_lo
	v_max_i16 v6, v9, v6
	v_cmpx_ne_u16_e32 0, v7
	s_cbranch_execz .LBB34_13
; %bb.10:
	v_sub_nc_u16 v10, 0, v7
	s_delay_alu instid0(VALU_DEP_1) | instskip(SKIP_1) | instid1(VALU_DEP_2)
	v_max_i16 v11, v7, v10
	v_and_b32_e32 v10, 0xffff, v6
	v_and_b32_e32 v11, 0xffff, v11
.LBB34_11:                              ; =>This Inner Loop Header: Depth=1
	s_delay_alu instid0(VALU_DEP_1) | instskip(NEXT) | instid1(VALU_DEP_2)
	v_bfe_i32 v13, v10, 0, 16
	v_mov_b32_e32 v6, v11
	s_delay_alu instid0(VALU_DEP_2) | instskip(NEXT) | instid1(VALU_DEP_2)
	v_cvt_f32_i32_e32 v15, v13
	v_bfe_i32 v11, v6, 0, 16
	s_delay_alu instid0(VALU_DEP_1) | instskip(SKIP_1) | instid1(VALU_DEP_2)
	v_cvt_f32_i32_e32 v12, v11
	v_xor_b32_e32 v11, v13, v11
	v_rcp_iflag_f32_e32 v14, v12
	v_nop
	s_delay_alu instid0(TRANS32_DEP_1) | instskip(NEXT) | instid1(VALU_DEP_1)
	v_dual_ashrrev_i32 v11, 30, v11 :: v_dual_mul_f32 v13, v15, v14
	v_trunc_f32_e32 v13, v13
	s_delay_alu instid0(VALU_DEP_1) | instskip(SKIP_1) | instid1(VALU_DEP_2)
	v_dual_fma_f32 v14, -v13, v12, v15 :: v_dual_bitop2_b32 v11, 1, v11 bitop3:0x54
	v_cvt_i32_f32_e32 v13, v13
	v_cmp_ge_f32_e64 vcc_lo, |v14|, |v12|
	s_delay_alu instid0(VALU_DEP_3) | instskip(NEXT) | instid1(VALU_DEP_1)
	v_cndmask_b32_e32 v11, 0, v11, vcc_lo
	v_add_nc_u32_e32 v11, v13, v11
	s_delay_alu instid0(VALU_DEP_1) | instskip(NEXT) | instid1(VALU_DEP_1)
	v_mul_lo_u32 v11, v11, v6
	v_sub_nc_u32_e32 v11, v10, v11
	s_delay_alu instid0(VALU_DEP_1) | instskip(SKIP_1) | instid1(VALU_DEP_2)
	v_and_b32_e32 v10, 0xffff, v11
	v_bfe_i32 v11, v11, 0, 16
	v_cmp_eq_u32_e32 vcc_lo, 0, v10
	v_mov_b32_e32 v10, v6
	s_or_b32 s11, vcc_lo, s11
	s_delay_alu instid0(SALU_CYCLE_1)
	s_and_not1_b32 exec_lo, exec_lo, s11
	s_cbranch_execnz .LBB34_11
; %bb.12:
	s_or_b32 exec_lo, exec_lo, s11
.LBB34_13:
	s_delay_alu instid0(SALU_CYCLE_1) | instskip(SKIP_3) | instid1(VALU_DEP_1)
	s_or_b32 exec_lo, exec_lo, s3
	v_lshrrev_b32_e32 v9, 16, v9
	s_mov_b32 s11, 0
	s_mov_b32 s3, exec_lo
	v_sub_nc_u16 v10, 0, v9
	s_delay_alu instid0(VALU_DEP_1)
	v_max_i16 v9, v9, v10
	v_cmpx_lt_u32_e32 0xffff, v7
	s_cbranch_execz .LBB34_17
; %bb.14:
	v_lshrrev_b32_e32 v7, 16, v7
	s_delay_alu instid0(VALU_DEP_1) | instskip(NEXT) | instid1(VALU_DEP_1)
	v_sub_nc_u16 v10, 0, v7
	v_max_i16 v10, v7, v10
	v_and_b32_e32 v7, 0xffff, v9
	s_delay_alu instid0(VALU_DEP_2)
	v_and_b32_e32 v10, 0xffff, v10
.LBB34_15:                              ; =>This Inner Loop Header: Depth=1
	s_delay_alu instid0(VALU_DEP_1) | instskip(NEXT) | instid1(VALU_DEP_2)
	v_bfe_i32 v12, v7, 0, 16
	v_mov_b32_e32 v9, v10
	s_delay_alu instid0(VALU_DEP_2) | instskip(NEXT) | instid1(VALU_DEP_2)
	v_cvt_f32_i32_e32 v14, v12
	v_bfe_i32 v10, v9, 0, 16
	s_delay_alu instid0(VALU_DEP_1) | instskip(SKIP_1) | instid1(VALU_DEP_2)
	v_cvt_f32_i32_e32 v11, v10
	v_xor_b32_e32 v10, v12, v10
	v_rcp_iflag_f32_e32 v13, v11
	v_nop
	s_delay_alu instid0(TRANS32_DEP_1) | instskip(NEXT) | instid1(VALU_DEP_1)
	v_dual_ashrrev_i32 v10, 30, v10 :: v_dual_mul_f32 v12, v14, v13
	v_trunc_f32_e32 v12, v12
	s_delay_alu instid0(VALU_DEP_1) | instskip(SKIP_1) | instid1(VALU_DEP_2)
	v_dual_fma_f32 v13, -v12, v11, v14 :: v_dual_bitop2_b32 v10, 1, v10 bitop3:0x54
	v_cvt_i32_f32_e32 v12, v12
	v_cmp_ge_f32_e64 vcc_lo, |v13|, |v11|
	s_delay_alu instid0(VALU_DEP_3) | instskip(NEXT) | instid1(VALU_DEP_1)
	v_cndmask_b32_e32 v10, 0, v10, vcc_lo
	v_add_nc_u32_e32 v10, v12, v10
	s_delay_alu instid0(VALU_DEP_1) | instskip(NEXT) | instid1(VALU_DEP_1)
	v_mul_lo_u32 v10, v10, v9
	v_sub_nc_u32_e32 v10, v7, v10
	s_delay_alu instid0(VALU_DEP_1) | instskip(SKIP_1) | instid1(VALU_DEP_2)
	v_and_b32_e32 v7, 0xffff, v10
	v_bfe_i32 v10, v10, 0, 16
	v_cmp_eq_u32_e32 vcc_lo, 0, v7
	v_mov_b32_e32 v7, v9
	s_or_b32 s11, vcc_lo, s11
	s_delay_alu instid0(SALU_CYCLE_1)
	s_and_not1_b32 exec_lo, exec_lo, s11
	s_cbranch_execnz .LBB34_15
; %bb.16:
	s_or_b32 exec_lo, exec_lo, s11
.LBB34_17:
	s_delay_alu instid0(SALU_CYCLE_1) | instskip(SKIP_4) | instid1(VALU_DEP_1)
	s_or_b32 exec_lo, exec_lo, s3
	s_wait_loadcnt 0x0
	v_sub_nc_u16 v7, 0, v4
	s_mov_b32 s11, 0
	s_mov_b32 s3, exec_lo
	v_max_i16 v7, v4, v7
	v_cmpx_ne_u16_e32 0, v2
	s_cbranch_execz .LBB34_21
; %bb.18:
	v_sub_nc_u16 v10, 0, v2
	s_delay_alu instid0(VALU_DEP_1) | instskip(SKIP_1) | instid1(VALU_DEP_2)
	v_max_i16 v11, v2, v10
	v_and_b32_e32 v10, 0xffff, v7
	v_and_b32_e32 v11, 0xffff, v11
.LBB34_19:                              ; =>This Inner Loop Header: Depth=1
	s_delay_alu instid0(VALU_DEP_1) | instskip(NEXT) | instid1(VALU_DEP_2)
	v_bfe_i32 v13, v10, 0, 16
	v_mov_b32_e32 v7, v11
	s_delay_alu instid0(VALU_DEP_2) | instskip(NEXT) | instid1(VALU_DEP_2)
	v_cvt_f32_i32_e32 v15, v13
	v_bfe_i32 v11, v7, 0, 16
	s_delay_alu instid0(VALU_DEP_1) | instskip(SKIP_1) | instid1(VALU_DEP_2)
	v_cvt_f32_i32_e32 v12, v11
	v_xor_b32_e32 v11, v13, v11
	v_rcp_iflag_f32_e32 v14, v12
	v_nop
	s_delay_alu instid0(TRANS32_DEP_1) | instskip(NEXT) | instid1(VALU_DEP_1)
	v_dual_ashrrev_i32 v11, 30, v11 :: v_dual_mul_f32 v13, v15, v14
	v_trunc_f32_e32 v13, v13
	s_delay_alu instid0(VALU_DEP_1) | instskip(SKIP_1) | instid1(VALU_DEP_2)
	v_dual_fma_f32 v14, -v13, v12, v15 :: v_dual_bitop2_b32 v11, 1, v11 bitop3:0x54
	v_cvt_i32_f32_e32 v13, v13
	v_cmp_ge_f32_e64 vcc_lo, |v14|, |v12|
	s_delay_alu instid0(VALU_DEP_3) | instskip(NEXT) | instid1(VALU_DEP_1)
	v_cndmask_b32_e32 v11, 0, v11, vcc_lo
	v_add_nc_u32_e32 v11, v13, v11
	s_delay_alu instid0(VALU_DEP_1) | instskip(NEXT) | instid1(VALU_DEP_1)
	v_mul_lo_u32 v11, v11, v7
	v_sub_nc_u32_e32 v11, v10, v11
	s_delay_alu instid0(VALU_DEP_1) | instskip(SKIP_1) | instid1(VALU_DEP_2)
	v_and_b32_e32 v10, 0xffff, v11
	v_bfe_i32 v11, v11, 0, 16
	v_cmp_eq_u32_e32 vcc_lo, 0, v10
	v_mov_b32_e32 v10, v7
	s_or_b32 s11, vcc_lo, s11
	s_delay_alu instid0(SALU_CYCLE_1)
	s_and_not1_b32 exec_lo, exec_lo, s11
	s_cbranch_execnz .LBB34_19
; %bb.20:
	s_or_b32 exec_lo, exec_lo, s11
.LBB34_21:
	s_delay_alu instid0(SALU_CYCLE_1) | instskip(SKIP_3) | instid1(VALU_DEP_1)
	s_or_b32 exec_lo, exec_lo, s3
	v_lshrrev_b32_e32 v4, 16, v4
	s_mov_b32 s11, 0
	s_mov_b32 s3, exec_lo
	v_sub_nc_u16 v10, 0, v4
	s_delay_alu instid0(VALU_DEP_1)
	v_max_i16 v4, v4, v10
	v_cmpx_lt_u32_e32 0xffff, v2
	s_cbranch_execz .LBB34_25
; %bb.22:
	v_lshrrev_b32_e32 v2, 16, v2
	s_delay_alu instid0(VALU_DEP_1) | instskip(NEXT) | instid1(VALU_DEP_1)
	v_sub_nc_u16 v10, 0, v2
	v_max_i16 v10, v2, v10
	v_and_b32_e32 v2, 0xffff, v4
	s_delay_alu instid0(VALU_DEP_2)
	v_and_b32_e32 v10, 0xffff, v10
.LBB34_23:                              ; =>This Inner Loop Header: Depth=1
	s_delay_alu instid0(VALU_DEP_1) | instskip(NEXT) | instid1(VALU_DEP_2)
	v_bfe_i32 v12, v2, 0, 16
	v_mov_b32_e32 v4, v10
	s_delay_alu instid0(VALU_DEP_2) | instskip(NEXT) | instid1(VALU_DEP_2)
	v_cvt_f32_i32_e32 v14, v12
	v_bfe_i32 v10, v4, 0, 16
	s_delay_alu instid0(VALU_DEP_1) | instskip(SKIP_1) | instid1(VALU_DEP_2)
	v_cvt_f32_i32_e32 v11, v10
	v_xor_b32_e32 v10, v12, v10
	v_rcp_iflag_f32_e32 v13, v11
	v_nop
	s_delay_alu instid0(TRANS32_DEP_1) | instskip(NEXT) | instid1(VALU_DEP_1)
	v_dual_ashrrev_i32 v10, 30, v10 :: v_dual_mul_f32 v12, v14, v13
	v_trunc_f32_e32 v12, v12
	s_delay_alu instid0(VALU_DEP_1) | instskip(SKIP_1) | instid1(VALU_DEP_2)
	v_dual_fma_f32 v13, -v12, v11, v14 :: v_dual_bitop2_b32 v10, 1, v10 bitop3:0x54
	v_cvt_i32_f32_e32 v12, v12
	v_cmp_ge_f32_e64 vcc_lo, |v13|, |v11|
	s_delay_alu instid0(VALU_DEP_3) | instskip(NEXT) | instid1(VALU_DEP_1)
	v_cndmask_b32_e32 v10, 0, v10, vcc_lo
	v_add_nc_u32_e32 v10, v12, v10
	s_delay_alu instid0(VALU_DEP_1) | instskip(NEXT) | instid1(VALU_DEP_1)
	v_mul_lo_u32 v10, v10, v4
	v_sub_nc_u32_e32 v10, v2, v10
	s_delay_alu instid0(VALU_DEP_1) | instskip(SKIP_1) | instid1(VALU_DEP_2)
	v_and_b32_e32 v2, 0xffff, v10
	v_bfe_i32 v10, v10, 0, 16
	v_cmp_eq_u32_e32 vcc_lo, 0, v2
	v_mov_b32_e32 v2, v4
	s_or_b32 s11, vcc_lo, s11
	s_delay_alu instid0(SALU_CYCLE_1)
	s_and_not1_b32 exec_lo, exec_lo, s11
	s_cbranch_execnz .LBB34_23
; %bb.24:
	s_or_b32 exec_lo, exec_lo, s11
.LBB34_25:
	s_delay_alu instid0(SALU_CYCLE_1) | instskip(SKIP_3) | instid1(VALU_DEP_1)
	s_or_b32 exec_lo, exec_lo, s3
	v_sub_nc_u16 v2, 0, v5
	s_mov_b32 s11, 0
	s_mov_b32 s3, exec_lo
	v_max_i16 v2, v5, v2
	v_cmpx_ne_u16_e32 0, v3
	s_cbranch_execz .LBB34_29
; %bb.26:
	v_sub_nc_u16 v10, 0, v3
	s_delay_alu instid0(VALU_DEP_1) | instskip(SKIP_1) | instid1(VALU_DEP_2)
	v_max_i16 v11, v3, v10
	v_and_b32_e32 v10, 0xffff, v2
	v_and_b32_e32 v11, 0xffff, v11
.LBB34_27:                              ; =>This Inner Loop Header: Depth=1
	s_delay_alu instid0(VALU_DEP_1) | instskip(NEXT) | instid1(VALU_DEP_2)
	v_bfe_i32 v13, v10, 0, 16
	v_mov_b32_e32 v2, v11
	s_delay_alu instid0(VALU_DEP_2) | instskip(NEXT) | instid1(VALU_DEP_2)
	v_cvt_f32_i32_e32 v15, v13
	v_bfe_i32 v11, v2, 0, 16
	s_delay_alu instid0(VALU_DEP_1) | instskip(SKIP_1) | instid1(VALU_DEP_2)
	v_cvt_f32_i32_e32 v12, v11
	v_xor_b32_e32 v11, v13, v11
	v_rcp_iflag_f32_e32 v14, v12
	v_nop
	s_delay_alu instid0(TRANS32_DEP_1) | instskip(NEXT) | instid1(VALU_DEP_1)
	v_dual_ashrrev_i32 v11, 30, v11 :: v_dual_mul_f32 v13, v15, v14
	v_trunc_f32_e32 v13, v13
	s_delay_alu instid0(VALU_DEP_1) | instskip(SKIP_1) | instid1(VALU_DEP_2)
	v_dual_fma_f32 v14, -v13, v12, v15 :: v_dual_bitop2_b32 v11, 1, v11 bitop3:0x54
	v_cvt_i32_f32_e32 v13, v13
	v_cmp_ge_f32_e64 vcc_lo, |v14|, |v12|
	s_delay_alu instid0(VALU_DEP_3) | instskip(NEXT) | instid1(VALU_DEP_1)
	v_cndmask_b32_e32 v11, 0, v11, vcc_lo
	v_add_nc_u32_e32 v11, v13, v11
	s_delay_alu instid0(VALU_DEP_1) | instskip(NEXT) | instid1(VALU_DEP_1)
	v_mul_lo_u32 v11, v11, v2
	v_sub_nc_u32_e32 v11, v10, v11
	s_delay_alu instid0(VALU_DEP_1) | instskip(SKIP_1) | instid1(VALU_DEP_2)
	v_and_b32_e32 v10, 0xffff, v11
	v_bfe_i32 v11, v11, 0, 16
	v_cmp_eq_u32_e32 vcc_lo, 0, v10
	v_mov_b32_e32 v10, v2
	s_or_b32 s11, vcc_lo, s11
	s_delay_alu instid0(SALU_CYCLE_1)
	s_and_not1_b32 exec_lo, exec_lo, s11
	s_cbranch_execnz .LBB34_27
; %bb.28:
	s_or_b32 exec_lo, exec_lo, s11
.LBB34_29:
	s_delay_alu instid0(SALU_CYCLE_1) | instskip(SKIP_3) | instid1(VALU_DEP_1)
	s_or_b32 exec_lo, exec_lo, s3
	v_lshrrev_b32_e32 v5, 16, v5
	s_mov_b32 s11, 0
	s_mov_b32 s3, exec_lo
	v_sub_nc_u16 v10, 0, v5
	s_delay_alu instid0(VALU_DEP_1)
	v_max_i16 v5, v5, v10
	v_cmpx_lt_u32_e32 0xffff, v3
	s_cbranch_execz .LBB34_33
; %bb.30:
	v_lshrrev_b32_e32 v3, 16, v3
	s_delay_alu instid0(VALU_DEP_1) | instskip(NEXT) | instid1(VALU_DEP_1)
	v_sub_nc_u16 v10, 0, v3
	v_max_i16 v10, v3, v10
	v_and_b32_e32 v3, 0xffff, v5
	s_delay_alu instid0(VALU_DEP_2)
	v_and_b32_e32 v10, 0xffff, v10
.LBB34_31:                              ; =>This Inner Loop Header: Depth=1
	s_delay_alu instid0(VALU_DEP_1) | instskip(NEXT) | instid1(VALU_DEP_2)
	v_bfe_i32 v12, v3, 0, 16
	v_mov_b32_e32 v5, v10
	s_delay_alu instid0(VALU_DEP_2) | instskip(NEXT) | instid1(VALU_DEP_2)
	v_cvt_f32_i32_e32 v14, v12
	v_bfe_i32 v10, v5, 0, 16
	s_delay_alu instid0(VALU_DEP_1) | instskip(SKIP_1) | instid1(VALU_DEP_2)
	v_cvt_f32_i32_e32 v11, v10
	v_xor_b32_e32 v10, v12, v10
	v_rcp_iflag_f32_e32 v13, v11
	v_nop
	s_delay_alu instid0(TRANS32_DEP_1) | instskip(NEXT) | instid1(VALU_DEP_1)
	v_dual_ashrrev_i32 v10, 30, v10 :: v_dual_mul_f32 v12, v14, v13
	v_trunc_f32_e32 v12, v12
	s_delay_alu instid0(VALU_DEP_1) | instskip(SKIP_1) | instid1(VALU_DEP_2)
	v_dual_fma_f32 v13, -v12, v11, v14 :: v_dual_bitop2_b32 v10, 1, v10 bitop3:0x54
	v_cvt_i32_f32_e32 v12, v12
	v_cmp_ge_f32_e64 vcc_lo, |v13|, |v11|
	s_delay_alu instid0(VALU_DEP_3) | instskip(NEXT) | instid1(VALU_DEP_1)
	v_cndmask_b32_e32 v10, 0, v10, vcc_lo
	v_add_nc_u32_e32 v10, v12, v10
	s_delay_alu instid0(VALU_DEP_1) | instskip(NEXT) | instid1(VALU_DEP_1)
	v_mul_lo_u32 v10, v10, v5
	v_sub_nc_u32_e32 v10, v3, v10
	s_delay_alu instid0(VALU_DEP_1) | instskip(SKIP_1) | instid1(VALU_DEP_2)
	v_and_b32_e32 v3, 0xffff, v10
	v_bfe_i32 v10, v10, 0, 16
	v_cmp_eq_u32_e32 vcc_lo, 0, v3
	v_mov_b32_e32 v3, v5
	s_or_b32 s11, vcc_lo, s11
	s_delay_alu instid0(SALU_CYCLE_1)
	s_and_not1_b32 exec_lo, exec_lo, s11
	s_cbranch_execnz .LBB34_31
; %bb.32:
	s_or_b32 exec_lo, exec_lo, s11
.LBB34_33:
	s_delay_alu instid0(SALU_CYCLE_1)
	s_or_b32 exec_lo, exec_lo, s3
	v_perm_b32 v9, v9, v6, 0x5040100
	v_perm_b32 v8, v8, v1, 0x5040100
	;; [unrolled: 1-line block ×4, first 2 shown]
	s_add_nc_u64 s[12:13], s[4:5], s[0:1]
	s_mov_b32 s0, 0
	s_clause 0x1
	global_store_b64 v0, v[8:9], s[12:13] scale_offset
	global_store_b64 v0, v[2:3], s[12:13] offset:2048 scale_offset
.LBB34_34:
	s_and_b32 vcc_lo, exec_lo, s0
	s_cbranch_vccz .LBB34_103
; %bb.35:
	v_cmp_gt_i32_e32 vcc_lo, s10, v0
	v_dual_mov_b32 v20, 0 :: v_dual_bitop2_b32 v5, s2, v0 bitop3:0x54
	v_or_b32_e32 v6, 0x100, v0
	v_dual_mov_b32 v22, 0 :: v_dual_mov_b32 v21, 0
	v_mov_b32_e32 v1, v0
	s_wait_xcnt 0x0
	s_and_saveexec_b32 s0, vcc_lo
	s_cbranch_execz .LBB34_37
; %bb.36:
	s_clause 0x1
	global_load_u16 v2, v5, s[8:9] scale_offset
	global_load_u16 v22, v5, s[6:7] scale_offset
	v_or_b32_e32 v1, 0x100, v0
	s_wait_loadcnt 0x1
	v_sub_nc_u16 v3, 0, v2
	s_delay_alu instid0(VALU_DEP_1)
	v_max_i16 v21, v2, v3
.LBB34_37:
	s_wait_xcnt 0x0
	s_or_b32 exec_lo, exec_lo, s0
	v_mov_b32_e32 v19, 0
	s_mov_b32 s1, exec_lo
	v_cmpx_gt_i32_e64 s10, v1
	s_cbranch_execz .LBB34_39
; %bb.38:
	v_add_nc_u32_e32 v2, s2, v1
	v_add_nc_u32_e32 v1, 0x100, v1
	s_clause 0x1
	global_load_u16 v3, v2, s[8:9] scale_offset
	global_load_u16 v20, v2, s[6:7] scale_offset
	s_wait_loadcnt 0x1
	s_wait_xcnt 0x0
	v_sub_nc_u16 v2, 0, v3
	s_delay_alu instid0(VALU_DEP_1)
	v_max_i16 v19, v3, v2
.LBB34_39:
	s_or_b32 exec_lo, exec_lo, s1
	v_dual_mov_b32 v16, 0 :: v_dual_mov_b32 v18, 0
	v_mov_b32_e32 v17, 0
	s_mov_b32 s1, exec_lo
	v_cmpx_gt_i32_e64 s10, v1
	s_cbranch_execz .LBB34_41
; %bb.40:
	v_add_nc_u32_e32 v2, s2, v1
	v_add_nc_u32_e32 v1, 0x100, v1
	s_clause 0x1
	global_load_u16 v3, v2, s[8:9] scale_offset
	global_load_u16 v18, v2, s[6:7] scale_offset
	s_wait_loadcnt 0x1
	s_wait_xcnt 0x0
	v_sub_nc_u16 v2, 0, v3
	s_delay_alu instid0(VALU_DEP_1)
	v_max_i16 v17, v3, v2
.LBB34_41:
	s_or_b32 exec_lo, exec_lo, s1
	v_mov_b32_e32 v15, 0
	s_mov_b32 s1, exec_lo
	v_cmpx_gt_i32_e64 s10, v1
	s_cbranch_execz .LBB34_43
; %bb.42:
	v_add_nc_u32_e32 v2, s2, v1
	v_add_nc_u32_e32 v1, 0x100, v1
	s_clause 0x1
	global_load_u16 v3, v2, s[8:9] scale_offset
	global_load_u16 v16, v2, s[6:7] scale_offset
	s_wait_loadcnt 0x1
	s_wait_xcnt 0x0
	v_sub_nc_u16 v2, 0, v3
	s_delay_alu instid0(VALU_DEP_1)
	v_max_i16 v15, v3, v2
.LBB34_43:
	s_or_b32 exec_lo, exec_lo, s1
	v_dual_mov_b32 v12, 0 :: v_dual_mov_b32 v14, 0
	v_mov_b32_e32 v13, 0
	s_mov_b32 s1, exec_lo
	v_cmpx_gt_i32_e64 s10, v1
	s_cbranch_execz .LBB34_45
; %bb.44:
	v_add_nc_u32_e32 v2, s2, v1
	v_add_nc_u32_e32 v1, 0x100, v1
	s_clause 0x1
	global_load_u16 v3, v2, s[8:9] scale_offset
	global_load_u16 v14, v2, s[6:7] scale_offset
	s_wait_loadcnt 0x1
	s_wait_xcnt 0x0
	v_sub_nc_u16 v2, 0, v3
	s_delay_alu instid0(VALU_DEP_1)
	v_max_i16 v13, v3, v2
.LBB34_45:
	;; [unrolled: 35-line block ×3, first 2 shown]
	s_or_b32 exec_lo, exec_lo, s1
	v_mov_b32_e32 v7, 0
	s_mov_b32 s1, exec_lo
	v_cmpx_gt_i32_e64 s10, v1
	s_cbranch_execz .LBB34_51
; %bb.50:
	v_add_nc_u32_e32 v1, s2, v1
	s_clause 0x1
	global_load_u16 v2, v1, s[8:9] scale_offset
	global_load_u16 v8, v1, s[6:7] scale_offset
	s_wait_loadcnt 0x1
	s_wait_xcnt 0x0
	v_sub_nc_u16 v1, 0, v2
	s_delay_alu instid0(VALU_DEP_1)
	v_max_i16 v7, v2, v1
.LBB34_51:
	s_or_b32 exec_lo, exec_lo, s1
	v_mov_b32_e32 v4, 0
	s_delay_alu instid0(VALU_DEP_1)
	v_dual_mov_b32 v1, v4 :: v_dual_mov_b32 v2, v4
	v_mov_b32_e32 v3, v4
	s_and_saveexec_b32 s1, vcc_lo
	s_cbranch_execz .LBB34_57
; %bb.52:
	s_mov_b32 s3, exec_lo
	s_wait_loadcnt 0x0
	v_cmpx_ne_u16_e32 0, v22
	s_cbranch_execz .LBB34_56
; %bb.53:
	v_sub_nc_u16 v1, 0, v22
	s_mov_b32 s6, 0
	s_delay_alu instid0(VALU_DEP_1) | instskip(SKIP_1) | instid1(VALU_DEP_2)
	v_max_i16 v2, v22, v1
	v_and_b32_e32 v1, 0xffff, v21
	v_and_b32_e32 v2, 0xffff, v2
.LBB34_54:                              ; =>This Inner Loop Header: Depth=1
	s_delay_alu instid0(VALU_DEP_1) | instskip(NEXT) | instid1(VALU_DEP_2)
	v_bfe_i32 v4, v1, 0, 16
	v_mov_b32_e32 v21, v2
	s_delay_alu instid0(VALU_DEP_2) | instskip(NEXT) | instid1(VALU_DEP_2)
	v_cvt_f32_i32_e32 v23, v4
	v_bfe_i32 v2, v21, 0, 16
	s_delay_alu instid0(VALU_DEP_1) | instskip(SKIP_1) | instid1(VALU_DEP_2)
	v_cvt_f32_i32_e32 v3, v2
	v_xor_b32_e32 v2, v4, v2
	v_rcp_iflag_f32_e32 v22, v3
	v_nop
	s_delay_alu instid0(TRANS32_DEP_1) | instskip(NEXT) | instid1(VALU_DEP_1)
	v_mul_f32_e32 v4, v23, v22
	v_trunc_f32_e32 v4, v4
	s_delay_alu instid0(VALU_DEP_1) | instskip(NEXT) | instid1(VALU_DEP_1)
	v_dual_ashrrev_i32 v2, 30, v2 :: v_dual_fma_f32 v22, -v4, v3, v23
	v_or_b32_e32 v2, 1, v2
	v_cvt_i32_f32_e32 v4, v4
	s_delay_alu instid0(VALU_DEP_3) | instskip(NEXT) | instid1(VALU_DEP_1)
	v_cmp_ge_f32_e64 s0, |v22|, |v3|
	v_cndmask_b32_e64 v2, 0, v2, s0
	s_delay_alu instid0(VALU_DEP_1) | instskip(NEXT) | instid1(VALU_DEP_1)
	v_add_nc_u32_e32 v2, v4, v2
	v_mul_lo_u32 v2, v2, v21
	s_delay_alu instid0(VALU_DEP_1) | instskip(NEXT) | instid1(VALU_DEP_1)
	v_sub_nc_u32_e32 v2, v1, v2
	v_and_b32_e32 v1, 0xffff, v2
	v_bfe_i32 v2, v2, 0, 16
	s_delay_alu instid0(VALU_DEP_2) | instskip(SKIP_2) | instid1(SALU_CYCLE_1)
	v_cmp_eq_u32_e64 s0, 0, v1
	v_mov_b32_e32 v1, v21
	s_or_b32 s6, s0, s6
	s_and_not1_b32 exec_lo, exec_lo, s6
	s_cbranch_execnz .LBB34_54
; %bb.55:
	s_or_b32 exec_lo, exec_lo, s6
.LBB34_56:
	s_delay_alu instid0(SALU_CYCLE_1) | instskip(SKIP_2) | instid1(VALU_DEP_2)
	s_or_b32 exec_lo, exec_lo, s3
	v_mov_b32_e32 v1, 0
	v_and_b32_e32 v4, 0xffff, v21
	v_dual_mov_b32 v2, v1 :: v_dual_mov_b32 v3, v1
.LBB34_57:
	s_or_b32 exec_lo, exec_lo, s1
	s_delay_alu instid0(SALU_CYCLE_1)
	s_mov_b32 s1, exec_lo
	v_cmpx_gt_i32_e64 s10, v6
	s_cbranch_execz .LBB34_63
; %bb.58:
	s_mov_b32 s6, 0
	s_mov_b32 s3, exec_lo
	s_wait_loadcnt 0x0
	v_cmpx_ne_u16_e32 0, v20
	s_cbranch_execz .LBB34_62
; %bb.59:
	v_sub_nc_u16 v21, 0, v20
	s_delay_alu instid0(VALU_DEP_1) | instskip(SKIP_1) | instid1(VALU_DEP_2)
	v_max_i16 v21, v20, v21
	v_and_b32_e32 v20, 0xffff, v19
	v_and_b32_e32 v21, 0xffff, v21
.LBB34_60:                              ; =>This Inner Loop Header: Depth=1
	s_delay_alu instid0(VALU_DEP_1) | instskip(NEXT) | instid1(VALU_DEP_2)
	v_bfe_i32 v23, v20, 0, 16
	v_mov_b32_e32 v19, v21
	s_delay_alu instid0(VALU_DEP_2) | instskip(NEXT) | instid1(VALU_DEP_2)
	v_cvt_f32_i32_e32 v25, v23
	v_bfe_i32 v21, v19, 0, 16
	s_delay_alu instid0(VALU_DEP_1) | instskip(SKIP_1) | instid1(VALU_DEP_2)
	v_cvt_f32_i32_e32 v22, v21
	v_xor_b32_e32 v21, v23, v21
	v_rcp_iflag_f32_e32 v24, v22
	v_nop
	s_delay_alu instid0(TRANS32_DEP_1) | instskip(NEXT) | instid1(VALU_DEP_1)
	v_dual_ashrrev_i32 v21, 30, v21 :: v_dual_mul_f32 v23, v25, v24
	v_trunc_f32_e32 v23, v23
	s_delay_alu instid0(VALU_DEP_1) | instskip(SKIP_1) | instid1(VALU_DEP_2)
	v_dual_fma_f32 v24, -v23, v22, v25 :: v_dual_bitop2_b32 v21, 1, v21 bitop3:0x54
	v_cvt_i32_f32_e32 v23, v23
	v_cmp_ge_f32_e64 s0, |v24|, |v22|
	s_delay_alu instid0(VALU_DEP_1) | instskip(NEXT) | instid1(VALU_DEP_1)
	v_cndmask_b32_e64 v21, 0, v21, s0
	v_add_nc_u32_e32 v21, v23, v21
	s_delay_alu instid0(VALU_DEP_1) | instskip(NEXT) | instid1(VALU_DEP_1)
	v_mul_lo_u32 v21, v21, v19
	v_sub_nc_u32_e32 v21, v20, v21
	s_delay_alu instid0(VALU_DEP_1) | instskip(SKIP_1) | instid1(VALU_DEP_2)
	v_and_b32_e32 v20, 0xffff, v21
	v_bfe_i32 v21, v21, 0, 16
	v_cmp_eq_u32_e64 s0, 0, v20
	v_mov_b32_e32 v20, v19
	s_or_b32 s6, s0, s6
	s_delay_alu instid0(SALU_CYCLE_1)
	s_and_not1_b32 exec_lo, exec_lo, s6
	s_cbranch_execnz .LBB34_60
; %bb.61:
	s_or_b32 exec_lo, exec_lo, s6
.LBB34_62:
	s_delay_alu instid0(SALU_CYCLE_1)
	s_or_b32 exec_lo, exec_lo, s3
	v_perm_b32 v4, v19, v4, 0x5040100
.LBB34_63:
	s_or_b32 exec_lo, exec_lo, s1
	v_or_b32_e32 v19, 0x200, v0
	s_mov_b32 s1, exec_lo
	s_delay_alu instid0(VALU_DEP_1)
	v_cmpx_gt_i32_e64 s10, v19
	s_cbranch_execz .LBB34_69
; %bb.64:
	s_mov_b32 s6, 0
	s_mov_b32 s3, exec_lo
	s_wait_loadcnt 0x0
	v_cmpx_ne_u16_e32 0, v18
	s_cbranch_execz .LBB34_68
; %bb.65:
	v_sub_nc_u16 v19, 0, v18
	s_delay_alu instid0(VALU_DEP_1) | instskip(SKIP_1) | instid1(VALU_DEP_2)
	v_max_i16 v19, v18, v19
	v_and_b32_e32 v18, 0xffff, v17
	v_and_b32_e32 v19, 0xffff, v19
.LBB34_66:                              ; =>This Inner Loop Header: Depth=1
	s_delay_alu instid0(VALU_DEP_1) | instskip(NEXT) | instid1(VALU_DEP_2)
	v_bfe_i32 v21, v18, 0, 16
	v_mov_b32_e32 v17, v19
	s_delay_alu instid0(VALU_DEP_2) | instskip(NEXT) | instid1(VALU_DEP_2)
	v_cvt_f32_i32_e32 v23, v21
	v_bfe_i32 v19, v17, 0, 16
	s_delay_alu instid0(VALU_DEP_1) | instskip(SKIP_1) | instid1(VALU_DEP_2)
	v_cvt_f32_i32_e32 v20, v19
	v_xor_b32_e32 v19, v21, v19
	v_rcp_iflag_f32_e32 v22, v20
	v_nop
	s_delay_alu instid0(TRANS32_DEP_1) | instskip(NEXT) | instid1(VALU_DEP_1)
	v_dual_ashrrev_i32 v19, 30, v19 :: v_dual_mul_f32 v21, v23, v22
	v_trunc_f32_e32 v21, v21
	s_delay_alu instid0(VALU_DEP_1) | instskip(SKIP_1) | instid1(VALU_DEP_2)
	v_dual_fma_f32 v22, -v21, v20, v23 :: v_dual_bitop2_b32 v19, 1, v19 bitop3:0x54
	v_cvt_i32_f32_e32 v21, v21
	v_cmp_ge_f32_e64 s0, |v22|, |v20|
	s_delay_alu instid0(VALU_DEP_1) | instskip(NEXT) | instid1(VALU_DEP_1)
	v_cndmask_b32_e64 v19, 0, v19, s0
	v_add_nc_u32_e32 v19, v21, v19
	s_delay_alu instid0(VALU_DEP_1) | instskip(NEXT) | instid1(VALU_DEP_1)
	v_mul_lo_u32 v19, v19, v17
	v_sub_nc_u32_e32 v19, v18, v19
	s_delay_alu instid0(VALU_DEP_1) | instskip(SKIP_1) | instid1(VALU_DEP_2)
	v_and_b32_e32 v18, 0xffff, v19
	v_bfe_i32 v19, v19, 0, 16
	v_cmp_eq_u32_e64 s0, 0, v18
	v_mov_b32_e32 v18, v17
	s_or_b32 s6, s0, s6
	s_delay_alu instid0(SALU_CYCLE_1)
	s_and_not1_b32 exec_lo, exec_lo, s6
	s_cbranch_execnz .LBB34_66
; %bb.67:
	s_or_b32 exec_lo, exec_lo, s6
.LBB34_68:
	s_delay_alu instid0(SALU_CYCLE_1)
	s_or_b32 exec_lo, exec_lo, s3
	v_bfi_b32 v1, 0xffff, v17, v1
.LBB34_69:
	s_or_b32 exec_lo, exec_lo, s1
	v_or_b32_e32 v17, 0x300, v0
	s_mov_b32 s1, exec_lo
	s_delay_alu instid0(VALU_DEP_1)
	v_cmpx_gt_i32_e64 s10, v17
	s_cbranch_execz .LBB34_75
; %bb.70:
	s_mov_b32 s6, 0
	s_mov_b32 s3, exec_lo
	s_wait_loadcnt 0x0
	v_cmpx_ne_u16_e32 0, v16
	s_cbranch_execz .LBB34_74
; %bb.71:
	v_sub_nc_u16 v17, 0, v16
	s_delay_alu instid0(VALU_DEP_1) | instskip(SKIP_1) | instid1(VALU_DEP_2)
	v_max_i16 v17, v16, v17
	v_and_b32_e32 v16, 0xffff, v15
	v_and_b32_e32 v17, 0xffff, v17
.LBB34_72:                              ; =>This Inner Loop Header: Depth=1
	s_delay_alu instid0(VALU_DEP_1) | instskip(NEXT) | instid1(VALU_DEP_2)
	v_bfe_i32 v19, v16, 0, 16
	v_mov_b32_e32 v15, v17
	s_delay_alu instid0(VALU_DEP_2) | instskip(NEXT) | instid1(VALU_DEP_2)
	v_cvt_f32_i32_e32 v21, v19
	v_bfe_i32 v17, v15, 0, 16
	s_delay_alu instid0(VALU_DEP_1) | instskip(SKIP_1) | instid1(VALU_DEP_2)
	v_cvt_f32_i32_e32 v18, v17
	v_xor_b32_e32 v17, v19, v17
	v_rcp_iflag_f32_e32 v20, v18
	v_nop
	s_delay_alu instid0(TRANS32_DEP_1) | instskip(NEXT) | instid1(VALU_DEP_1)
	v_dual_ashrrev_i32 v17, 30, v17 :: v_dual_mul_f32 v19, v21, v20
	v_trunc_f32_e32 v19, v19
	s_delay_alu instid0(VALU_DEP_1) | instskip(SKIP_1) | instid1(VALU_DEP_2)
	v_dual_fma_f32 v20, -v19, v18, v21 :: v_dual_bitop2_b32 v17, 1, v17 bitop3:0x54
	v_cvt_i32_f32_e32 v19, v19
	v_cmp_ge_f32_e64 s0, |v20|, |v18|
	s_delay_alu instid0(VALU_DEP_1) | instskip(NEXT) | instid1(VALU_DEP_1)
	v_cndmask_b32_e64 v17, 0, v17, s0
	v_add_nc_u32_e32 v17, v19, v17
	s_delay_alu instid0(VALU_DEP_1) | instskip(NEXT) | instid1(VALU_DEP_1)
	v_mul_lo_u32 v17, v17, v15
	v_sub_nc_u32_e32 v17, v16, v17
	s_delay_alu instid0(VALU_DEP_1) | instskip(SKIP_1) | instid1(VALU_DEP_2)
	v_and_b32_e32 v16, 0xffff, v17
	v_bfe_i32 v17, v17, 0, 16
	v_cmp_eq_u32_e64 s0, 0, v16
	v_mov_b32_e32 v16, v15
	s_or_b32 s6, s0, s6
	s_delay_alu instid0(SALU_CYCLE_1)
	s_and_not1_b32 exec_lo, exec_lo, s6
	s_cbranch_execnz .LBB34_72
; %bb.73:
	s_or_b32 exec_lo, exec_lo, s6
.LBB34_74:
	s_delay_alu instid0(SALU_CYCLE_1)
	s_or_b32 exec_lo, exec_lo, s3
	v_perm_b32 v1, v15, v1, 0x5040100
.LBB34_75:
	s_or_b32 exec_lo, exec_lo, s1
	v_or_b32_e32 v15, 0x400, v0
	s_mov_b32 s1, exec_lo
	s_delay_alu instid0(VALU_DEP_1)
	v_cmpx_gt_i32_e64 s10, v15
	s_cbranch_execz .LBB34_81
; %bb.76:
	s_mov_b32 s6, 0
	s_mov_b32 s3, exec_lo
	s_wait_loadcnt 0x0
	v_cmpx_ne_u16_e32 0, v14
	s_cbranch_execz .LBB34_80
; %bb.77:
	v_sub_nc_u16 v15, 0, v14
	s_delay_alu instid0(VALU_DEP_1) | instskip(SKIP_1) | instid1(VALU_DEP_2)
	v_max_i16 v15, v14, v15
	v_and_b32_e32 v14, 0xffff, v13
	v_and_b32_e32 v15, 0xffff, v15
.LBB34_78:                              ; =>This Inner Loop Header: Depth=1
	s_delay_alu instid0(VALU_DEP_1) | instskip(NEXT) | instid1(VALU_DEP_2)
	v_bfe_i32 v17, v14, 0, 16
	v_mov_b32_e32 v13, v15
	s_delay_alu instid0(VALU_DEP_2) | instskip(NEXT) | instid1(VALU_DEP_2)
	v_cvt_f32_i32_e32 v19, v17
	v_bfe_i32 v15, v13, 0, 16
	s_delay_alu instid0(VALU_DEP_1) | instskip(SKIP_1) | instid1(VALU_DEP_2)
	v_cvt_f32_i32_e32 v16, v15
	v_xor_b32_e32 v15, v17, v15
	v_rcp_iflag_f32_e32 v18, v16
	v_nop
	s_delay_alu instid0(TRANS32_DEP_1) | instskip(NEXT) | instid1(VALU_DEP_1)
	v_dual_ashrrev_i32 v15, 30, v15 :: v_dual_mul_f32 v17, v19, v18
	v_trunc_f32_e32 v17, v17
	s_delay_alu instid0(VALU_DEP_1) | instskip(SKIP_1) | instid1(VALU_DEP_2)
	v_dual_fma_f32 v18, -v17, v16, v19 :: v_dual_bitop2_b32 v15, 1, v15 bitop3:0x54
	v_cvt_i32_f32_e32 v17, v17
	v_cmp_ge_f32_e64 s0, |v18|, |v16|
	s_delay_alu instid0(VALU_DEP_1) | instskip(NEXT) | instid1(VALU_DEP_1)
	v_cndmask_b32_e64 v15, 0, v15, s0
	v_add_nc_u32_e32 v15, v17, v15
	s_delay_alu instid0(VALU_DEP_1) | instskip(NEXT) | instid1(VALU_DEP_1)
	v_mul_lo_u32 v15, v15, v13
	v_sub_nc_u32_e32 v15, v14, v15
	s_delay_alu instid0(VALU_DEP_1) | instskip(SKIP_1) | instid1(VALU_DEP_2)
	v_and_b32_e32 v14, 0xffff, v15
	v_bfe_i32 v15, v15, 0, 16
	v_cmp_eq_u32_e64 s0, 0, v14
	v_mov_b32_e32 v14, v13
	s_or_b32 s6, s0, s6
	s_delay_alu instid0(SALU_CYCLE_1)
	s_and_not1_b32 exec_lo, exec_lo, s6
	s_cbranch_execnz .LBB34_78
; %bb.79:
	s_or_b32 exec_lo, exec_lo, s6
.LBB34_80:
	s_delay_alu instid0(SALU_CYCLE_1)
	s_or_b32 exec_lo, exec_lo, s3
	v_bfi_b32 v2, 0xffff, v13, v2
.LBB34_81:
	s_or_b32 exec_lo, exec_lo, s1
	v_or_b32_e32 v13, 0x500, v0
	s_mov_b32 s1, exec_lo
	s_delay_alu instid0(VALU_DEP_1)
	v_cmpx_gt_i32_e64 s10, v13
	s_cbranch_execz .LBB34_87
; %bb.82:
	s_mov_b32 s6, 0
	s_mov_b32 s3, exec_lo
	s_wait_loadcnt 0x0
	v_cmpx_ne_u16_e32 0, v12
	s_cbranch_execz .LBB34_86
; %bb.83:
	v_sub_nc_u16 v13, 0, v12
	s_delay_alu instid0(VALU_DEP_1) | instskip(SKIP_1) | instid1(VALU_DEP_2)
	v_max_i16 v13, v12, v13
	v_and_b32_e32 v12, 0xffff, v11
	v_and_b32_e32 v13, 0xffff, v13
.LBB34_84:                              ; =>This Inner Loop Header: Depth=1
	s_delay_alu instid0(VALU_DEP_1) | instskip(NEXT) | instid1(VALU_DEP_2)
	v_bfe_i32 v15, v12, 0, 16
	v_mov_b32_e32 v11, v13
	s_delay_alu instid0(VALU_DEP_2) | instskip(NEXT) | instid1(VALU_DEP_2)
	v_cvt_f32_i32_e32 v17, v15
	v_bfe_i32 v13, v11, 0, 16
	s_delay_alu instid0(VALU_DEP_1) | instskip(SKIP_1) | instid1(VALU_DEP_2)
	v_cvt_f32_i32_e32 v14, v13
	v_xor_b32_e32 v13, v15, v13
	v_rcp_iflag_f32_e32 v16, v14
	v_nop
	s_delay_alu instid0(TRANS32_DEP_1) | instskip(NEXT) | instid1(VALU_DEP_1)
	v_dual_ashrrev_i32 v13, 30, v13 :: v_dual_mul_f32 v15, v17, v16
	v_trunc_f32_e32 v15, v15
	s_delay_alu instid0(VALU_DEP_1) | instskip(SKIP_1) | instid1(VALU_DEP_2)
	v_dual_fma_f32 v16, -v15, v14, v17 :: v_dual_bitop2_b32 v13, 1, v13 bitop3:0x54
	v_cvt_i32_f32_e32 v15, v15
	v_cmp_ge_f32_e64 s0, |v16|, |v14|
	s_delay_alu instid0(VALU_DEP_1) | instskip(NEXT) | instid1(VALU_DEP_1)
	v_cndmask_b32_e64 v13, 0, v13, s0
	v_add_nc_u32_e32 v13, v15, v13
	s_delay_alu instid0(VALU_DEP_1) | instskip(NEXT) | instid1(VALU_DEP_1)
	v_mul_lo_u32 v13, v13, v11
	v_sub_nc_u32_e32 v13, v12, v13
	s_delay_alu instid0(VALU_DEP_1) | instskip(SKIP_1) | instid1(VALU_DEP_2)
	v_and_b32_e32 v12, 0xffff, v13
	v_bfe_i32 v13, v13, 0, 16
	v_cmp_eq_u32_e64 s0, 0, v12
	v_mov_b32_e32 v12, v11
	s_or_b32 s6, s0, s6
	s_delay_alu instid0(SALU_CYCLE_1)
	s_and_not1_b32 exec_lo, exec_lo, s6
	s_cbranch_execnz .LBB34_84
; %bb.85:
	s_or_b32 exec_lo, exec_lo, s6
.LBB34_86:
	s_delay_alu instid0(SALU_CYCLE_1)
	s_or_b32 exec_lo, exec_lo, s3
	v_perm_b32 v2, v11, v2, 0x5040100
.LBB34_87:
	s_or_b32 exec_lo, exec_lo, s1
	v_or_b32_e32 v11, 0x600, v0
	s_mov_b32 s1, exec_lo
	s_delay_alu instid0(VALU_DEP_1)
	v_cmpx_gt_i32_e64 s10, v11
	s_cbranch_execz .LBB34_93
; %bb.88:
	s_mov_b32 s6, 0
	s_mov_b32 s3, exec_lo
	s_wait_loadcnt 0x0
	v_cmpx_ne_u16_e32 0, v10
	s_cbranch_execz .LBB34_92
; %bb.89:
	v_sub_nc_u16 v11, 0, v10
	s_delay_alu instid0(VALU_DEP_1) | instskip(SKIP_1) | instid1(VALU_DEP_2)
	v_max_i16 v11, v10, v11
	v_and_b32_e32 v10, 0xffff, v9
	v_and_b32_e32 v11, 0xffff, v11
.LBB34_90:                              ; =>This Inner Loop Header: Depth=1
	s_delay_alu instid0(VALU_DEP_1) | instskip(NEXT) | instid1(VALU_DEP_2)
	v_bfe_i32 v13, v10, 0, 16
	v_mov_b32_e32 v9, v11
	s_delay_alu instid0(VALU_DEP_2) | instskip(NEXT) | instid1(VALU_DEP_2)
	v_cvt_f32_i32_e32 v15, v13
	v_bfe_i32 v11, v9, 0, 16
	s_delay_alu instid0(VALU_DEP_1) | instskip(SKIP_1) | instid1(VALU_DEP_2)
	v_cvt_f32_i32_e32 v12, v11
	v_xor_b32_e32 v11, v13, v11
	v_rcp_iflag_f32_e32 v14, v12
	v_nop
	s_delay_alu instid0(TRANS32_DEP_1) | instskip(NEXT) | instid1(VALU_DEP_1)
	v_dual_ashrrev_i32 v11, 30, v11 :: v_dual_mul_f32 v13, v15, v14
	v_trunc_f32_e32 v13, v13
	s_delay_alu instid0(VALU_DEP_1) | instskip(SKIP_1) | instid1(VALU_DEP_2)
	v_dual_fma_f32 v14, -v13, v12, v15 :: v_dual_bitop2_b32 v11, 1, v11 bitop3:0x54
	v_cvt_i32_f32_e32 v13, v13
	v_cmp_ge_f32_e64 s0, |v14|, |v12|
	s_delay_alu instid0(VALU_DEP_1) | instskip(NEXT) | instid1(VALU_DEP_1)
	v_cndmask_b32_e64 v11, 0, v11, s0
	v_add_nc_u32_e32 v11, v13, v11
	s_delay_alu instid0(VALU_DEP_1) | instskip(NEXT) | instid1(VALU_DEP_1)
	v_mul_lo_u32 v11, v11, v9
	v_sub_nc_u32_e32 v11, v10, v11
	s_delay_alu instid0(VALU_DEP_1) | instskip(SKIP_1) | instid1(VALU_DEP_2)
	v_and_b32_e32 v10, 0xffff, v11
	v_bfe_i32 v11, v11, 0, 16
	v_cmp_eq_u32_e64 s0, 0, v10
	v_mov_b32_e32 v10, v9
	s_or_b32 s6, s0, s6
	s_delay_alu instid0(SALU_CYCLE_1)
	s_and_not1_b32 exec_lo, exec_lo, s6
	s_cbranch_execnz .LBB34_90
; %bb.91:
	s_or_b32 exec_lo, exec_lo, s6
.LBB34_92:
	s_delay_alu instid0(SALU_CYCLE_1)
	s_or_b32 exec_lo, exec_lo, s3
	v_bfi_b32 v3, 0xffff, v9, v3
.LBB34_93:
	s_or_b32 exec_lo, exec_lo, s1
	v_or_b32_e32 v9, 0x700, v0
	s_mov_b32 s1, exec_lo
	s_delay_alu instid0(VALU_DEP_1)
	v_cmpx_gt_i32_e64 s10, v9
	s_cbranch_execnz .LBB34_104
; %bb.94:
	s_or_b32 exec_lo, exec_lo, s1
	s_and_saveexec_b32 s0, vcc_lo
	s_delay_alu instid0(SALU_CYCLE_1)
	s_xor_b32 s0, exec_lo, s0
	s_cbranch_execnz .LBB34_109
.LBB34_95:
	s_or_b32 exec_lo, exec_lo, s0
	s_delay_alu instid0(SALU_CYCLE_1)
	s_mov_b32 s0, exec_lo
	v_cmpx_gt_i32_e64 s10, v0
	s_cbranch_execnz .LBB34_110
.LBB34_96:
	s_or_b32 exec_lo, exec_lo, s0
	s_delay_alu instid0(SALU_CYCLE_1)
	s_mov_b32 s0, exec_lo
	v_cmpx_gt_i32_e64 s10, v0
	s_cbranch_execnz .LBB34_111
.LBB34_97:
	s_or_b32 exec_lo, exec_lo, s0
	s_delay_alu instid0(SALU_CYCLE_1)
	s_mov_b32 s0, exec_lo
	v_cmpx_gt_i32_e64 s10, v0
	s_cbranch_execnz .LBB34_112
.LBB34_98:
	s_or_b32 exec_lo, exec_lo, s0
	s_delay_alu instid0(SALU_CYCLE_1)
	s_mov_b32 s0, exec_lo
	v_cmpx_gt_i32_e64 s10, v0
	s_cbranch_execnz .LBB34_113
.LBB34_99:
	s_or_b32 exec_lo, exec_lo, s0
	s_delay_alu instid0(SALU_CYCLE_1)
	s_mov_b32 s0, exec_lo
	v_cmpx_gt_i32_e64 s10, v0
	s_cbranch_execnz .LBB34_114
.LBB34_100:
	s_or_b32 exec_lo, exec_lo, s0
	s_delay_alu instid0(SALU_CYCLE_1)
	s_mov_b32 s0, exec_lo
	v_cmpx_gt_i32_e64 s10, v0
	s_cbranch_execnz .LBB34_115
.LBB34_101:
	s_or_b32 exec_lo, exec_lo, s0
	s_delay_alu instid0(SALU_CYCLE_1)
	s_mov_b32 s0, exec_lo
	v_cmpx_gt_i32_e64 s10, v0
	s_cbranch_execz .LBB34_103
.LBB34_102:
	v_add_nc_u32_e32 v0, s2, v0
	global_store_d16_hi_b16 v0, v3, s[4:5] scale_offset
.LBB34_103:
	s_endpgm
.LBB34_104:
	s_mov_b32 s6, 0
	s_mov_b32 s3, exec_lo
	s_wait_loadcnt 0x0
	v_cmpx_ne_u16_e32 0, v8
	s_cbranch_execz .LBB34_108
; %bb.105:
	v_sub_nc_u16 v9, 0, v8
	s_delay_alu instid0(VALU_DEP_1) | instskip(SKIP_1) | instid1(VALU_DEP_2)
	v_max_i16 v9, v8, v9
	v_and_b32_e32 v8, 0xffff, v7
	v_and_b32_e32 v9, 0xffff, v9
.LBB34_106:                             ; =>This Inner Loop Header: Depth=1
	s_delay_alu instid0(VALU_DEP_1) | instskip(NEXT) | instid1(VALU_DEP_2)
	v_bfe_i32 v11, v8, 0, 16
	v_mov_b32_e32 v7, v9
	s_delay_alu instid0(VALU_DEP_2) | instskip(NEXT) | instid1(VALU_DEP_2)
	v_cvt_f32_i32_e32 v13, v11
	v_bfe_i32 v9, v7, 0, 16
	s_delay_alu instid0(VALU_DEP_1) | instskip(SKIP_1) | instid1(VALU_DEP_2)
	v_cvt_f32_i32_e32 v10, v9
	v_xor_b32_e32 v9, v11, v9
	v_rcp_iflag_f32_e32 v12, v10
	v_nop
	s_delay_alu instid0(TRANS32_DEP_1) | instskip(NEXT) | instid1(VALU_DEP_1)
	v_dual_ashrrev_i32 v9, 30, v9 :: v_dual_mul_f32 v11, v13, v12
	v_trunc_f32_e32 v11, v11
	s_delay_alu instid0(VALU_DEP_1) | instskip(SKIP_1) | instid1(VALU_DEP_2)
	v_dual_fma_f32 v12, -v11, v10, v13 :: v_dual_bitop2_b32 v9, 1, v9 bitop3:0x54
	v_cvt_i32_f32_e32 v11, v11
	v_cmp_ge_f32_e64 s0, |v12|, |v10|
	s_delay_alu instid0(VALU_DEP_1) | instskip(NEXT) | instid1(VALU_DEP_1)
	v_cndmask_b32_e64 v9, 0, v9, s0
	v_add_nc_u32_e32 v9, v11, v9
	s_delay_alu instid0(VALU_DEP_1) | instskip(NEXT) | instid1(VALU_DEP_1)
	v_mul_lo_u32 v9, v9, v7
	v_sub_nc_u32_e32 v9, v8, v9
	s_delay_alu instid0(VALU_DEP_1) | instskip(SKIP_1) | instid1(VALU_DEP_2)
	v_and_b32_e32 v8, 0xffff, v9
	v_bfe_i32 v9, v9, 0, 16
	v_cmp_eq_u32_e64 s0, 0, v8
	v_mov_b32_e32 v8, v7
	s_or_b32 s6, s0, s6
	s_delay_alu instid0(SALU_CYCLE_1)
	s_and_not1_b32 exec_lo, exec_lo, s6
	s_cbranch_execnz .LBB34_106
; %bb.107:
	s_or_b32 exec_lo, exec_lo, s6
.LBB34_108:
	s_delay_alu instid0(SALU_CYCLE_1) | instskip(SKIP_3) | instid1(SALU_CYCLE_1)
	s_or_b32 exec_lo, exec_lo, s3
	v_perm_b32 v3, v7, v3, 0x5040100
	s_or_b32 exec_lo, exec_lo, s1
	s_and_saveexec_b32 s0, vcc_lo
	s_xor_b32 s0, exec_lo, s0
	s_cbranch_execz .LBB34_95
.LBB34_109:
	v_mov_b32_e32 v0, v6
	global_store_b16 v5, v4, s[4:5] scale_offset
	s_wait_xcnt 0x0
	s_or_b32 exec_lo, exec_lo, s0
	s_delay_alu instid0(SALU_CYCLE_1)
	s_mov_b32 s0, exec_lo
	v_cmpx_gt_i32_e64 s10, v0
	s_cbranch_execz .LBB34_96
.LBB34_110:
	v_add_nc_u32_e32 v5, s2, v0
	v_add_nc_u32_e32 v0, 0x100, v0
	global_store_d16_hi_b16 v5, v4, s[4:5] scale_offset
	s_wait_xcnt 0x0
	s_or_b32 exec_lo, exec_lo, s0
	s_delay_alu instid0(SALU_CYCLE_1)
	s_mov_b32 s0, exec_lo
	v_cmpx_gt_i32_e64 s10, v0
	s_cbranch_execz .LBB34_97
.LBB34_111:
	v_add_nc_u32_e32 v4, s2, v0
	v_add_nc_u32_e32 v0, 0x100, v0
	global_store_b16 v4, v1, s[4:5] scale_offset
	s_wait_xcnt 0x0
	s_or_b32 exec_lo, exec_lo, s0
	s_delay_alu instid0(SALU_CYCLE_1)
	s_mov_b32 s0, exec_lo
	v_cmpx_gt_i32_e64 s10, v0
	s_cbranch_execz .LBB34_98
.LBB34_112:
	v_add_nc_u32_e32 v4, s2, v0
	v_add_nc_u32_e32 v0, 0x100, v0
	global_store_d16_hi_b16 v4, v1, s[4:5] scale_offset
	s_wait_xcnt 0x0
	s_or_b32 exec_lo, exec_lo, s0
	s_delay_alu instid0(SALU_CYCLE_1)
	s_mov_b32 s0, exec_lo
	v_cmpx_gt_i32_e64 s10, v0
	s_cbranch_execz .LBB34_99
.LBB34_113:
	v_add_nc_u32_e32 v1, s2, v0
	v_add_nc_u32_e32 v0, 0x100, v0
	global_store_b16 v1, v2, s[4:5] scale_offset
	s_wait_xcnt 0x0
	s_or_b32 exec_lo, exec_lo, s0
	s_delay_alu instid0(SALU_CYCLE_1)
	s_mov_b32 s0, exec_lo
	v_cmpx_gt_i32_e64 s10, v0
	s_cbranch_execz .LBB34_100
.LBB34_114:
	v_add_nc_u32_e32 v1, s2, v0
	v_add_nc_u32_e32 v0, 0x100, v0
	global_store_d16_hi_b16 v1, v2, s[4:5] scale_offset
	s_wait_xcnt 0x0
	s_or_b32 exec_lo, exec_lo, s0
	s_delay_alu instid0(SALU_CYCLE_1)
	s_mov_b32 s0, exec_lo
	v_cmpx_gt_i32_e64 s10, v0
	s_cbranch_execz .LBB34_101
.LBB34_115:
	v_add_nc_u32_e32 v1, s2, v0
	v_add_nc_u32_e32 v0, 0x100, v0
	global_store_b16 v1, v3, s[4:5] scale_offset
	s_wait_xcnt 0x0
	s_or_b32 exec_lo, exec_lo, s0
	s_delay_alu instid0(SALU_CYCLE_1)
	s_mov_b32 s0, exec_lo
	v_cmpx_gt_i32_e64 s10, v0
	s_cbranch_execnz .LBB34_102
	s_branch .LBB34_103
	.section	.rodata,"a",@progbits
	.p2align	6, 0x0
	.amdhsa_kernel _ZN2at6native29vectorized_elementwise_kernelILi4EZZZNS0_15gcd_kernel_cudaERNS_18TensorIteratorBaseEENKUlvE_clEvENKUlvE3_clEvEUlssE_St5arrayIPcLm3EEEEviT0_T1_
		.amdhsa_group_segment_fixed_size 0
		.amdhsa_private_segment_fixed_size 0
		.amdhsa_kernarg_size 32
		.amdhsa_user_sgpr_count 2
		.amdhsa_user_sgpr_dispatch_ptr 0
		.amdhsa_user_sgpr_queue_ptr 0
		.amdhsa_user_sgpr_kernarg_segment_ptr 1
		.amdhsa_user_sgpr_dispatch_id 0
		.amdhsa_user_sgpr_kernarg_preload_length 0
		.amdhsa_user_sgpr_kernarg_preload_offset 0
		.amdhsa_user_sgpr_private_segment_size 0
		.amdhsa_wavefront_size32 1
		.amdhsa_uses_dynamic_stack 0
		.amdhsa_enable_private_segment 0
		.amdhsa_system_sgpr_workgroup_id_x 1
		.amdhsa_system_sgpr_workgroup_id_y 0
		.amdhsa_system_sgpr_workgroup_id_z 0
		.amdhsa_system_sgpr_workgroup_info 0
		.amdhsa_system_vgpr_workitem_id 0
		.amdhsa_next_free_vgpr 26
		.amdhsa_next_free_sgpr 16
		.amdhsa_named_barrier_count 0
		.amdhsa_reserve_vcc 1
		.amdhsa_float_round_mode_32 0
		.amdhsa_float_round_mode_16_64 0
		.amdhsa_float_denorm_mode_32 3
		.amdhsa_float_denorm_mode_16_64 3
		.amdhsa_fp16_overflow 0
		.amdhsa_memory_ordered 1
		.amdhsa_forward_progress 1
		.amdhsa_inst_pref_size 48
		.amdhsa_round_robin_scheduling 0
		.amdhsa_exception_fp_ieee_invalid_op 0
		.amdhsa_exception_fp_denorm_src 0
		.amdhsa_exception_fp_ieee_div_zero 0
		.amdhsa_exception_fp_ieee_overflow 0
		.amdhsa_exception_fp_ieee_underflow 0
		.amdhsa_exception_fp_ieee_inexact 0
		.amdhsa_exception_int_div_zero 0
	.end_amdhsa_kernel
	.section	.text._ZN2at6native29vectorized_elementwise_kernelILi4EZZZNS0_15gcd_kernel_cudaERNS_18TensorIteratorBaseEENKUlvE_clEvENKUlvE3_clEvEUlssE_St5arrayIPcLm3EEEEviT0_T1_,"axG",@progbits,_ZN2at6native29vectorized_elementwise_kernelILi4EZZZNS0_15gcd_kernel_cudaERNS_18TensorIteratorBaseEENKUlvE_clEvENKUlvE3_clEvEUlssE_St5arrayIPcLm3EEEEviT0_T1_,comdat
.Lfunc_end34:
	.size	_ZN2at6native29vectorized_elementwise_kernelILi4EZZZNS0_15gcd_kernel_cudaERNS_18TensorIteratorBaseEENKUlvE_clEvENKUlvE3_clEvEUlssE_St5arrayIPcLm3EEEEviT0_T1_, .Lfunc_end34-_ZN2at6native29vectorized_elementwise_kernelILi4EZZZNS0_15gcd_kernel_cudaERNS_18TensorIteratorBaseEENKUlvE_clEvENKUlvE3_clEvEUlssE_St5arrayIPcLm3EEEEviT0_T1_
                                        ; -- End function
	.set _ZN2at6native29vectorized_elementwise_kernelILi4EZZZNS0_15gcd_kernel_cudaERNS_18TensorIteratorBaseEENKUlvE_clEvENKUlvE3_clEvEUlssE_St5arrayIPcLm3EEEEviT0_T1_.num_vgpr, 26
	.set _ZN2at6native29vectorized_elementwise_kernelILi4EZZZNS0_15gcd_kernel_cudaERNS_18TensorIteratorBaseEENKUlvE_clEvENKUlvE3_clEvEUlssE_St5arrayIPcLm3EEEEviT0_T1_.num_agpr, 0
	.set _ZN2at6native29vectorized_elementwise_kernelILi4EZZZNS0_15gcd_kernel_cudaERNS_18TensorIteratorBaseEENKUlvE_clEvENKUlvE3_clEvEUlssE_St5arrayIPcLm3EEEEviT0_T1_.numbered_sgpr, 16
	.set _ZN2at6native29vectorized_elementwise_kernelILi4EZZZNS0_15gcd_kernel_cudaERNS_18TensorIteratorBaseEENKUlvE_clEvENKUlvE3_clEvEUlssE_St5arrayIPcLm3EEEEviT0_T1_.num_named_barrier, 0
	.set _ZN2at6native29vectorized_elementwise_kernelILi4EZZZNS0_15gcd_kernel_cudaERNS_18TensorIteratorBaseEENKUlvE_clEvENKUlvE3_clEvEUlssE_St5arrayIPcLm3EEEEviT0_T1_.private_seg_size, 0
	.set _ZN2at6native29vectorized_elementwise_kernelILi4EZZZNS0_15gcd_kernel_cudaERNS_18TensorIteratorBaseEENKUlvE_clEvENKUlvE3_clEvEUlssE_St5arrayIPcLm3EEEEviT0_T1_.uses_vcc, 1
	.set _ZN2at6native29vectorized_elementwise_kernelILi4EZZZNS0_15gcd_kernel_cudaERNS_18TensorIteratorBaseEENKUlvE_clEvENKUlvE3_clEvEUlssE_St5arrayIPcLm3EEEEviT0_T1_.uses_flat_scratch, 0
	.set _ZN2at6native29vectorized_elementwise_kernelILi4EZZZNS0_15gcd_kernel_cudaERNS_18TensorIteratorBaseEENKUlvE_clEvENKUlvE3_clEvEUlssE_St5arrayIPcLm3EEEEviT0_T1_.has_dyn_sized_stack, 0
	.set _ZN2at6native29vectorized_elementwise_kernelILi4EZZZNS0_15gcd_kernel_cudaERNS_18TensorIteratorBaseEENKUlvE_clEvENKUlvE3_clEvEUlssE_St5arrayIPcLm3EEEEviT0_T1_.has_recursion, 0
	.set _ZN2at6native29vectorized_elementwise_kernelILi4EZZZNS0_15gcd_kernel_cudaERNS_18TensorIteratorBaseEENKUlvE_clEvENKUlvE3_clEvEUlssE_St5arrayIPcLm3EEEEviT0_T1_.has_indirect_call, 0
	.section	.AMDGPU.csdata,"",@progbits
; Kernel info:
; codeLenInByte = 6084
; TotalNumSgprs: 18
; NumVgprs: 26
; ScratchSize: 0
; MemoryBound: 0
; FloatMode: 240
; IeeeMode: 1
; LDSByteSize: 0 bytes/workgroup (compile time only)
; SGPRBlocks: 0
; VGPRBlocks: 1
; NumSGPRsForWavesPerEU: 18
; NumVGPRsForWavesPerEU: 26
; NamedBarCnt: 0
; Occupancy: 16
; WaveLimiterHint : 1
; COMPUTE_PGM_RSRC2:SCRATCH_EN: 0
; COMPUTE_PGM_RSRC2:USER_SGPR: 2
; COMPUTE_PGM_RSRC2:TRAP_HANDLER: 0
; COMPUTE_PGM_RSRC2:TGID_X_EN: 1
; COMPUTE_PGM_RSRC2:TGID_Y_EN: 0
; COMPUTE_PGM_RSRC2:TGID_Z_EN: 0
; COMPUTE_PGM_RSRC2:TIDIG_COMP_CNT: 0
	.section	.text._ZN2at6native29vectorized_elementwise_kernelILi2EZZZNS0_15gcd_kernel_cudaERNS_18TensorIteratorBaseEENKUlvE_clEvENKUlvE3_clEvEUlssE_St5arrayIPcLm3EEEEviT0_T1_,"axG",@progbits,_ZN2at6native29vectorized_elementwise_kernelILi2EZZZNS0_15gcd_kernel_cudaERNS_18TensorIteratorBaseEENKUlvE_clEvENKUlvE3_clEvEUlssE_St5arrayIPcLm3EEEEviT0_T1_,comdat
	.globl	_ZN2at6native29vectorized_elementwise_kernelILi2EZZZNS0_15gcd_kernel_cudaERNS_18TensorIteratorBaseEENKUlvE_clEvENKUlvE3_clEvEUlssE_St5arrayIPcLm3EEEEviT0_T1_ ; -- Begin function _ZN2at6native29vectorized_elementwise_kernelILi2EZZZNS0_15gcd_kernel_cudaERNS_18TensorIteratorBaseEENKUlvE_clEvENKUlvE3_clEvEUlssE_St5arrayIPcLm3EEEEviT0_T1_
	.p2align	8
	.type	_ZN2at6native29vectorized_elementwise_kernelILi2EZZZNS0_15gcd_kernel_cudaERNS_18TensorIteratorBaseEENKUlvE_clEvENKUlvE3_clEvEUlssE_St5arrayIPcLm3EEEEviT0_T1_,@function
_ZN2at6native29vectorized_elementwise_kernelILi2EZZZNS0_15gcd_kernel_cudaERNS_18TensorIteratorBaseEENKUlvE_clEvENKUlvE3_clEvEUlssE_St5arrayIPcLm3EEEEviT0_T1_: ; @_ZN2at6native29vectorized_elementwise_kernelILi2EZZZNS0_15gcd_kernel_cudaERNS_18TensorIteratorBaseEENKUlvE_clEvENKUlvE3_clEvEUlssE_St5arrayIPcLm3EEEEviT0_T1_
; %bb.0:
	s_clause 0x2
	s_load_b32 s3, s[0:1], 0x0
	s_load_b128 s[4:7], s[0:1], 0x8
	s_load_b64 s[8:9], s[0:1], 0x18
	s_wait_xcnt 0x0
	s_bfe_u32 s0, ttmp6, 0x4000c
	s_and_b32 s1, ttmp6, 15
	s_add_co_i32 s0, s0, 1
	s_getreg_b32 s2, hwreg(HW_REG_IB_STS2, 6, 4)
	s_mul_i32 s0, ttmp9, s0
	s_delay_alu instid0(SALU_CYCLE_1) | instskip(SKIP_2) | instid1(SALU_CYCLE_1)
	s_add_co_i32 s1, s1, s0
	s_cmp_eq_u32 s2, 0
	s_cselect_b32 s0, ttmp9, s1
	s_lshl_b32 s2, s0, 11
	s_mov_b32 s0, -1
	s_wait_kmcnt 0x0
	s_sub_co_i32 s10, s3, s2
	s_delay_alu instid0(SALU_CYCLE_1)
	s_cmp_gt_i32 s10, 0x7ff
	s_cbranch_scc0 .LBB35_34
; %bb.1:
	s_ashr_i32 s3, s2, 31
	s_delay_alu instid0(SALU_CYCLE_1)
	s_lshl_b64 s[0:1], s[2:3], 1
	s_mov_b32 s3, exec_lo
	s_add_nc_u64 s[12:13], s[8:9], s[0:1]
	s_add_nc_u64 s[14:15], s[6:7], s[0:1]
	s_clause 0x7
	global_load_b32 v4, v0, s[12:13] scale_offset
	global_load_b32 v5, v0, s[14:15] scale_offset
	global_load_b32 v9, v0, s[14:15] offset:1024 scale_offset
	global_load_b32 v6, v0, s[14:15] offset:2048 scale_offset
	;; [unrolled: 1-line block ×6, first 2 shown]
	s_wait_loadcnt 0x7
	v_sub_nc_u16 v1, 0, v4
	s_delay_alu instid0(VALU_DEP_1)
	v_max_i16 v1, v4, v1
	s_wait_loadcnt 0x6
	s_wait_xcnt 0x0
	v_cmpx_ne_u16_e32 0, v5
	s_cbranch_execz .LBB35_5
; %bb.2:
	v_sub_nc_u16 v10, 0, v5
	s_mov_b32 s11, 0
	s_delay_alu instid0(VALU_DEP_1) | instskip(SKIP_1) | instid1(VALU_DEP_2)
	v_max_i16 v11, v5, v10
	v_and_b32_e32 v10, 0xffff, v1
	v_and_b32_e32 v11, 0xffff, v11
.LBB35_3:                               ; =>This Inner Loop Header: Depth=1
	s_delay_alu instid0(VALU_DEP_1) | instskip(NEXT) | instid1(VALU_DEP_2)
	v_bfe_i32 v13, v10, 0, 16
	v_mov_b32_e32 v1, v11
	s_delay_alu instid0(VALU_DEP_2) | instskip(NEXT) | instid1(VALU_DEP_2)
	v_cvt_f32_i32_e32 v15, v13
	v_bfe_i32 v11, v1, 0, 16
	s_delay_alu instid0(VALU_DEP_1) | instskip(SKIP_1) | instid1(VALU_DEP_2)
	v_cvt_f32_i32_e32 v12, v11
	v_xor_b32_e32 v11, v13, v11
	v_rcp_iflag_f32_e32 v14, v12
	v_nop
	s_delay_alu instid0(TRANS32_DEP_1) | instskip(NEXT) | instid1(VALU_DEP_1)
	v_dual_ashrrev_i32 v11, 30, v11 :: v_dual_mul_f32 v13, v15, v14
	v_trunc_f32_e32 v13, v13
	s_delay_alu instid0(VALU_DEP_1) | instskip(SKIP_1) | instid1(VALU_DEP_2)
	v_dual_fma_f32 v14, -v13, v12, v15 :: v_dual_bitop2_b32 v11, 1, v11 bitop3:0x54
	v_cvt_i32_f32_e32 v13, v13
	v_cmp_ge_f32_e64 vcc_lo, |v14|, |v12|
	s_delay_alu instid0(VALU_DEP_3) | instskip(NEXT) | instid1(VALU_DEP_1)
	v_cndmask_b32_e32 v11, 0, v11, vcc_lo
	v_add_nc_u32_e32 v11, v13, v11
	s_delay_alu instid0(VALU_DEP_1) | instskip(NEXT) | instid1(VALU_DEP_1)
	v_mul_lo_u32 v11, v11, v1
	v_sub_nc_u32_e32 v11, v10, v11
	s_delay_alu instid0(VALU_DEP_1) | instskip(SKIP_1) | instid1(VALU_DEP_2)
	v_and_b32_e32 v10, 0xffff, v11
	v_bfe_i32 v11, v11, 0, 16
	v_cmp_eq_u32_e32 vcc_lo, 0, v10
	v_mov_b32_e32 v10, v1
	s_or_b32 s11, vcc_lo, s11
	s_delay_alu instid0(SALU_CYCLE_1)
	s_and_not1_b32 exec_lo, exec_lo, s11
	s_cbranch_execnz .LBB35_3
; %bb.4:
	s_or_b32 exec_lo, exec_lo, s11
.LBB35_5:
	s_delay_alu instid0(SALU_CYCLE_1) | instskip(SKIP_3) | instid1(VALU_DEP_1)
	s_or_b32 exec_lo, exec_lo, s3
	v_lshrrev_b32_e32 v4, 16, v4
	s_mov_b32 s11, 0
	s_mov_b32 s3, exec_lo
	v_sub_nc_u16 v10, 0, v4
	s_delay_alu instid0(VALU_DEP_1)
	v_max_i16 v4, v4, v10
	v_cmpx_lt_u32_e32 0xffff, v5
	s_cbranch_execz .LBB35_9
; %bb.6:
	v_lshrrev_b32_e32 v5, 16, v5
	s_delay_alu instid0(VALU_DEP_1) | instskip(NEXT) | instid1(VALU_DEP_1)
	v_sub_nc_u16 v10, 0, v5
	v_max_i16 v10, v5, v10
	v_and_b32_e32 v5, 0xffff, v4
	s_delay_alu instid0(VALU_DEP_2)
	v_and_b32_e32 v10, 0xffff, v10
.LBB35_7:                               ; =>This Inner Loop Header: Depth=1
	s_delay_alu instid0(VALU_DEP_1) | instskip(NEXT) | instid1(VALU_DEP_2)
	v_bfe_i32 v12, v5, 0, 16
	v_mov_b32_e32 v4, v10
	s_delay_alu instid0(VALU_DEP_2) | instskip(NEXT) | instid1(VALU_DEP_2)
	v_cvt_f32_i32_e32 v14, v12
	v_bfe_i32 v10, v4, 0, 16
	s_delay_alu instid0(VALU_DEP_1) | instskip(SKIP_1) | instid1(VALU_DEP_2)
	v_cvt_f32_i32_e32 v11, v10
	v_xor_b32_e32 v10, v12, v10
	v_rcp_iflag_f32_e32 v13, v11
	v_nop
	s_delay_alu instid0(TRANS32_DEP_1) | instskip(NEXT) | instid1(VALU_DEP_1)
	v_dual_ashrrev_i32 v10, 30, v10 :: v_dual_mul_f32 v12, v14, v13
	v_trunc_f32_e32 v12, v12
	s_delay_alu instid0(VALU_DEP_1) | instskip(SKIP_1) | instid1(VALU_DEP_2)
	v_dual_fma_f32 v13, -v12, v11, v14 :: v_dual_bitop2_b32 v10, 1, v10 bitop3:0x54
	v_cvt_i32_f32_e32 v12, v12
	v_cmp_ge_f32_e64 vcc_lo, |v13|, |v11|
	s_delay_alu instid0(VALU_DEP_3) | instskip(NEXT) | instid1(VALU_DEP_1)
	v_cndmask_b32_e32 v10, 0, v10, vcc_lo
	v_add_nc_u32_e32 v10, v12, v10
	s_delay_alu instid0(VALU_DEP_1) | instskip(NEXT) | instid1(VALU_DEP_1)
	v_mul_lo_u32 v10, v10, v4
	v_sub_nc_u32_e32 v10, v5, v10
	s_delay_alu instid0(VALU_DEP_1) | instskip(SKIP_1) | instid1(VALU_DEP_2)
	v_and_b32_e32 v5, 0xffff, v10
	v_bfe_i32 v10, v10, 0, 16
	v_cmp_eq_u32_e32 vcc_lo, 0, v5
	v_mov_b32_e32 v5, v4
	s_or_b32 s11, vcc_lo, s11
	s_delay_alu instid0(SALU_CYCLE_1)
	s_and_not1_b32 exec_lo, exec_lo, s11
	s_cbranch_execnz .LBB35_7
; %bb.8:
	s_or_b32 exec_lo, exec_lo, s11
.LBB35_9:
	s_delay_alu instid0(SALU_CYCLE_1) | instskip(SKIP_4) | instid1(VALU_DEP_1)
	s_or_b32 exec_lo, exec_lo, s3
	s_wait_loadcnt 0x2
	v_sub_nc_u16 v5, 0, v8
	s_mov_b32 s11, 0
	s_mov_b32 s3, exec_lo
	v_max_i16 v5, v8, v5
	v_cmpx_ne_u16_e32 0, v9
	s_cbranch_execz .LBB35_13
; %bb.10:
	v_sub_nc_u16 v10, 0, v9
	s_delay_alu instid0(VALU_DEP_1) | instskip(SKIP_1) | instid1(VALU_DEP_2)
	v_max_i16 v11, v9, v10
	v_and_b32_e32 v10, 0xffff, v5
	v_and_b32_e32 v11, 0xffff, v11
.LBB35_11:                              ; =>This Inner Loop Header: Depth=1
	s_delay_alu instid0(VALU_DEP_1) | instskip(NEXT) | instid1(VALU_DEP_2)
	v_bfe_i32 v13, v10, 0, 16
	v_mov_b32_e32 v5, v11
	s_delay_alu instid0(VALU_DEP_2) | instskip(NEXT) | instid1(VALU_DEP_2)
	v_cvt_f32_i32_e32 v15, v13
	v_bfe_i32 v11, v5, 0, 16
	s_delay_alu instid0(VALU_DEP_1) | instskip(SKIP_1) | instid1(VALU_DEP_2)
	v_cvt_f32_i32_e32 v12, v11
	v_xor_b32_e32 v11, v13, v11
	v_rcp_iflag_f32_e32 v14, v12
	v_nop
	s_delay_alu instid0(TRANS32_DEP_1) | instskip(NEXT) | instid1(VALU_DEP_1)
	v_dual_ashrrev_i32 v11, 30, v11 :: v_dual_mul_f32 v13, v15, v14
	v_trunc_f32_e32 v13, v13
	s_delay_alu instid0(VALU_DEP_1) | instskip(SKIP_1) | instid1(VALU_DEP_2)
	v_dual_fma_f32 v14, -v13, v12, v15 :: v_dual_bitop2_b32 v11, 1, v11 bitop3:0x54
	v_cvt_i32_f32_e32 v13, v13
	v_cmp_ge_f32_e64 vcc_lo, |v14|, |v12|
	s_delay_alu instid0(VALU_DEP_3) | instskip(NEXT) | instid1(VALU_DEP_1)
	v_cndmask_b32_e32 v11, 0, v11, vcc_lo
	v_add_nc_u32_e32 v11, v13, v11
	s_delay_alu instid0(VALU_DEP_1) | instskip(NEXT) | instid1(VALU_DEP_1)
	v_mul_lo_u32 v11, v11, v5
	v_sub_nc_u32_e32 v11, v10, v11
	s_delay_alu instid0(VALU_DEP_1) | instskip(SKIP_1) | instid1(VALU_DEP_2)
	v_and_b32_e32 v10, 0xffff, v11
	v_bfe_i32 v11, v11, 0, 16
	v_cmp_eq_u32_e32 vcc_lo, 0, v10
	v_mov_b32_e32 v10, v5
	s_or_b32 s11, vcc_lo, s11
	s_delay_alu instid0(SALU_CYCLE_1)
	s_and_not1_b32 exec_lo, exec_lo, s11
	s_cbranch_execnz .LBB35_11
; %bb.12:
	s_or_b32 exec_lo, exec_lo, s11
.LBB35_13:
	s_delay_alu instid0(SALU_CYCLE_1) | instskip(SKIP_3) | instid1(VALU_DEP_1)
	s_or_b32 exec_lo, exec_lo, s3
	v_lshrrev_b32_e32 v8, 16, v8
	s_mov_b32 s11, 0
	s_mov_b32 s3, exec_lo
	v_sub_nc_u16 v10, 0, v8
	s_delay_alu instid0(VALU_DEP_1)
	v_max_i16 v8, v8, v10
	v_cmpx_lt_u32_e32 0xffff, v9
	s_cbranch_execz .LBB35_17
; %bb.14:
	v_lshrrev_b32_e32 v9, 16, v9
	s_delay_alu instid0(VALU_DEP_1) | instskip(NEXT) | instid1(VALU_DEP_1)
	v_sub_nc_u16 v10, 0, v9
	v_max_i16 v10, v9, v10
	v_and_b32_e32 v9, 0xffff, v8
	s_delay_alu instid0(VALU_DEP_2)
	v_and_b32_e32 v10, 0xffff, v10
.LBB35_15:                              ; =>This Inner Loop Header: Depth=1
	s_delay_alu instid0(VALU_DEP_1) | instskip(NEXT) | instid1(VALU_DEP_2)
	v_bfe_i32 v12, v9, 0, 16
	v_mov_b32_e32 v8, v10
	s_delay_alu instid0(VALU_DEP_2) | instskip(NEXT) | instid1(VALU_DEP_2)
	v_cvt_f32_i32_e32 v14, v12
	v_bfe_i32 v10, v8, 0, 16
	s_delay_alu instid0(VALU_DEP_1) | instskip(SKIP_1) | instid1(VALU_DEP_2)
	v_cvt_f32_i32_e32 v11, v10
	v_xor_b32_e32 v10, v12, v10
	v_rcp_iflag_f32_e32 v13, v11
	v_nop
	s_delay_alu instid0(TRANS32_DEP_1) | instskip(NEXT) | instid1(VALU_DEP_1)
	v_dual_ashrrev_i32 v10, 30, v10 :: v_dual_mul_f32 v12, v14, v13
	v_trunc_f32_e32 v12, v12
	s_delay_alu instid0(VALU_DEP_1) | instskip(SKIP_1) | instid1(VALU_DEP_2)
	v_dual_fma_f32 v13, -v12, v11, v14 :: v_dual_bitop2_b32 v10, 1, v10 bitop3:0x54
	v_cvt_i32_f32_e32 v12, v12
	v_cmp_ge_f32_e64 vcc_lo, |v13|, |v11|
	s_delay_alu instid0(VALU_DEP_3) | instskip(NEXT) | instid1(VALU_DEP_1)
	v_cndmask_b32_e32 v10, 0, v10, vcc_lo
	v_add_nc_u32_e32 v10, v12, v10
	s_delay_alu instid0(VALU_DEP_1) | instskip(NEXT) | instid1(VALU_DEP_1)
	v_mul_lo_u32 v10, v10, v8
	v_sub_nc_u32_e32 v10, v9, v10
	s_delay_alu instid0(VALU_DEP_1) | instskip(SKIP_1) | instid1(VALU_DEP_2)
	v_and_b32_e32 v9, 0xffff, v10
	v_bfe_i32 v10, v10, 0, 16
	v_cmp_eq_u32_e32 vcc_lo, 0, v9
	v_mov_b32_e32 v9, v8
	s_or_b32 s11, vcc_lo, s11
	s_delay_alu instid0(SALU_CYCLE_1)
	s_and_not1_b32 exec_lo, exec_lo, s11
	s_cbranch_execnz .LBB35_15
; %bb.16:
	s_or_b32 exec_lo, exec_lo, s11
.LBB35_17:
	s_delay_alu instid0(SALU_CYCLE_1) | instskip(SKIP_4) | instid1(VALU_DEP_1)
	s_or_b32 exec_lo, exec_lo, s3
	s_wait_loadcnt 0x1
	v_sub_nc_u16 v9, 0, v7
	s_mov_b32 s11, 0
	s_mov_b32 s3, exec_lo
	v_max_i16 v9, v7, v9
	v_cmpx_ne_u16_e32 0, v6
	s_cbranch_execz .LBB35_21
; %bb.18:
	v_sub_nc_u16 v10, 0, v6
	s_delay_alu instid0(VALU_DEP_1) | instskip(SKIP_1) | instid1(VALU_DEP_2)
	v_max_i16 v11, v6, v10
	v_and_b32_e32 v10, 0xffff, v9
	v_and_b32_e32 v11, 0xffff, v11
.LBB35_19:                              ; =>This Inner Loop Header: Depth=1
	s_delay_alu instid0(VALU_DEP_1) | instskip(NEXT) | instid1(VALU_DEP_2)
	v_bfe_i32 v13, v10, 0, 16
	v_mov_b32_e32 v9, v11
	s_delay_alu instid0(VALU_DEP_2) | instskip(NEXT) | instid1(VALU_DEP_2)
	v_cvt_f32_i32_e32 v15, v13
	v_bfe_i32 v11, v9, 0, 16
	s_delay_alu instid0(VALU_DEP_1) | instskip(SKIP_1) | instid1(VALU_DEP_2)
	v_cvt_f32_i32_e32 v12, v11
	v_xor_b32_e32 v11, v13, v11
	v_rcp_iflag_f32_e32 v14, v12
	v_nop
	s_delay_alu instid0(TRANS32_DEP_1) | instskip(NEXT) | instid1(VALU_DEP_1)
	v_dual_ashrrev_i32 v11, 30, v11 :: v_dual_mul_f32 v13, v15, v14
	v_trunc_f32_e32 v13, v13
	s_delay_alu instid0(VALU_DEP_1) | instskip(SKIP_1) | instid1(VALU_DEP_2)
	v_dual_fma_f32 v14, -v13, v12, v15 :: v_dual_bitop2_b32 v11, 1, v11 bitop3:0x54
	v_cvt_i32_f32_e32 v13, v13
	v_cmp_ge_f32_e64 vcc_lo, |v14|, |v12|
	s_delay_alu instid0(VALU_DEP_3) | instskip(NEXT) | instid1(VALU_DEP_1)
	v_cndmask_b32_e32 v11, 0, v11, vcc_lo
	v_add_nc_u32_e32 v11, v13, v11
	s_delay_alu instid0(VALU_DEP_1) | instskip(NEXT) | instid1(VALU_DEP_1)
	v_mul_lo_u32 v11, v11, v9
	v_sub_nc_u32_e32 v11, v10, v11
	s_delay_alu instid0(VALU_DEP_1) | instskip(SKIP_1) | instid1(VALU_DEP_2)
	v_and_b32_e32 v10, 0xffff, v11
	v_bfe_i32 v11, v11, 0, 16
	v_cmp_eq_u32_e32 vcc_lo, 0, v10
	v_mov_b32_e32 v10, v9
	s_or_b32 s11, vcc_lo, s11
	s_delay_alu instid0(SALU_CYCLE_1)
	s_and_not1_b32 exec_lo, exec_lo, s11
	s_cbranch_execnz .LBB35_19
; %bb.20:
	s_or_b32 exec_lo, exec_lo, s11
.LBB35_21:
	s_delay_alu instid0(SALU_CYCLE_1) | instskip(SKIP_3) | instid1(VALU_DEP_1)
	s_or_b32 exec_lo, exec_lo, s3
	v_lshrrev_b32_e32 v7, 16, v7
	s_mov_b32 s11, 0
	s_mov_b32 s3, exec_lo
	v_sub_nc_u16 v10, 0, v7
	s_delay_alu instid0(VALU_DEP_1)
	v_max_i16 v7, v7, v10
	v_cmpx_lt_u32_e32 0xffff, v6
	s_cbranch_execz .LBB35_25
; %bb.22:
	v_lshrrev_b32_e32 v6, 16, v6
	s_delay_alu instid0(VALU_DEP_1) | instskip(NEXT) | instid1(VALU_DEP_1)
	v_sub_nc_u16 v10, 0, v6
	v_max_i16 v10, v6, v10
	v_and_b32_e32 v6, 0xffff, v7
	s_delay_alu instid0(VALU_DEP_2)
	v_and_b32_e32 v10, 0xffff, v10
.LBB35_23:                              ; =>This Inner Loop Header: Depth=1
	s_delay_alu instid0(VALU_DEP_1) | instskip(NEXT) | instid1(VALU_DEP_2)
	v_bfe_i32 v12, v6, 0, 16
	v_mov_b32_e32 v7, v10
	s_delay_alu instid0(VALU_DEP_2) | instskip(NEXT) | instid1(VALU_DEP_2)
	v_cvt_f32_i32_e32 v14, v12
	v_bfe_i32 v10, v7, 0, 16
	s_delay_alu instid0(VALU_DEP_1) | instskip(SKIP_1) | instid1(VALU_DEP_2)
	v_cvt_f32_i32_e32 v11, v10
	v_xor_b32_e32 v10, v12, v10
	v_rcp_iflag_f32_e32 v13, v11
	v_nop
	s_delay_alu instid0(TRANS32_DEP_1) | instskip(NEXT) | instid1(VALU_DEP_1)
	v_dual_ashrrev_i32 v10, 30, v10 :: v_dual_mul_f32 v12, v14, v13
	v_trunc_f32_e32 v12, v12
	s_delay_alu instid0(VALU_DEP_1) | instskip(SKIP_1) | instid1(VALU_DEP_2)
	v_dual_fma_f32 v13, -v12, v11, v14 :: v_dual_bitop2_b32 v10, 1, v10 bitop3:0x54
	v_cvt_i32_f32_e32 v12, v12
	v_cmp_ge_f32_e64 vcc_lo, |v13|, |v11|
	s_delay_alu instid0(VALU_DEP_3) | instskip(NEXT) | instid1(VALU_DEP_1)
	v_cndmask_b32_e32 v10, 0, v10, vcc_lo
	v_add_nc_u32_e32 v10, v12, v10
	s_delay_alu instid0(VALU_DEP_1) | instskip(NEXT) | instid1(VALU_DEP_1)
	v_mul_lo_u32 v10, v10, v7
	v_sub_nc_u32_e32 v10, v6, v10
	s_delay_alu instid0(VALU_DEP_1) | instskip(SKIP_1) | instid1(VALU_DEP_2)
	v_and_b32_e32 v6, 0xffff, v10
	v_bfe_i32 v10, v10, 0, 16
	v_cmp_eq_u32_e32 vcc_lo, 0, v6
	v_mov_b32_e32 v6, v7
	s_or_b32 s11, vcc_lo, s11
	s_delay_alu instid0(SALU_CYCLE_1)
	s_and_not1_b32 exec_lo, exec_lo, s11
	s_cbranch_execnz .LBB35_23
; %bb.24:
	s_or_b32 exec_lo, exec_lo, s11
.LBB35_25:
	s_delay_alu instid0(SALU_CYCLE_1) | instskip(SKIP_4) | instid1(VALU_DEP_1)
	s_or_b32 exec_lo, exec_lo, s3
	s_wait_loadcnt 0x0
	v_sub_nc_u16 v6, 0, v3
	s_mov_b32 s11, 0
	s_mov_b32 s3, exec_lo
	v_max_i16 v6, v3, v6
	v_cmpx_ne_u16_e32 0, v2
	s_cbranch_execz .LBB35_29
; %bb.26:
	v_sub_nc_u16 v10, 0, v2
	s_delay_alu instid0(VALU_DEP_1) | instskip(SKIP_1) | instid1(VALU_DEP_2)
	v_max_i16 v11, v2, v10
	v_and_b32_e32 v10, 0xffff, v6
	v_and_b32_e32 v11, 0xffff, v11
.LBB35_27:                              ; =>This Inner Loop Header: Depth=1
	s_delay_alu instid0(VALU_DEP_1) | instskip(NEXT) | instid1(VALU_DEP_2)
	v_bfe_i32 v13, v10, 0, 16
	v_mov_b32_e32 v6, v11
	s_delay_alu instid0(VALU_DEP_2) | instskip(NEXT) | instid1(VALU_DEP_2)
	v_cvt_f32_i32_e32 v15, v13
	v_bfe_i32 v11, v6, 0, 16
	s_delay_alu instid0(VALU_DEP_1) | instskip(SKIP_1) | instid1(VALU_DEP_2)
	v_cvt_f32_i32_e32 v12, v11
	v_xor_b32_e32 v11, v13, v11
	v_rcp_iflag_f32_e32 v14, v12
	v_nop
	s_delay_alu instid0(TRANS32_DEP_1) | instskip(NEXT) | instid1(VALU_DEP_1)
	v_dual_ashrrev_i32 v11, 30, v11 :: v_dual_mul_f32 v13, v15, v14
	v_trunc_f32_e32 v13, v13
	s_delay_alu instid0(VALU_DEP_1) | instskip(SKIP_1) | instid1(VALU_DEP_2)
	v_dual_fma_f32 v14, -v13, v12, v15 :: v_dual_bitop2_b32 v11, 1, v11 bitop3:0x54
	v_cvt_i32_f32_e32 v13, v13
	v_cmp_ge_f32_e64 vcc_lo, |v14|, |v12|
	s_delay_alu instid0(VALU_DEP_3) | instskip(NEXT) | instid1(VALU_DEP_1)
	v_cndmask_b32_e32 v11, 0, v11, vcc_lo
	v_add_nc_u32_e32 v11, v13, v11
	s_delay_alu instid0(VALU_DEP_1) | instskip(NEXT) | instid1(VALU_DEP_1)
	v_mul_lo_u32 v11, v11, v6
	v_sub_nc_u32_e32 v11, v10, v11
	s_delay_alu instid0(VALU_DEP_1) | instskip(SKIP_1) | instid1(VALU_DEP_2)
	v_and_b32_e32 v10, 0xffff, v11
	v_bfe_i32 v11, v11, 0, 16
	v_cmp_eq_u32_e32 vcc_lo, 0, v10
	v_mov_b32_e32 v10, v6
	s_or_b32 s11, vcc_lo, s11
	s_delay_alu instid0(SALU_CYCLE_1)
	s_and_not1_b32 exec_lo, exec_lo, s11
	s_cbranch_execnz .LBB35_27
; %bb.28:
	s_or_b32 exec_lo, exec_lo, s11
.LBB35_29:
	s_delay_alu instid0(SALU_CYCLE_1) | instskip(SKIP_3) | instid1(VALU_DEP_1)
	s_or_b32 exec_lo, exec_lo, s3
	v_lshrrev_b32_e32 v3, 16, v3
	s_mov_b32 s11, 0
	s_mov_b32 s3, exec_lo
	v_sub_nc_u16 v10, 0, v3
	s_delay_alu instid0(VALU_DEP_1)
	v_max_i16 v3, v3, v10
	v_cmpx_lt_u32_e32 0xffff, v2
	s_cbranch_execz .LBB35_33
; %bb.30:
	v_lshrrev_b32_e32 v2, 16, v2
	s_delay_alu instid0(VALU_DEP_1) | instskip(NEXT) | instid1(VALU_DEP_1)
	v_sub_nc_u16 v10, 0, v2
	v_max_i16 v10, v2, v10
	v_and_b32_e32 v2, 0xffff, v3
	s_delay_alu instid0(VALU_DEP_2)
	v_and_b32_e32 v10, 0xffff, v10
.LBB35_31:                              ; =>This Inner Loop Header: Depth=1
	s_delay_alu instid0(VALU_DEP_1) | instskip(NEXT) | instid1(VALU_DEP_2)
	v_bfe_i32 v12, v2, 0, 16
	v_mov_b32_e32 v3, v10
	s_delay_alu instid0(VALU_DEP_2) | instskip(NEXT) | instid1(VALU_DEP_2)
	v_cvt_f32_i32_e32 v14, v12
	v_bfe_i32 v10, v3, 0, 16
	s_delay_alu instid0(VALU_DEP_1) | instskip(SKIP_1) | instid1(VALU_DEP_2)
	v_cvt_f32_i32_e32 v11, v10
	v_xor_b32_e32 v10, v12, v10
	v_rcp_iflag_f32_e32 v13, v11
	v_nop
	s_delay_alu instid0(TRANS32_DEP_1) | instskip(NEXT) | instid1(VALU_DEP_1)
	v_dual_ashrrev_i32 v10, 30, v10 :: v_dual_mul_f32 v12, v14, v13
	v_trunc_f32_e32 v12, v12
	s_delay_alu instid0(VALU_DEP_1) | instskip(SKIP_1) | instid1(VALU_DEP_2)
	v_dual_fma_f32 v13, -v12, v11, v14 :: v_dual_bitop2_b32 v10, 1, v10 bitop3:0x54
	v_cvt_i32_f32_e32 v12, v12
	v_cmp_ge_f32_e64 vcc_lo, |v13|, |v11|
	s_delay_alu instid0(VALU_DEP_3) | instskip(NEXT) | instid1(VALU_DEP_1)
	v_cndmask_b32_e32 v10, 0, v10, vcc_lo
	v_add_nc_u32_e32 v10, v12, v10
	s_delay_alu instid0(VALU_DEP_1) | instskip(NEXT) | instid1(VALU_DEP_1)
	v_mul_lo_u32 v10, v10, v3
	v_sub_nc_u32_e32 v10, v2, v10
	s_delay_alu instid0(VALU_DEP_1) | instskip(SKIP_1) | instid1(VALU_DEP_2)
	v_and_b32_e32 v2, 0xffff, v10
	v_bfe_i32 v10, v10, 0, 16
	v_cmp_eq_u32_e32 vcc_lo, 0, v2
	v_mov_b32_e32 v2, v3
	s_or_b32 s11, vcc_lo, s11
	s_delay_alu instid0(SALU_CYCLE_1)
	s_and_not1_b32 exec_lo, exec_lo, s11
	s_cbranch_execnz .LBB35_31
; %bb.32:
	s_or_b32 exec_lo, exec_lo, s11
.LBB35_33:
	s_delay_alu instid0(SALU_CYCLE_1)
	s_or_b32 exec_lo, exec_lo, s3
	v_perm_b32 v1, v4, v1, 0x5040100
	v_perm_b32 v2, v3, v6, 0x5040100
	;; [unrolled: 1-line block ×4, first 2 shown]
	s_add_nc_u64 s[12:13], s[4:5], s[0:1]
	s_mov_b32 s0, 0
	s_clause 0x3
	global_store_b32 v0, v1, s[12:13] scale_offset
	global_store_b32 v0, v3, s[12:13] offset:1024 scale_offset
	global_store_b32 v0, v4, s[12:13] offset:2048 scale_offset
	;; [unrolled: 1-line block ×3, first 2 shown]
.LBB35_34:
	s_and_b32 vcc_lo, exec_lo, s0
	s_cbranch_vccz .LBB35_103
; %bb.35:
	v_cmp_gt_i32_e32 vcc_lo, s10, v0
	v_dual_mov_b32 v20, 0 :: v_dual_bitop2_b32 v5, s2, v0 bitop3:0x54
	v_or_b32_e32 v6, 0x100, v0
	v_dual_mov_b32 v22, 0 :: v_dual_mov_b32 v21, 0
	s_wait_xcnt 0x3
	v_mov_b32_e32 v1, v0
	s_wait_xcnt 0x0
	s_and_saveexec_b32 s0, vcc_lo
	s_cbranch_execz .LBB35_37
; %bb.36:
	s_clause 0x1
	global_load_u16 v2, v5, s[8:9] scale_offset
	global_load_u16 v22, v5, s[6:7] scale_offset
	v_or_b32_e32 v1, 0x100, v0
	s_wait_loadcnt 0x1
	v_sub_nc_u16 v3, 0, v2
	s_delay_alu instid0(VALU_DEP_1)
	v_max_i16 v21, v2, v3
.LBB35_37:
	s_wait_xcnt 0x0
	s_or_b32 exec_lo, exec_lo, s0
	v_mov_b32_e32 v19, 0
	s_mov_b32 s1, exec_lo
	v_cmpx_gt_i32_e64 s10, v1
	s_cbranch_execz .LBB35_39
; %bb.38:
	v_add_nc_u32_e32 v2, s2, v1
	v_add_nc_u32_e32 v1, 0x100, v1
	s_clause 0x1
	global_load_u16 v3, v2, s[8:9] scale_offset
	global_load_u16 v20, v2, s[6:7] scale_offset
	s_wait_loadcnt 0x1
	s_wait_xcnt 0x0
	v_sub_nc_u16 v2, 0, v3
	s_delay_alu instid0(VALU_DEP_1)
	v_max_i16 v19, v3, v2
.LBB35_39:
	s_or_b32 exec_lo, exec_lo, s1
	v_dual_mov_b32 v16, 0 :: v_dual_mov_b32 v18, 0
	v_mov_b32_e32 v17, 0
	s_mov_b32 s1, exec_lo
	v_cmpx_gt_i32_e64 s10, v1
	s_cbranch_execz .LBB35_41
; %bb.40:
	v_add_nc_u32_e32 v2, s2, v1
	v_add_nc_u32_e32 v1, 0x100, v1
	s_clause 0x1
	global_load_u16 v3, v2, s[8:9] scale_offset
	global_load_u16 v18, v2, s[6:7] scale_offset
	s_wait_loadcnt 0x1
	s_wait_xcnt 0x0
	v_sub_nc_u16 v2, 0, v3
	s_delay_alu instid0(VALU_DEP_1)
	v_max_i16 v17, v3, v2
.LBB35_41:
	s_or_b32 exec_lo, exec_lo, s1
	v_mov_b32_e32 v15, 0
	s_mov_b32 s1, exec_lo
	v_cmpx_gt_i32_e64 s10, v1
	s_cbranch_execz .LBB35_43
; %bb.42:
	v_add_nc_u32_e32 v2, s2, v1
	v_add_nc_u32_e32 v1, 0x100, v1
	s_clause 0x1
	global_load_u16 v3, v2, s[8:9] scale_offset
	global_load_u16 v16, v2, s[6:7] scale_offset
	s_wait_loadcnt 0x1
	s_wait_xcnt 0x0
	v_sub_nc_u16 v2, 0, v3
	s_delay_alu instid0(VALU_DEP_1)
	v_max_i16 v15, v3, v2
.LBB35_43:
	s_or_b32 exec_lo, exec_lo, s1
	v_dual_mov_b32 v12, 0 :: v_dual_mov_b32 v14, 0
	v_mov_b32_e32 v13, 0
	s_mov_b32 s1, exec_lo
	v_cmpx_gt_i32_e64 s10, v1
	s_cbranch_execz .LBB35_45
; %bb.44:
	v_add_nc_u32_e32 v2, s2, v1
	v_add_nc_u32_e32 v1, 0x100, v1
	s_clause 0x1
	global_load_u16 v3, v2, s[8:9] scale_offset
	global_load_u16 v14, v2, s[6:7] scale_offset
	s_wait_loadcnt 0x1
	s_wait_xcnt 0x0
	v_sub_nc_u16 v2, 0, v3
	s_delay_alu instid0(VALU_DEP_1)
	v_max_i16 v13, v3, v2
.LBB35_45:
	;; [unrolled: 35-line block ×3, first 2 shown]
	s_or_b32 exec_lo, exec_lo, s1
	v_mov_b32_e32 v7, 0
	s_mov_b32 s1, exec_lo
	v_cmpx_gt_i32_e64 s10, v1
	s_cbranch_execz .LBB35_51
; %bb.50:
	v_add_nc_u32_e32 v1, s2, v1
	s_clause 0x1
	global_load_u16 v2, v1, s[8:9] scale_offset
	global_load_u16 v8, v1, s[6:7] scale_offset
	s_wait_loadcnt 0x1
	s_wait_xcnt 0x0
	v_sub_nc_u16 v1, 0, v2
	s_delay_alu instid0(VALU_DEP_1)
	v_max_i16 v7, v2, v1
.LBB35_51:
	s_or_b32 exec_lo, exec_lo, s1
	v_mov_b32_e32 v4, 0
	s_delay_alu instid0(VALU_DEP_1)
	v_dual_mov_b32 v1, v4 :: v_dual_mov_b32 v2, v4
	v_mov_b32_e32 v3, v4
	s_and_saveexec_b32 s1, vcc_lo
	s_cbranch_execz .LBB35_57
; %bb.52:
	s_mov_b32 s3, exec_lo
	s_wait_loadcnt 0x0
	v_cmpx_ne_u16_e32 0, v22
	s_cbranch_execz .LBB35_56
; %bb.53:
	v_sub_nc_u16 v1, 0, v22
	s_mov_b32 s6, 0
	s_delay_alu instid0(VALU_DEP_1) | instskip(SKIP_1) | instid1(VALU_DEP_2)
	v_max_i16 v2, v22, v1
	v_and_b32_e32 v1, 0xffff, v21
	v_and_b32_e32 v2, 0xffff, v2
.LBB35_54:                              ; =>This Inner Loop Header: Depth=1
	s_delay_alu instid0(VALU_DEP_1) | instskip(NEXT) | instid1(VALU_DEP_2)
	v_bfe_i32 v4, v1, 0, 16
	v_mov_b32_e32 v21, v2
	s_delay_alu instid0(VALU_DEP_2) | instskip(NEXT) | instid1(VALU_DEP_2)
	v_cvt_f32_i32_e32 v23, v4
	v_bfe_i32 v2, v21, 0, 16
	s_delay_alu instid0(VALU_DEP_1) | instskip(SKIP_1) | instid1(VALU_DEP_2)
	v_cvt_f32_i32_e32 v3, v2
	v_xor_b32_e32 v2, v4, v2
	v_rcp_iflag_f32_e32 v22, v3
	v_nop
	s_delay_alu instid0(TRANS32_DEP_1) | instskip(NEXT) | instid1(VALU_DEP_1)
	v_mul_f32_e32 v4, v23, v22
	v_trunc_f32_e32 v4, v4
	s_delay_alu instid0(VALU_DEP_1) | instskip(NEXT) | instid1(VALU_DEP_1)
	v_dual_ashrrev_i32 v2, 30, v2 :: v_dual_fma_f32 v22, -v4, v3, v23
	v_or_b32_e32 v2, 1, v2
	v_cvt_i32_f32_e32 v4, v4
	s_delay_alu instid0(VALU_DEP_3) | instskip(NEXT) | instid1(VALU_DEP_1)
	v_cmp_ge_f32_e64 s0, |v22|, |v3|
	v_cndmask_b32_e64 v2, 0, v2, s0
	s_delay_alu instid0(VALU_DEP_1) | instskip(NEXT) | instid1(VALU_DEP_1)
	v_add_nc_u32_e32 v2, v4, v2
	v_mul_lo_u32 v2, v2, v21
	s_delay_alu instid0(VALU_DEP_1) | instskip(NEXT) | instid1(VALU_DEP_1)
	v_sub_nc_u32_e32 v2, v1, v2
	v_and_b32_e32 v1, 0xffff, v2
	v_bfe_i32 v2, v2, 0, 16
	s_delay_alu instid0(VALU_DEP_2) | instskip(SKIP_2) | instid1(SALU_CYCLE_1)
	v_cmp_eq_u32_e64 s0, 0, v1
	v_mov_b32_e32 v1, v21
	s_or_b32 s6, s0, s6
	s_and_not1_b32 exec_lo, exec_lo, s6
	s_cbranch_execnz .LBB35_54
; %bb.55:
	s_or_b32 exec_lo, exec_lo, s6
.LBB35_56:
	s_delay_alu instid0(SALU_CYCLE_1) | instskip(SKIP_2) | instid1(VALU_DEP_2)
	s_or_b32 exec_lo, exec_lo, s3
	v_mov_b32_e32 v1, 0
	v_and_b32_e32 v4, 0xffff, v21
	v_dual_mov_b32 v2, v1 :: v_dual_mov_b32 v3, v1
.LBB35_57:
	s_or_b32 exec_lo, exec_lo, s1
	s_delay_alu instid0(SALU_CYCLE_1)
	s_mov_b32 s1, exec_lo
	v_cmpx_gt_i32_e64 s10, v6
	s_cbranch_execz .LBB35_63
; %bb.58:
	s_mov_b32 s6, 0
	s_mov_b32 s3, exec_lo
	s_wait_loadcnt 0x0
	v_cmpx_ne_u16_e32 0, v20
	s_cbranch_execz .LBB35_62
; %bb.59:
	v_sub_nc_u16 v21, 0, v20
	s_delay_alu instid0(VALU_DEP_1) | instskip(SKIP_1) | instid1(VALU_DEP_2)
	v_max_i16 v21, v20, v21
	v_and_b32_e32 v20, 0xffff, v19
	v_and_b32_e32 v21, 0xffff, v21
.LBB35_60:                              ; =>This Inner Loop Header: Depth=1
	s_delay_alu instid0(VALU_DEP_1) | instskip(NEXT) | instid1(VALU_DEP_2)
	v_bfe_i32 v23, v20, 0, 16
	v_mov_b32_e32 v19, v21
	s_delay_alu instid0(VALU_DEP_2) | instskip(NEXT) | instid1(VALU_DEP_2)
	v_cvt_f32_i32_e32 v25, v23
	v_bfe_i32 v21, v19, 0, 16
	s_delay_alu instid0(VALU_DEP_1) | instskip(SKIP_1) | instid1(VALU_DEP_2)
	v_cvt_f32_i32_e32 v22, v21
	v_xor_b32_e32 v21, v23, v21
	v_rcp_iflag_f32_e32 v24, v22
	v_nop
	s_delay_alu instid0(TRANS32_DEP_1) | instskip(NEXT) | instid1(VALU_DEP_1)
	v_dual_ashrrev_i32 v21, 30, v21 :: v_dual_mul_f32 v23, v25, v24
	v_trunc_f32_e32 v23, v23
	s_delay_alu instid0(VALU_DEP_1) | instskip(SKIP_1) | instid1(VALU_DEP_2)
	v_dual_fma_f32 v24, -v23, v22, v25 :: v_dual_bitop2_b32 v21, 1, v21 bitop3:0x54
	v_cvt_i32_f32_e32 v23, v23
	v_cmp_ge_f32_e64 s0, |v24|, |v22|
	s_delay_alu instid0(VALU_DEP_1) | instskip(NEXT) | instid1(VALU_DEP_1)
	v_cndmask_b32_e64 v21, 0, v21, s0
	v_add_nc_u32_e32 v21, v23, v21
	s_delay_alu instid0(VALU_DEP_1) | instskip(NEXT) | instid1(VALU_DEP_1)
	v_mul_lo_u32 v21, v21, v19
	v_sub_nc_u32_e32 v21, v20, v21
	s_delay_alu instid0(VALU_DEP_1) | instskip(SKIP_1) | instid1(VALU_DEP_2)
	v_and_b32_e32 v20, 0xffff, v21
	v_bfe_i32 v21, v21, 0, 16
	v_cmp_eq_u32_e64 s0, 0, v20
	v_mov_b32_e32 v20, v19
	s_or_b32 s6, s0, s6
	s_delay_alu instid0(SALU_CYCLE_1)
	s_and_not1_b32 exec_lo, exec_lo, s6
	s_cbranch_execnz .LBB35_60
; %bb.61:
	s_or_b32 exec_lo, exec_lo, s6
.LBB35_62:
	s_delay_alu instid0(SALU_CYCLE_1)
	s_or_b32 exec_lo, exec_lo, s3
	v_perm_b32 v4, v19, v4, 0x5040100
.LBB35_63:
	s_or_b32 exec_lo, exec_lo, s1
	v_or_b32_e32 v19, 0x200, v0
	s_mov_b32 s1, exec_lo
	s_delay_alu instid0(VALU_DEP_1)
	v_cmpx_gt_i32_e64 s10, v19
	s_cbranch_execz .LBB35_69
; %bb.64:
	s_mov_b32 s6, 0
	s_mov_b32 s3, exec_lo
	s_wait_loadcnt 0x0
	v_cmpx_ne_u16_e32 0, v18
	s_cbranch_execz .LBB35_68
; %bb.65:
	v_sub_nc_u16 v19, 0, v18
	s_delay_alu instid0(VALU_DEP_1) | instskip(SKIP_1) | instid1(VALU_DEP_2)
	v_max_i16 v19, v18, v19
	v_and_b32_e32 v18, 0xffff, v17
	v_and_b32_e32 v19, 0xffff, v19
.LBB35_66:                              ; =>This Inner Loop Header: Depth=1
	s_delay_alu instid0(VALU_DEP_1) | instskip(NEXT) | instid1(VALU_DEP_2)
	v_bfe_i32 v21, v18, 0, 16
	v_mov_b32_e32 v17, v19
	s_delay_alu instid0(VALU_DEP_2) | instskip(NEXT) | instid1(VALU_DEP_2)
	v_cvt_f32_i32_e32 v23, v21
	v_bfe_i32 v19, v17, 0, 16
	s_delay_alu instid0(VALU_DEP_1) | instskip(SKIP_1) | instid1(VALU_DEP_2)
	v_cvt_f32_i32_e32 v20, v19
	v_xor_b32_e32 v19, v21, v19
	v_rcp_iflag_f32_e32 v22, v20
	v_nop
	s_delay_alu instid0(TRANS32_DEP_1) | instskip(NEXT) | instid1(VALU_DEP_1)
	v_dual_ashrrev_i32 v19, 30, v19 :: v_dual_mul_f32 v21, v23, v22
	v_trunc_f32_e32 v21, v21
	s_delay_alu instid0(VALU_DEP_1) | instskip(SKIP_1) | instid1(VALU_DEP_2)
	v_dual_fma_f32 v22, -v21, v20, v23 :: v_dual_bitop2_b32 v19, 1, v19 bitop3:0x54
	v_cvt_i32_f32_e32 v21, v21
	v_cmp_ge_f32_e64 s0, |v22|, |v20|
	s_delay_alu instid0(VALU_DEP_1) | instskip(NEXT) | instid1(VALU_DEP_1)
	v_cndmask_b32_e64 v19, 0, v19, s0
	v_add_nc_u32_e32 v19, v21, v19
	s_delay_alu instid0(VALU_DEP_1) | instskip(NEXT) | instid1(VALU_DEP_1)
	v_mul_lo_u32 v19, v19, v17
	v_sub_nc_u32_e32 v19, v18, v19
	s_delay_alu instid0(VALU_DEP_1) | instskip(SKIP_1) | instid1(VALU_DEP_2)
	v_and_b32_e32 v18, 0xffff, v19
	v_bfe_i32 v19, v19, 0, 16
	v_cmp_eq_u32_e64 s0, 0, v18
	v_mov_b32_e32 v18, v17
	s_or_b32 s6, s0, s6
	s_delay_alu instid0(SALU_CYCLE_1)
	s_and_not1_b32 exec_lo, exec_lo, s6
	s_cbranch_execnz .LBB35_66
; %bb.67:
	s_or_b32 exec_lo, exec_lo, s6
.LBB35_68:
	s_delay_alu instid0(SALU_CYCLE_1)
	s_or_b32 exec_lo, exec_lo, s3
	v_bfi_b32 v1, 0xffff, v17, v1
.LBB35_69:
	s_or_b32 exec_lo, exec_lo, s1
	v_or_b32_e32 v17, 0x300, v0
	s_mov_b32 s1, exec_lo
	s_delay_alu instid0(VALU_DEP_1)
	v_cmpx_gt_i32_e64 s10, v17
	s_cbranch_execz .LBB35_75
; %bb.70:
	s_mov_b32 s6, 0
	s_mov_b32 s3, exec_lo
	s_wait_loadcnt 0x0
	v_cmpx_ne_u16_e32 0, v16
	s_cbranch_execz .LBB35_74
; %bb.71:
	v_sub_nc_u16 v17, 0, v16
	s_delay_alu instid0(VALU_DEP_1) | instskip(SKIP_1) | instid1(VALU_DEP_2)
	v_max_i16 v17, v16, v17
	v_and_b32_e32 v16, 0xffff, v15
	v_and_b32_e32 v17, 0xffff, v17
.LBB35_72:                              ; =>This Inner Loop Header: Depth=1
	s_delay_alu instid0(VALU_DEP_1) | instskip(NEXT) | instid1(VALU_DEP_2)
	v_bfe_i32 v19, v16, 0, 16
	v_mov_b32_e32 v15, v17
	s_delay_alu instid0(VALU_DEP_2) | instskip(NEXT) | instid1(VALU_DEP_2)
	v_cvt_f32_i32_e32 v21, v19
	v_bfe_i32 v17, v15, 0, 16
	s_delay_alu instid0(VALU_DEP_1) | instskip(SKIP_1) | instid1(VALU_DEP_2)
	v_cvt_f32_i32_e32 v18, v17
	v_xor_b32_e32 v17, v19, v17
	v_rcp_iflag_f32_e32 v20, v18
	v_nop
	s_delay_alu instid0(TRANS32_DEP_1) | instskip(NEXT) | instid1(VALU_DEP_1)
	v_dual_ashrrev_i32 v17, 30, v17 :: v_dual_mul_f32 v19, v21, v20
	v_trunc_f32_e32 v19, v19
	s_delay_alu instid0(VALU_DEP_1) | instskip(SKIP_1) | instid1(VALU_DEP_2)
	v_dual_fma_f32 v20, -v19, v18, v21 :: v_dual_bitop2_b32 v17, 1, v17 bitop3:0x54
	v_cvt_i32_f32_e32 v19, v19
	v_cmp_ge_f32_e64 s0, |v20|, |v18|
	s_delay_alu instid0(VALU_DEP_1) | instskip(NEXT) | instid1(VALU_DEP_1)
	v_cndmask_b32_e64 v17, 0, v17, s0
	v_add_nc_u32_e32 v17, v19, v17
	s_delay_alu instid0(VALU_DEP_1) | instskip(NEXT) | instid1(VALU_DEP_1)
	v_mul_lo_u32 v17, v17, v15
	v_sub_nc_u32_e32 v17, v16, v17
	s_delay_alu instid0(VALU_DEP_1) | instskip(SKIP_1) | instid1(VALU_DEP_2)
	v_and_b32_e32 v16, 0xffff, v17
	v_bfe_i32 v17, v17, 0, 16
	v_cmp_eq_u32_e64 s0, 0, v16
	v_mov_b32_e32 v16, v15
	s_or_b32 s6, s0, s6
	s_delay_alu instid0(SALU_CYCLE_1)
	s_and_not1_b32 exec_lo, exec_lo, s6
	s_cbranch_execnz .LBB35_72
; %bb.73:
	s_or_b32 exec_lo, exec_lo, s6
.LBB35_74:
	s_delay_alu instid0(SALU_CYCLE_1)
	s_or_b32 exec_lo, exec_lo, s3
	v_perm_b32 v1, v15, v1, 0x5040100
.LBB35_75:
	s_or_b32 exec_lo, exec_lo, s1
	v_or_b32_e32 v15, 0x400, v0
	s_mov_b32 s1, exec_lo
	s_delay_alu instid0(VALU_DEP_1)
	v_cmpx_gt_i32_e64 s10, v15
	s_cbranch_execz .LBB35_81
; %bb.76:
	s_mov_b32 s6, 0
	s_mov_b32 s3, exec_lo
	s_wait_loadcnt 0x0
	v_cmpx_ne_u16_e32 0, v14
	s_cbranch_execz .LBB35_80
; %bb.77:
	v_sub_nc_u16 v15, 0, v14
	s_delay_alu instid0(VALU_DEP_1) | instskip(SKIP_1) | instid1(VALU_DEP_2)
	v_max_i16 v15, v14, v15
	v_and_b32_e32 v14, 0xffff, v13
	v_and_b32_e32 v15, 0xffff, v15
.LBB35_78:                              ; =>This Inner Loop Header: Depth=1
	s_delay_alu instid0(VALU_DEP_1) | instskip(NEXT) | instid1(VALU_DEP_2)
	v_bfe_i32 v17, v14, 0, 16
	v_mov_b32_e32 v13, v15
	s_delay_alu instid0(VALU_DEP_2) | instskip(NEXT) | instid1(VALU_DEP_2)
	v_cvt_f32_i32_e32 v19, v17
	v_bfe_i32 v15, v13, 0, 16
	s_delay_alu instid0(VALU_DEP_1) | instskip(SKIP_1) | instid1(VALU_DEP_2)
	v_cvt_f32_i32_e32 v16, v15
	v_xor_b32_e32 v15, v17, v15
	v_rcp_iflag_f32_e32 v18, v16
	v_nop
	s_delay_alu instid0(TRANS32_DEP_1) | instskip(NEXT) | instid1(VALU_DEP_1)
	v_dual_ashrrev_i32 v15, 30, v15 :: v_dual_mul_f32 v17, v19, v18
	v_trunc_f32_e32 v17, v17
	s_delay_alu instid0(VALU_DEP_1) | instskip(SKIP_1) | instid1(VALU_DEP_2)
	v_dual_fma_f32 v18, -v17, v16, v19 :: v_dual_bitop2_b32 v15, 1, v15 bitop3:0x54
	v_cvt_i32_f32_e32 v17, v17
	v_cmp_ge_f32_e64 s0, |v18|, |v16|
	s_delay_alu instid0(VALU_DEP_1) | instskip(NEXT) | instid1(VALU_DEP_1)
	v_cndmask_b32_e64 v15, 0, v15, s0
	v_add_nc_u32_e32 v15, v17, v15
	s_delay_alu instid0(VALU_DEP_1) | instskip(NEXT) | instid1(VALU_DEP_1)
	v_mul_lo_u32 v15, v15, v13
	v_sub_nc_u32_e32 v15, v14, v15
	s_delay_alu instid0(VALU_DEP_1) | instskip(SKIP_1) | instid1(VALU_DEP_2)
	v_and_b32_e32 v14, 0xffff, v15
	v_bfe_i32 v15, v15, 0, 16
	v_cmp_eq_u32_e64 s0, 0, v14
	v_mov_b32_e32 v14, v13
	s_or_b32 s6, s0, s6
	s_delay_alu instid0(SALU_CYCLE_1)
	s_and_not1_b32 exec_lo, exec_lo, s6
	s_cbranch_execnz .LBB35_78
; %bb.79:
	s_or_b32 exec_lo, exec_lo, s6
.LBB35_80:
	s_delay_alu instid0(SALU_CYCLE_1)
	s_or_b32 exec_lo, exec_lo, s3
	v_bfi_b32 v2, 0xffff, v13, v2
.LBB35_81:
	s_or_b32 exec_lo, exec_lo, s1
	v_or_b32_e32 v13, 0x500, v0
	s_mov_b32 s1, exec_lo
	s_delay_alu instid0(VALU_DEP_1)
	v_cmpx_gt_i32_e64 s10, v13
	s_cbranch_execz .LBB35_87
; %bb.82:
	s_mov_b32 s6, 0
	s_mov_b32 s3, exec_lo
	s_wait_loadcnt 0x0
	v_cmpx_ne_u16_e32 0, v12
	s_cbranch_execz .LBB35_86
; %bb.83:
	v_sub_nc_u16 v13, 0, v12
	s_delay_alu instid0(VALU_DEP_1) | instskip(SKIP_1) | instid1(VALU_DEP_2)
	v_max_i16 v13, v12, v13
	v_and_b32_e32 v12, 0xffff, v11
	v_and_b32_e32 v13, 0xffff, v13
.LBB35_84:                              ; =>This Inner Loop Header: Depth=1
	s_delay_alu instid0(VALU_DEP_1) | instskip(NEXT) | instid1(VALU_DEP_2)
	v_bfe_i32 v15, v12, 0, 16
	v_mov_b32_e32 v11, v13
	s_delay_alu instid0(VALU_DEP_2) | instskip(NEXT) | instid1(VALU_DEP_2)
	v_cvt_f32_i32_e32 v17, v15
	v_bfe_i32 v13, v11, 0, 16
	s_delay_alu instid0(VALU_DEP_1) | instskip(SKIP_1) | instid1(VALU_DEP_2)
	v_cvt_f32_i32_e32 v14, v13
	v_xor_b32_e32 v13, v15, v13
	v_rcp_iflag_f32_e32 v16, v14
	v_nop
	s_delay_alu instid0(TRANS32_DEP_1) | instskip(NEXT) | instid1(VALU_DEP_1)
	v_dual_ashrrev_i32 v13, 30, v13 :: v_dual_mul_f32 v15, v17, v16
	v_trunc_f32_e32 v15, v15
	s_delay_alu instid0(VALU_DEP_1) | instskip(SKIP_1) | instid1(VALU_DEP_2)
	v_dual_fma_f32 v16, -v15, v14, v17 :: v_dual_bitop2_b32 v13, 1, v13 bitop3:0x54
	v_cvt_i32_f32_e32 v15, v15
	v_cmp_ge_f32_e64 s0, |v16|, |v14|
	s_delay_alu instid0(VALU_DEP_1) | instskip(NEXT) | instid1(VALU_DEP_1)
	v_cndmask_b32_e64 v13, 0, v13, s0
	v_add_nc_u32_e32 v13, v15, v13
	s_delay_alu instid0(VALU_DEP_1) | instskip(NEXT) | instid1(VALU_DEP_1)
	v_mul_lo_u32 v13, v13, v11
	v_sub_nc_u32_e32 v13, v12, v13
	s_delay_alu instid0(VALU_DEP_1) | instskip(SKIP_1) | instid1(VALU_DEP_2)
	v_and_b32_e32 v12, 0xffff, v13
	v_bfe_i32 v13, v13, 0, 16
	v_cmp_eq_u32_e64 s0, 0, v12
	v_mov_b32_e32 v12, v11
	s_or_b32 s6, s0, s6
	s_delay_alu instid0(SALU_CYCLE_1)
	s_and_not1_b32 exec_lo, exec_lo, s6
	s_cbranch_execnz .LBB35_84
; %bb.85:
	s_or_b32 exec_lo, exec_lo, s6
.LBB35_86:
	s_delay_alu instid0(SALU_CYCLE_1)
	s_or_b32 exec_lo, exec_lo, s3
	v_perm_b32 v2, v11, v2, 0x5040100
.LBB35_87:
	s_or_b32 exec_lo, exec_lo, s1
	v_or_b32_e32 v11, 0x600, v0
	s_mov_b32 s1, exec_lo
	s_delay_alu instid0(VALU_DEP_1)
	v_cmpx_gt_i32_e64 s10, v11
	s_cbranch_execz .LBB35_93
; %bb.88:
	s_mov_b32 s6, 0
	s_mov_b32 s3, exec_lo
	s_wait_loadcnt 0x0
	v_cmpx_ne_u16_e32 0, v10
	s_cbranch_execz .LBB35_92
; %bb.89:
	v_sub_nc_u16 v11, 0, v10
	s_delay_alu instid0(VALU_DEP_1) | instskip(SKIP_1) | instid1(VALU_DEP_2)
	v_max_i16 v11, v10, v11
	v_and_b32_e32 v10, 0xffff, v9
	v_and_b32_e32 v11, 0xffff, v11
.LBB35_90:                              ; =>This Inner Loop Header: Depth=1
	s_delay_alu instid0(VALU_DEP_1) | instskip(NEXT) | instid1(VALU_DEP_2)
	v_bfe_i32 v13, v10, 0, 16
	v_mov_b32_e32 v9, v11
	s_delay_alu instid0(VALU_DEP_2) | instskip(NEXT) | instid1(VALU_DEP_2)
	v_cvt_f32_i32_e32 v15, v13
	v_bfe_i32 v11, v9, 0, 16
	s_delay_alu instid0(VALU_DEP_1) | instskip(SKIP_1) | instid1(VALU_DEP_2)
	v_cvt_f32_i32_e32 v12, v11
	v_xor_b32_e32 v11, v13, v11
	v_rcp_iflag_f32_e32 v14, v12
	v_nop
	s_delay_alu instid0(TRANS32_DEP_1) | instskip(NEXT) | instid1(VALU_DEP_1)
	v_dual_ashrrev_i32 v11, 30, v11 :: v_dual_mul_f32 v13, v15, v14
	v_trunc_f32_e32 v13, v13
	s_delay_alu instid0(VALU_DEP_1) | instskip(SKIP_1) | instid1(VALU_DEP_2)
	v_dual_fma_f32 v14, -v13, v12, v15 :: v_dual_bitop2_b32 v11, 1, v11 bitop3:0x54
	v_cvt_i32_f32_e32 v13, v13
	v_cmp_ge_f32_e64 s0, |v14|, |v12|
	s_delay_alu instid0(VALU_DEP_1) | instskip(NEXT) | instid1(VALU_DEP_1)
	v_cndmask_b32_e64 v11, 0, v11, s0
	v_add_nc_u32_e32 v11, v13, v11
	s_delay_alu instid0(VALU_DEP_1) | instskip(NEXT) | instid1(VALU_DEP_1)
	v_mul_lo_u32 v11, v11, v9
	v_sub_nc_u32_e32 v11, v10, v11
	s_delay_alu instid0(VALU_DEP_1) | instskip(SKIP_1) | instid1(VALU_DEP_2)
	v_and_b32_e32 v10, 0xffff, v11
	v_bfe_i32 v11, v11, 0, 16
	v_cmp_eq_u32_e64 s0, 0, v10
	v_mov_b32_e32 v10, v9
	s_or_b32 s6, s0, s6
	s_delay_alu instid0(SALU_CYCLE_1)
	s_and_not1_b32 exec_lo, exec_lo, s6
	s_cbranch_execnz .LBB35_90
; %bb.91:
	s_or_b32 exec_lo, exec_lo, s6
.LBB35_92:
	s_delay_alu instid0(SALU_CYCLE_1)
	s_or_b32 exec_lo, exec_lo, s3
	v_bfi_b32 v3, 0xffff, v9, v3
.LBB35_93:
	s_or_b32 exec_lo, exec_lo, s1
	v_or_b32_e32 v9, 0x700, v0
	s_mov_b32 s1, exec_lo
	s_delay_alu instid0(VALU_DEP_1)
	v_cmpx_gt_i32_e64 s10, v9
	s_cbranch_execnz .LBB35_104
; %bb.94:
	s_or_b32 exec_lo, exec_lo, s1
	s_and_saveexec_b32 s0, vcc_lo
	s_delay_alu instid0(SALU_CYCLE_1)
	s_xor_b32 s0, exec_lo, s0
	s_cbranch_execnz .LBB35_109
.LBB35_95:
	s_or_b32 exec_lo, exec_lo, s0
	s_delay_alu instid0(SALU_CYCLE_1)
	s_mov_b32 s0, exec_lo
	v_cmpx_gt_i32_e64 s10, v0
	s_cbranch_execnz .LBB35_110
.LBB35_96:
	s_or_b32 exec_lo, exec_lo, s0
	s_delay_alu instid0(SALU_CYCLE_1)
	s_mov_b32 s0, exec_lo
	v_cmpx_gt_i32_e64 s10, v0
	s_cbranch_execnz .LBB35_111
.LBB35_97:
	s_or_b32 exec_lo, exec_lo, s0
	s_delay_alu instid0(SALU_CYCLE_1)
	s_mov_b32 s0, exec_lo
	v_cmpx_gt_i32_e64 s10, v0
	s_cbranch_execnz .LBB35_112
.LBB35_98:
	s_or_b32 exec_lo, exec_lo, s0
	s_delay_alu instid0(SALU_CYCLE_1)
	s_mov_b32 s0, exec_lo
	v_cmpx_gt_i32_e64 s10, v0
	s_cbranch_execnz .LBB35_113
.LBB35_99:
	s_or_b32 exec_lo, exec_lo, s0
	s_delay_alu instid0(SALU_CYCLE_1)
	s_mov_b32 s0, exec_lo
	v_cmpx_gt_i32_e64 s10, v0
	s_cbranch_execnz .LBB35_114
.LBB35_100:
	s_or_b32 exec_lo, exec_lo, s0
	s_delay_alu instid0(SALU_CYCLE_1)
	s_mov_b32 s0, exec_lo
	v_cmpx_gt_i32_e64 s10, v0
	s_cbranch_execnz .LBB35_115
.LBB35_101:
	s_or_b32 exec_lo, exec_lo, s0
	s_delay_alu instid0(SALU_CYCLE_1)
	s_mov_b32 s0, exec_lo
	v_cmpx_gt_i32_e64 s10, v0
	s_cbranch_execz .LBB35_103
.LBB35_102:
	v_add_nc_u32_e32 v0, s2, v0
	global_store_d16_hi_b16 v0, v3, s[4:5] scale_offset
.LBB35_103:
	s_endpgm
.LBB35_104:
	s_mov_b32 s6, 0
	s_mov_b32 s3, exec_lo
	s_wait_loadcnt 0x0
	v_cmpx_ne_u16_e32 0, v8
	s_cbranch_execz .LBB35_108
; %bb.105:
	v_sub_nc_u16 v9, 0, v8
	s_delay_alu instid0(VALU_DEP_1) | instskip(SKIP_1) | instid1(VALU_DEP_2)
	v_max_i16 v9, v8, v9
	v_and_b32_e32 v8, 0xffff, v7
	v_and_b32_e32 v9, 0xffff, v9
.LBB35_106:                             ; =>This Inner Loop Header: Depth=1
	s_delay_alu instid0(VALU_DEP_1) | instskip(NEXT) | instid1(VALU_DEP_2)
	v_bfe_i32 v11, v8, 0, 16
	v_mov_b32_e32 v7, v9
	s_delay_alu instid0(VALU_DEP_2) | instskip(NEXT) | instid1(VALU_DEP_2)
	v_cvt_f32_i32_e32 v13, v11
	v_bfe_i32 v9, v7, 0, 16
	s_delay_alu instid0(VALU_DEP_1) | instskip(SKIP_1) | instid1(VALU_DEP_2)
	v_cvt_f32_i32_e32 v10, v9
	v_xor_b32_e32 v9, v11, v9
	v_rcp_iflag_f32_e32 v12, v10
	v_nop
	s_delay_alu instid0(TRANS32_DEP_1) | instskip(NEXT) | instid1(VALU_DEP_1)
	v_dual_ashrrev_i32 v9, 30, v9 :: v_dual_mul_f32 v11, v13, v12
	v_trunc_f32_e32 v11, v11
	s_delay_alu instid0(VALU_DEP_1) | instskip(SKIP_1) | instid1(VALU_DEP_2)
	v_dual_fma_f32 v12, -v11, v10, v13 :: v_dual_bitop2_b32 v9, 1, v9 bitop3:0x54
	v_cvt_i32_f32_e32 v11, v11
	v_cmp_ge_f32_e64 s0, |v12|, |v10|
	s_delay_alu instid0(VALU_DEP_1) | instskip(NEXT) | instid1(VALU_DEP_1)
	v_cndmask_b32_e64 v9, 0, v9, s0
	v_add_nc_u32_e32 v9, v11, v9
	s_delay_alu instid0(VALU_DEP_1) | instskip(NEXT) | instid1(VALU_DEP_1)
	v_mul_lo_u32 v9, v9, v7
	v_sub_nc_u32_e32 v9, v8, v9
	s_delay_alu instid0(VALU_DEP_1) | instskip(SKIP_1) | instid1(VALU_DEP_2)
	v_and_b32_e32 v8, 0xffff, v9
	v_bfe_i32 v9, v9, 0, 16
	v_cmp_eq_u32_e64 s0, 0, v8
	v_mov_b32_e32 v8, v7
	s_or_b32 s6, s0, s6
	s_delay_alu instid0(SALU_CYCLE_1)
	s_and_not1_b32 exec_lo, exec_lo, s6
	s_cbranch_execnz .LBB35_106
; %bb.107:
	s_or_b32 exec_lo, exec_lo, s6
.LBB35_108:
	s_delay_alu instid0(SALU_CYCLE_1) | instskip(SKIP_3) | instid1(SALU_CYCLE_1)
	s_or_b32 exec_lo, exec_lo, s3
	v_perm_b32 v3, v7, v3, 0x5040100
	s_or_b32 exec_lo, exec_lo, s1
	s_and_saveexec_b32 s0, vcc_lo
	s_xor_b32 s0, exec_lo, s0
	s_cbranch_execz .LBB35_95
.LBB35_109:
	v_mov_b32_e32 v0, v6
	global_store_b16 v5, v4, s[4:5] scale_offset
	s_wait_xcnt 0x0
	s_or_b32 exec_lo, exec_lo, s0
	s_delay_alu instid0(SALU_CYCLE_1)
	s_mov_b32 s0, exec_lo
	v_cmpx_gt_i32_e64 s10, v0
	s_cbranch_execz .LBB35_96
.LBB35_110:
	v_add_nc_u32_e32 v5, s2, v0
	v_add_nc_u32_e32 v0, 0x100, v0
	global_store_d16_hi_b16 v5, v4, s[4:5] scale_offset
	s_wait_xcnt 0x0
	s_or_b32 exec_lo, exec_lo, s0
	s_delay_alu instid0(SALU_CYCLE_1)
	s_mov_b32 s0, exec_lo
	v_cmpx_gt_i32_e64 s10, v0
	s_cbranch_execz .LBB35_97
.LBB35_111:
	v_add_nc_u32_e32 v4, s2, v0
	v_add_nc_u32_e32 v0, 0x100, v0
	global_store_b16 v4, v1, s[4:5] scale_offset
	s_wait_xcnt 0x0
	s_or_b32 exec_lo, exec_lo, s0
	s_delay_alu instid0(SALU_CYCLE_1)
	s_mov_b32 s0, exec_lo
	v_cmpx_gt_i32_e64 s10, v0
	s_cbranch_execz .LBB35_98
.LBB35_112:
	v_add_nc_u32_e32 v4, s2, v0
	v_add_nc_u32_e32 v0, 0x100, v0
	global_store_d16_hi_b16 v4, v1, s[4:5] scale_offset
	s_wait_xcnt 0x0
	s_or_b32 exec_lo, exec_lo, s0
	s_delay_alu instid0(SALU_CYCLE_1)
	s_mov_b32 s0, exec_lo
	v_cmpx_gt_i32_e64 s10, v0
	s_cbranch_execz .LBB35_99
.LBB35_113:
	v_add_nc_u32_e32 v1, s2, v0
	v_add_nc_u32_e32 v0, 0x100, v0
	global_store_b16 v1, v2, s[4:5] scale_offset
	s_wait_xcnt 0x0
	s_or_b32 exec_lo, exec_lo, s0
	s_delay_alu instid0(SALU_CYCLE_1)
	s_mov_b32 s0, exec_lo
	v_cmpx_gt_i32_e64 s10, v0
	s_cbranch_execz .LBB35_100
.LBB35_114:
	v_add_nc_u32_e32 v1, s2, v0
	v_add_nc_u32_e32 v0, 0x100, v0
	global_store_d16_hi_b16 v1, v2, s[4:5] scale_offset
	s_wait_xcnt 0x0
	s_or_b32 exec_lo, exec_lo, s0
	s_delay_alu instid0(SALU_CYCLE_1)
	s_mov_b32 s0, exec_lo
	v_cmpx_gt_i32_e64 s10, v0
	s_cbranch_execz .LBB35_101
.LBB35_115:
	v_add_nc_u32_e32 v1, s2, v0
	v_add_nc_u32_e32 v0, 0x100, v0
	global_store_b16 v1, v3, s[4:5] scale_offset
	s_wait_xcnt 0x0
	s_or_b32 exec_lo, exec_lo, s0
	s_delay_alu instid0(SALU_CYCLE_1)
	s_mov_b32 s0, exec_lo
	v_cmpx_gt_i32_e64 s10, v0
	s_cbranch_execnz .LBB35_102
	s_branch .LBB35_103
	.section	.rodata,"a",@progbits
	.p2align	6, 0x0
	.amdhsa_kernel _ZN2at6native29vectorized_elementwise_kernelILi2EZZZNS0_15gcd_kernel_cudaERNS_18TensorIteratorBaseEENKUlvE_clEvENKUlvE3_clEvEUlssE_St5arrayIPcLm3EEEEviT0_T1_
		.amdhsa_group_segment_fixed_size 0
		.amdhsa_private_segment_fixed_size 0
		.amdhsa_kernarg_size 32
		.amdhsa_user_sgpr_count 2
		.amdhsa_user_sgpr_dispatch_ptr 0
		.amdhsa_user_sgpr_queue_ptr 0
		.amdhsa_user_sgpr_kernarg_segment_ptr 1
		.amdhsa_user_sgpr_dispatch_id 0
		.amdhsa_user_sgpr_kernarg_preload_length 0
		.amdhsa_user_sgpr_kernarg_preload_offset 0
		.amdhsa_user_sgpr_private_segment_size 0
		.amdhsa_wavefront_size32 1
		.amdhsa_uses_dynamic_stack 0
		.amdhsa_enable_private_segment 0
		.amdhsa_system_sgpr_workgroup_id_x 1
		.amdhsa_system_sgpr_workgroup_id_y 0
		.amdhsa_system_sgpr_workgroup_id_z 0
		.amdhsa_system_sgpr_workgroup_info 0
		.amdhsa_system_vgpr_workitem_id 0
		.amdhsa_next_free_vgpr 26
		.amdhsa_next_free_sgpr 16
		.amdhsa_named_barrier_count 0
		.amdhsa_reserve_vcc 1
		.amdhsa_float_round_mode_32 0
		.amdhsa_float_round_mode_16_64 0
		.amdhsa_float_denorm_mode_32 3
		.amdhsa_float_denorm_mode_16_64 3
		.amdhsa_fp16_overflow 0
		.amdhsa_memory_ordered 1
		.amdhsa_forward_progress 1
		.amdhsa_inst_pref_size 49
		.amdhsa_round_robin_scheduling 0
		.amdhsa_exception_fp_ieee_invalid_op 0
		.amdhsa_exception_fp_denorm_src 0
		.amdhsa_exception_fp_ieee_div_zero 0
		.amdhsa_exception_fp_ieee_overflow 0
		.amdhsa_exception_fp_ieee_underflow 0
		.amdhsa_exception_fp_ieee_inexact 0
		.amdhsa_exception_int_div_zero 0
	.end_amdhsa_kernel
	.section	.text._ZN2at6native29vectorized_elementwise_kernelILi2EZZZNS0_15gcd_kernel_cudaERNS_18TensorIteratorBaseEENKUlvE_clEvENKUlvE3_clEvEUlssE_St5arrayIPcLm3EEEEviT0_T1_,"axG",@progbits,_ZN2at6native29vectorized_elementwise_kernelILi2EZZZNS0_15gcd_kernel_cudaERNS_18TensorIteratorBaseEENKUlvE_clEvENKUlvE3_clEvEUlssE_St5arrayIPcLm3EEEEviT0_T1_,comdat
.Lfunc_end35:
	.size	_ZN2at6native29vectorized_elementwise_kernelILi2EZZZNS0_15gcd_kernel_cudaERNS_18TensorIteratorBaseEENKUlvE_clEvENKUlvE3_clEvEUlssE_St5arrayIPcLm3EEEEviT0_T1_, .Lfunc_end35-_ZN2at6native29vectorized_elementwise_kernelILi2EZZZNS0_15gcd_kernel_cudaERNS_18TensorIteratorBaseEENKUlvE_clEvENKUlvE3_clEvEUlssE_St5arrayIPcLm3EEEEviT0_T1_
                                        ; -- End function
	.set _ZN2at6native29vectorized_elementwise_kernelILi2EZZZNS0_15gcd_kernel_cudaERNS_18TensorIteratorBaseEENKUlvE_clEvENKUlvE3_clEvEUlssE_St5arrayIPcLm3EEEEviT0_T1_.num_vgpr, 26
	.set _ZN2at6native29vectorized_elementwise_kernelILi2EZZZNS0_15gcd_kernel_cudaERNS_18TensorIteratorBaseEENKUlvE_clEvENKUlvE3_clEvEUlssE_St5arrayIPcLm3EEEEviT0_T1_.num_agpr, 0
	.set _ZN2at6native29vectorized_elementwise_kernelILi2EZZZNS0_15gcd_kernel_cudaERNS_18TensorIteratorBaseEENKUlvE_clEvENKUlvE3_clEvEUlssE_St5arrayIPcLm3EEEEviT0_T1_.numbered_sgpr, 16
	.set _ZN2at6native29vectorized_elementwise_kernelILi2EZZZNS0_15gcd_kernel_cudaERNS_18TensorIteratorBaseEENKUlvE_clEvENKUlvE3_clEvEUlssE_St5arrayIPcLm3EEEEviT0_T1_.num_named_barrier, 0
	.set _ZN2at6native29vectorized_elementwise_kernelILi2EZZZNS0_15gcd_kernel_cudaERNS_18TensorIteratorBaseEENKUlvE_clEvENKUlvE3_clEvEUlssE_St5arrayIPcLm3EEEEviT0_T1_.private_seg_size, 0
	.set _ZN2at6native29vectorized_elementwise_kernelILi2EZZZNS0_15gcd_kernel_cudaERNS_18TensorIteratorBaseEENKUlvE_clEvENKUlvE3_clEvEUlssE_St5arrayIPcLm3EEEEviT0_T1_.uses_vcc, 1
	.set _ZN2at6native29vectorized_elementwise_kernelILi2EZZZNS0_15gcd_kernel_cudaERNS_18TensorIteratorBaseEENKUlvE_clEvENKUlvE3_clEvEUlssE_St5arrayIPcLm3EEEEviT0_T1_.uses_flat_scratch, 0
	.set _ZN2at6native29vectorized_elementwise_kernelILi2EZZZNS0_15gcd_kernel_cudaERNS_18TensorIteratorBaseEENKUlvE_clEvENKUlvE3_clEvEUlssE_St5arrayIPcLm3EEEEviT0_T1_.has_dyn_sized_stack, 0
	.set _ZN2at6native29vectorized_elementwise_kernelILi2EZZZNS0_15gcd_kernel_cudaERNS_18TensorIteratorBaseEENKUlvE_clEvENKUlvE3_clEvEUlssE_St5arrayIPcLm3EEEEviT0_T1_.has_recursion, 0
	.set _ZN2at6native29vectorized_elementwise_kernelILi2EZZZNS0_15gcd_kernel_cudaERNS_18TensorIteratorBaseEENKUlvE_clEvENKUlvE3_clEvEUlssE_St5arrayIPcLm3EEEEviT0_T1_.has_indirect_call, 0
	.section	.AMDGPU.csdata,"",@progbits
; Kernel info:
; codeLenInByte = 6168
; TotalNumSgprs: 18
; NumVgprs: 26
; ScratchSize: 0
; MemoryBound: 0
; FloatMode: 240
; IeeeMode: 1
; LDSByteSize: 0 bytes/workgroup (compile time only)
; SGPRBlocks: 0
; VGPRBlocks: 1
; NumSGPRsForWavesPerEU: 18
; NumVGPRsForWavesPerEU: 26
; NamedBarCnt: 0
; Occupancy: 16
; WaveLimiterHint : 1
; COMPUTE_PGM_RSRC2:SCRATCH_EN: 0
; COMPUTE_PGM_RSRC2:USER_SGPR: 2
; COMPUTE_PGM_RSRC2:TRAP_HANDLER: 0
; COMPUTE_PGM_RSRC2:TGID_X_EN: 1
; COMPUTE_PGM_RSRC2:TGID_Y_EN: 0
; COMPUTE_PGM_RSRC2:TGID_Z_EN: 0
; COMPUTE_PGM_RSRC2:TIDIG_COMP_CNT: 0
	.section	.text._ZN2at6native27unrolled_elementwise_kernelIZZZNS0_15gcd_kernel_cudaERNS_18TensorIteratorBaseEENKUlvE_clEvENKUlvE3_clEvEUlssE_St5arrayIPcLm3EELi4E23TrivialOffsetCalculatorILi2EjESA_ILi1EjENS0_6memory15LoadWithoutCastENSD_16StoreWithoutCastEEEviT_T0_T2_T3_T4_T5_,"axG",@progbits,_ZN2at6native27unrolled_elementwise_kernelIZZZNS0_15gcd_kernel_cudaERNS_18TensorIteratorBaseEENKUlvE_clEvENKUlvE3_clEvEUlssE_St5arrayIPcLm3EELi4E23TrivialOffsetCalculatorILi2EjESA_ILi1EjENS0_6memory15LoadWithoutCastENSD_16StoreWithoutCastEEEviT_T0_T2_T3_T4_T5_,comdat
	.globl	_ZN2at6native27unrolled_elementwise_kernelIZZZNS0_15gcd_kernel_cudaERNS_18TensorIteratorBaseEENKUlvE_clEvENKUlvE3_clEvEUlssE_St5arrayIPcLm3EELi4E23TrivialOffsetCalculatorILi2EjESA_ILi1EjENS0_6memory15LoadWithoutCastENSD_16StoreWithoutCastEEEviT_T0_T2_T3_T4_T5_ ; -- Begin function _ZN2at6native27unrolled_elementwise_kernelIZZZNS0_15gcd_kernel_cudaERNS_18TensorIteratorBaseEENKUlvE_clEvENKUlvE3_clEvEUlssE_St5arrayIPcLm3EELi4E23TrivialOffsetCalculatorILi2EjESA_ILi1EjENS0_6memory15LoadWithoutCastENSD_16StoreWithoutCastEEEviT_T0_T2_T3_T4_T5_
	.p2align	8
	.type	_ZN2at6native27unrolled_elementwise_kernelIZZZNS0_15gcd_kernel_cudaERNS_18TensorIteratorBaseEENKUlvE_clEvENKUlvE3_clEvEUlssE_St5arrayIPcLm3EELi4E23TrivialOffsetCalculatorILi2EjESA_ILi1EjENS0_6memory15LoadWithoutCastENSD_16StoreWithoutCastEEEviT_T0_T2_T3_T4_T5_,@function
_ZN2at6native27unrolled_elementwise_kernelIZZZNS0_15gcd_kernel_cudaERNS_18TensorIteratorBaseEENKUlvE_clEvENKUlvE3_clEvEUlssE_St5arrayIPcLm3EELi4E23TrivialOffsetCalculatorILi2EjESA_ILi1EjENS0_6memory15LoadWithoutCastENSD_16StoreWithoutCastEEEviT_T0_T2_T3_T4_T5_: ; @_ZN2at6native27unrolled_elementwise_kernelIZZZNS0_15gcd_kernel_cudaERNS_18TensorIteratorBaseEENKUlvE_clEvENKUlvE3_clEvEUlssE_St5arrayIPcLm3EELi4E23TrivialOffsetCalculatorILi2EjESA_ILi1EjENS0_6memory15LoadWithoutCastENSD_16StoreWithoutCastEEEviT_T0_T2_T3_T4_T5_
; %bb.0:
	s_load_b32 s8, s[0:1], 0x0
	s_bfe_u32 s10, ttmp6, 0x4000c
	s_clause 0x1
	s_load_b128 s[4:7], s[0:1], 0x8
	s_load_b64 s[2:3], s[0:1], 0x18
	s_add_co_i32 s10, s10, 1
	s_and_b32 s9, ttmp6, 15
	s_wait_xcnt 0x0
	s_mul_i32 s1, ttmp9, s10
	s_getreg_b32 s0, hwreg(HW_REG_IB_STS2, 6, 4)
	s_add_co_i32 s9, s9, s1
	s_cmp_eq_u32 s0, 0
	v_dual_mov_b32 v10, 0 :: v_dual_mov_b32 v12, 0
	s_cselect_b32 s0, ttmp9, s9
	v_or_b32_e32 v3, 0x100, v0
	s_lshl_b32 s1, s0, 10
	s_delay_alu instid0(SALU_CYCLE_1) | instskip(SKIP_3) | instid1(SALU_CYCLE_1)
	v_dual_mov_b32 v11, 0 :: v_dual_bitop2_b32 v4, s1, v0 bitop3:0x54
	v_mov_b32_e32 v1, v0
	s_wait_kmcnt 0x0
	s_sub_co_i32 s8, s8, s1
	v_cmp_gt_i32_e32 vcc_lo, s8, v0
	s_and_saveexec_b32 s0, vcc_lo
	s_cbranch_execz .LBB36_2
; %bb.1:
	s_clause 0x1
	global_load_u16 v2, v4, s[2:3] scale_offset
	global_load_u16 v12, v4, s[6:7] scale_offset
	v_or_b32_e32 v1, 0x100, v0
	s_wait_loadcnt 0x1
	v_sub_nc_u16 v5, 0, v2
	s_delay_alu instid0(VALU_DEP_1)
	v_max_i16 v11, v2, v5
.LBB36_2:
	s_wait_xcnt 0x0
	s_or_b32 exec_lo, exec_lo, s0
	v_mov_b32_e32 v9, 0
	s_mov_b32 s9, exec_lo
	v_cmpx_gt_i32_e64 s8, v1
	s_cbranch_execz .LBB36_4
; %bb.3:
	v_add_nc_u32_e32 v2, s1, v1
	v_add_nc_u32_e32 v1, 0x100, v1
	s_clause 0x1
	global_load_u16 v5, v2, s[2:3] scale_offset
	global_load_u16 v10, v2, s[6:7] scale_offset
	s_wait_loadcnt 0x1
	s_wait_xcnt 0x0
	v_sub_nc_u16 v2, 0, v5
	s_delay_alu instid0(VALU_DEP_1)
	v_max_i16 v9, v5, v2
.LBB36_4:
	s_or_b32 exec_lo, exec_lo, s9
	v_dual_mov_b32 v6, 0 :: v_dual_mov_b32 v8, 0
	v_mov_b32_e32 v7, 0
	s_mov_b32 s9, exec_lo
	v_cmpx_gt_i32_e64 s8, v1
	s_cbranch_execz .LBB36_6
; %bb.5:
	v_add_nc_u32_e32 v2, s1, v1
	v_add_nc_u32_e32 v1, 0x100, v1
	s_clause 0x1
	global_load_u16 v5, v2, s[2:3] scale_offset
	global_load_u16 v8, v2, s[6:7] scale_offset
	s_wait_loadcnt 0x1
	s_wait_xcnt 0x0
	v_sub_nc_u16 v2, 0, v5
	s_delay_alu instid0(VALU_DEP_1)
	v_max_i16 v7, v5, v2
.LBB36_6:
	s_or_b32 exec_lo, exec_lo, s9
	v_mov_b32_e32 v5, 0
	s_mov_b32 s9, exec_lo
	v_cmpx_gt_i32_e64 s8, v1
	s_cbranch_execz .LBB36_8
; %bb.7:
	v_add_nc_u32_e32 v1, s1, v1
	s_clause 0x1
	global_load_u16 v2, v1, s[2:3] scale_offset
	global_load_u16 v6, v1, s[6:7] scale_offset
	s_wait_loadcnt 0x1
	s_wait_xcnt 0x0
	v_sub_nc_u16 v1, 0, v2
	s_delay_alu instid0(VALU_DEP_1)
	v_max_i16 v5, v2, v1
.LBB36_8:
	s_or_b32 exec_lo, exec_lo, s9
	v_mov_b32_e32 v2, 0
	s_delay_alu instid0(VALU_DEP_1)
	v_mov_b32_e32 v1, v2
	s_and_saveexec_b32 s2, vcc_lo
	s_cbranch_execz .LBB36_14
; %bb.9:
	s_mov_b32 s3, exec_lo
	s_wait_loadcnt 0x0
	v_cmpx_ne_u16_e32 0, v12
	s_cbranch_execz .LBB36_13
; %bb.10:
	v_sub_nc_u16 v1, 0, v12
	s_mov_b32 s6, 0
	s_delay_alu instid0(VALU_DEP_1) | instskip(SKIP_1) | instid1(VALU_DEP_2)
	v_max_i16 v2, v12, v1
	v_and_b32_e32 v1, 0xffff, v11
	v_and_b32_e32 v2, 0xffff, v2
.LBB36_11:                              ; =>This Inner Loop Header: Depth=1
	s_delay_alu instid0(VALU_DEP_1) | instskip(NEXT) | instid1(VALU_DEP_2)
	v_bfe_i32 v13, v1, 0, 16
	v_mov_b32_e32 v11, v2
	s_delay_alu instid0(VALU_DEP_2) | instskip(NEXT) | instid1(VALU_DEP_2)
	v_cvt_f32_i32_e32 v15, v13
	v_bfe_i32 v2, v11, 0, 16
	s_delay_alu instid0(VALU_DEP_1) | instskip(SKIP_1) | instid1(VALU_DEP_2)
	v_cvt_f32_i32_e32 v12, v2
	v_xor_b32_e32 v2, v13, v2
	v_rcp_iflag_f32_e32 v14, v12
	v_nop
	s_delay_alu instid0(TRANS32_DEP_1) | instskip(NEXT) | instid1(VALU_DEP_1)
	v_mul_f32_e32 v13, v15, v14
	v_trunc_f32_e32 v13, v13
	s_delay_alu instid0(VALU_DEP_1) | instskip(NEXT) | instid1(VALU_DEP_1)
	v_dual_ashrrev_i32 v2, 30, v2 :: v_dual_fma_f32 v14, -v13, v12, v15
	v_or_b32_e32 v2, 1, v2
	v_cvt_i32_f32_e32 v13, v13
	s_delay_alu instid0(VALU_DEP_3) | instskip(NEXT) | instid1(VALU_DEP_1)
	v_cmp_ge_f32_e64 s0, |v14|, |v12|
	v_cndmask_b32_e64 v2, 0, v2, s0
	s_delay_alu instid0(VALU_DEP_1) | instskip(NEXT) | instid1(VALU_DEP_1)
	v_add_nc_u32_e32 v2, v13, v2
	v_mul_lo_u32 v2, v2, v11
	s_delay_alu instid0(VALU_DEP_1) | instskip(NEXT) | instid1(VALU_DEP_1)
	v_sub_nc_u32_e32 v2, v1, v2
	v_and_b32_e32 v1, 0xffff, v2
	v_bfe_i32 v2, v2, 0, 16
	s_delay_alu instid0(VALU_DEP_2) | instskip(SKIP_2) | instid1(SALU_CYCLE_1)
	v_cmp_eq_u32_e64 s0, 0, v1
	v_mov_b32_e32 v1, v11
	s_or_b32 s6, s0, s6
	s_and_not1_b32 exec_lo, exec_lo, s6
	s_cbranch_execnz .LBB36_11
; %bb.12:
	s_or_b32 exec_lo, exec_lo, s6
.LBB36_13:
	s_delay_alu instid0(SALU_CYCLE_1)
	s_or_b32 exec_lo, exec_lo, s3
	v_and_b32_e32 v2, 0xffff, v11
	v_mov_b32_e32 v1, 0
.LBB36_14:
	s_or_b32 exec_lo, exec_lo, s2
	s_delay_alu instid0(SALU_CYCLE_1)
	s_mov_b32 s2, exec_lo
	v_cmpx_gt_i32_e64 s8, v3
	s_cbranch_execz .LBB36_20
; %bb.15:
	s_mov_b32 s6, 0
	s_mov_b32 s3, exec_lo
	s_wait_loadcnt 0x0
	v_cmpx_ne_u16_e32 0, v10
	s_cbranch_execz .LBB36_19
; %bb.16:
	v_sub_nc_u16 v11, 0, v10
	s_delay_alu instid0(VALU_DEP_1) | instskip(SKIP_1) | instid1(VALU_DEP_2)
	v_max_i16 v11, v10, v11
	v_and_b32_e32 v10, 0xffff, v9
	v_and_b32_e32 v11, 0xffff, v11
.LBB36_17:                              ; =>This Inner Loop Header: Depth=1
	s_delay_alu instid0(VALU_DEP_1) | instskip(NEXT) | instid1(VALU_DEP_2)
	v_bfe_i32 v13, v10, 0, 16
	v_mov_b32_e32 v9, v11
	s_delay_alu instid0(VALU_DEP_2) | instskip(NEXT) | instid1(VALU_DEP_2)
	v_cvt_f32_i32_e32 v15, v13
	v_bfe_i32 v11, v9, 0, 16
	s_delay_alu instid0(VALU_DEP_1) | instskip(SKIP_1) | instid1(VALU_DEP_2)
	v_cvt_f32_i32_e32 v12, v11
	v_xor_b32_e32 v11, v13, v11
	v_rcp_iflag_f32_e32 v14, v12
	v_nop
	s_delay_alu instid0(TRANS32_DEP_1) | instskip(NEXT) | instid1(VALU_DEP_1)
	v_dual_ashrrev_i32 v11, 30, v11 :: v_dual_mul_f32 v13, v15, v14
	v_trunc_f32_e32 v13, v13
	s_delay_alu instid0(VALU_DEP_1) | instskip(SKIP_1) | instid1(VALU_DEP_2)
	v_dual_fma_f32 v14, -v13, v12, v15 :: v_dual_bitop2_b32 v11, 1, v11 bitop3:0x54
	v_cvt_i32_f32_e32 v13, v13
	v_cmp_ge_f32_e64 s0, |v14|, |v12|
	s_delay_alu instid0(VALU_DEP_1) | instskip(NEXT) | instid1(VALU_DEP_1)
	v_cndmask_b32_e64 v11, 0, v11, s0
	v_add_nc_u32_e32 v11, v13, v11
	s_delay_alu instid0(VALU_DEP_1) | instskip(NEXT) | instid1(VALU_DEP_1)
	v_mul_lo_u32 v11, v11, v9
	v_sub_nc_u32_e32 v11, v10, v11
	s_delay_alu instid0(VALU_DEP_1) | instskip(SKIP_1) | instid1(VALU_DEP_2)
	v_and_b32_e32 v10, 0xffff, v11
	v_bfe_i32 v11, v11, 0, 16
	v_cmp_eq_u32_e64 s0, 0, v10
	v_mov_b32_e32 v10, v9
	s_or_b32 s6, s0, s6
	s_delay_alu instid0(SALU_CYCLE_1)
	s_and_not1_b32 exec_lo, exec_lo, s6
	s_cbranch_execnz .LBB36_17
; %bb.18:
	s_or_b32 exec_lo, exec_lo, s6
.LBB36_19:
	s_delay_alu instid0(SALU_CYCLE_1)
	s_or_b32 exec_lo, exec_lo, s3
	v_perm_b32 v2, v9, v2, 0x5040100
.LBB36_20:
	s_or_b32 exec_lo, exec_lo, s2
	v_or_b32_e32 v9, 0x200, v0
	s_mov_b32 s2, exec_lo
	s_delay_alu instid0(VALU_DEP_1)
	v_cmpx_gt_i32_e64 s8, v9
	s_cbranch_execz .LBB36_26
; %bb.21:
	s_mov_b32 s6, 0
	s_mov_b32 s3, exec_lo
	s_wait_loadcnt 0x0
	v_cmpx_ne_u16_e32 0, v8
	s_cbranch_execz .LBB36_25
; %bb.22:
	v_sub_nc_u16 v9, 0, v8
	s_delay_alu instid0(VALU_DEP_1) | instskip(SKIP_1) | instid1(VALU_DEP_2)
	v_max_i16 v9, v8, v9
	v_and_b32_e32 v8, 0xffff, v7
	v_and_b32_e32 v9, 0xffff, v9
.LBB36_23:                              ; =>This Inner Loop Header: Depth=1
	s_delay_alu instid0(VALU_DEP_1) | instskip(NEXT) | instid1(VALU_DEP_2)
	v_bfe_i32 v11, v8, 0, 16
	v_mov_b32_e32 v7, v9
	s_delay_alu instid0(VALU_DEP_2) | instskip(NEXT) | instid1(VALU_DEP_2)
	v_cvt_f32_i32_e32 v13, v11
	v_bfe_i32 v9, v7, 0, 16
	s_delay_alu instid0(VALU_DEP_1) | instskip(SKIP_1) | instid1(VALU_DEP_2)
	v_cvt_f32_i32_e32 v10, v9
	v_xor_b32_e32 v9, v11, v9
	v_rcp_iflag_f32_e32 v12, v10
	v_nop
	s_delay_alu instid0(TRANS32_DEP_1) | instskip(NEXT) | instid1(VALU_DEP_1)
	v_dual_ashrrev_i32 v9, 30, v9 :: v_dual_mul_f32 v11, v13, v12
	v_trunc_f32_e32 v11, v11
	s_delay_alu instid0(VALU_DEP_1) | instskip(SKIP_1) | instid1(VALU_DEP_2)
	v_dual_fma_f32 v12, -v11, v10, v13 :: v_dual_bitop2_b32 v9, 1, v9 bitop3:0x54
	v_cvt_i32_f32_e32 v11, v11
	v_cmp_ge_f32_e64 s0, |v12|, |v10|
	s_delay_alu instid0(VALU_DEP_1) | instskip(NEXT) | instid1(VALU_DEP_1)
	v_cndmask_b32_e64 v9, 0, v9, s0
	v_add_nc_u32_e32 v9, v11, v9
	s_delay_alu instid0(VALU_DEP_1) | instskip(NEXT) | instid1(VALU_DEP_1)
	v_mul_lo_u32 v9, v9, v7
	v_sub_nc_u32_e32 v9, v8, v9
	s_delay_alu instid0(VALU_DEP_1) | instskip(SKIP_1) | instid1(VALU_DEP_2)
	v_and_b32_e32 v8, 0xffff, v9
	v_bfe_i32 v9, v9, 0, 16
	v_cmp_eq_u32_e64 s0, 0, v8
	v_mov_b32_e32 v8, v7
	s_or_b32 s6, s0, s6
	s_delay_alu instid0(SALU_CYCLE_1)
	s_and_not1_b32 exec_lo, exec_lo, s6
	s_cbranch_execnz .LBB36_23
; %bb.24:
	s_or_b32 exec_lo, exec_lo, s6
.LBB36_25:
	s_delay_alu instid0(SALU_CYCLE_1)
	s_or_b32 exec_lo, exec_lo, s3
	v_bfi_b32 v1, 0xffff, v7, v1
.LBB36_26:
	s_or_b32 exec_lo, exec_lo, s2
	v_or_b32_e32 v7, 0x300, v0
	s_mov_b32 s2, exec_lo
	s_delay_alu instid0(VALU_DEP_1)
	v_cmpx_gt_i32_e64 s8, v7
	s_cbranch_execnz .LBB36_32
; %bb.27:
	s_or_b32 exec_lo, exec_lo, s2
	s_and_saveexec_b32 s0, vcc_lo
	s_delay_alu instid0(SALU_CYCLE_1)
	s_xor_b32 s0, exec_lo, s0
	s_cbranch_execnz .LBB36_37
.LBB36_28:
	s_or_b32 exec_lo, exec_lo, s0
	s_delay_alu instid0(SALU_CYCLE_1)
	s_mov_b32 s0, exec_lo
	v_cmpx_gt_i32_e64 s8, v0
	s_cbranch_execnz .LBB36_38
.LBB36_29:
	s_or_b32 exec_lo, exec_lo, s0
	s_delay_alu instid0(SALU_CYCLE_1)
	s_mov_b32 s0, exec_lo
	v_cmpx_gt_i32_e64 s8, v0
	s_cbranch_execnz .LBB36_39
.LBB36_30:
	s_or_b32 exec_lo, exec_lo, s0
	s_delay_alu instid0(SALU_CYCLE_1)
	s_mov_b32 s0, exec_lo
	v_cmpx_gt_i32_e64 s8, v0
	s_cbranch_execnz .LBB36_40
.LBB36_31:
	s_endpgm
.LBB36_32:
	s_mov_b32 s6, 0
	s_mov_b32 s3, exec_lo
	s_wait_loadcnt 0x0
	v_cmpx_ne_u16_e32 0, v6
	s_cbranch_execz .LBB36_36
; %bb.33:
	v_sub_nc_u16 v7, 0, v6
	s_delay_alu instid0(VALU_DEP_1) | instskip(SKIP_1) | instid1(VALU_DEP_2)
	v_max_i16 v7, v6, v7
	v_and_b32_e32 v6, 0xffff, v5
	v_and_b32_e32 v7, 0xffff, v7
.LBB36_34:                              ; =>This Inner Loop Header: Depth=1
	s_delay_alu instid0(VALU_DEP_1) | instskip(NEXT) | instid1(VALU_DEP_2)
	v_bfe_i32 v9, v6, 0, 16
	v_mov_b32_e32 v5, v7
	s_delay_alu instid0(VALU_DEP_2) | instskip(NEXT) | instid1(VALU_DEP_2)
	v_cvt_f32_i32_e32 v11, v9
	v_bfe_i32 v7, v5, 0, 16
	s_delay_alu instid0(VALU_DEP_1) | instskip(SKIP_1) | instid1(VALU_DEP_2)
	v_cvt_f32_i32_e32 v8, v7
	v_xor_b32_e32 v7, v9, v7
	v_rcp_iflag_f32_e32 v10, v8
	v_nop
	s_delay_alu instid0(TRANS32_DEP_1) | instskip(NEXT) | instid1(VALU_DEP_1)
	v_dual_ashrrev_i32 v7, 30, v7 :: v_dual_mul_f32 v9, v11, v10
	v_trunc_f32_e32 v9, v9
	s_delay_alu instid0(VALU_DEP_1) | instskip(SKIP_1) | instid1(VALU_DEP_2)
	v_dual_fma_f32 v10, -v9, v8, v11 :: v_dual_bitop2_b32 v7, 1, v7 bitop3:0x54
	v_cvt_i32_f32_e32 v9, v9
	v_cmp_ge_f32_e64 s0, |v10|, |v8|
	s_delay_alu instid0(VALU_DEP_1) | instskip(NEXT) | instid1(VALU_DEP_1)
	v_cndmask_b32_e64 v7, 0, v7, s0
	v_add_nc_u32_e32 v7, v9, v7
	s_delay_alu instid0(VALU_DEP_1) | instskip(NEXT) | instid1(VALU_DEP_1)
	v_mul_lo_u32 v7, v7, v5
	v_sub_nc_u32_e32 v7, v6, v7
	s_delay_alu instid0(VALU_DEP_1) | instskip(SKIP_1) | instid1(VALU_DEP_2)
	v_and_b32_e32 v6, 0xffff, v7
	v_bfe_i32 v7, v7, 0, 16
	v_cmp_eq_u32_e64 s0, 0, v6
	v_mov_b32_e32 v6, v5
	s_or_b32 s6, s0, s6
	s_delay_alu instid0(SALU_CYCLE_1)
	s_and_not1_b32 exec_lo, exec_lo, s6
	s_cbranch_execnz .LBB36_34
; %bb.35:
	s_or_b32 exec_lo, exec_lo, s6
.LBB36_36:
	s_delay_alu instid0(SALU_CYCLE_1) | instskip(SKIP_3) | instid1(SALU_CYCLE_1)
	s_or_b32 exec_lo, exec_lo, s3
	v_perm_b32 v1, v5, v1, 0x5040100
	s_or_b32 exec_lo, exec_lo, s2
	s_and_saveexec_b32 s0, vcc_lo
	s_xor_b32 s0, exec_lo, s0
	s_cbranch_execz .LBB36_28
.LBB36_37:
	v_mov_b32_e32 v0, v3
	global_store_b16 v4, v2, s[4:5] scale_offset
	s_wait_xcnt 0x0
	s_or_b32 exec_lo, exec_lo, s0
	s_delay_alu instid0(SALU_CYCLE_1)
	s_mov_b32 s0, exec_lo
	v_cmpx_gt_i32_e64 s8, v0
	s_cbranch_execz .LBB36_29
.LBB36_38:
	v_add_nc_u32_e32 v3, 0x100, v0
	s_delay_alu instid0(VALU_DEP_1) | instskip(SKIP_3) | instid1(SALU_CYCLE_1)
	v_dual_add_nc_u32 v4, s1, v0 :: v_dual_mov_b32 v0, v3
	global_store_d16_hi_b16 v4, v2, s[4:5] scale_offset
	s_wait_xcnt 0x0
	s_or_b32 exec_lo, exec_lo, s0
	s_mov_b32 s0, exec_lo
	v_cmpx_gt_i32_e64 s8, v0
	s_cbranch_execz .LBB36_30
.LBB36_39:
	v_add_nc_u32_e32 v2, 0x100, v0
	s_delay_alu instid0(VALU_DEP_1) | instskip(SKIP_3) | instid1(SALU_CYCLE_1)
	v_dual_mov_b32 v0, v2 :: v_dual_add_nc_u32 v3, s1, v0
	global_store_b16 v3, v1, s[4:5] scale_offset
	s_wait_xcnt 0x0
	s_or_b32 exec_lo, exec_lo, s0
	s_mov_b32 s0, exec_lo
	v_cmpx_gt_i32_e64 s8, v0
	s_cbranch_execz .LBB36_31
.LBB36_40:
	v_add_nc_u32_e32 v0, s1, v0
	global_store_d16_hi_b16 v0, v1, s[4:5] scale_offset
	s_endpgm
	.section	.rodata,"a",@progbits
	.p2align	6, 0x0
	.amdhsa_kernel _ZN2at6native27unrolled_elementwise_kernelIZZZNS0_15gcd_kernel_cudaERNS_18TensorIteratorBaseEENKUlvE_clEvENKUlvE3_clEvEUlssE_St5arrayIPcLm3EELi4E23TrivialOffsetCalculatorILi2EjESA_ILi1EjENS0_6memory15LoadWithoutCastENSD_16StoreWithoutCastEEEviT_T0_T2_T3_T4_T5_
		.amdhsa_group_segment_fixed_size 0
		.amdhsa_private_segment_fixed_size 0
		.amdhsa_kernarg_size 36
		.amdhsa_user_sgpr_count 2
		.amdhsa_user_sgpr_dispatch_ptr 0
		.amdhsa_user_sgpr_queue_ptr 0
		.amdhsa_user_sgpr_kernarg_segment_ptr 1
		.amdhsa_user_sgpr_dispatch_id 0
		.amdhsa_user_sgpr_kernarg_preload_length 0
		.amdhsa_user_sgpr_kernarg_preload_offset 0
		.amdhsa_user_sgpr_private_segment_size 0
		.amdhsa_wavefront_size32 1
		.amdhsa_uses_dynamic_stack 0
		.amdhsa_enable_private_segment 0
		.amdhsa_system_sgpr_workgroup_id_x 1
		.amdhsa_system_sgpr_workgroup_id_y 0
		.amdhsa_system_sgpr_workgroup_id_z 0
		.amdhsa_system_sgpr_workgroup_info 0
		.amdhsa_system_vgpr_workitem_id 0
		.amdhsa_next_free_vgpr 16
		.amdhsa_next_free_sgpr 11
		.amdhsa_named_barrier_count 0
		.amdhsa_reserve_vcc 1
		.amdhsa_float_round_mode_32 0
		.amdhsa_float_round_mode_16_64 0
		.amdhsa_float_denorm_mode_32 3
		.amdhsa_float_denorm_mode_16_64 3
		.amdhsa_fp16_overflow 0
		.amdhsa_memory_ordered 1
		.amdhsa_forward_progress 1
		.amdhsa_inst_pref_size 15
		.amdhsa_round_robin_scheduling 0
		.amdhsa_exception_fp_ieee_invalid_op 0
		.amdhsa_exception_fp_denorm_src 0
		.amdhsa_exception_fp_ieee_div_zero 0
		.amdhsa_exception_fp_ieee_overflow 0
		.amdhsa_exception_fp_ieee_underflow 0
		.amdhsa_exception_fp_ieee_inexact 0
		.amdhsa_exception_int_div_zero 0
	.end_amdhsa_kernel
	.section	.text._ZN2at6native27unrolled_elementwise_kernelIZZZNS0_15gcd_kernel_cudaERNS_18TensorIteratorBaseEENKUlvE_clEvENKUlvE3_clEvEUlssE_St5arrayIPcLm3EELi4E23TrivialOffsetCalculatorILi2EjESA_ILi1EjENS0_6memory15LoadWithoutCastENSD_16StoreWithoutCastEEEviT_T0_T2_T3_T4_T5_,"axG",@progbits,_ZN2at6native27unrolled_elementwise_kernelIZZZNS0_15gcd_kernel_cudaERNS_18TensorIteratorBaseEENKUlvE_clEvENKUlvE3_clEvEUlssE_St5arrayIPcLm3EELi4E23TrivialOffsetCalculatorILi2EjESA_ILi1EjENS0_6memory15LoadWithoutCastENSD_16StoreWithoutCastEEEviT_T0_T2_T3_T4_T5_,comdat
.Lfunc_end36:
	.size	_ZN2at6native27unrolled_elementwise_kernelIZZZNS0_15gcd_kernel_cudaERNS_18TensorIteratorBaseEENKUlvE_clEvENKUlvE3_clEvEUlssE_St5arrayIPcLm3EELi4E23TrivialOffsetCalculatorILi2EjESA_ILi1EjENS0_6memory15LoadWithoutCastENSD_16StoreWithoutCastEEEviT_T0_T2_T3_T4_T5_, .Lfunc_end36-_ZN2at6native27unrolled_elementwise_kernelIZZZNS0_15gcd_kernel_cudaERNS_18TensorIteratorBaseEENKUlvE_clEvENKUlvE3_clEvEUlssE_St5arrayIPcLm3EELi4E23TrivialOffsetCalculatorILi2EjESA_ILi1EjENS0_6memory15LoadWithoutCastENSD_16StoreWithoutCastEEEviT_T0_T2_T3_T4_T5_
                                        ; -- End function
	.set _ZN2at6native27unrolled_elementwise_kernelIZZZNS0_15gcd_kernel_cudaERNS_18TensorIteratorBaseEENKUlvE_clEvENKUlvE3_clEvEUlssE_St5arrayIPcLm3EELi4E23TrivialOffsetCalculatorILi2EjESA_ILi1EjENS0_6memory15LoadWithoutCastENSD_16StoreWithoutCastEEEviT_T0_T2_T3_T4_T5_.num_vgpr, 16
	.set _ZN2at6native27unrolled_elementwise_kernelIZZZNS0_15gcd_kernel_cudaERNS_18TensorIteratorBaseEENKUlvE_clEvENKUlvE3_clEvEUlssE_St5arrayIPcLm3EELi4E23TrivialOffsetCalculatorILi2EjESA_ILi1EjENS0_6memory15LoadWithoutCastENSD_16StoreWithoutCastEEEviT_T0_T2_T3_T4_T5_.num_agpr, 0
	.set _ZN2at6native27unrolled_elementwise_kernelIZZZNS0_15gcd_kernel_cudaERNS_18TensorIteratorBaseEENKUlvE_clEvENKUlvE3_clEvEUlssE_St5arrayIPcLm3EELi4E23TrivialOffsetCalculatorILi2EjESA_ILi1EjENS0_6memory15LoadWithoutCastENSD_16StoreWithoutCastEEEviT_T0_T2_T3_T4_T5_.numbered_sgpr, 11
	.set _ZN2at6native27unrolled_elementwise_kernelIZZZNS0_15gcd_kernel_cudaERNS_18TensorIteratorBaseEENKUlvE_clEvENKUlvE3_clEvEUlssE_St5arrayIPcLm3EELi4E23TrivialOffsetCalculatorILi2EjESA_ILi1EjENS0_6memory15LoadWithoutCastENSD_16StoreWithoutCastEEEviT_T0_T2_T3_T4_T5_.num_named_barrier, 0
	.set _ZN2at6native27unrolled_elementwise_kernelIZZZNS0_15gcd_kernel_cudaERNS_18TensorIteratorBaseEENKUlvE_clEvENKUlvE3_clEvEUlssE_St5arrayIPcLm3EELi4E23TrivialOffsetCalculatorILi2EjESA_ILi1EjENS0_6memory15LoadWithoutCastENSD_16StoreWithoutCastEEEviT_T0_T2_T3_T4_T5_.private_seg_size, 0
	.set _ZN2at6native27unrolled_elementwise_kernelIZZZNS0_15gcd_kernel_cudaERNS_18TensorIteratorBaseEENKUlvE_clEvENKUlvE3_clEvEUlssE_St5arrayIPcLm3EELi4E23TrivialOffsetCalculatorILi2EjESA_ILi1EjENS0_6memory15LoadWithoutCastENSD_16StoreWithoutCastEEEviT_T0_T2_T3_T4_T5_.uses_vcc, 1
	.set _ZN2at6native27unrolled_elementwise_kernelIZZZNS0_15gcd_kernel_cudaERNS_18TensorIteratorBaseEENKUlvE_clEvENKUlvE3_clEvEUlssE_St5arrayIPcLm3EELi4E23TrivialOffsetCalculatorILi2EjESA_ILi1EjENS0_6memory15LoadWithoutCastENSD_16StoreWithoutCastEEEviT_T0_T2_T3_T4_T5_.uses_flat_scratch, 0
	.set _ZN2at6native27unrolled_elementwise_kernelIZZZNS0_15gcd_kernel_cudaERNS_18TensorIteratorBaseEENKUlvE_clEvENKUlvE3_clEvEUlssE_St5arrayIPcLm3EELi4E23TrivialOffsetCalculatorILi2EjESA_ILi1EjENS0_6memory15LoadWithoutCastENSD_16StoreWithoutCastEEEviT_T0_T2_T3_T4_T5_.has_dyn_sized_stack, 0
	.set _ZN2at6native27unrolled_elementwise_kernelIZZZNS0_15gcd_kernel_cudaERNS_18TensorIteratorBaseEENKUlvE_clEvENKUlvE3_clEvEUlssE_St5arrayIPcLm3EELi4E23TrivialOffsetCalculatorILi2EjESA_ILi1EjENS0_6memory15LoadWithoutCastENSD_16StoreWithoutCastEEEviT_T0_T2_T3_T4_T5_.has_recursion, 0
	.set _ZN2at6native27unrolled_elementwise_kernelIZZZNS0_15gcd_kernel_cudaERNS_18TensorIteratorBaseEENKUlvE_clEvENKUlvE3_clEvEUlssE_St5arrayIPcLm3EELi4E23TrivialOffsetCalculatorILi2EjESA_ILi1EjENS0_6memory15LoadWithoutCastENSD_16StoreWithoutCastEEEviT_T0_T2_T3_T4_T5_.has_indirect_call, 0
	.section	.AMDGPU.csdata,"",@progbits
; Kernel info:
; codeLenInByte = 1916
; TotalNumSgprs: 13
; NumVgprs: 16
; ScratchSize: 0
; MemoryBound: 0
; FloatMode: 240
; IeeeMode: 1
; LDSByteSize: 0 bytes/workgroup (compile time only)
; SGPRBlocks: 0
; VGPRBlocks: 0
; NumSGPRsForWavesPerEU: 13
; NumVGPRsForWavesPerEU: 16
; NamedBarCnt: 0
; Occupancy: 16
; WaveLimiterHint : 0
; COMPUTE_PGM_RSRC2:SCRATCH_EN: 0
; COMPUTE_PGM_RSRC2:USER_SGPR: 2
; COMPUTE_PGM_RSRC2:TRAP_HANDLER: 0
; COMPUTE_PGM_RSRC2:TGID_X_EN: 1
; COMPUTE_PGM_RSRC2:TGID_Y_EN: 0
; COMPUTE_PGM_RSRC2:TGID_Z_EN: 0
; COMPUTE_PGM_RSRC2:TIDIG_COMP_CNT: 0
	.section	.text._ZN2at6native32elementwise_kernel_manual_unrollILi128ELi8EZNS0_22gpu_kernel_impl_nocastIZZZNS0_15gcd_kernel_cudaERNS_18TensorIteratorBaseEENKUlvE_clEvENKUlvE3_clEvEUlssE_EEvS4_RKT_EUlibE_EEviT1_,"axG",@progbits,_ZN2at6native32elementwise_kernel_manual_unrollILi128ELi8EZNS0_22gpu_kernel_impl_nocastIZZZNS0_15gcd_kernel_cudaERNS_18TensorIteratorBaseEENKUlvE_clEvENKUlvE3_clEvEUlssE_EEvS4_RKT_EUlibE_EEviT1_,comdat
	.globl	_ZN2at6native32elementwise_kernel_manual_unrollILi128ELi8EZNS0_22gpu_kernel_impl_nocastIZZZNS0_15gcd_kernel_cudaERNS_18TensorIteratorBaseEENKUlvE_clEvENKUlvE3_clEvEUlssE_EEvS4_RKT_EUlibE_EEviT1_ ; -- Begin function _ZN2at6native32elementwise_kernel_manual_unrollILi128ELi8EZNS0_22gpu_kernel_impl_nocastIZZZNS0_15gcd_kernel_cudaERNS_18TensorIteratorBaseEENKUlvE_clEvENKUlvE3_clEvEUlssE_EEvS4_RKT_EUlibE_EEviT1_
	.p2align	8
	.type	_ZN2at6native32elementwise_kernel_manual_unrollILi128ELi8EZNS0_22gpu_kernel_impl_nocastIZZZNS0_15gcd_kernel_cudaERNS_18TensorIteratorBaseEENKUlvE_clEvENKUlvE3_clEvEUlssE_EEvS4_RKT_EUlibE_EEviT1_,@function
_ZN2at6native32elementwise_kernel_manual_unrollILi128ELi8EZNS0_22gpu_kernel_impl_nocastIZZZNS0_15gcd_kernel_cudaERNS_18TensorIteratorBaseEENKUlvE_clEvENKUlvE3_clEvEUlssE_EEvS4_RKT_EUlibE_EEviT1_: ; @_ZN2at6native32elementwise_kernel_manual_unrollILi128ELi8EZNS0_22gpu_kernel_impl_nocastIZZZNS0_15gcd_kernel_cudaERNS_18TensorIteratorBaseEENKUlvE_clEvENKUlvE3_clEvEUlssE_EEvS4_RKT_EUlibE_EEviT1_
; %bb.0:
	s_clause 0x1
	s_load_b32 s26, s[0:1], 0x8
	s_load_b32 s33, s[0:1], 0x0
	s_bfe_u32 s2, ttmp6, 0x4000c
	s_and_b32 s3, ttmp6, 15
	s_add_co_i32 s2, s2, 1
	s_getreg_b32 s4, hwreg(HW_REG_IB_STS2, 6, 4)
	s_mul_i32 s2, ttmp9, s2
	s_add_nc_u64 s[12:13], s[0:1], 8
	s_add_co_i32 s3, s3, s2
	s_cmp_eq_u32 s4, 0
	s_mov_b32 s21, 0
	s_cselect_b32 s2, ttmp9, s3
	s_wait_xcnt 0x0
	s_mov_b32 s0, exec_lo
	v_lshl_or_b32 v0, s2, 10, v0
	s_delay_alu instid0(VALU_DEP_1) | instskip(SKIP_2) | instid1(SALU_CYCLE_1)
	v_or_b32_e32 v4, 0x380, v0
	s_wait_kmcnt 0x0
	s_add_co_i32 s27, s26, -1
	s_cmp_gt_u32 s27, 1
	s_cselect_b32 s28, -1, 0
	v_cmpx_le_i32_e64 s33, v4
	s_xor_b32 s29, exec_lo, s0
	s_cbranch_execz .LBB37_138
; %bb.1:
	s_clause 0x5
	s_load_b128 s[4:7], s[12:13], 0x4
	s_load_b64 s[16:17], s[12:13], 0x14
	s_load_b128 s[8:11], s[12:13], 0xc4
	s_load_b64 s[18:19], s[12:13], 0xd4
	s_load_b64 s[14:15], s[12:13], 0x198
	s_load_b128 s[0:3], s[12:13], 0x188
	s_cmp_lg_u32 s26, 0
	s_mov_b32 s23, s21
	s_cselect_b32 s34, -1, 0
	s_min_u32 s31, s27, 15
	s_cmp_gt_u32 s26, 1
	s_cselect_b32 s30, -1, 0
	s_wait_kmcnt 0x0
	s_mov_b32 s20, s5
	s_mov_b32 s22, s16
	s_mov_b32 s5, exec_lo
	v_cmpx_gt_i32_e64 s33, v0
	s_cbranch_execnz .LBB37_9
; %bb.2:
	s_or_b32 exec_lo, exec_lo, s5
	s_delay_alu instid0(SALU_CYCLE_1)
	s_mov_b32 s5, exec_lo
	v_cmpx_gt_i32_e64 s33, v0
	s_cbranch_execnz .LBB37_25
.LBB37_3:
	s_or_b32 exec_lo, exec_lo, s5
	s_delay_alu instid0(SALU_CYCLE_1)
	s_mov_b32 s5, exec_lo
	v_cmpx_gt_i32_e64 s33, v0
	s_cbranch_execnz .LBB37_41
.LBB37_4:
	s_or_b32 exec_lo, exec_lo, s5
	s_delay_alu instid0(SALU_CYCLE_1)
	s_mov_b32 s5, exec_lo
	v_cmpx_gt_i32_e64 s33, v0
	s_cbranch_execnz .LBB37_57
.LBB37_5:
	s_or_b32 exec_lo, exec_lo, s5
	s_delay_alu instid0(SALU_CYCLE_1)
	s_mov_b32 s5, exec_lo
	v_cmpx_gt_i32_e64 s33, v0
	s_cbranch_execnz .LBB37_73
.LBB37_6:
	s_or_b32 exec_lo, exec_lo, s5
	s_delay_alu instid0(SALU_CYCLE_1)
	s_mov_b32 s5, exec_lo
	v_cmpx_gt_i32_e64 s33, v0
	s_cbranch_execnz .LBB37_89
.LBB37_7:
	s_or_b32 exec_lo, exec_lo, s5
	s_delay_alu instid0(SALU_CYCLE_1)
	s_mov_b32 s5, exec_lo
	v_cmpx_gt_i32_e64 s33, v0
	s_cbranch_execnz .LBB37_105
.LBB37_8:
	s_or_b32 exec_lo, exec_lo, s5
	s_delay_alu instid0(SALU_CYCLE_1)
	s_mov_b32 s5, exec_lo
	v_cmpx_gt_i32_e64 s33, v0
	s_cbranch_execnz .LBB37_121
	s_branch .LBB37_137
.LBB37_9:
	s_and_not1_b32 vcc_lo, exec_lo, s28
	s_cbranch_vccnz .LBB37_15
; %bb.10:
	s_and_not1_b32 vcc_lo, exec_lo, s34
	s_cbranch_vccnz .LBB37_16
; %bb.11:
	v_dual_mov_b32 v4, 0 :: v_dual_mov_b32 v1, v0
	v_dual_mov_b32 v6, 0 :: v_dual_mov_b32 v5, 0
	s_add_co_i32 s16, s31, 1
	s_mov_b64 s[24:25], 0xffffffffffffffe8
	s_and_b32 s16, s16, 30
	s_add_nc_u64 s[24:25], s[12:13], s[24:25]
.LBB37_12:                              ; =>This Inner Loop Header: Depth=1
	s_clause 0x1
	s_load_b128 s[36:39], s[24:25], 0x1c
	s_load_b64 s[44:45], s[24:25], 0x2c
	s_add_co_i32 s16, s16, -2
	s_delay_alu instid0(SALU_CYCLE_1) | instskip(SKIP_2) | instid1(VALU_DEP_1)
	s_cmp_lg_u32 s16, 0
	s_wait_kmcnt 0x0
	v_mul_hi_u32 v2, s37, v1
	v_add_nc_u32_e32 v2, v1, v2
	s_delay_alu instid0(VALU_DEP_1) | instskip(NEXT) | instid1(VALU_DEP_1)
	v_lshrrev_b32_e32 v2, s38, v2
	v_mul_hi_u32 v3, s44, v2
	v_mul_lo_u32 v7, v2, s36
	s_clause 0x1
	s_load_b128 s[40:43], s[24:25], 0xdc
	s_load_b64 s[36:37], s[24:25], 0xec
	s_wait_xcnt 0x0
	s_add_nc_u64 s[24:25], s[24:25], 24
	s_delay_alu instid0(VALU_DEP_2) | instskip(NEXT) | instid1(VALU_DEP_2)
	v_add_nc_u32_e32 v3, v2, v3
	v_sub_nc_u32_e32 v7, v1, v7
	s_delay_alu instid0(VALU_DEP_2) | instskip(SKIP_1) | instid1(VALU_DEP_2)
	v_lshrrev_b32_e32 v1, s45, v3
	s_wait_kmcnt 0x0
	v_mad_u32 v4, v7, s40, v4
	s_delay_alu instid0(VALU_DEP_2) | instskip(SKIP_2) | instid1(VALU_DEP_3)
	v_mul_lo_u32 v3, v1, s39
	v_mad_u32 v5, v7, s42, v5
	v_mad_u32 v6, v7, s41, v6
	v_sub_nc_u32_e32 v2, v2, v3
	s_delay_alu instid0(VALU_DEP_1) | instskip(NEXT) | instid1(VALU_DEP_4)
	v_mad_u32 v4, v2, s43, v4
	v_mad_u32 v5, v2, s37, v5
	s_delay_alu instid0(VALU_DEP_4)
	v_mad_u32 v6, v2, s36, v6
	s_cbranch_scc1 .LBB37_12
; %bb.13:
	s_bitcmp1_b32 s31, 0
	s_cselect_b32 s16, -1, 0
	s_delay_alu instid0(SALU_CYCLE_1)
	s_and_b32 vcc_lo, exec_lo, s16
	s_cbranch_vccnz .LBB37_17
; %bb.14:
	s_clause 0x1
	s_load_b96 s[36:38], s[24:25], 0x1c
	s_load_b96 s[40:42], s[24:25], 0xdc
	s_wait_kmcnt 0x0
	v_mul_hi_u32 v2, s37, v1
	s_delay_alu instid0(VALU_DEP_1) | instskip(NEXT) | instid1(VALU_DEP_1)
	v_add_nc_u32_e32 v2, v1, v2
	v_lshrrev_b32_e32 v2, s38, v2
	s_delay_alu instid0(VALU_DEP_1) | instskip(NEXT) | instid1(VALU_DEP_1)
	v_mul_lo_u32 v2, v2, s36
	v_sub_nc_u32_e32 v1, v1, v2
	s_delay_alu instid0(VALU_DEP_1)
	v_mad_u32 v4, v1, s40, v4
	v_mad_u32 v6, v1, s41, v6
	;; [unrolled: 1-line block ×3, first 2 shown]
	s_cbranch_execz .LBB37_18
	s_branch .LBB37_20
.LBB37_15:
                                        ; implicit-def: $vgpr5
                                        ; implicit-def: $vgpr6
                                        ; implicit-def: $vgpr4
	s_branch .LBB37_18
.LBB37_16:
	v_dual_mov_b32 v5, 0 :: v_dual_mov_b32 v6, 0
	v_mov_b32_e32 v4, 0
.LBB37_17:
	s_cbranch_execnz .LBB37_20
.LBB37_18:
	v_mov_b32_e32 v1, 0
	s_and_not1_b32 vcc_lo, exec_lo, s30
	s_delay_alu instid0(VALU_DEP_1) | instskip(NEXT) | instid1(VALU_DEP_1)
	v_mul_u64_e32 v[2:3], s[20:21], v[0:1]
	v_add_nc_u32_e32 v2, v0, v3
	s_delay_alu instid0(VALU_DEP_1) | instskip(NEXT) | instid1(VALU_DEP_1)
	v_lshrrev_b32_e32 v2, s6, v2
	v_mul_lo_u32 v3, v2, s4
	s_delay_alu instid0(VALU_DEP_1) | instskip(NEXT) | instid1(VALU_DEP_1)
	v_sub_nc_u32_e32 v3, v0, v3
	v_mul_lo_u32 v4, v3, s8
	v_mul_lo_u32 v5, v3, s10
	;; [unrolled: 1-line block ×3, first 2 shown]
	s_cbranch_vccnz .LBB37_20
; %bb.19:
	v_mov_b32_e32 v3, v1
	s_delay_alu instid0(VALU_DEP_1) | instskip(NEXT) | instid1(VALU_DEP_1)
	v_mul_u64_e32 v[8:9], s[22:23], v[2:3]
	v_add_nc_u32_e32 v1, v2, v9
	s_delay_alu instid0(VALU_DEP_1) | instskip(NEXT) | instid1(VALU_DEP_1)
	v_lshrrev_b32_e32 v1, s17, v1
	v_mul_lo_u32 v1, v1, s7
	s_delay_alu instid0(VALU_DEP_1) | instskip(NEXT) | instid1(VALU_DEP_1)
	v_sub_nc_u32_e32 v1, v2, v1
	v_mad_u32 v4, v1, s11, v4
	v_mad_u32 v6, v1, s18, v6
	;; [unrolled: 1-line block ×3, first 2 shown]
.LBB37_20:
	global_load_u16 v1, v5, s[14:15]
	global_load_u16 v2, v6, s[2:3]
	s_mov_b32 s24, 0
	s_mov_b32 s16, exec_lo
	s_wait_loadcnt 0x1
	v_sub_nc_u16 v3, 0, v1
	s_delay_alu instid0(VALU_DEP_1)
	v_max_i16 v1, v1, v3
	s_wait_loadcnt 0x0
	v_cmpx_ne_u16_e32 0, v2
	s_cbranch_execz .LBB37_24
; %bb.21:
	v_sub_nc_u16 v3, 0, v2
	s_delay_alu instid0(VALU_DEP_1) | instskip(SKIP_1) | instid1(VALU_DEP_2)
	v_max_i16 v3, v2, v3
	v_and_b32_e32 v2, 0xffff, v1
	v_and_b32_e32 v3, 0xffff, v3
.LBB37_22:                              ; =>This Inner Loop Header: Depth=1
	s_delay_alu instid0(VALU_DEP_1) | instskip(NEXT) | instid1(VALU_DEP_2)
	v_bfe_i32 v6, v2, 0, 16
	v_mov_b32_e32 v1, v3
	s_delay_alu instid0(VALU_DEP_2) | instskip(NEXT) | instid1(VALU_DEP_2)
	v_cvt_f32_i32_e32 v8, v6
	v_bfe_i32 v3, v1, 0, 16
	s_delay_alu instid0(VALU_DEP_1) | instskip(SKIP_1) | instid1(VALU_DEP_2)
	v_cvt_f32_i32_e32 v5, v3
	v_xor_b32_e32 v3, v6, v3
	v_rcp_iflag_f32_e32 v7, v5
	v_nop
	s_delay_alu instid0(TRANS32_DEP_1) | instskip(NEXT) | instid1(VALU_DEP_1)
	v_mul_f32_e32 v6, v8, v7
	v_trunc_f32_e32 v6, v6
	s_delay_alu instid0(VALU_DEP_1) | instskip(NEXT) | instid1(VALU_DEP_1)
	v_dual_ashrrev_i32 v3, 30, v3 :: v_dual_fma_f32 v7, -v6, v5, v8
	v_or_b32_e32 v3, 1, v3
	v_cvt_i32_f32_e32 v6, v6
	s_delay_alu instid0(VALU_DEP_3) | instskip(NEXT) | instid1(VALU_DEP_3)
	v_cmp_ge_f32_e64 vcc_lo, |v7|, |v5|
	v_cndmask_b32_e32 v3, 0, v3, vcc_lo
	s_delay_alu instid0(VALU_DEP_1) | instskip(NEXT) | instid1(VALU_DEP_1)
	v_add_nc_u32_e32 v3, v6, v3
	v_mul_lo_u32 v3, v3, v1
	s_delay_alu instid0(VALU_DEP_1) | instskip(NEXT) | instid1(VALU_DEP_1)
	v_sub_nc_u32_e32 v3, v2, v3
	v_and_b32_e32 v2, 0xffff, v3
	v_bfe_i32 v3, v3, 0, 16
	s_delay_alu instid0(VALU_DEP_2) | instskip(SKIP_2) | instid1(SALU_CYCLE_1)
	v_cmp_eq_u32_e32 vcc_lo, 0, v2
	v_mov_b32_e32 v2, v1
	s_or_b32 s24, vcc_lo, s24
	s_and_not1_b32 exec_lo, exec_lo, s24
	s_cbranch_execnz .LBB37_22
; %bb.23:
	s_or_b32 exec_lo, exec_lo, s24
.LBB37_24:
	s_delay_alu instid0(SALU_CYCLE_1) | instskip(SKIP_4) | instid1(SALU_CYCLE_1)
	s_or_b32 exec_lo, exec_lo, s16
	v_add_nc_u32_e32 v0, 0x80, v0
	global_store_b16 v4, v1, s[0:1]
	s_wait_xcnt 0x0
	s_or_b32 exec_lo, exec_lo, s5
	s_mov_b32 s5, exec_lo
	v_cmpx_gt_i32_e64 s33, v0
	s_cbranch_execz .LBB37_3
.LBB37_25:
	s_and_not1_b32 vcc_lo, exec_lo, s28
	s_cbranch_vccnz .LBB37_31
; %bb.26:
	s_and_not1_b32 vcc_lo, exec_lo, s34
	s_cbranch_vccnz .LBB37_32
; %bb.27:
	v_dual_mov_b32 v4, 0 :: v_dual_mov_b32 v1, v0
	v_dual_mov_b32 v6, 0 :: v_dual_mov_b32 v5, 0
	s_add_co_i32 s16, s31, 1
	s_mov_b64 s[24:25], 0xffffffffffffffe8
	s_and_b32 s16, s16, 30
	s_add_nc_u64 s[24:25], s[12:13], s[24:25]
.LBB37_28:                              ; =>This Inner Loop Header: Depth=1
	s_clause 0x1
	s_load_b128 s[36:39], s[24:25], 0x1c
	s_load_b64 s[44:45], s[24:25], 0x2c
	s_add_co_i32 s16, s16, -2
	s_delay_alu instid0(SALU_CYCLE_1) | instskip(SKIP_2) | instid1(VALU_DEP_1)
	s_cmp_eq_u32 s16, 0
	s_wait_kmcnt 0x0
	v_mul_hi_u32 v2, s37, v1
	v_add_nc_u32_e32 v2, v1, v2
	s_delay_alu instid0(VALU_DEP_1) | instskip(NEXT) | instid1(VALU_DEP_1)
	v_lshrrev_b32_e32 v2, s38, v2
	v_mul_hi_u32 v3, s44, v2
	v_mul_lo_u32 v7, v2, s36
	s_clause 0x1
	s_load_b128 s[40:43], s[24:25], 0xdc
	s_load_b64 s[36:37], s[24:25], 0xec
	s_wait_xcnt 0x0
	s_add_nc_u64 s[24:25], s[24:25], 24
	s_delay_alu instid0(VALU_DEP_2) | instskip(NEXT) | instid1(VALU_DEP_2)
	v_add_nc_u32_e32 v3, v2, v3
	v_sub_nc_u32_e32 v7, v1, v7
	s_delay_alu instid0(VALU_DEP_2) | instskip(SKIP_1) | instid1(VALU_DEP_2)
	v_lshrrev_b32_e32 v1, s45, v3
	s_wait_kmcnt 0x0
	v_mad_u32 v4, v7, s40, v4
	s_delay_alu instid0(VALU_DEP_2) | instskip(SKIP_2) | instid1(VALU_DEP_3)
	v_mul_lo_u32 v3, v1, s39
	v_mad_u32 v5, v7, s42, v5
	v_mad_u32 v6, v7, s41, v6
	v_sub_nc_u32_e32 v2, v2, v3
	s_delay_alu instid0(VALU_DEP_1) | instskip(NEXT) | instid1(VALU_DEP_4)
	v_mad_u32 v4, v2, s43, v4
	v_mad_u32 v5, v2, s37, v5
	s_delay_alu instid0(VALU_DEP_4)
	v_mad_u32 v6, v2, s36, v6
	s_cbranch_scc0 .LBB37_28
; %bb.29:
	s_bitcmp1_b32 s31, 0
	s_cselect_b32 s16, -1, 0
	s_delay_alu instid0(SALU_CYCLE_1)
	s_and_b32 vcc_lo, exec_lo, s16
	s_cbranch_vccnz .LBB37_33
; %bb.30:
	s_clause 0x1
	s_load_b96 s[36:38], s[24:25], 0x1c
	s_load_b96 s[40:42], s[24:25], 0xdc
	s_wait_kmcnt 0x0
	v_mul_hi_u32 v2, s37, v1
	s_delay_alu instid0(VALU_DEP_1) | instskip(NEXT) | instid1(VALU_DEP_1)
	v_add_nc_u32_e32 v2, v1, v2
	v_lshrrev_b32_e32 v2, s38, v2
	s_delay_alu instid0(VALU_DEP_1) | instskip(NEXT) | instid1(VALU_DEP_1)
	v_mul_lo_u32 v2, v2, s36
	v_sub_nc_u32_e32 v1, v1, v2
	s_delay_alu instid0(VALU_DEP_1)
	v_mad_u32 v4, v1, s40, v4
	v_mad_u32 v6, v1, s41, v6
	;; [unrolled: 1-line block ×3, first 2 shown]
	s_branch .LBB37_33
.LBB37_31:
                                        ; implicit-def: $vgpr5
                                        ; implicit-def: $vgpr6
                                        ; implicit-def: $vgpr4
	s_branch .LBB37_34
.LBB37_32:
	v_dual_mov_b32 v5, 0 :: v_dual_mov_b32 v6, 0
	v_mov_b32_e32 v4, 0
.LBB37_33:
	s_cbranch_execnz .LBB37_36
.LBB37_34:
	v_mov_b32_e32 v1, 0
	s_and_not1_b32 vcc_lo, exec_lo, s30
	s_delay_alu instid0(VALU_DEP_1) | instskip(NEXT) | instid1(VALU_DEP_1)
	v_mul_u64_e32 v[2:3], s[20:21], v[0:1]
	v_add_nc_u32_e32 v2, v0, v3
	s_delay_alu instid0(VALU_DEP_1) | instskip(NEXT) | instid1(VALU_DEP_1)
	v_lshrrev_b32_e32 v2, s6, v2
	v_mul_lo_u32 v3, v2, s4
	s_delay_alu instid0(VALU_DEP_1) | instskip(NEXT) | instid1(VALU_DEP_1)
	v_sub_nc_u32_e32 v3, v0, v3
	v_mul_lo_u32 v4, v3, s8
	v_mul_lo_u32 v5, v3, s10
	;; [unrolled: 1-line block ×3, first 2 shown]
	s_cbranch_vccnz .LBB37_36
; %bb.35:
	v_mov_b32_e32 v3, v1
	s_delay_alu instid0(VALU_DEP_1) | instskip(NEXT) | instid1(VALU_DEP_1)
	v_mul_u64_e32 v[8:9], s[22:23], v[2:3]
	v_add_nc_u32_e32 v1, v2, v9
	s_delay_alu instid0(VALU_DEP_1) | instskip(NEXT) | instid1(VALU_DEP_1)
	v_lshrrev_b32_e32 v1, s17, v1
	v_mul_lo_u32 v1, v1, s7
	s_delay_alu instid0(VALU_DEP_1) | instskip(NEXT) | instid1(VALU_DEP_1)
	v_sub_nc_u32_e32 v1, v2, v1
	v_mad_u32 v4, v1, s11, v4
	v_mad_u32 v6, v1, s18, v6
	;; [unrolled: 1-line block ×3, first 2 shown]
.LBB37_36:
	global_load_u16 v1, v5, s[14:15]
	global_load_u16 v2, v6, s[2:3]
	s_mov_b32 s24, 0
	s_mov_b32 s16, exec_lo
	s_wait_loadcnt 0x1
	v_sub_nc_u16 v3, 0, v1
	s_delay_alu instid0(VALU_DEP_1)
	v_max_i16 v1, v1, v3
	s_wait_loadcnt 0x0
	v_cmpx_ne_u16_e32 0, v2
	s_cbranch_execz .LBB37_40
; %bb.37:
	v_sub_nc_u16 v3, 0, v2
	s_delay_alu instid0(VALU_DEP_1) | instskip(SKIP_1) | instid1(VALU_DEP_2)
	v_max_i16 v3, v2, v3
	v_and_b32_e32 v2, 0xffff, v1
	v_and_b32_e32 v3, 0xffff, v3
.LBB37_38:                              ; =>This Inner Loop Header: Depth=1
	s_delay_alu instid0(VALU_DEP_1) | instskip(NEXT) | instid1(VALU_DEP_2)
	v_bfe_i32 v6, v2, 0, 16
	v_mov_b32_e32 v1, v3
	s_delay_alu instid0(VALU_DEP_2) | instskip(NEXT) | instid1(VALU_DEP_2)
	v_cvt_f32_i32_e32 v8, v6
	v_bfe_i32 v3, v1, 0, 16
	s_delay_alu instid0(VALU_DEP_1) | instskip(SKIP_1) | instid1(VALU_DEP_2)
	v_cvt_f32_i32_e32 v5, v3
	v_xor_b32_e32 v3, v6, v3
	v_rcp_iflag_f32_e32 v7, v5
	v_nop
	s_delay_alu instid0(TRANS32_DEP_1) | instskip(NEXT) | instid1(VALU_DEP_1)
	v_mul_f32_e32 v6, v8, v7
	v_trunc_f32_e32 v6, v6
	s_delay_alu instid0(VALU_DEP_1) | instskip(NEXT) | instid1(VALU_DEP_1)
	v_dual_ashrrev_i32 v3, 30, v3 :: v_dual_fma_f32 v7, -v6, v5, v8
	v_or_b32_e32 v3, 1, v3
	v_cvt_i32_f32_e32 v6, v6
	s_delay_alu instid0(VALU_DEP_3) | instskip(NEXT) | instid1(VALU_DEP_3)
	v_cmp_ge_f32_e64 vcc_lo, |v7|, |v5|
	v_cndmask_b32_e32 v3, 0, v3, vcc_lo
	s_delay_alu instid0(VALU_DEP_1) | instskip(NEXT) | instid1(VALU_DEP_1)
	v_add_nc_u32_e32 v3, v6, v3
	v_mul_lo_u32 v3, v3, v1
	s_delay_alu instid0(VALU_DEP_1) | instskip(NEXT) | instid1(VALU_DEP_1)
	v_sub_nc_u32_e32 v3, v2, v3
	v_and_b32_e32 v2, 0xffff, v3
	v_bfe_i32 v3, v3, 0, 16
	s_delay_alu instid0(VALU_DEP_2) | instskip(SKIP_2) | instid1(SALU_CYCLE_1)
	v_cmp_eq_u32_e32 vcc_lo, 0, v2
	v_mov_b32_e32 v2, v1
	s_or_b32 s24, vcc_lo, s24
	s_and_not1_b32 exec_lo, exec_lo, s24
	s_cbranch_execnz .LBB37_38
; %bb.39:
	s_or_b32 exec_lo, exec_lo, s24
.LBB37_40:
	s_delay_alu instid0(SALU_CYCLE_1) | instskip(SKIP_4) | instid1(SALU_CYCLE_1)
	s_or_b32 exec_lo, exec_lo, s16
	v_add_nc_u32_e32 v0, 0x80, v0
	global_store_b16 v4, v1, s[0:1]
	s_wait_xcnt 0x0
	s_or_b32 exec_lo, exec_lo, s5
	s_mov_b32 s5, exec_lo
	v_cmpx_gt_i32_e64 s33, v0
	s_cbranch_execz .LBB37_4
.LBB37_41:
	s_and_not1_b32 vcc_lo, exec_lo, s28
	s_cbranch_vccnz .LBB37_47
; %bb.42:
	s_and_not1_b32 vcc_lo, exec_lo, s34
	s_cbranch_vccnz .LBB37_48
; %bb.43:
	v_dual_mov_b32 v4, 0 :: v_dual_mov_b32 v1, v0
	v_dual_mov_b32 v6, 0 :: v_dual_mov_b32 v5, 0
	s_add_co_i32 s16, s31, 1
	s_mov_b64 s[24:25], 0xffffffffffffffe8
	s_and_b32 s16, s16, 30
	s_add_nc_u64 s[24:25], s[12:13], s[24:25]
.LBB37_44:                              ; =>This Inner Loop Header: Depth=1
	s_clause 0x1
	s_load_b128 s[36:39], s[24:25], 0x1c
	s_load_b64 s[44:45], s[24:25], 0x2c
	s_add_co_i32 s16, s16, -2
	s_delay_alu instid0(SALU_CYCLE_1) | instskip(SKIP_2) | instid1(VALU_DEP_1)
	s_cmp_eq_u32 s16, 0
	s_wait_kmcnt 0x0
	v_mul_hi_u32 v2, s37, v1
	v_add_nc_u32_e32 v2, v1, v2
	s_delay_alu instid0(VALU_DEP_1) | instskip(NEXT) | instid1(VALU_DEP_1)
	v_lshrrev_b32_e32 v2, s38, v2
	v_mul_hi_u32 v3, s44, v2
	v_mul_lo_u32 v7, v2, s36
	s_clause 0x1
	s_load_b128 s[40:43], s[24:25], 0xdc
	s_load_b64 s[36:37], s[24:25], 0xec
	s_wait_xcnt 0x0
	s_add_nc_u64 s[24:25], s[24:25], 24
	s_delay_alu instid0(VALU_DEP_2) | instskip(NEXT) | instid1(VALU_DEP_2)
	v_add_nc_u32_e32 v3, v2, v3
	v_sub_nc_u32_e32 v7, v1, v7
	s_delay_alu instid0(VALU_DEP_2) | instskip(SKIP_1) | instid1(VALU_DEP_2)
	v_lshrrev_b32_e32 v1, s45, v3
	s_wait_kmcnt 0x0
	v_mad_u32 v4, v7, s40, v4
	s_delay_alu instid0(VALU_DEP_2) | instskip(SKIP_2) | instid1(VALU_DEP_3)
	v_mul_lo_u32 v3, v1, s39
	v_mad_u32 v5, v7, s42, v5
	v_mad_u32 v6, v7, s41, v6
	v_sub_nc_u32_e32 v2, v2, v3
	s_delay_alu instid0(VALU_DEP_1) | instskip(NEXT) | instid1(VALU_DEP_4)
	v_mad_u32 v4, v2, s43, v4
	v_mad_u32 v5, v2, s37, v5
	s_delay_alu instid0(VALU_DEP_4)
	v_mad_u32 v6, v2, s36, v6
	s_cbranch_scc0 .LBB37_44
; %bb.45:
	s_bitcmp1_b32 s31, 0
	s_cselect_b32 s16, -1, 0
	s_delay_alu instid0(SALU_CYCLE_1)
	s_and_b32 vcc_lo, exec_lo, s16
	s_cbranch_vccnz .LBB37_49
; %bb.46:
	s_clause 0x1
	s_load_b96 s[36:38], s[24:25], 0x1c
	s_load_b96 s[40:42], s[24:25], 0xdc
	s_wait_kmcnt 0x0
	v_mul_hi_u32 v2, s37, v1
	s_delay_alu instid0(VALU_DEP_1) | instskip(NEXT) | instid1(VALU_DEP_1)
	v_add_nc_u32_e32 v2, v1, v2
	v_lshrrev_b32_e32 v2, s38, v2
	s_delay_alu instid0(VALU_DEP_1) | instskip(NEXT) | instid1(VALU_DEP_1)
	v_mul_lo_u32 v2, v2, s36
	v_sub_nc_u32_e32 v1, v1, v2
	s_delay_alu instid0(VALU_DEP_1)
	v_mad_u32 v4, v1, s40, v4
	v_mad_u32 v6, v1, s41, v6
	v_mad_u32 v5, v1, s42, v5
	s_branch .LBB37_49
.LBB37_47:
                                        ; implicit-def: $vgpr5
                                        ; implicit-def: $vgpr6
                                        ; implicit-def: $vgpr4
	s_branch .LBB37_50
.LBB37_48:
	v_dual_mov_b32 v5, 0 :: v_dual_mov_b32 v6, 0
	v_mov_b32_e32 v4, 0
.LBB37_49:
	s_cbranch_execnz .LBB37_52
.LBB37_50:
	v_mov_b32_e32 v1, 0
	s_and_not1_b32 vcc_lo, exec_lo, s30
	s_delay_alu instid0(VALU_DEP_1) | instskip(NEXT) | instid1(VALU_DEP_1)
	v_mul_u64_e32 v[2:3], s[20:21], v[0:1]
	v_add_nc_u32_e32 v2, v0, v3
	s_delay_alu instid0(VALU_DEP_1) | instskip(NEXT) | instid1(VALU_DEP_1)
	v_lshrrev_b32_e32 v2, s6, v2
	v_mul_lo_u32 v3, v2, s4
	s_delay_alu instid0(VALU_DEP_1) | instskip(NEXT) | instid1(VALU_DEP_1)
	v_sub_nc_u32_e32 v3, v0, v3
	v_mul_lo_u32 v4, v3, s8
	v_mul_lo_u32 v5, v3, s10
	;; [unrolled: 1-line block ×3, first 2 shown]
	s_cbranch_vccnz .LBB37_52
; %bb.51:
	v_mov_b32_e32 v3, v1
	s_delay_alu instid0(VALU_DEP_1) | instskip(NEXT) | instid1(VALU_DEP_1)
	v_mul_u64_e32 v[8:9], s[22:23], v[2:3]
	v_add_nc_u32_e32 v1, v2, v9
	s_delay_alu instid0(VALU_DEP_1) | instskip(NEXT) | instid1(VALU_DEP_1)
	v_lshrrev_b32_e32 v1, s17, v1
	v_mul_lo_u32 v1, v1, s7
	s_delay_alu instid0(VALU_DEP_1) | instskip(NEXT) | instid1(VALU_DEP_1)
	v_sub_nc_u32_e32 v1, v2, v1
	v_mad_u32 v4, v1, s11, v4
	v_mad_u32 v6, v1, s18, v6
	;; [unrolled: 1-line block ×3, first 2 shown]
.LBB37_52:
	global_load_u16 v1, v5, s[14:15]
	global_load_u16 v2, v6, s[2:3]
	s_mov_b32 s24, 0
	s_mov_b32 s16, exec_lo
	s_wait_loadcnt 0x1
	v_sub_nc_u16 v3, 0, v1
	s_delay_alu instid0(VALU_DEP_1)
	v_max_i16 v1, v1, v3
	s_wait_loadcnt 0x0
	v_cmpx_ne_u16_e32 0, v2
	s_cbranch_execz .LBB37_56
; %bb.53:
	v_sub_nc_u16 v3, 0, v2
	s_delay_alu instid0(VALU_DEP_1) | instskip(SKIP_1) | instid1(VALU_DEP_2)
	v_max_i16 v3, v2, v3
	v_and_b32_e32 v2, 0xffff, v1
	v_and_b32_e32 v3, 0xffff, v3
.LBB37_54:                              ; =>This Inner Loop Header: Depth=1
	s_delay_alu instid0(VALU_DEP_1) | instskip(NEXT) | instid1(VALU_DEP_2)
	v_bfe_i32 v6, v2, 0, 16
	v_mov_b32_e32 v1, v3
	s_delay_alu instid0(VALU_DEP_2) | instskip(NEXT) | instid1(VALU_DEP_2)
	v_cvt_f32_i32_e32 v8, v6
	v_bfe_i32 v3, v1, 0, 16
	s_delay_alu instid0(VALU_DEP_1) | instskip(SKIP_1) | instid1(VALU_DEP_2)
	v_cvt_f32_i32_e32 v5, v3
	v_xor_b32_e32 v3, v6, v3
	v_rcp_iflag_f32_e32 v7, v5
	v_nop
	s_delay_alu instid0(TRANS32_DEP_1) | instskip(NEXT) | instid1(VALU_DEP_1)
	v_mul_f32_e32 v6, v8, v7
	v_trunc_f32_e32 v6, v6
	s_delay_alu instid0(VALU_DEP_1) | instskip(NEXT) | instid1(VALU_DEP_1)
	v_dual_ashrrev_i32 v3, 30, v3 :: v_dual_fma_f32 v7, -v6, v5, v8
	v_or_b32_e32 v3, 1, v3
	v_cvt_i32_f32_e32 v6, v6
	s_delay_alu instid0(VALU_DEP_3) | instskip(NEXT) | instid1(VALU_DEP_3)
	v_cmp_ge_f32_e64 vcc_lo, |v7|, |v5|
	v_cndmask_b32_e32 v3, 0, v3, vcc_lo
	s_delay_alu instid0(VALU_DEP_1) | instskip(NEXT) | instid1(VALU_DEP_1)
	v_add_nc_u32_e32 v3, v6, v3
	v_mul_lo_u32 v3, v3, v1
	s_delay_alu instid0(VALU_DEP_1) | instskip(NEXT) | instid1(VALU_DEP_1)
	v_sub_nc_u32_e32 v3, v2, v3
	v_and_b32_e32 v2, 0xffff, v3
	v_bfe_i32 v3, v3, 0, 16
	s_delay_alu instid0(VALU_DEP_2) | instskip(SKIP_2) | instid1(SALU_CYCLE_1)
	v_cmp_eq_u32_e32 vcc_lo, 0, v2
	v_mov_b32_e32 v2, v1
	s_or_b32 s24, vcc_lo, s24
	s_and_not1_b32 exec_lo, exec_lo, s24
	s_cbranch_execnz .LBB37_54
; %bb.55:
	s_or_b32 exec_lo, exec_lo, s24
.LBB37_56:
	s_delay_alu instid0(SALU_CYCLE_1) | instskip(SKIP_4) | instid1(SALU_CYCLE_1)
	s_or_b32 exec_lo, exec_lo, s16
	v_add_nc_u32_e32 v0, 0x80, v0
	global_store_b16 v4, v1, s[0:1]
	s_wait_xcnt 0x0
	s_or_b32 exec_lo, exec_lo, s5
	s_mov_b32 s5, exec_lo
	v_cmpx_gt_i32_e64 s33, v0
	s_cbranch_execz .LBB37_5
.LBB37_57:
	s_and_not1_b32 vcc_lo, exec_lo, s28
	s_cbranch_vccnz .LBB37_63
; %bb.58:
	s_and_not1_b32 vcc_lo, exec_lo, s34
	s_cbranch_vccnz .LBB37_64
; %bb.59:
	v_dual_mov_b32 v4, 0 :: v_dual_mov_b32 v1, v0
	v_dual_mov_b32 v6, 0 :: v_dual_mov_b32 v5, 0
	s_add_co_i32 s16, s31, 1
	s_mov_b64 s[24:25], 0xffffffffffffffe8
	s_and_b32 s16, s16, 30
	s_add_nc_u64 s[24:25], s[12:13], s[24:25]
.LBB37_60:                              ; =>This Inner Loop Header: Depth=1
	s_clause 0x1
	s_load_b128 s[36:39], s[24:25], 0x1c
	s_load_b64 s[44:45], s[24:25], 0x2c
	s_add_co_i32 s16, s16, -2
	s_delay_alu instid0(SALU_CYCLE_1) | instskip(SKIP_2) | instid1(VALU_DEP_1)
	s_cmp_eq_u32 s16, 0
	s_wait_kmcnt 0x0
	v_mul_hi_u32 v2, s37, v1
	v_add_nc_u32_e32 v2, v1, v2
	s_delay_alu instid0(VALU_DEP_1) | instskip(NEXT) | instid1(VALU_DEP_1)
	v_lshrrev_b32_e32 v2, s38, v2
	v_mul_hi_u32 v3, s44, v2
	v_mul_lo_u32 v7, v2, s36
	s_clause 0x1
	s_load_b128 s[40:43], s[24:25], 0xdc
	s_load_b64 s[36:37], s[24:25], 0xec
	s_wait_xcnt 0x0
	s_add_nc_u64 s[24:25], s[24:25], 24
	s_delay_alu instid0(VALU_DEP_2) | instskip(NEXT) | instid1(VALU_DEP_2)
	v_add_nc_u32_e32 v3, v2, v3
	v_sub_nc_u32_e32 v7, v1, v7
	s_delay_alu instid0(VALU_DEP_2) | instskip(SKIP_1) | instid1(VALU_DEP_2)
	v_lshrrev_b32_e32 v1, s45, v3
	s_wait_kmcnt 0x0
	v_mad_u32 v4, v7, s40, v4
	s_delay_alu instid0(VALU_DEP_2) | instskip(SKIP_2) | instid1(VALU_DEP_3)
	v_mul_lo_u32 v3, v1, s39
	v_mad_u32 v5, v7, s42, v5
	v_mad_u32 v6, v7, s41, v6
	v_sub_nc_u32_e32 v2, v2, v3
	s_delay_alu instid0(VALU_DEP_1) | instskip(NEXT) | instid1(VALU_DEP_4)
	v_mad_u32 v4, v2, s43, v4
	v_mad_u32 v5, v2, s37, v5
	s_delay_alu instid0(VALU_DEP_4)
	v_mad_u32 v6, v2, s36, v6
	s_cbranch_scc0 .LBB37_60
; %bb.61:
	s_bitcmp1_b32 s31, 0
	s_cselect_b32 s16, -1, 0
	s_delay_alu instid0(SALU_CYCLE_1)
	s_and_b32 vcc_lo, exec_lo, s16
	s_cbranch_vccnz .LBB37_65
; %bb.62:
	s_clause 0x1
	s_load_b96 s[36:38], s[24:25], 0x1c
	s_load_b96 s[40:42], s[24:25], 0xdc
	s_wait_kmcnt 0x0
	v_mul_hi_u32 v2, s37, v1
	s_delay_alu instid0(VALU_DEP_1) | instskip(NEXT) | instid1(VALU_DEP_1)
	v_add_nc_u32_e32 v2, v1, v2
	v_lshrrev_b32_e32 v2, s38, v2
	s_delay_alu instid0(VALU_DEP_1) | instskip(NEXT) | instid1(VALU_DEP_1)
	v_mul_lo_u32 v2, v2, s36
	v_sub_nc_u32_e32 v1, v1, v2
	s_delay_alu instid0(VALU_DEP_1)
	v_mad_u32 v4, v1, s40, v4
	v_mad_u32 v6, v1, s41, v6
	;; [unrolled: 1-line block ×3, first 2 shown]
	s_branch .LBB37_65
.LBB37_63:
                                        ; implicit-def: $vgpr5
                                        ; implicit-def: $vgpr6
                                        ; implicit-def: $vgpr4
	s_branch .LBB37_66
.LBB37_64:
	v_dual_mov_b32 v5, 0 :: v_dual_mov_b32 v6, 0
	v_mov_b32_e32 v4, 0
.LBB37_65:
	s_cbranch_execnz .LBB37_68
.LBB37_66:
	v_mov_b32_e32 v1, 0
	s_and_not1_b32 vcc_lo, exec_lo, s30
	s_delay_alu instid0(VALU_DEP_1) | instskip(NEXT) | instid1(VALU_DEP_1)
	v_mul_u64_e32 v[2:3], s[20:21], v[0:1]
	v_add_nc_u32_e32 v2, v0, v3
	s_delay_alu instid0(VALU_DEP_1) | instskip(NEXT) | instid1(VALU_DEP_1)
	v_lshrrev_b32_e32 v2, s6, v2
	v_mul_lo_u32 v3, v2, s4
	s_delay_alu instid0(VALU_DEP_1) | instskip(NEXT) | instid1(VALU_DEP_1)
	v_sub_nc_u32_e32 v3, v0, v3
	v_mul_lo_u32 v4, v3, s8
	v_mul_lo_u32 v5, v3, s10
	;; [unrolled: 1-line block ×3, first 2 shown]
	s_cbranch_vccnz .LBB37_68
; %bb.67:
	v_mov_b32_e32 v3, v1
	s_delay_alu instid0(VALU_DEP_1) | instskip(NEXT) | instid1(VALU_DEP_1)
	v_mul_u64_e32 v[8:9], s[22:23], v[2:3]
	v_add_nc_u32_e32 v1, v2, v9
	s_delay_alu instid0(VALU_DEP_1) | instskip(NEXT) | instid1(VALU_DEP_1)
	v_lshrrev_b32_e32 v1, s17, v1
	v_mul_lo_u32 v1, v1, s7
	s_delay_alu instid0(VALU_DEP_1) | instskip(NEXT) | instid1(VALU_DEP_1)
	v_sub_nc_u32_e32 v1, v2, v1
	v_mad_u32 v4, v1, s11, v4
	v_mad_u32 v6, v1, s18, v6
	;; [unrolled: 1-line block ×3, first 2 shown]
.LBB37_68:
	global_load_u16 v1, v5, s[14:15]
	global_load_u16 v2, v6, s[2:3]
	s_mov_b32 s24, 0
	s_mov_b32 s16, exec_lo
	s_wait_loadcnt 0x1
	v_sub_nc_u16 v3, 0, v1
	s_delay_alu instid0(VALU_DEP_1)
	v_max_i16 v1, v1, v3
	s_wait_loadcnt 0x0
	v_cmpx_ne_u16_e32 0, v2
	s_cbranch_execz .LBB37_72
; %bb.69:
	v_sub_nc_u16 v3, 0, v2
	s_delay_alu instid0(VALU_DEP_1) | instskip(SKIP_1) | instid1(VALU_DEP_2)
	v_max_i16 v3, v2, v3
	v_and_b32_e32 v2, 0xffff, v1
	v_and_b32_e32 v3, 0xffff, v3
.LBB37_70:                              ; =>This Inner Loop Header: Depth=1
	s_delay_alu instid0(VALU_DEP_1) | instskip(NEXT) | instid1(VALU_DEP_2)
	v_bfe_i32 v6, v2, 0, 16
	v_mov_b32_e32 v1, v3
	s_delay_alu instid0(VALU_DEP_2) | instskip(NEXT) | instid1(VALU_DEP_2)
	v_cvt_f32_i32_e32 v8, v6
	v_bfe_i32 v3, v1, 0, 16
	s_delay_alu instid0(VALU_DEP_1) | instskip(SKIP_1) | instid1(VALU_DEP_2)
	v_cvt_f32_i32_e32 v5, v3
	v_xor_b32_e32 v3, v6, v3
	v_rcp_iflag_f32_e32 v7, v5
	v_nop
	s_delay_alu instid0(TRANS32_DEP_1) | instskip(NEXT) | instid1(VALU_DEP_1)
	v_mul_f32_e32 v6, v8, v7
	v_trunc_f32_e32 v6, v6
	s_delay_alu instid0(VALU_DEP_1) | instskip(NEXT) | instid1(VALU_DEP_1)
	v_dual_ashrrev_i32 v3, 30, v3 :: v_dual_fma_f32 v7, -v6, v5, v8
	v_or_b32_e32 v3, 1, v3
	v_cvt_i32_f32_e32 v6, v6
	s_delay_alu instid0(VALU_DEP_3) | instskip(NEXT) | instid1(VALU_DEP_3)
	v_cmp_ge_f32_e64 vcc_lo, |v7|, |v5|
	v_cndmask_b32_e32 v3, 0, v3, vcc_lo
	s_delay_alu instid0(VALU_DEP_1) | instskip(NEXT) | instid1(VALU_DEP_1)
	v_add_nc_u32_e32 v3, v6, v3
	v_mul_lo_u32 v3, v3, v1
	s_delay_alu instid0(VALU_DEP_1) | instskip(NEXT) | instid1(VALU_DEP_1)
	v_sub_nc_u32_e32 v3, v2, v3
	v_and_b32_e32 v2, 0xffff, v3
	v_bfe_i32 v3, v3, 0, 16
	s_delay_alu instid0(VALU_DEP_2) | instskip(SKIP_2) | instid1(SALU_CYCLE_1)
	v_cmp_eq_u32_e32 vcc_lo, 0, v2
	v_mov_b32_e32 v2, v1
	s_or_b32 s24, vcc_lo, s24
	s_and_not1_b32 exec_lo, exec_lo, s24
	s_cbranch_execnz .LBB37_70
; %bb.71:
	s_or_b32 exec_lo, exec_lo, s24
.LBB37_72:
	s_delay_alu instid0(SALU_CYCLE_1) | instskip(SKIP_4) | instid1(SALU_CYCLE_1)
	s_or_b32 exec_lo, exec_lo, s16
	v_add_nc_u32_e32 v0, 0x80, v0
	global_store_b16 v4, v1, s[0:1]
	s_wait_xcnt 0x0
	s_or_b32 exec_lo, exec_lo, s5
	s_mov_b32 s5, exec_lo
	v_cmpx_gt_i32_e64 s33, v0
	s_cbranch_execz .LBB37_6
.LBB37_73:
	s_and_not1_b32 vcc_lo, exec_lo, s28
	s_cbranch_vccnz .LBB37_79
; %bb.74:
	s_and_not1_b32 vcc_lo, exec_lo, s34
	s_cbranch_vccnz .LBB37_80
; %bb.75:
	v_dual_mov_b32 v4, 0 :: v_dual_mov_b32 v1, v0
	v_dual_mov_b32 v6, 0 :: v_dual_mov_b32 v5, 0
	s_add_co_i32 s16, s31, 1
	s_mov_b64 s[24:25], 0xffffffffffffffe8
	s_and_b32 s16, s16, 30
	s_add_nc_u64 s[24:25], s[12:13], s[24:25]
.LBB37_76:                              ; =>This Inner Loop Header: Depth=1
	s_clause 0x1
	s_load_b128 s[36:39], s[24:25], 0x1c
	s_load_b64 s[44:45], s[24:25], 0x2c
	s_add_co_i32 s16, s16, -2
	s_delay_alu instid0(SALU_CYCLE_1) | instskip(SKIP_2) | instid1(VALU_DEP_1)
	s_cmp_eq_u32 s16, 0
	s_wait_kmcnt 0x0
	v_mul_hi_u32 v2, s37, v1
	v_add_nc_u32_e32 v2, v1, v2
	s_delay_alu instid0(VALU_DEP_1) | instskip(NEXT) | instid1(VALU_DEP_1)
	v_lshrrev_b32_e32 v2, s38, v2
	v_mul_hi_u32 v3, s44, v2
	v_mul_lo_u32 v7, v2, s36
	s_clause 0x1
	s_load_b128 s[40:43], s[24:25], 0xdc
	s_load_b64 s[36:37], s[24:25], 0xec
	s_wait_xcnt 0x0
	s_add_nc_u64 s[24:25], s[24:25], 24
	s_delay_alu instid0(VALU_DEP_2) | instskip(NEXT) | instid1(VALU_DEP_2)
	v_add_nc_u32_e32 v3, v2, v3
	v_sub_nc_u32_e32 v7, v1, v7
	s_delay_alu instid0(VALU_DEP_2) | instskip(SKIP_1) | instid1(VALU_DEP_2)
	v_lshrrev_b32_e32 v1, s45, v3
	s_wait_kmcnt 0x0
	v_mad_u32 v4, v7, s40, v4
	s_delay_alu instid0(VALU_DEP_2) | instskip(SKIP_2) | instid1(VALU_DEP_3)
	v_mul_lo_u32 v3, v1, s39
	v_mad_u32 v5, v7, s42, v5
	v_mad_u32 v6, v7, s41, v6
	v_sub_nc_u32_e32 v2, v2, v3
	s_delay_alu instid0(VALU_DEP_1) | instskip(NEXT) | instid1(VALU_DEP_4)
	v_mad_u32 v4, v2, s43, v4
	v_mad_u32 v5, v2, s37, v5
	s_delay_alu instid0(VALU_DEP_4)
	v_mad_u32 v6, v2, s36, v6
	s_cbranch_scc0 .LBB37_76
; %bb.77:
	s_bitcmp1_b32 s31, 0
	s_cselect_b32 s16, -1, 0
	s_delay_alu instid0(SALU_CYCLE_1)
	s_and_b32 vcc_lo, exec_lo, s16
	s_cbranch_vccnz .LBB37_81
; %bb.78:
	s_clause 0x1
	s_load_b96 s[36:38], s[24:25], 0x1c
	s_load_b96 s[40:42], s[24:25], 0xdc
	s_wait_kmcnt 0x0
	v_mul_hi_u32 v2, s37, v1
	s_delay_alu instid0(VALU_DEP_1) | instskip(NEXT) | instid1(VALU_DEP_1)
	v_add_nc_u32_e32 v2, v1, v2
	v_lshrrev_b32_e32 v2, s38, v2
	s_delay_alu instid0(VALU_DEP_1) | instskip(NEXT) | instid1(VALU_DEP_1)
	v_mul_lo_u32 v2, v2, s36
	v_sub_nc_u32_e32 v1, v1, v2
	s_delay_alu instid0(VALU_DEP_1)
	v_mad_u32 v4, v1, s40, v4
	v_mad_u32 v6, v1, s41, v6
	;; [unrolled: 1-line block ×3, first 2 shown]
	s_branch .LBB37_81
.LBB37_79:
                                        ; implicit-def: $vgpr5
                                        ; implicit-def: $vgpr6
                                        ; implicit-def: $vgpr4
	s_branch .LBB37_82
.LBB37_80:
	v_dual_mov_b32 v5, 0 :: v_dual_mov_b32 v6, 0
	v_mov_b32_e32 v4, 0
.LBB37_81:
	s_cbranch_execnz .LBB37_84
.LBB37_82:
	v_mov_b32_e32 v1, 0
	s_and_not1_b32 vcc_lo, exec_lo, s30
	s_delay_alu instid0(VALU_DEP_1) | instskip(NEXT) | instid1(VALU_DEP_1)
	v_mul_u64_e32 v[2:3], s[20:21], v[0:1]
	v_add_nc_u32_e32 v2, v0, v3
	s_delay_alu instid0(VALU_DEP_1) | instskip(NEXT) | instid1(VALU_DEP_1)
	v_lshrrev_b32_e32 v2, s6, v2
	v_mul_lo_u32 v3, v2, s4
	s_delay_alu instid0(VALU_DEP_1) | instskip(NEXT) | instid1(VALU_DEP_1)
	v_sub_nc_u32_e32 v3, v0, v3
	v_mul_lo_u32 v4, v3, s8
	v_mul_lo_u32 v5, v3, s10
	;; [unrolled: 1-line block ×3, first 2 shown]
	s_cbranch_vccnz .LBB37_84
; %bb.83:
	v_mov_b32_e32 v3, v1
	s_delay_alu instid0(VALU_DEP_1) | instskip(NEXT) | instid1(VALU_DEP_1)
	v_mul_u64_e32 v[8:9], s[22:23], v[2:3]
	v_add_nc_u32_e32 v1, v2, v9
	s_delay_alu instid0(VALU_DEP_1) | instskip(NEXT) | instid1(VALU_DEP_1)
	v_lshrrev_b32_e32 v1, s17, v1
	v_mul_lo_u32 v1, v1, s7
	s_delay_alu instid0(VALU_DEP_1) | instskip(NEXT) | instid1(VALU_DEP_1)
	v_sub_nc_u32_e32 v1, v2, v1
	v_mad_u32 v4, v1, s11, v4
	v_mad_u32 v6, v1, s18, v6
	;; [unrolled: 1-line block ×3, first 2 shown]
.LBB37_84:
	global_load_u16 v1, v5, s[14:15]
	global_load_u16 v2, v6, s[2:3]
	s_mov_b32 s24, 0
	s_mov_b32 s16, exec_lo
	s_wait_loadcnt 0x1
	v_sub_nc_u16 v3, 0, v1
	s_delay_alu instid0(VALU_DEP_1)
	v_max_i16 v1, v1, v3
	s_wait_loadcnt 0x0
	v_cmpx_ne_u16_e32 0, v2
	s_cbranch_execz .LBB37_88
; %bb.85:
	v_sub_nc_u16 v3, 0, v2
	s_delay_alu instid0(VALU_DEP_1) | instskip(SKIP_1) | instid1(VALU_DEP_2)
	v_max_i16 v3, v2, v3
	v_and_b32_e32 v2, 0xffff, v1
	v_and_b32_e32 v3, 0xffff, v3
.LBB37_86:                              ; =>This Inner Loop Header: Depth=1
	s_delay_alu instid0(VALU_DEP_1) | instskip(NEXT) | instid1(VALU_DEP_2)
	v_bfe_i32 v6, v2, 0, 16
	v_mov_b32_e32 v1, v3
	s_delay_alu instid0(VALU_DEP_2) | instskip(NEXT) | instid1(VALU_DEP_2)
	v_cvt_f32_i32_e32 v8, v6
	v_bfe_i32 v3, v1, 0, 16
	s_delay_alu instid0(VALU_DEP_1) | instskip(SKIP_1) | instid1(VALU_DEP_2)
	v_cvt_f32_i32_e32 v5, v3
	v_xor_b32_e32 v3, v6, v3
	v_rcp_iflag_f32_e32 v7, v5
	v_nop
	s_delay_alu instid0(TRANS32_DEP_1) | instskip(NEXT) | instid1(VALU_DEP_1)
	v_mul_f32_e32 v6, v8, v7
	v_trunc_f32_e32 v6, v6
	s_delay_alu instid0(VALU_DEP_1) | instskip(NEXT) | instid1(VALU_DEP_1)
	v_dual_ashrrev_i32 v3, 30, v3 :: v_dual_fma_f32 v7, -v6, v5, v8
	v_or_b32_e32 v3, 1, v3
	v_cvt_i32_f32_e32 v6, v6
	s_delay_alu instid0(VALU_DEP_3) | instskip(NEXT) | instid1(VALU_DEP_3)
	v_cmp_ge_f32_e64 vcc_lo, |v7|, |v5|
	v_cndmask_b32_e32 v3, 0, v3, vcc_lo
	s_delay_alu instid0(VALU_DEP_1) | instskip(NEXT) | instid1(VALU_DEP_1)
	v_add_nc_u32_e32 v3, v6, v3
	v_mul_lo_u32 v3, v3, v1
	s_delay_alu instid0(VALU_DEP_1) | instskip(NEXT) | instid1(VALU_DEP_1)
	v_sub_nc_u32_e32 v3, v2, v3
	v_and_b32_e32 v2, 0xffff, v3
	v_bfe_i32 v3, v3, 0, 16
	s_delay_alu instid0(VALU_DEP_2) | instskip(SKIP_2) | instid1(SALU_CYCLE_1)
	v_cmp_eq_u32_e32 vcc_lo, 0, v2
	v_mov_b32_e32 v2, v1
	s_or_b32 s24, vcc_lo, s24
	s_and_not1_b32 exec_lo, exec_lo, s24
	s_cbranch_execnz .LBB37_86
; %bb.87:
	s_or_b32 exec_lo, exec_lo, s24
.LBB37_88:
	s_delay_alu instid0(SALU_CYCLE_1) | instskip(SKIP_4) | instid1(SALU_CYCLE_1)
	s_or_b32 exec_lo, exec_lo, s16
	v_add_nc_u32_e32 v0, 0x80, v0
	global_store_b16 v4, v1, s[0:1]
	s_wait_xcnt 0x0
	s_or_b32 exec_lo, exec_lo, s5
	s_mov_b32 s5, exec_lo
	v_cmpx_gt_i32_e64 s33, v0
	s_cbranch_execz .LBB37_7
.LBB37_89:
	s_and_not1_b32 vcc_lo, exec_lo, s28
	s_cbranch_vccnz .LBB37_95
; %bb.90:
	s_and_not1_b32 vcc_lo, exec_lo, s34
	s_cbranch_vccnz .LBB37_96
; %bb.91:
	v_dual_mov_b32 v4, 0 :: v_dual_mov_b32 v1, v0
	v_dual_mov_b32 v6, 0 :: v_dual_mov_b32 v5, 0
	s_add_co_i32 s16, s31, 1
	s_mov_b64 s[24:25], 0xffffffffffffffe8
	s_and_b32 s16, s16, 30
	s_add_nc_u64 s[24:25], s[12:13], s[24:25]
.LBB37_92:                              ; =>This Inner Loop Header: Depth=1
	s_clause 0x1
	s_load_b128 s[36:39], s[24:25], 0x1c
	s_load_b64 s[44:45], s[24:25], 0x2c
	s_add_co_i32 s16, s16, -2
	s_delay_alu instid0(SALU_CYCLE_1) | instskip(SKIP_2) | instid1(VALU_DEP_1)
	s_cmp_eq_u32 s16, 0
	s_wait_kmcnt 0x0
	v_mul_hi_u32 v2, s37, v1
	v_add_nc_u32_e32 v2, v1, v2
	s_delay_alu instid0(VALU_DEP_1) | instskip(NEXT) | instid1(VALU_DEP_1)
	v_lshrrev_b32_e32 v2, s38, v2
	v_mul_hi_u32 v3, s44, v2
	v_mul_lo_u32 v7, v2, s36
	s_clause 0x1
	s_load_b128 s[40:43], s[24:25], 0xdc
	s_load_b64 s[36:37], s[24:25], 0xec
	s_wait_xcnt 0x0
	s_add_nc_u64 s[24:25], s[24:25], 24
	s_delay_alu instid0(VALU_DEP_2) | instskip(NEXT) | instid1(VALU_DEP_2)
	v_add_nc_u32_e32 v3, v2, v3
	v_sub_nc_u32_e32 v7, v1, v7
	s_delay_alu instid0(VALU_DEP_2) | instskip(SKIP_1) | instid1(VALU_DEP_2)
	v_lshrrev_b32_e32 v1, s45, v3
	s_wait_kmcnt 0x0
	v_mad_u32 v4, v7, s40, v4
	s_delay_alu instid0(VALU_DEP_2) | instskip(SKIP_2) | instid1(VALU_DEP_3)
	v_mul_lo_u32 v3, v1, s39
	v_mad_u32 v5, v7, s42, v5
	v_mad_u32 v6, v7, s41, v6
	v_sub_nc_u32_e32 v2, v2, v3
	s_delay_alu instid0(VALU_DEP_1) | instskip(NEXT) | instid1(VALU_DEP_4)
	v_mad_u32 v4, v2, s43, v4
	v_mad_u32 v5, v2, s37, v5
	s_delay_alu instid0(VALU_DEP_4)
	v_mad_u32 v6, v2, s36, v6
	s_cbranch_scc0 .LBB37_92
; %bb.93:
	s_bitcmp1_b32 s31, 0
	s_cselect_b32 s16, -1, 0
	s_delay_alu instid0(SALU_CYCLE_1)
	s_and_b32 vcc_lo, exec_lo, s16
	s_cbranch_vccnz .LBB37_97
; %bb.94:
	s_clause 0x1
	s_load_b96 s[36:38], s[24:25], 0x1c
	s_load_b96 s[40:42], s[24:25], 0xdc
	s_wait_kmcnt 0x0
	v_mul_hi_u32 v2, s37, v1
	s_delay_alu instid0(VALU_DEP_1) | instskip(NEXT) | instid1(VALU_DEP_1)
	v_add_nc_u32_e32 v2, v1, v2
	v_lshrrev_b32_e32 v2, s38, v2
	s_delay_alu instid0(VALU_DEP_1) | instskip(NEXT) | instid1(VALU_DEP_1)
	v_mul_lo_u32 v2, v2, s36
	v_sub_nc_u32_e32 v1, v1, v2
	s_delay_alu instid0(VALU_DEP_1)
	v_mad_u32 v4, v1, s40, v4
	v_mad_u32 v6, v1, s41, v6
	;; [unrolled: 1-line block ×3, first 2 shown]
	s_branch .LBB37_97
.LBB37_95:
                                        ; implicit-def: $vgpr5
                                        ; implicit-def: $vgpr6
                                        ; implicit-def: $vgpr4
	s_branch .LBB37_98
.LBB37_96:
	v_dual_mov_b32 v5, 0 :: v_dual_mov_b32 v6, 0
	v_mov_b32_e32 v4, 0
.LBB37_97:
	s_cbranch_execnz .LBB37_100
.LBB37_98:
	v_mov_b32_e32 v1, 0
	s_and_not1_b32 vcc_lo, exec_lo, s30
	s_delay_alu instid0(VALU_DEP_1) | instskip(NEXT) | instid1(VALU_DEP_1)
	v_mul_u64_e32 v[2:3], s[20:21], v[0:1]
	v_add_nc_u32_e32 v2, v0, v3
	s_delay_alu instid0(VALU_DEP_1) | instskip(NEXT) | instid1(VALU_DEP_1)
	v_lshrrev_b32_e32 v2, s6, v2
	v_mul_lo_u32 v3, v2, s4
	s_delay_alu instid0(VALU_DEP_1) | instskip(NEXT) | instid1(VALU_DEP_1)
	v_sub_nc_u32_e32 v3, v0, v3
	v_mul_lo_u32 v4, v3, s8
	v_mul_lo_u32 v5, v3, s10
	;; [unrolled: 1-line block ×3, first 2 shown]
	s_cbranch_vccnz .LBB37_100
; %bb.99:
	v_mov_b32_e32 v3, v1
	s_delay_alu instid0(VALU_DEP_1) | instskip(NEXT) | instid1(VALU_DEP_1)
	v_mul_u64_e32 v[8:9], s[22:23], v[2:3]
	v_add_nc_u32_e32 v1, v2, v9
	s_delay_alu instid0(VALU_DEP_1) | instskip(NEXT) | instid1(VALU_DEP_1)
	v_lshrrev_b32_e32 v1, s17, v1
	v_mul_lo_u32 v1, v1, s7
	s_delay_alu instid0(VALU_DEP_1) | instskip(NEXT) | instid1(VALU_DEP_1)
	v_sub_nc_u32_e32 v1, v2, v1
	v_mad_u32 v4, v1, s11, v4
	v_mad_u32 v6, v1, s18, v6
	;; [unrolled: 1-line block ×3, first 2 shown]
.LBB37_100:
	global_load_u16 v1, v5, s[14:15]
	global_load_u16 v2, v6, s[2:3]
	s_mov_b32 s24, 0
	s_mov_b32 s16, exec_lo
	s_wait_loadcnt 0x1
	v_sub_nc_u16 v3, 0, v1
	s_delay_alu instid0(VALU_DEP_1)
	v_max_i16 v1, v1, v3
	s_wait_loadcnt 0x0
	v_cmpx_ne_u16_e32 0, v2
	s_cbranch_execz .LBB37_104
; %bb.101:
	v_sub_nc_u16 v3, 0, v2
	s_delay_alu instid0(VALU_DEP_1) | instskip(SKIP_1) | instid1(VALU_DEP_2)
	v_max_i16 v3, v2, v3
	v_and_b32_e32 v2, 0xffff, v1
	v_and_b32_e32 v3, 0xffff, v3
.LBB37_102:                             ; =>This Inner Loop Header: Depth=1
	s_delay_alu instid0(VALU_DEP_1) | instskip(NEXT) | instid1(VALU_DEP_2)
	v_bfe_i32 v6, v2, 0, 16
	v_mov_b32_e32 v1, v3
	s_delay_alu instid0(VALU_DEP_2) | instskip(NEXT) | instid1(VALU_DEP_2)
	v_cvt_f32_i32_e32 v8, v6
	v_bfe_i32 v3, v1, 0, 16
	s_delay_alu instid0(VALU_DEP_1) | instskip(SKIP_1) | instid1(VALU_DEP_2)
	v_cvt_f32_i32_e32 v5, v3
	v_xor_b32_e32 v3, v6, v3
	v_rcp_iflag_f32_e32 v7, v5
	v_nop
	s_delay_alu instid0(TRANS32_DEP_1) | instskip(NEXT) | instid1(VALU_DEP_1)
	v_mul_f32_e32 v6, v8, v7
	v_trunc_f32_e32 v6, v6
	s_delay_alu instid0(VALU_DEP_1) | instskip(NEXT) | instid1(VALU_DEP_1)
	v_dual_ashrrev_i32 v3, 30, v3 :: v_dual_fma_f32 v7, -v6, v5, v8
	v_or_b32_e32 v3, 1, v3
	v_cvt_i32_f32_e32 v6, v6
	s_delay_alu instid0(VALU_DEP_3) | instskip(NEXT) | instid1(VALU_DEP_3)
	v_cmp_ge_f32_e64 vcc_lo, |v7|, |v5|
	v_cndmask_b32_e32 v3, 0, v3, vcc_lo
	s_delay_alu instid0(VALU_DEP_1) | instskip(NEXT) | instid1(VALU_DEP_1)
	v_add_nc_u32_e32 v3, v6, v3
	v_mul_lo_u32 v3, v3, v1
	s_delay_alu instid0(VALU_DEP_1) | instskip(NEXT) | instid1(VALU_DEP_1)
	v_sub_nc_u32_e32 v3, v2, v3
	v_and_b32_e32 v2, 0xffff, v3
	v_bfe_i32 v3, v3, 0, 16
	s_delay_alu instid0(VALU_DEP_2) | instskip(SKIP_2) | instid1(SALU_CYCLE_1)
	v_cmp_eq_u32_e32 vcc_lo, 0, v2
	v_mov_b32_e32 v2, v1
	s_or_b32 s24, vcc_lo, s24
	s_and_not1_b32 exec_lo, exec_lo, s24
	s_cbranch_execnz .LBB37_102
; %bb.103:
	s_or_b32 exec_lo, exec_lo, s24
.LBB37_104:
	s_delay_alu instid0(SALU_CYCLE_1) | instskip(SKIP_4) | instid1(SALU_CYCLE_1)
	s_or_b32 exec_lo, exec_lo, s16
	v_add_nc_u32_e32 v0, 0x80, v0
	global_store_b16 v4, v1, s[0:1]
	s_wait_xcnt 0x0
	s_or_b32 exec_lo, exec_lo, s5
	s_mov_b32 s5, exec_lo
	v_cmpx_gt_i32_e64 s33, v0
	s_cbranch_execz .LBB37_8
.LBB37_105:
	s_and_not1_b32 vcc_lo, exec_lo, s28
	s_cbranch_vccnz .LBB37_111
; %bb.106:
	s_and_not1_b32 vcc_lo, exec_lo, s34
	s_cbranch_vccnz .LBB37_112
; %bb.107:
	v_dual_mov_b32 v4, 0 :: v_dual_mov_b32 v1, v0
	v_dual_mov_b32 v6, 0 :: v_dual_mov_b32 v5, 0
	s_add_co_i32 s16, s31, 1
	s_mov_b64 s[24:25], 0xffffffffffffffe8
	s_and_b32 s16, s16, 30
	s_add_nc_u64 s[24:25], s[12:13], s[24:25]
.LBB37_108:                             ; =>This Inner Loop Header: Depth=1
	s_clause 0x1
	s_load_b128 s[36:39], s[24:25], 0x1c
	s_load_b64 s[44:45], s[24:25], 0x2c
	s_add_co_i32 s16, s16, -2
	s_delay_alu instid0(SALU_CYCLE_1) | instskip(SKIP_2) | instid1(VALU_DEP_1)
	s_cmp_eq_u32 s16, 0
	s_wait_kmcnt 0x0
	v_mul_hi_u32 v2, s37, v1
	v_add_nc_u32_e32 v2, v1, v2
	s_delay_alu instid0(VALU_DEP_1) | instskip(NEXT) | instid1(VALU_DEP_1)
	v_lshrrev_b32_e32 v2, s38, v2
	v_mul_hi_u32 v3, s44, v2
	v_mul_lo_u32 v7, v2, s36
	s_clause 0x1
	s_load_b128 s[40:43], s[24:25], 0xdc
	s_load_b64 s[36:37], s[24:25], 0xec
	s_wait_xcnt 0x0
	s_add_nc_u64 s[24:25], s[24:25], 24
	s_delay_alu instid0(VALU_DEP_2) | instskip(NEXT) | instid1(VALU_DEP_2)
	v_add_nc_u32_e32 v3, v2, v3
	v_sub_nc_u32_e32 v7, v1, v7
	s_delay_alu instid0(VALU_DEP_2) | instskip(SKIP_1) | instid1(VALU_DEP_2)
	v_lshrrev_b32_e32 v1, s45, v3
	s_wait_kmcnt 0x0
	v_mad_u32 v4, v7, s40, v4
	s_delay_alu instid0(VALU_DEP_2) | instskip(SKIP_2) | instid1(VALU_DEP_3)
	v_mul_lo_u32 v3, v1, s39
	v_mad_u32 v5, v7, s42, v5
	v_mad_u32 v6, v7, s41, v6
	v_sub_nc_u32_e32 v2, v2, v3
	s_delay_alu instid0(VALU_DEP_1) | instskip(NEXT) | instid1(VALU_DEP_4)
	v_mad_u32 v4, v2, s43, v4
	v_mad_u32 v5, v2, s37, v5
	s_delay_alu instid0(VALU_DEP_4)
	v_mad_u32 v6, v2, s36, v6
	s_cbranch_scc0 .LBB37_108
; %bb.109:
	s_bitcmp1_b32 s31, 0
	s_cselect_b32 s16, -1, 0
	s_delay_alu instid0(SALU_CYCLE_1)
	s_and_b32 vcc_lo, exec_lo, s16
	s_cbranch_vccnz .LBB37_113
; %bb.110:
	s_clause 0x1
	s_load_b96 s[36:38], s[24:25], 0x1c
	s_load_b96 s[40:42], s[24:25], 0xdc
	s_wait_kmcnt 0x0
	v_mul_hi_u32 v2, s37, v1
	s_delay_alu instid0(VALU_DEP_1) | instskip(NEXT) | instid1(VALU_DEP_1)
	v_add_nc_u32_e32 v2, v1, v2
	v_lshrrev_b32_e32 v2, s38, v2
	s_delay_alu instid0(VALU_DEP_1) | instskip(NEXT) | instid1(VALU_DEP_1)
	v_mul_lo_u32 v2, v2, s36
	v_sub_nc_u32_e32 v1, v1, v2
	s_delay_alu instid0(VALU_DEP_1)
	v_mad_u32 v4, v1, s40, v4
	v_mad_u32 v6, v1, s41, v6
	;; [unrolled: 1-line block ×3, first 2 shown]
	s_branch .LBB37_113
.LBB37_111:
                                        ; implicit-def: $vgpr5
                                        ; implicit-def: $vgpr6
                                        ; implicit-def: $vgpr4
	s_branch .LBB37_114
.LBB37_112:
	v_dual_mov_b32 v5, 0 :: v_dual_mov_b32 v6, 0
	v_mov_b32_e32 v4, 0
.LBB37_113:
	s_cbranch_execnz .LBB37_116
.LBB37_114:
	v_mov_b32_e32 v1, 0
	s_and_not1_b32 vcc_lo, exec_lo, s30
	s_delay_alu instid0(VALU_DEP_1) | instskip(NEXT) | instid1(VALU_DEP_1)
	v_mul_u64_e32 v[2:3], s[20:21], v[0:1]
	v_add_nc_u32_e32 v2, v0, v3
	s_delay_alu instid0(VALU_DEP_1) | instskip(NEXT) | instid1(VALU_DEP_1)
	v_lshrrev_b32_e32 v2, s6, v2
	v_mul_lo_u32 v3, v2, s4
	s_delay_alu instid0(VALU_DEP_1) | instskip(NEXT) | instid1(VALU_DEP_1)
	v_sub_nc_u32_e32 v3, v0, v3
	v_mul_lo_u32 v4, v3, s8
	v_mul_lo_u32 v5, v3, s10
	;; [unrolled: 1-line block ×3, first 2 shown]
	s_cbranch_vccnz .LBB37_116
; %bb.115:
	v_mov_b32_e32 v3, v1
	s_delay_alu instid0(VALU_DEP_1) | instskip(NEXT) | instid1(VALU_DEP_1)
	v_mul_u64_e32 v[8:9], s[22:23], v[2:3]
	v_add_nc_u32_e32 v1, v2, v9
	s_delay_alu instid0(VALU_DEP_1) | instskip(NEXT) | instid1(VALU_DEP_1)
	v_lshrrev_b32_e32 v1, s17, v1
	v_mul_lo_u32 v1, v1, s7
	s_delay_alu instid0(VALU_DEP_1) | instskip(NEXT) | instid1(VALU_DEP_1)
	v_sub_nc_u32_e32 v1, v2, v1
	v_mad_u32 v4, v1, s11, v4
	v_mad_u32 v6, v1, s18, v6
	;; [unrolled: 1-line block ×3, first 2 shown]
.LBB37_116:
	global_load_u16 v1, v5, s[14:15]
	global_load_u16 v2, v6, s[2:3]
	s_mov_b32 s24, 0
	s_mov_b32 s16, exec_lo
	s_wait_loadcnt 0x1
	v_sub_nc_u16 v3, 0, v1
	s_delay_alu instid0(VALU_DEP_1)
	v_max_i16 v1, v1, v3
	s_wait_loadcnt 0x0
	v_cmpx_ne_u16_e32 0, v2
	s_cbranch_execz .LBB37_120
; %bb.117:
	v_sub_nc_u16 v3, 0, v2
	s_delay_alu instid0(VALU_DEP_1) | instskip(SKIP_1) | instid1(VALU_DEP_2)
	v_max_i16 v3, v2, v3
	v_and_b32_e32 v2, 0xffff, v1
	v_and_b32_e32 v3, 0xffff, v3
.LBB37_118:                             ; =>This Inner Loop Header: Depth=1
	s_delay_alu instid0(VALU_DEP_1) | instskip(NEXT) | instid1(VALU_DEP_2)
	v_bfe_i32 v6, v2, 0, 16
	v_mov_b32_e32 v1, v3
	s_delay_alu instid0(VALU_DEP_2) | instskip(NEXT) | instid1(VALU_DEP_2)
	v_cvt_f32_i32_e32 v8, v6
	v_bfe_i32 v3, v1, 0, 16
	s_delay_alu instid0(VALU_DEP_1) | instskip(SKIP_1) | instid1(VALU_DEP_2)
	v_cvt_f32_i32_e32 v5, v3
	v_xor_b32_e32 v3, v6, v3
	v_rcp_iflag_f32_e32 v7, v5
	v_nop
	s_delay_alu instid0(TRANS32_DEP_1) | instskip(NEXT) | instid1(VALU_DEP_1)
	v_mul_f32_e32 v6, v8, v7
	v_trunc_f32_e32 v6, v6
	s_delay_alu instid0(VALU_DEP_1) | instskip(NEXT) | instid1(VALU_DEP_1)
	v_dual_ashrrev_i32 v3, 30, v3 :: v_dual_fma_f32 v7, -v6, v5, v8
	v_or_b32_e32 v3, 1, v3
	v_cvt_i32_f32_e32 v6, v6
	s_delay_alu instid0(VALU_DEP_3) | instskip(NEXT) | instid1(VALU_DEP_3)
	v_cmp_ge_f32_e64 vcc_lo, |v7|, |v5|
	v_cndmask_b32_e32 v3, 0, v3, vcc_lo
	s_delay_alu instid0(VALU_DEP_1) | instskip(NEXT) | instid1(VALU_DEP_1)
	v_add_nc_u32_e32 v3, v6, v3
	v_mul_lo_u32 v3, v3, v1
	s_delay_alu instid0(VALU_DEP_1) | instskip(NEXT) | instid1(VALU_DEP_1)
	v_sub_nc_u32_e32 v3, v2, v3
	v_and_b32_e32 v2, 0xffff, v3
	v_bfe_i32 v3, v3, 0, 16
	s_delay_alu instid0(VALU_DEP_2) | instskip(SKIP_2) | instid1(SALU_CYCLE_1)
	v_cmp_eq_u32_e32 vcc_lo, 0, v2
	v_mov_b32_e32 v2, v1
	s_or_b32 s24, vcc_lo, s24
	s_and_not1_b32 exec_lo, exec_lo, s24
	s_cbranch_execnz .LBB37_118
; %bb.119:
	s_or_b32 exec_lo, exec_lo, s24
.LBB37_120:
	s_delay_alu instid0(SALU_CYCLE_1) | instskip(SKIP_4) | instid1(SALU_CYCLE_1)
	s_or_b32 exec_lo, exec_lo, s16
	v_add_nc_u32_e32 v0, 0x80, v0
	global_store_b16 v4, v1, s[0:1]
	s_wait_xcnt 0x0
	s_or_b32 exec_lo, exec_lo, s5
	s_mov_b32 s5, exec_lo
	v_cmpx_gt_i32_e64 s33, v0
	s_cbranch_execz .LBB37_137
.LBB37_121:
	s_and_not1_b32 vcc_lo, exec_lo, s28
	s_cbranch_vccnz .LBB37_127
; %bb.122:
	s_and_not1_b32 vcc_lo, exec_lo, s34
	s_cbranch_vccnz .LBB37_128
; %bb.123:
	v_dual_mov_b32 v4, 0 :: v_dual_mov_b32 v1, v0
	v_dual_mov_b32 v5, 0 :: v_dual_mov_b32 v6, 0
	s_add_co_i32 s16, s31, 1
	s_mov_b64 s[24:25], 0xffffffffffffffe8
	s_and_b32 s16, s16, 30
	s_add_nc_u64 s[24:25], s[12:13], s[24:25]
.LBB37_124:                             ; =>This Inner Loop Header: Depth=1
	s_clause 0x1
	s_load_b128 s[36:39], s[24:25], 0x1c
	s_load_b64 s[34:35], s[24:25], 0x2c
	s_add_co_i32 s16, s16, -2
	s_delay_alu instid0(SALU_CYCLE_1) | instskip(SKIP_2) | instid1(VALU_DEP_1)
	s_cmp_eq_u32 s16, 0
	s_wait_kmcnt 0x0
	v_mul_hi_u32 v2, s37, v1
	v_add_nc_u32_e32 v2, v1, v2
	s_delay_alu instid0(VALU_DEP_1) | instskip(NEXT) | instid1(VALU_DEP_1)
	v_lshrrev_b32_e32 v2, s38, v2
	v_mul_hi_u32 v3, s34, v2
	v_mul_lo_u32 v7, v2, s36
	s_clause 0x1
	s_load_b128 s[40:43], s[24:25], 0xdc
	s_load_b64 s[36:37], s[24:25], 0xec
	s_wait_xcnt 0x0
	s_add_nc_u64 s[24:25], s[24:25], 24
	s_delay_alu instid0(VALU_DEP_2) | instskip(NEXT) | instid1(VALU_DEP_2)
	v_add_nc_u32_e32 v3, v2, v3
	v_sub_nc_u32_e32 v7, v1, v7
	s_delay_alu instid0(VALU_DEP_2) | instskip(SKIP_1) | instid1(VALU_DEP_2)
	v_lshrrev_b32_e32 v1, s35, v3
	s_wait_kmcnt 0x0
	v_mad_u32 v4, v7, s40, v4
	s_delay_alu instid0(VALU_DEP_2) | instskip(SKIP_2) | instid1(VALU_DEP_3)
	v_mul_lo_u32 v3, v1, s39
	v_mad_u32 v6, v7, s42, v6
	v_mad_u32 v5, v7, s41, v5
	v_sub_nc_u32_e32 v2, v2, v3
	s_delay_alu instid0(VALU_DEP_1) | instskip(NEXT) | instid1(VALU_DEP_4)
	v_mad_u32 v4, v2, s43, v4
	v_mad_u32 v6, v2, s37, v6
	s_delay_alu instid0(VALU_DEP_4)
	v_mad_u32 v5, v2, s36, v5
	s_cbranch_scc0 .LBB37_124
; %bb.125:
	s_bitcmp1_b32 s31, 0
	s_cselect_b32 s16, -1, 0
	s_delay_alu instid0(SALU_CYCLE_1)
	s_and_b32 vcc_lo, exec_lo, s16
	s_cbranch_vccnz .LBB37_129
; %bb.126:
	s_clause 0x1
	s_load_b96 s[36:38], s[24:25], 0x1c
	s_load_b96 s[40:42], s[24:25], 0xdc
	s_wait_kmcnt 0x0
	v_mul_hi_u32 v2, s37, v1
	s_delay_alu instid0(VALU_DEP_1) | instskip(NEXT) | instid1(VALU_DEP_1)
	v_add_nc_u32_e32 v2, v1, v2
	v_lshrrev_b32_e32 v2, s38, v2
	s_delay_alu instid0(VALU_DEP_1) | instskip(NEXT) | instid1(VALU_DEP_1)
	v_mul_lo_u32 v2, v2, s36
	v_sub_nc_u32_e32 v1, v1, v2
	s_delay_alu instid0(VALU_DEP_1)
	v_mad_u32 v4, v1, s40, v4
	v_mad_u32 v5, v1, s41, v5
	v_mad_u32 v6, v1, s42, v6
	s_branch .LBB37_129
.LBB37_127:
                                        ; implicit-def: $vgpr6
                                        ; implicit-def: $vgpr5
                                        ; implicit-def: $vgpr4
	s_branch .LBB37_130
.LBB37_128:
	v_dual_mov_b32 v6, 0 :: v_dual_mov_b32 v5, 0
	v_mov_b32_e32 v4, 0
.LBB37_129:
	s_cbranch_execnz .LBB37_132
.LBB37_130:
	v_mov_b32_e32 v1, 0
	s_and_not1_b32 vcc_lo, exec_lo, s30
	s_delay_alu instid0(VALU_DEP_1) | instskip(NEXT) | instid1(VALU_DEP_1)
	v_mul_u64_e32 v[2:3], s[20:21], v[0:1]
	v_add_nc_u32_e32 v2, v0, v3
	s_delay_alu instid0(VALU_DEP_1) | instskip(NEXT) | instid1(VALU_DEP_1)
	v_lshrrev_b32_e32 v2, s6, v2
	v_mul_lo_u32 v3, v2, s4
	s_delay_alu instid0(VALU_DEP_1) | instskip(NEXT) | instid1(VALU_DEP_1)
	v_sub_nc_u32_e32 v0, v0, v3
	v_mul_lo_u32 v4, v0, s8
	v_mul_lo_u32 v6, v0, s10
	;; [unrolled: 1-line block ×3, first 2 shown]
	s_cbranch_vccnz .LBB37_132
; %bb.131:
	v_mov_b32_e32 v3, v1
	s_delay_alu instid0(VALU_DEP_1) | instskip(NEXT) | instid1(VALU_DEP_1)
	v_mul_u64_e32 v[0:1], s[22:23], v[2:3]
	v_add_nc_u32_e32 v0, v2, v1
	s_delay_alu instid0(VALU_DEP_1) | instskip(NEXT) | instid1(VALU_DEP_1)
	v_lshrrev_b32_e32 v0, s17, v0
	v_mul_lo_u32 v0, v0, s7
	s_delay_alu instid0(VALU_DEP_1) | instskip(NEXT) | instid1(VALU_DEP_1)
	v_sub_nc_u32_e32 v0, v2, v0
	v_mad_u32 v4, v0, s11, v4
	v_mad_u32 v5, v0, s18, v5
	;; [unrolled: 1-line block ×3, first 2 shown]
.LBB37_132:
	global_load_u16 v0, v6, s[14:15]
	global_load_u16 v1, v5, s[2:3]
	s_wait_xcnt 0x0
	s_mov_b32 s3, 0
	s_mov_b32 s2, exec_lo
	s_wait_loadcnt 0x1
	v_sub_nc_u16 v2, 0, v0
	s_delay_alu instid0(VALU_DEP_1)
	v_max_i16 v0, v0, v2
	s_wait_loadcnt 0x0
	v_cmpx_ne_u16_e32 0, v1
	s_cbranch_execz .LBB37_136
; %bb.133:
	v_sub_nc_u16 v2, 0, v1
	s_delay_alu instid0(VALU_DEP_1) | instskip(SKIP_1) | instid1(VALU_DEP_2)
	v_max_i16 v2, v1, v2
	v_and_b32_e32 v1, 0xffff, v0
	v_and_b32_e32 v2, 0xffff, v2
.LBB37_134:                             ; =>This Inner Loop Header: Depth=1
	s_delay_alu instid0(VALU_DEP_1) | instskip(NEXT) | instid1(VALU_DEP_2)
	v_bfe_i32 v5, v1, 0, 16
	v_mov_b32_e32 v0, v2
	s_delay_alu instid0(VALU_DEP_2) | instskip(NEXT) | instid1(VALU_DEP_2)
	v_cvt_f32_i32_e32 v7, v5
	v_bfe_i32 v2, v0, 0, 16
	s_delay_alu instid0(VALU_DEP_1) | instskip(SKIP_1) | instid1(VALU_DEP_2)
	v_cvt_f32_i32_e32 v3, v2
	v_xor_b32_e32 v2, v5, v2
	v_rcp_iflag_f32_e32 v6, v3
	v_nop
	s_delay_alu instid0(TRANS32_DEP_1) | instskip(NEXT) | instid1(VALU_DEP_1)
	v_mul_f32_e32 v5, v7, v6
	v_trunc_f32_e32 v5, v5
	s_delay_alu instid0(VALU_DEP_1) | instskip(NEXT) | instid1(VALU_DEP_1)
	v_dual_ashrrev_i32 v2, 30, v2 :: v_dual_fma_f32 v6, -v5, v3, v7
	v_or_b32_e32 v2, 1, v2
	v_cvt_i32_f32_e32 v5, v5
	s_delay_alu instid0(VALU_DEP_3) | instskip(NEXT) | instid1(VALU_DEP_3)
	v_cmp_ge_f32_e64 vcc_lo, |v6|, |v3|
	v_cndmask_b32_e32 v2, 0, v2, vcc_lo
	s_delay_alu instid0(VALU_DEP_1) | instskip(NEXT) | instid1(VALU_DEP_1)
	v_add_nc_u32_e32 v2, v5, v2
	v_mul_lo_u32 v2, v2, v0
	s_delay_alu instid0(VALU_DEP_1) | instskip(NEXT) | instid1(VALU_DEP_1)
	v_sub_nc_u32_e32 v2, v1, v2
	v_and_b32_e32 v1, 0xffff, v2
	v_bfe_i32 v2, v2, 0, 16
	s_delay_alu instid0(VALU_DEP_2) | instskip(SKIP_2) | instid1(SALU_CYCLE_1)
	v_cmp_eq_u32_e32 vcc_lo, 0, v1
	v_mov_b32_e32 v1, v0
	s_or_b32 s3, vcc_lo, s3
	s_and_not1_b32 exec_lo, exec_lo, s3
	s_cbranch_execnz .LBB37_134
; %bb.135:
	s_or_b32 exec_lo, exec_lo, s3
.LBB37_136:
	s_delay_alu instid0(SALU_CYCLE_1)
	s_or_b32 exec_lo, exec_lo, s2
	global_store_b16 v4, v0, s[0:1]
.LBB37_137:
	s_wait_xcnt 0x0
	s_or_b32 exec_lo, exec_lo, s5
                                        ; implicit-def: $vgpr4
                                        ; implicit-def: $vgpr0
.LBB37_138:
	s_and_not1_saveexec_b32 s0, s29
	s_cbranch_execz .LBB37_145
; %bb.139:
	v_cndmask_b32_e64 v10, 0, 1, s28
	s_and_not1_b32 vcc_lo, exec_lo, s28
	s_cbranch_vccnz .LBB37_146
; %bb.140:
	s_cmp_lg_u32 s26, 0
	s_mov_b32 s2, 0
	s_cbranch_scc0 .LBB37_150
; %bb.141:
	s_min_u32 s3, s27, 15
	v_dual_mov_b32 v1, 0 :: v_dual_mov_b32 v2, v0
	v_dual_mov_b32 v6, 0 :: v_dual_mov_b32 v5, 0
	s_add_co_i32 s4, s3, 1
	s_mov_b64 s[0:1], 0xffffffffffffffe8
	s_and_b32 s4, s4, 30
	s_add_nc_u64 s[0:1], s[12:13], s[0:1]
.LBB37_142:                             ; =>This Inner Loop Header: Depth=1
	s_clause 0x1
	s_load_b128 s[8:11], s[0:1], 0x1c
	s_load_b64 s[6:7], s[0:1], 0x2c
	s_add_co_i32 s4, s4, -2
	s_delay_alu instid0(SALU_CYCLE_1) | instskip(SKIP_2) | instid1(VALU_DEP_1)
	s_cmp_lg_u32 s4, 0
	s_wait_kmcnt 0x0
	v_mul_hi_u32 v3, s9, v2
	v_add_nc_u32_e32 v3, v2, v3
	s_delay_alu instid0(VALU_DEP_1) | instskip(NEXT) | instid1(VALU_DEP_1)
	v_lshrrev_b32_e32 v3, s10, v3
	v_mul_hi_u32 v7, s6, v3
	v_mul_lo_u32 v8, v3, s8
	s_clause 0x1
	s_load_b128 s[16:19], s[0:1], 0xdc
	s_load_b64 s[8:9], s[0:1], 0xec
	s_wait_xcnt 0x0
	s_add_nc_u64 s[0:1], s[0:1], 24
	s_delay_alu instid0(VALU_DEP_1) | instskip(NEXT) | instid1(VALU_DEP_1)
	v_dual_add_nc_u32 v7, v3, v7 :: v_dual_sub_nc_u32 v8, v2, v8
	v_lshrrev_b32_e32 v2, s7, v7
	s_wait_kmcnt 0x0
	s_delay_alu instid0(VALU_DEP_2) | instskip(NEXT) | instid1(VALU_DEP_2)
	v_mad_u32 v1, v8, s16, v1
	v_mul_lo_u32 v7, v2, s11
	v_mad_u32 v5, v8, s18, v5
	v_mad_u32 v6, v8, s17, v6
	s_delay_alu instid0(VALU_DEP_3) | instskip(NEXT) | instid1(VALU_DEP_1)
	v_sub_nc_u32_e32 v3, v3, v7
	v_mad_u32 v1, v3, s19, v1
	s_delay_alu instid0(VALU_DEP_4) | instskip(NEXT) | instid1(VALU_DEP_4)
	v_mad_u32 v5, v3, s9, v5
	v_mad_u32 v6, v3, s8, v6
	s_cbranch_scc1 .LBB37_142
; %bb.143:
	s_bitcmp1_b32 s3, 0
	s_cselect_b32 s3, -1, 0
	s_delay_alu instid0(SALU_CYCLE_1)
	s_and_b32 vcc_lo, exec_lo, s3
	s_cbranch_vccnz .LBB37_147
; %bb.144:
	s_clause 0x1
	s_load_b96 s[4:6], s[0:1], 0x1c
	s_load_b96 s[8:10], s[0:1], 0xdc
	s_wait_kmcnt 0x0
	v_mul_hi_u32 v3, s5, v2
	s_delay_alu instid0(VALU_DEP_1) | instskip(NEXT) | instid1(VALU_DEP_1)
	v_add_nc_u32_e32 v3, v2, v3
	v_lshrrev_b32_e32 v3, s6, v3
	s_delay_alu instid0(VALU_DEP_1) | instskip(NEXT) | instid1(VALU_DEP_1)
	v_mul_lo_u32 v3, v3, s4
	v_sub_nc_u32_e32 v2, v2, v3
	s_delay_alu instid0(VALU_DEP_1)
	v_mad_u32 v1, v2, s8, v1
	v_mad_u32 v6, v2, s9, v6
	;; [unrolled: 1-line block ×3, first 2 shown]
	s_and_not1_b32 vcc_lo, exec_lo, s2
	s_cbranch_vccz .LBB37_148
	s_branch .LBB37_151
.LBB37_145:
	s_endpgm
.LBB37_146:
	s_mov_b32 s2, -1
                                        ; implicit-def: $vgpr5
                                        ; implicit-def: $vgpr6
                                        ; implicit-def: $vgpr1
.LBB37_147:
	s_delay_alu instid0(SALU_CYCLE_1)
	s_and_not1_b32 vcc_lo, exec_lo, s2
	s_cbranch_vccnz .LBB37_151
.LBB37_148:
	s_clause 0x1
	s_load_b96 s[0:2], s[12:13], 0x4
	s_load_b96 s[4:6], s[12:13], 0xc4
	s_cmp_lt_u32 s26, 2
	s_wait_kmcnt 0x0
	v_mul_hi_u32 v1, s1, v0
	s_delay_alu instid0(VALU_DEP_1) | instskip(NEXT) | instid1(VALU_DEP_1)
	v_add_nc_u32_e32 v1, v0, v1
	v_lshrrev_b32_e32 v2, s2, v1
	s_delay_alu instid0(VALU_DEP_1) | instskip(NEXT) | instid1(VALU_DEP_1)
	v_mul_lo_u32 v1, v2, s0
	v_sub_nc_u32_e32 v3, v0, v1
	s_delay_alu instid0(VALU_DEP_1)
	v_mul_lo_u32 v1, v3, s4
	v_mul_lo_u32 v5, v3, s6
	;; [unrolled: 1-line block ×3, first 2 shown]
	s_cbranch_scc1 .LBB37_151
; %bb.149:
	s_clause 0x1
	s_load_b96 s[0:2], s[12:13], 0x10
	s_load_b96 s[4:6], s[12:13], 0xd0
	s_wait_kmcnt 0x0
	v_mul_hi_u32 v3, s1, v2
	s_delay_alu instid0(VALU_DEP_1) | instskip(NEXT) | instid1(VALU_DEP_1)
	v_add_nc_u32_e32 v3, v2, v3
	v_lshrrev_b32_e32 v3, s2, v3
	s_delay_alu instid0(VALU_DEP_1) | instskip(NEXT) | instid1(VALU_DEP_1)
	v_mul_lo_u32 v3, v3, s0
	v_sub_nc_u32_e32 v2, v2, v3
	s_delay_alu instid0(VALU_DEP_1)
	v_mad_u32 v1, v2, s4, v1
	v_mad_u32 v6, v2, s5, v6
	;; [unrolled: 1-line block ×3, first 2 shown]
	s_branch .LBB37_151
.LBB37_150:
	v_dual_mov_b32 v5, 0 :: v_dual_mov_b32 v6, 0
	v_mov_b32_e32 v1, 0
	s_and_not1_b32 vcc_lo, exec_lo, s2
	s_cbranch_vccz .LBB37_148
.LBB37_151:
	v_cmp_ne_u32_e32 vcc_lo, 1, v10
	v_add_nc_u32_e32 v3, 0x80, v0
	s_cbranch_vccnz .LBB37_157
; %bb.152:
	s_cmp_lg_u32 s26, 0
	s_mov_b32 s2, 0
	s_cbranch_scc0 .LBB37_161
; %bb.153:
	s_min_u32 s3, s27, 15
	v_dual_mov_b32 v2, 0 :: v_dual_mov_b32 v7, v3
	v_dual_mov_b32 v9, 0 :: v_dual_mov_b32 v8, 0
	s_add_co_i32 s4, s3, 1
	s_mov_b64 s[0:1], 0xffffffffffffffe8
	s_and_b32 s4, s4, 30
	s_add_nc_u64 s[0:1], s[12:13], s[0:1]
.LBB37_154:                             ; =>This Inner Loop Header: Depth=1
	s_clause 0x1
	s_load_b128 s[8:11], s[0:1], 0x1c
	s_load_b64 s[6:7], s[0:1], 0x2c
	s_add_co_i32 s4, s4, -2
	s_delay_alu instid0(SALU_CYCLE_1) | instskip(SKIP_2) | instid1(VALU_DEP_1)
	s_cmp_lg_u32 s4, 0
	s_wait_kmcnt 0x0
	v_mul_hi_u32 v11, s9, v7
	v_add_nc_u32_e32 v11, v7, v11
	s_delay_alu instid0(VALU_DEP_1) | instskip(NEXT) | instid1(VALU_DEP_1)
	v_lshrrev_b32_e32 v11, s10, v11
	v_mul_hi_u32 v12, s6, v11
	v_mul_lo_u32 v13, v11, s8
	s_clause 0x1
	s_load_b128 s[16:19], s[0:1], 0xdc
	s_load_b64 s[8:9], s[0:1], 0xec
	s_wait_xcnt 0x0
	s_add_nc_u64 s[0:1], s[0:1], 24
	s_delay_alu instid0(VALU_DEP_2) | instskip(NEXT) | instid1(VALU_DEP_1)
	v_add_nc_u32_e32 v12, v11, v12
	v_dual_sub_nc_u32 v13, v7, v13 :: v_dual_lshrrev_b32 v7, s7, v12
	s_wait_kmcnt 0x0
	s_delay_alu instid0(VALU_DEP_1) | instskip(NEXT) | instid1(VALU_DEP_2)
	v_mad_u32 v2, v13, s16, v2
	v_mul_lo_u32 v12, v7, s11
	v_mad_u32 v8, v13, s18, v8
	v_mad_u32 v9, v13, s17, v9
	s_delay_alu instid0(VALU_DEP_3) | instskip(NEXT) | instid1(VALU_DEP_1)
	v_sub_nc_u32_e32 v11, v11, v12
	v_mad_u32 v2, v11, s19, v2
	s_delay_alu instid0(VALU_DEP_4) | instskip(NEXT) | instid1(VALU_DEP_4)
	v_mad_u32 v8, v11, s9, v8
	v_mad_u32 v9, v11, s8, v9
	s_cbranch_scc1 .LBB37_154
; %bb.155:
	s_bitcmp1_b32 s3, 0
	s_cselect_b32 s3, -1, 0
	s_delay_alu instid0(SALU_CYCLE_1)
	s_and_b32 vcc_lo, exec_lo, s3
	s_cbranch_vccnz .LBB37_158
; %bb.156:
	s_clause 0x1
	s_load_b96 s[4:6], s[0:1], 0x1c
	s_load_b96 s[8:10], s[0:1], 0xdc
	s_wait_kmcnt 0x0
	v_mul_hi_u32 v11, s5, v7
	s_delay_alu instid0(VALU_DEP_1) | instskip(NEXT) | instid1(VALU_DEP_1)
	v_add_nc_u32_e32 v11, v7, v11
	v_lshrrev_b32_e32 v11, s6, v11
	s_delay_alu instid0(VALU_DEP_1) | instskip(NEXT) | instid1(VALU_DEP_1)
	v_mul_lo_u32 v11, v11, s4
	v_sub_nc_u32_e32 v7, v7, v11
	s_delay_alu instid0(VALU_DEP_1)
	v_mad_u32 v2, v7, s8, v2
	v_mad_u32 v9, v7, s9, v9
	;; [unrolled: 1-line block ×3, first 2 shown]
	s_and_not1_b32 vcc_lo, exec_lo, s2
	s_cbranch_vccz .LBB37_159
	s_branch .LBB37_162
.LBB37_157:
	s_mov_b32 s2, -1
                                        ; implicit-def: $vgpr8
                                        ; implicit-def: $vgpr9
                                        ; implicit-def: $vgpr2
.LBB37_158:
	s_delay_alu instid0(SALU_CYCLE_1)
	s_and_not1_b32 vcc_lo, exec_lo, s2
	s_cbranch_vccnz .LBB37_162
.LBB37_159:
	s_clause 0x1
	s_load_b96 s[0:2], s[12:13], 0x4
	s_load_b96 s[4:6], s[12:13], 0xc4
	s_cmp_lt_u32 s26, 2
	s_wait_kmcnt 0x0
	v_mul_hi_u32 v2, s1, v3
	s_delay_alu instid0(VALU_DEP_1) | instskip(NEXT) | instid1(VALU_DEP_1)
	v_add_nc_u32_e32 v2, v3, v2
	v_lshrrev_b32_e32 v7, s2, v2
	s_delay_alu instid0(VALU_DEP_1) | instskip(NEXT) | instid1(VALU_DEP_1)
	v_mul_lo_u32 v2, v7, s0
	v_sub_nc_u32_e32 v3, v3, v2
	s_delay_alu instid0(VALU_DEP_1)
	v_mul_lo_u32 v2, v3, s4
	v_mul_lo_u32 v8, v3, s6
	;; [unrolled: 1-line block ×3, first 2 shown]
	s_cbranch_scc1 .LBB37_162
; %bb.160:
	s_clause 0x1
	s_load_b96 s[0:2], s[12:13], 0x10
	s_load_b96 s[4:6], s[12:13], 0xd0
	s_wait_kmcnt 0x0
	v_mul_hi_u32 v3, s1, v7
	s_delay_alu instid0(VALU_DEP_1) | instskip(NEXT) | instid1(VALU_DEP_1)
	v_add_nc_u32_e32 v3, v7, v3
	v_lshrrev_b32_e32 v3, s2, v3
	s_delay_alu instid0(VALU_DEP_1) | instskip(NEXT) | instid1(VALU_DEP_1)
	v_mul_lo_u32 v3, v3, s0
	v_sub_nc_u32_e32 v3, v7, v3
	s_delay_alu instid0(VALU_DEP_1)
	v_mad_u32 v2, v3, s4, v2
	v_mad_u32 v9, v3, s5, v9
	;; [unrolled: 1-line block ×3, first 2 shown]
	s_branch .LBB37_162
.LBB37_161:
	v_dual_mov_b32 v8, 0 :: v_dual_mov_b32 v9, 0
	v_mov_b32_e32 v2, 0
	s_and_not1_b32 vcc_lo, exec_lo, s2
	s_cbranch_vccz .LBB37_159
.LBB37_162:
	v_cmp_ne_u32_e32 vcc_lo, 1, v10
	v_add_nc_u32_e32 v7, 0x100, v0
	s_cbranch_vccnz .LBB37_168
; %bb.163:
	s_cmp_lg_u32 s26, 0
	s_mov_b32 s2, 0
	s_cbranch_scc0 .LBB37_172
; %bb.164:
	s_min_u32 s3, s27, 15
	v_dual_mov_b32 v3, 0 :: v_dual_mov_b32 v11, v7
	v_dual_mov_b32 v13, 0 :: v_dual_mov_b32 v12, 0
	s_add_co_i32 s4, s3, 1
	s_mov_b64 s[0:1], 0xffffffffffffffe8
	s_and_b32 s4, s4, 30
	s_add_nc_u64 s[0:1], s[12:13], s[0:1]
.LBB37_165:                             ; =>This Inner Loop Header: Depth=1
	s_clause 0x1
	s_load_b128 s[8:11], s[0:1], 0x1c
	s_load_b64 s[6:7], s[0:1], 0x2c
	s_add_co_i32 s4, s4, -2
	s_delay_alu instid0(SALU_CYCLE_1) | instskip(SKIP_2) | instid1(VALU_DEP_1)
	s_cmp_lg_u32 s4, 0
	s_wait_kmcnt 0x0
	v_mul_hi_u32 v14, s9, v11
	v_add_nc_u32_e32 v14, v11, v14
	s_delay_alu instid0(VALU_DEP_1) | instskip(NEXT) | instid1(VALU_DEP_1)
	v_lshrrev_b32_e32 v14, s10, v14
	v_mul_hi_u32 v15, s6, v14
	v_mul_lo_u32 v16, v14, s8
	s_clause 0x1
	s_load_b128 s[16:19], s[0:1], 0xdc
	s_load_b64 s[8:9], s[0:1], 0xec
	s_wait_xcnt 0x0
	s_add_nc_u64 s[0:1], s[0:1], 24
	s_delay_alu instid0(VALU_DEP_1) | instskip(NEXT) | instid1(VALU_DEP_1)
	v_dual_add_nc_u32 v15, v14, v15 :: v_dual_sub_nc_u32 v16, v11, v16
	v_lshrrev_b32_e32 v11, s7, v15
	s_wait_kmcnt 0x0
	s_delay_alu instid0(VALU_DEP_2) | instskip(NEXT) | instid1(VALU_DEP_2)
	v_mad_u32 v3, v16, s16, v3
	v_mul_lo_u32 v15, v11, s11
	v_mad_u32 v12, v16, s18, v12
	v_mad_u32 v13, v16, s17, v13
	s_delay_alu instid0(VALU_DEP_3) | instskip(NEXT) | instid1(VALU_DEP_1)
	v_sub_nc_u32_e32 v14, v14, v15
	v_mad_u32 v3, v14, s19, v3
	s_delay_alu instid0(VALU_DEP_4) | instskip(NEXT) | instid1(VALU_DEP_4)
	v_mad_u32 v12, v14, s9, v12
	v_mad_u32 v13, v14, s8, v13
	s_cbranch_scc1 .LBB37_165
; %bb.166:
	s_bitcmp1_b32 s3, 0
	s_cselect_b32 s3, -1, 0
	s_delay_alu instid0(SALU_CYCLE_1)
	s_and_b32 vcc_lo, exec_lo, s3
	s_cbranch_vccnz .LBB37_169
; %bb.167:
	s_clause 0x1
	s_load_b96 s[4:6], s[0:1], 0x1c
	s_load_b96 s[8:10], s[0:1], 0xdc
	s_wait_kmcnt 0x0
	v_mul_hi_u32 v14, s5, v11
	s_delay_alu instid0(VALU_DEP_1) | instskip(NEXT) | instid1(VALU_DEP_1)
	v_add_nc_u32_e32 v14, v11, v14
	v_lshrrev_b32_e32 v14, s6, v14
	s_delay_alu instid0(VALU_DEP_1) | instskip(NEXT) | instid1(VALU_DEP_1)
	v_mul_lo_u32 v14, v14, s4
	v_sub_nc_u32_e32 v11, v11, v14
	s_delay_alu instid0(VALU_DEP_1)
	v_mad_u32 v3, v11, s8, v3
	v_mad_u32 v13, v11, s9, v13
	;; [unrolled: 1-line block ×3, first 2 shown]
	s_and_not1_b32 vcc_lo, exec_lo, s2
	s_cbranch_vccz .LBB37_170
	s_branch .LBB37_173
.LBB37_168:
	s_mov_b32 s2, -1
                                        ; implicit-def: $vgpr12
                                        ; implicit-def: $vgpr13
                                        ; implicit-def: $vgpr3
.LBB37_169:
	s_delay_alu instid0(SALU_CYCLE_1)
	s_and_not1_b32 vcc_lo, exec_lo, s2
	s_cbranch_vccnz .LBB37_173
.LBB37_170:
	s_clause 0x1
	s_load_b96 s[0:2], s[12:13], 0x4
	s_load_b96 s[4:6], s[12:13], 0xc4
	s_cmp_lt_u32 s26, 2
	s_wait_kmcnt 0x0
	v_mul_hi_u32 v3, s1, v7
	s_delay_alu instid0(VALU_DEP_1) | instskip(NEXT) | instid1(VALU_DEP_1)
	v_add_nc_u32_e32 v3, v7, v3
	v_lshrrev_b32_e32 v11, s2, v3
	s_delay_alu instid0(VALU_DEP_1) | instskip(NEXT) | instid1(VALU_DEP_1)
	v_mul_lo_u32 v3, v11, s0
	v_sub_nc_u32_e32 v7, v7, v3
	s_delay_alu instid0(VALU_DEP_1)
	v_mul_lo_u32 v3, v7, s4
	v_mul_lo_u32 v12, v7, s6
	;; [unrolled: 1-line block ×3, first 2 shown]
	s_cbranch_scc1 .LBB37_173
; %bb.171:
	s_clause 0x1
	s_load_b96 s[0:2], s[12:13], 0x10
	s_load_b96 s[4:6], s[12:13], 0xd0
	s_wait_kmcnt 0x0
	v_mul_hi_u32 v7, s1, v11
	s_delay_alu instid0(VALU_DEP_1) | instskip(NEXT) | instid1(VALU_DEP_1)
	v_add_nc_u32_e32 v7, v11, v7
	v_lshrrev_b32_e32 v7, s2, v7
	s_delay_alu instid0(VALU_DEP_1) | instskip(NEXT) | instid1(VALU_DEP_1)
	v_mul_lo_u32 v7, v7, s0
	v_sub_nc_u32_e32 v7, v11, v7
	s_delay_alu instid0(VALU_DEP_1)
	v_mad_u32 v3, v7, s4, v3
	v_mad_u32 v13, v7, s5, v13
	;; [unrolled: 1-line block ×3, first 2 shown]
	s_branch .LBB37_173
.LBB37_172:
	v_dual_mov_b32 v12, 0 :: v_dual_mov_b32 v13, 0
	v_mov_b32_e32 v3, 0
	s_and_not1_b32 vcc_lo, exec_lo, s2
	s_cbranch_vccz .LBB37_170
.LBB37_173:
	v_cmp_ne_u32_e32 vcc_lo, 1, v10
	v_add_nc_u32_e32 v11, 0x180, v0
	s_cbranch_vccnz .LBB37_179
; %bb.174:
	s_cmp_lg_u32 s26, 0
	s_mov_b32 s2, 0
	s_cbranch_scc0 .LBB37_183
; %bb.175:
	s_min_u32 s3, s27, 15
	v_dual_mov_b32 v7, 0 :: v_dual_mov_b32 v16, v11
	v_dual_mov_b32 v15, 0 :: v_dual_mov_b32 v14, 0
	s_add_co_i32 s4, s3, 1
	s_mov_b64 s[0:1], 0xffffffffffffffe8
	s_and_b32 s4, s4, 30
	s_add_nc_u64 s[0:1], s[12:13], s[0:1]
.LBB37_176:                             ; =>This Inner Loop Header: Depth=1
	s_clause 0x1
	s_load_b128 s[8:11], s[0:1], 0x1c
	s_load_b64 s[6:7], s[0:1], 0x2c
	s_add_co_i32 s4, s4, -2
	s_delay_alu instid0(SALU_CYCLE_1) | instskip(SKIP_2) | instid1(VALU_DEP_1)
	s_cmp_lg_u32 s4, 0
	s_wait_kmcnt 0x0
	v_mul_hi_u32 v17, s9, v16
	v_add_nc_u32_e32 v17, v16, v17
	s_delay_alu instid0(VALU_DEP_1) | instskip(NEXT) | instid1(VALU_DEP_1)
	v_lshrrev_b32_e32 v17, s10, v17
	v_mul_hi_u32 v18, s6, v17
	v_mul_lo_u32 v19, v17, s8
	s_clause 0x1
	s_load_b128 s[16:19], s[0:1], 0xdc
	s_load_b64 s[8:9], s[0:1], 0xec
	s_wait_xcnt 0x0
	s_add_nc_u64 s[0:1], s[0:1], 24
	s_delay_alu instid0(VALU_DEP_1) | instskip(NEXT) | instid1(VALU_DEP_1)
	v_dual_add_nc_u32 v18, v17, v18 :: v_dual_sub_nc_u32 v19, v16, v19
	v_lshrrev_b32_e32 v16, s7, v18
	s_wait_kmcnt 0x0
	s_delay_alu instid0(VALU_DEP_2) | instskip(NEXT) | instid1(VALU_DEP_2)
	v_mad_u32 v7, v19, s16, v7
	v_mul_lo_u32 v18, v16, s11
	v_mad_u32 v14, v19, s18, v14
	v_mad_u32 v15, v19, s17, v15
	s_delay_alu instid0(VALU_DEP_3) | instskip(NEXT) | instid1(VALU_DEP_1)
	v_sub_nc_u32_e32 v17, v17, v18
	v_mad_u32 v7, v17, s19, v7
	s_delay_alu instid0(VALU_DEP_4) | instskip(NEXT) | instid1(VALU_DEP_4)
	v_mad_u32 v14, v17, s9, v14
	v_mad_u32 v15, v17, s8, v15
	s_cbranch_scc1 .LBB37_176
; %bb.177:
	s_bitcmp1_b32 s3, 0
	s_cselect_b32 s3, -1, 0
	s_delay_alu instid0(SALU_CYCLE_1)
	s_and_b32 vcc_lo, exec_lo, s3
	s_cbranch_vccnz .LBB37_180
; %bb.178:
	s_clause 0x1
	s_load_b96 s[4:6], s[0:1], 0x1c
	s_load_b96 s[8:10], s[0:1], 0xdc
	s_wait_kmcnt 0x0
	v_mul_hi_u32 v17, s5, v16
	s_delay_alu instid0(VALU_DEP_1) | instskip(NEXT) | instid1(VALU_DEP_1)
	v_add_nc_u32_e32 v17, v16, v17
	v_lshrrev_b32_e32 v17, s6, v17
	s_delay_alu instid0(VALU_DEP_1) | instskip(NEXT) | instid1(VALU_DEP_1)
	v_mul_lo_u32 v17, v17, s4
	v_sub_nc_u32_e32 v16, v16, v17
	s_delay_alu instid0(VALU_DEP_1)
	v_mad_u32 v7, v16, s8, v7
	v_mad_u32 v15, v16, s9, v15
	;; [unrolled: 1-line block ×3, first 2 shown]
	s_and_not1_b32 vcc_lo, exec_lo, s2
	s_cbranch_vccz .LBB37_181
	s_branch .LBB37_184
.LBB37_179:
	s_mov_b32 s2, -1
                                        ; implicit-def: $vgpr14
                                        ; implicit-def: $vgpr15
                                        ; implicit-def: $vgpr7
.LBB37_180:
	s_delay_alu instid0(SALU_CYCLE_1)
	s_and_not1_b32 vcc_lo, exec_lo, s2
	s_cbranch_vccnz .LBB37_184
.LBB37_181:
	s_clause 0x1
	s_load_b96 s[0:2], s[12:13], 0x4
	s_load_b96 s[4:6], s[12:13], 0xc4
	s_cmp_lt_u32 s26, 2
	s_wait_kmcnt 0x0
	v_mul_hi_u32 v7, s1, v11
	s_delay_alu instid0(VALU_DEP_1) | instskip(NEXT) | instid1(VALU_DEP_1)
	v_add_nc_u32_e32 v7, v11, v7
	v_lshrrev_b32_e32 v16, s2, v7
	s_delay_alu instid0(VALU_DEP_1) | instskip(NEXT) | instid1(VALU_DEP_1)
	v_mul_lo_u32 v7, v16, s0
	v_sub_nc_u32_e32 v11, v11, v7
	s_delay_alu instid0(VALU_DEP_1)
	v_mul_lo_u32 v7, v11, s4
	v_mul_lo_u32 v14, v11, s6
	;; [unrolled: 1-line block ×3, first 2 shown]
	s_cbranch_scc1 .LBB37_184
; %bb.182:
	s_clause 0x1
	s_load_b96 s[0:2], s[12:13], 0x10
	s_load_b96 s[4:6], s[12:13], 0xd0
	s_wait_kmcnt 0x0
	v_mul_hi_u32 v11, s1, v16
	s_delay_alu instid0(VALU_DEP_1) | instskip(NEXT) | instid1(VALU_DEP_1)
	v_add_nc_u32_e32 v11, v16, v11
	v_lshrrev_b32_e32 v11, s2, v11
	s_delay_alu instid0(VALU_DEP_1) | instskip(NEXT) | instid1(VALU_DEP_1)
	v_mul_lo_u32 v11, v11, s0
	v_sub_nc_u32_e32 v11, v16, v11
	s_delay_alu instid0(VALU_DEP_1)
	v_mad_u32 v7, v11, s4, v7
	v_mad_u32 v15, v11, s5, v15
	;; [unrolled: 1-line block ×3, first 2 shown]
	s_branch .LBB37_184
.LBB37_183:
	v_dual_mov_b32 v14, 0 :: v_dual_mov_b32 v15, 0
	v_mov_b32_e32 v7, 0
	s_and_not1_b32 vcc_lo, exec_lo, s2
	s_cbranch_vccz .LBB37_181
.LBB37_184:
	v_cmp_ne_u32_e32 vcc_lo, 1, v10
	v_add_nc_u32_e32 v16, 0x200, v0
	s_cbranch_vccnz .LBB37_190
; %bb.185:
	s_cmp_lg_u32 s26, 0
	s_mov_b32 s2, 0
	s_cbranch_scc0 .LBB37_194
; %bb.186:
	s_min_u32 s3, s27, 15
	v_dual_mov_b32 v11, 0 :: v_dual_mov_b32 v19, v16
	v_dual_mov_b32 v18, 0 :: v_dual_mov_b32 v17, 0
	s_add_co_i32 s4, s3, 1
	s_mov_b64 s[0:1], 0xffffffffffffffe8
	s_and_b32 s4, s4, 30
	s_add_nc_u64 s[0:1], s[12:13], s[0:1]
.LBB37_187:                             ; =>This Inner Loop Header: Depth=1
	s_clause 0x1
	s_load_b128 s[8:11], s[0:1], 0x1c
	s_load_b64 s[6:7], s[0:1], 0x2c
	s_add_co_i32 s4, s4, -2
	s_delay_alu instid0(SALU_CYCLE_1) | instskip(SKIP_2) | instid1(VALU_DEP_1)
	s_cmp_lg_u32 s4, 0
	s_wait_kmcnt 0x0
	v_mul_hi_u32 v20, s9, v19
	v_add_nc_u32_e32 v20, v19, v20
	s_delay_alu instid0(VALU_DEP_1) | instskip(NEXT) | instid1(VALU_DEP_1)
	v_lshrrev_b32_e32 v20, s10, v20
	v_mul_hi_u32 v21, s6, v20
	v_mul_lo_u32 v22, v20, s8
	s_clause 0x1
	s_load_b128 s[16:19], s[0:1], 0xdc
	s_load_b64 s[8:9], s[0:1], 0xec
	s_wait_xcnt 0x0
	s_add_nc_u64 s[0:1], s[0:1], 24
	s_delay_alu instid0(VALU_DEP_1) | instskip(NEXT) | instid1(VALU_DEP_1)
	v_dual_add_nc_u32 v21, v20, v21 :: v_dual_sub_nc_u32 v22, v19, v22
	v_lshrrev_b32_e32 v19, s7, v21
	s_wait_kmcnt 0x0
	s_delay_alu instid0(VALU_DEP_2) | instskip(NEXT) | instid1(VALU_DEP_2)
	v_mad_u32 v11, v22, s16, v11
	v_mul_lo_u32 v21, v19, s11
	v_mad_u32 v17, v22, s18, v17
	v_mad_u32 v18, v22, s17, v18
	s_delay_alu instid0(VALU_DEP_3) | instskip(NEXT) | instid1(VALU_DEP_1)
	v_sub_nc_u32_e32 v20, v20, v21
	v_mad_u32 v11, v20, s19, v11
	s_delay_alu instid0(VALU_DEP_4) | instskip(NEXT) | instid1(VALU_DEP_4)
	v_mad_u32 v17, v20, s9, v17
	v_mad_u32 v18, v20, s8, v18
	s_cbranch_scc1 .LBB37_187
; %bb.188:
	s_bitcmp1_b32 s3, 0
	s_cselect_b32 s3, -1, 0
	s_delay_alu instid0(SALU_CYCLE_1)
	s_and_b32 vcc_lo, exec_lo, s3
	s_cbranch_vccnz .LBB37_191
; %bb.189:
	s_clause 0x1
	s_load_b96 s[4:6], s[0:1], 0x1c
	s_load_b96 s[8:10], s[0:1], 0xdc
	s_wait_kmcnt 0x0
	v_mul_hi_u32 v20, s5, v19
	s_delay_alu instid0(VALU_DEP_1) | instskip(NEXT) | instid1(VALU_DEP_1)
	v_add_nc_u32_e32 v20, v19, v20
	v_lshrrev_b32_e32 v20, s6, v20
	s_delay_alu instid0(VALU_DEP_1) | instskip(NEXT) | instid1(VALU_DEP_1)
	v_mul_lo_u32 v20, v20, s4
	v_sub_nc_u32_e32 v19, v19, v20
	s_delay_alu instid0(VALU_DEP_1)
	v_mad_u32 v11, v19, s8, v11
	v_mad_u32 v18, v19, s9, v18
	;; [unrolled: 1-line block ×3, first 2 shown]
	s_and_not1_b32 vcc_lo, exec_lo, s2
	s_cbranch_vccz .LBB37_192
	s_branch .LBB37_195
.LBB37_190:
	s_mov_b32 s2, -1
                                        ; implicit-def: $vgpr17
                                        ; implicit-def: $vgpr18
                                        ; implicit-def: $vgpr11
.LBB37_191:
	s_delay_alu instid0(SALU_CYCLE_1)
	s_and_not1_b32 vcc_lo, exec_lo, s2
	s_cbranch_vccnz .LBB37_195
.LBB37_192:
	s_clause 0x1
	s_load_b96 s[0:2], s[12:13], 0x4
	s_load_b96 s[4:6], s[12:13], 0xc4
	s_cmp_lt_u32 s26, 2
	s_wait_kmcnt 0x0
	v_mul_hi_u32 v11, s1, v16
	s_delay_alu instid0(VALU_DEP_1) | instskip(NEXT) | instid1(VALU_DEP_1)
	v_add_nc_u32_e32 v11, v16, v11
	v_lshrrev_b32_e32 v19, s2, v11
	s_delay_alu instid0(VALU_DEP_1) | instskip(NEXT) | instid1(VALU_DEP_1)
	v_mul_lo_u32 v11, v19, s0
	v_sub_nc_u32_e32 v16, v16, v11
	s_delay_alu instid0(VALU_DEP_1)
	v_mul_lo_u32 v11, v16, s4
	v_mul_lo_u32 v17, v16, s6
	;; [unrolled: 1-line block ×3, first 2 shown]
	s_cbranch_scc1 .LBB37_195
; %bb.193:
	s_clause 0x1
	s_load_b96 s[0:2], s[12:13], 0x10
	s_load_b96 s[4:6], s[12:13], 0xd0
	s_wait_kmcnt 0x0
	v_mul_hi_u32 v16, s1, v19
	s_delay_alu instid0(VALU_DEP_1) | instskip(NEXT) | instid1(VALU_DEP_1)
	v_add_nc_u32_e32 v16, v19, v16
	v_lshrrev_b32_e32 v16, s2, v16
	s_delay_alu instid0(VALU_DEP_1) | instskip(NEXT) | instid1(VALU_DEP_1)
	v_mul_lo_u32 v16, v16, s0
	v_sub_nc_u32_e32 v16, v19, v16
	s_delay_alu instid0(VALU_DEP_1)
	v_mad_u32 v11, v16, s4, v11
	v_mad_u32 v18, v16, s5, v18
	;; [unrolled: 1-line block ×3, first 2 shown]
	s_branch .LBB37_195
.LBB37_194:
	v_dual_mov_b32 v17, 0 :: v_dual_mov_b32 v18, 0
	v_mov_b32_e32 v11, 0
	s_and_not1_b32 vcc_lo, exec_lo, s2
	s_cbranch_vccz .LBB37_192
.LBB37_195:
	v_cmp_ne_u32_e32 vcc_lo, 1, v10
	v_add_nc_u32_e32 v21, 0x280, v0
	s_cbranch_vccnz .LBB37_201
; %bb.196:
	s_cmp_lg_u32 s26, 0
	s_mov_b32 s2, 0
	s_cbranch_scc0 .LBB37_205
; %bb.197:
	s_min_u32 s3, s27, 15
	v_dual_mov_b32 v16, 0 :: v_dual_mov_b32 v22, v21
	v_dual_mov_b32 v20, 0 :: v_dual_mov_b32 v19, 0
	s_add_co_i32 s4, s3, 1
	s_mov_b64 s[0:1], 0xffffffffffffffe8
	s_and_b32 s4, s4, 30
	s_add_nc_u64 s[0:1], s[12:13], s[0:1]
.LBB37_198:                             ; =>This Inner Loop Header: Depth=1
	s_clause 0x1
	s_load_b128 s[8:11], s[0:1], 0x1c
	s_load_b64 s[6:7], s[0:1], 0x2c
	s_add_co_i32 s4, s4, -2
	s_delay_alu instid0(SALU_CYCLE_1) | instskip(SKIP_2) | instid1(VALU_DEP_1)
	s_cmp_lg_u32 s4, 0
	s_wait_kmcnt 0x0
	v_mul_hi_u32 v23, s9, v22
	v_add_nc_u32_e32 v23, v22, v23
	s_delay_alu instid0(VALU_DEP_1) | instskip(NEXT) | instid1(VALU_DEP_1)
	v_lshrrev_b32_e32 v23, s10, v23
	v_mul_hi_u32 v24, s6, v23
	v_mul_lo_u32 v25, v23, s8
	s_clause 0x1
	s_load_b128 s[16:19], s[0:1], 0xdc
	s_load_b64 s[8:9], s[0:1], 0xec
	s_wait_xcnt 0x0
	s_add_nc_u64 s[0:1], s[0:1], 24
	s_delay_alu instid0(VALU_DEP_1) | instskip(NEXT) | instid1(VALU_DEP_1)
	v_dual_add_nc_u32 v24, v23, v24 :: v_dual_sub_nc_u32 v25, v22, v25
	v_lshrrev_b32_e32 v22, s7, v24
	s_wait_kmcnt 0x0
	s_delay_alu instid0(VALU_DEP_2) | instskip(NEXT) | instid1(VALU_DEP_2)
	v_mad_u32 v16, v25, s16, v16
	v_mul_lo_u32 v24, v22, s11
	v_mad_u32 v19, v25, s18, v19
	v_mad_u32 v20, v25, s17, v20
	s_delay_alu instid0(VALU_DEP_3) | instskip(NEXT) | instid1(VALU_DEP_1)
	v_sub_nc_u32_e32 v23, v23, v24
	v_mad_u32 v16, v23, s19, v16
	s_delay_alu instid0(VALU_DEP_4) | instskip(NEXT) | instid1(VALU_DEP_4)
	v_mad_u32 v19, v23, s9, v19
	v_mad_u32 v20, v23, s8, v20
	s_cbranch_scc1 .LBB37_198
; %bb.199:
	s_bitcmp1_b32 s3, 0
	s_cselect_b32 s3, -1, 0
	s_delay_alu instid0(SALU_CYCLE_1)
	s_and_b32 vcc_lo, exec_lo, s3
	s_cbranch_vccnz .LBB37_202
; %bb.200:
	s_clause 0x1
	s_load_b96 s[4:6], s[0:1], 0x1c
	s_load_b96 s[8:10], s[0:1], 0xdc
	s_wait_kmcnt 0x0
	v_mul_hi_u32 v23, s5, v22
	s_delay_alu instid0(VALU_DEP_1) | instskip(NEXT) | instid1(VALU_DEP_1)
	v_add_nc_u32_e32 v23, v22, v23
	v_lshrrev_b32_e32 v23, s6, v23
	s_delay_alu instid0(VALU_DEP_1) | instskip(NEXT) | instid1(VALU_DEP_1)
	v_mul_lo_u32 v23, v23, s4
	v_sub_nc_u32_e32 v22, v22, v23
	s_delay_alu instid0(VALU_DEP_1)
	v_mad_u32 v16, v22, s8, v16
	v_mad_u32 v20, v22, s9, v20
	v_mad_u32 v19, v22, s10, v19
	s_and_not1_b32 vcc_lo, exec_lo, s2
	s_cbranch_vccz .LBB37_203
	s_branch .LBB37_206
.LBB37_201:
	s_mov_b32 s2, -1
                                        ; implicit-def: $vgpr19
                                        ; implicit-def: $vgpr20
                                        ; implicit-def: $vgpr16
.LBB37_202:
	s_delay_alu instid0(SALU_CYCLE_1)
	s_and_not1_b32 vcc_lo, exec_lo, s2
	s_cbranch_vccnz .LBB37_206
.LBB37_203:
	s_clause 0x1
	s_load_b96 s[0:2], s[12:13], 0x4
	s_load_b96 s[4:6], s[12:13], 0xc4
	s_cmp_lt_u32 s26, 2
	s_wait_kmcnt 0x0
	v_mul_hi_u32 v16, s1, v21
	s_delay_alu instid0(VALU_DEP_1) | instskip(NEXT) | instid1(VALU_DEP_1)
	v_add_nc_u32_e32 v16, v21, v16
	v_lshrrev_b32_e32 v22, s2, v16
	s_delay_alu instid0(VALU_DEP_1) | instskip(NEXT) | instid1(VALU_DEP_1)
	v_mul_lo_u32 v16, v22, s0
	v_sub_nc_u32_e32 v20, v21, v16
	s_delay_alu instid0(VALU_DEP_1)
	v_mul_lo_u32 v16, v20, s4
	v_mul_lo_u32 v19, v20, s6
	;; [unrolled: 1-line block ×3, first 2 shown]
	s_cbranch_scc1 .LBB37_206
; %bb.204:
	s_clause 0x1
	s_load_b96 s[0:2], s[12:13], 0x10
	s_load_b96 s[4:6], s[12:13], 0xd0
	s_wait_kmcnt 0x0
	v_mul_hi_u32 v21, s1, v22
	s_delay_alu instid0(VALU_DEP_1) | instskip(NEXT) | instid1(VALU_DEP_1)
	v_add_nc_u32_e32 v21, v22, v21
	v_lshrrev_b32_e32 v21, s2, v21
	s_delay_alu instid0(VALU_DEP_1) | instskip(NEXT) | instid1(VALU_DEP_1)
	v_mul_lo_u32 v21, v21, s0
	v_sub_nc_u32_e32 v21, v22, v21
	s_delay_alu instid0(VALU_DEP_1)
	v_mad_u32 v16, v21, s4, v16
	v_mad_u32 v20, v21, s5, v20
	;; [unrolled: 1-line block ×3, first 2 shown]
	s_branch .LBB37_206
.LBB37_205:
	v_dual_mov_b32 v19, 0 :: v_dual_mov_b32 v20, 0
	v_mov_b32_e32 v16, 0
	s_and_not1_b32 vcc_lo, exec_lo, s2
	s_cbranch_vccz .LBB37_203
.LBB37_206:
	v_cmp_ne_u32_e32 vcc_lo, 1, v10
	v_add_nc_u32_e32 v23, 0x300, v0
	s_cbranch_vccnz .LBB37_212
; %bb.207:
	s_cmp_lg_u32 s26, 0
	s_mov_b32 s2, 0
	s_cbranch_scc0 .LBB37_216
; %bb.208:
	s_min_u32 s3, s27, 15
	v_dual_mov_b32 v0, 0 :: v_dual_mov_b32 v24, v23
	v_dual_mov_b32 v22, 0 :: v_dual_mov_b32 v21, 0
	s_add_co_i32 s4, s3, 1
	s_mov_b64 s[0:1], 0xffffffffffffffe8
	s_and_b32 s4, s4, 30
	s_add_nc_u64 s[0:1], s[12:13], s[0:1]
.LBB37_209:                             ; =>This Inner Loop Header: Depth=1
	s_clause 0x1
	s_load_b128 s[8:11], s[0:1], 0x1c
	s_load_b64 s[6:7], s[0:1], 0x2c
	s_add_co_i32 s4, s4, -2
	s_delay_alu instid0(SALU_CYCLE_1) | instskip(SKIP_2) | instid1(VALU_DEP_1)
	s_cmp_lg_u32 s4, 0
	s_wait_kmcnt 0x0
	v_mul_hi_u32 v25, s9, v24
	v_add_nc_u32_e32 v25, v24, v25
	s_delay_alu instid0(VALU_DEP_1) | instskip(NEXT) | instid1(VALU_DEP_1)
	v_lshrrev_b32_e32 v25, s10, v25
	v_mul_hi_u32 v26, s6, v25
	v_mul_lo_u32 v27, v25, s8
	s_clause 0x1
	s_load_b128 s[16:19], s[0:1], 0xdc
	s_load_b64 s[8:9], s[0:1], 0xec
	s_wait_xcnt 0x0
	s_add_nc_u64 s[0:1], s[0:1], 24
	s_delay_alu instid0(VALU_DEP_1) | instskip(NEXT) | instid1(VALU_DEP_1)
	v_dual_add_nc_u32 v26, v25, v26 :: v_dual_sub_nc_u32 v27, v24, v27
	v_lshrrev_b32_e32 v24, s7, v26
	s_wait_kmcnt 0x0
	s_delay_alu instid0(VALU_DEP_2) | instskip(NEXT) | instid1(VALU_DEP_2)
	v_mad_u32 v0, v27, s16, v0
	v_mul_lo_u32 v26, v24, s11
	v_mad_u32 v21, v27, s18, v21
	v_mad_u32 v22, v27, s17, v22
	s_delay_alu instid0(VALU_DEP_3) | instskip(NEXT) | instid1(VALU_DEP_1)
	v_sub_nc_u32_e32 v25, v25, v26
	v_mad_u32 v0, v25, s19, v0
	s_delay_alu instid0(VALU_DEP_4) | instskip(NEXT) | instid1(VALU_DEP_4)
	v_mad_u32 v21, v25, s9, v21
	v_mad_u32 v22, v25, s8, v22
	s_cbranch_scc1 .LBB37_209
; %bb.210:
	s_bitcmp1_b32 s3, 0
	s_cselect_b32 s3, -1, 0
	s_delay_alu instid0(SALU_CYCLE_1)
	s_and_b32 vcc_lo, exec_lo, s3
	s_cbranch_vccnz .LBB37_213
; %bb.211:
	s_clause 0x1
	s_load_b96 s[4:6], s[0:1], 0x1c
	s_load_b96 s[8:10], s[0:1], 0xdc
	s_wait_kmcnt 0x0
	v_mul_hi_u32 v25, s5, v24
	s_delay_alu instid0(VALU_DEP_1) | instskip(NEXT) | instid1(VALU_DEP_1)
	v_add_nc_u32_e32 v25, v24, v25
	v_lshrrev_b32_e32 v25, s6, v25
	s_delay_alu instid0(VALU_DEP_1) | instskip(NEXT) | instid1(VALU_DEP_1)
	v_mul_lo_u32 v25, v25, s4
	v_sub_nc_u32_e32 v24, v24, v25
	s_delay_alu instid0(VALU_DEP_1)
	v_mad_u32 v0, v24, s8, v0
	v_mad_u32 v22, v24, s9, v22
	;; [unrolled: 1-line block ×3, first 2 shown]
	s_and_not1_b32 vcc_lo, exec_lo, s2
	s_cbranch_vccz .LBB37_214
	s_branch .LBB37_217
.LBB37_212:
	s_mov_b32 s2, -1
                                        ; implicit-def: $vgpr21
                                        ; implicit-def: $vgpr22
                                        ; implicit-def: $vgpr0
.LBB37_213:
	s_delay_alu instid0(SALU_CYCLE_1)
	s_and_not1_b32 vcc_lo, exec_lo, s2
	s_cbranch_vccnz .LBB37_217
.LBB37_214:
	s_clause 0x1
	s_load_b96 s[0:2], s[12:13], 0x4
	s_load_b96 s[4:6], s[12:13], 0xc4
	s_cmp_lt_u32 s26, 2
	s_wait_kmcnt 0x0
	v_mul_hi_u32 v0, s1, v23
	s_delay_alu instid0(VALU_DEP_1) | instskip(NEXT) | instid1(VALU_DEP_1)
	v_add_nc_u32_e32 v0, v23, v0
	v_lshrrev_b32_e32 v24, s2, v0
	s_delay_alu instid0(VALU_DEP_1) | instskip(NEXT) | instid1(VALU_DEP_1)
	v_mul_lo_u32 v0, v24, s0
	v_sub_nc_u32_e32 v22, v23, v0
	s_delay_alu instid0(VALU_DEP_1)
	v_mul_lo_u32 v0, v22, s4
	v_mul_lo_u32 v21, v22, s6
	;; [unrolled: 1-line block ×3, first 2 shown]
	s_cbranch_scc1 .LBB37_217
; %bb.215:
	s_clause 0x1
	s_load_b96 s[0:2], s[12:13], 0x10
	s_load_b96 s[4:6], s[12:13], 0xd0
	s_wait_kmcnt 0x0
	v_mul_hi_u32 v23, s1, v24
	s_delay_alu instid0(VALU_DEP_1) | instskip(NEXT) | instid1(VALU_DEP_1)
	v_add_nc_u32_e32 v23, v24, v23
	v_lshrrev_b32_e32 v23, s2, v23
	s_delay_alu instid0(VALU_DEP_1) | instskip(NEXT) | instid1(VALU_DEP_1)
	v_mul_lo_u32 v23, v23, s0
	v_sub_nc_u32_e32 v23, v24, v23
	s_delay_alu instid0(VALU_DEP_1)
	v_mad_u32 v0, v23, s4, v0
	v_mad_u32 v22, v23, s5, v22
	;; [unrolled: 1-line block ×3, first 2 shown]
	s_branch .LBB37_217
.LBB37_216:
	v_dual_mov_b32 v21, 0 :: v_dual_mov_b32 v22, 0
	v_mov_b32_e32 v0, 0
	s_and_not1_b32 vcc_lo, exec_lo, s2
	s_cbranch_vccz .LBB37_214
.LBB37_217:
	v_cmp_ne_u32_e32 vcc_lo, 1, v10
	s_cbranch_vccnz .LBB37_223
; %bb.218:
	s_cmp_lg_u32 s26, 0
	s_mov_b32 s2, 0
	s_cbranch_scc0 .LBB37_227
; %bb.219:
	s_min_u32 s3, s27, 15
	v_dual_mov_b32 v10, 0 :: v_dual_mov_b32 v25, v4
	v_dual_mov_b32 v24, 0 :: v_dual_mov_b32 v23, 0
	s_add_co_i32 s4, s3, 1
	s_mov_b64 s[0:1], 0xffffffffffffffe8
	s_and_b32 s4, s4, 30
	s_add_nc_u64 s[0:1], s[12:13], s[0:1]
.LBB37_220:                             ; =>This Inner Loop Header: Depth=1
	s_clause 0x1
	s_load_b128 s[8:11], s[0:1], 0x1c
	s_load_b64 s[6:7], s[0:1], 0x2c
	s_add_co_i32 s4, s4, -2
	s_delay_alu instid0(SALU_CYCLE_1) | instskip(SKIP_2) | instid1(VALU_DEP_1)
	s_cmp_lg_u32 s4, 0
	s_wait_kmcnt 0x0
	v_mul_hi_u32 v26, s9, v25
	v_add_nc_u32_e32 v26, v25, v26
	s_delay_alu instid0(VALU_DEP_1) | instskip(NEXT) | instid1(VALU_DEP_1)
	v_lshrrev_b32_e32 v26, s10, v26
	v_mul_hi_u32 v27, s6, v26
	v_mul_lo_u32 v28, v26, s8
	s_clause 0x1
	s_load_b128 s[16:19], s[0:1], 0xdc
	s_load_b64 s[8:9], s[0:1], 0xec
	s_wait_xcnt 0x0
	s_add_nc_u64 s[0:1], s[0:1], 24
	s_delay_alu instid0(VALU_DEP_1) | instskip(NEXT) | instid1(VALU_DEP_1)
	v_dual_add_nc_u32 v27, v26, v27 :: v_dual_sub_nc_u32 v28, v25, v28
	v_lshrrev_b32_e32 v25, s7, v27
	s_wait_kmcnt 0x0
	s_delay_alu instid0(VALU_DEP_2) | instskip(NEXT) | instid1(VALU_DEP_2)
	v_mad_u32 v10, v28, s16, v10
	v_mul_lo_u32 v27, v25, s11
	v_mad_u32 v23, v28, s18, v23
	v_mad_u32 v24, v28, s17, v24
	s_delay_alu instid0(VALU_DEP_3) | instskip(NEXT) | instid1(VALU_DEP_1)
	v_sub_nc_u32_e32 v26, v26, v27
	v_mad_u32 v10, v26, s19, v10
	s_delay_alu instid0(VALU_DEP_4) | instskip(NEXT) | instid1(VALU_DEP_4)
	v_mad_u32 v23, v26, s9, v23
	v_mad_u32 v24, v26, s8, v24
	s_cbranch_scc1 .LBB37_220
; %bb.221:
	s_bitcmp1_b32 s3, 0
	s_cselect_b32 s3, -1, 0
	s_delay_alu instid0(SALU_CYCLE_1)
	s_and_b32 vcc_lo, exec_lo, s3
	s_cbranch_vccnz .LBB37_224
; %bb.222:
	s_clause 0x1
	s_load_b96 s[4:6], s[0:1], 0x1c
	s_load_b96 s[8:10], s[0:1], 0xdc
	s_wait_kmcnt 0x0
	v_mul_hi_u32 v26, s5, v25
	s_delay_alu instid0(VALU_DEP_1) | instskip(NEXT) | instid1(VALU_DEP_1)
	v_add_nc_u32_e32 v26, v25, v26
	v_lshrrev_b32_e32 v26, s6, v26
	s_delay_alu instid0(VALU_DEP_1) | instskip(NEXT) | instid1(VALU_DEP_1)
	v_mul_lo_u32 v26, v26, s4
	v_sub_nc_u32_e32 v25, v25, v26
	s_delay_alu instid0(VALU_DEP_1)
	v_mad_u32 v10, v25, s8, v10
	v_mad_u32 v24, v25, s9, v24
	;; [unrolled: 1-line block ×3, first 2 shown]
	s_and_not1_b32 vcc_lo, exec_lo, s2
	s_cbranch_vccz .LBB37_225
	s_branch .LBB37_228
.LBB37_223:
	s_mov_b32 s2, -1
                                        ; implicit-def: $vgpr23
                                        ; implicit-def: $vgpr24
                                        ; implicit-def: $vgpr10
.LBB37_224:
	s_delay_alu instid0(SALU_CYCLE_1)
	s_and_not1_b32 vcc_lo, exec_lo, s2
	s_cbranch_vccnz .LBB37_228
.LBB37_225:
	s_clause 0x1
	s_load_b96 s[0:2], s[12:13], 0x4
	s_load_b96 s[4:6], s[12:13], 0xc4
	s_cmp_lt_u32 s26, 2
	s_wait_kmcnt 0x0
	v_mul_hi_u32 v10, s1, v4
	s_delay_alu instid0(VALU_DEP_1) | instskip(NEXT) | instid1(VALU_DEP_1)
	v_add_nc_u32_e32 v10, v4, v10
	v_lshrrev_b32_e32 v25, s2, v10
	s_delay_alu instid0(VALU_DEP_1) | instskip(NEXT) | instid1(VALU_DEP_1)
	v_mul_lo_u32 v10, v25, s0
	v_sub_nc_u32_e32 v4, v4, v10
	s_delay_alu instid0(VALU_DEP_1)
	v_mul_lo_u32 v10, v4, s4
	v_mul_lo_u32 v23, v4, s6
	;; [unrolled: 1-line block ×3, first 2 shown]
	s_cbranch_scc1 .LBB37_228
; %bb.226:
	s_clause 0x1
	s_load_b96 s[0:2], s[12:13], 0x10
	s_load_b96 s[4:6], s[12:13], 0xd0
	s_wait_kmcnt 0x0
	v_mul_hi_u32 v4, s1, v25
	s_delay_alu instid0(VALU_DEP_1) | instskip(NEXT) | instid1(VALU_DEP_1)
	v_add_nc_u32_e32 v4, v25, v4
	v_lshrrev_b32_e32 v4, s2, v4
	s_delay_alu instid0(VALU_DEP_1) | instskip(NEXT) | instid1(VALU_DEP_1)
	v_mul_lo_u32 v4, v4, s0
	v_sub_nc_u32_e32 v4, v25, v4
	s_delay_alu instid0(VALU_DEP_1)
	v_mad_u32 v10, v4, s4, v10
	v_mad_u32 v24, v4, s5, v24
	;; [unrolled: 1-line block ×3, first 2 shown]
	s_branch .LBB37_228
.LBB37_227:
	v_dual_mov_b32 v23, 0 :: v_dual_mov_b32 v24, 0
	v_mov_b32_e32 v10, 0
	s_and_not1_b32 vcc_lo, exec_lo, s2
	s_cbranch_vccz .LBB37_225
.LBB37_228:
	s_clause 0x1
	s_load_b64 s[4:5], s[12:13], 0x198
	s_load_b128 s[0:3], s[12:13], 0x188
	s_mov_b32 s7, 0
	s_mov_b32 s6, exec_lo
	s_wait_kmcnt 0x0
	global_load_u16 v4, v5, s[4:5]
	global_load_u16 v25, v6, s[2:3]
	s_wait_loadcnt 0x1
	s_wait_xcnt 0x1
	v_sub_nc_u16 v5, 0, v4
	s_delay_alu instid0(VALU_DEP_1)
	v_max_i16 v4, v4, v5
	s_wait_loadcnt 0x0
	v_cmpx_ne_u16_e32 0, v25
	s_cbranch_execz .LBB37_232
; %bb.229:
	v_sub_nc_u16 v5, 0, v25
	s_delay_alu instid0(VALU_DEP_1) | instskip(SKIP_1) | instid1(VALU_DEP_2)
	v_max_i16 v6, v25, v5
	v_and_b32_e32 v5, 0xffff, v4
	v_and_b32_e32 v6, 0xffff, v6
.LBB37_230:                             ; =>This Inner Loop Header: Depth=1
	s_delay_alu instid0(VALU_DEP_1) | instskip(NEXT) | instid1(VALU_DEP_1)
	v_bfe_i32 v26, v5, 0, 16
	v_cvt_f32_i32_e32 v28, v26
	s_delay_alu instid0(VALU_DEP_3) | instskip(NEXT) | instid1(VALU_DEP_1)
	v_mov_b32_e32 v4, v6
	v_bfe_i32 v6, v4, 0, 16
	s_delay_alu instid0(VALU_DEP_1) | instskip(SKIP_1) | instid1(VALU_DEP_2)
	v_cvt_f32_i32_e32 v25, v6
	v_xor_b32_e32 v6, v26, v6
	v_rcp_iflag_f32_e32 v27, v25
	v_nop
	s_delay_alu instid0(TRANS32_DEP_1) | instskip(NEXT) | instid1(VALU_DEP_1)
	v_mul_f32_e32 v26, v28, v27
	v_trunc_f32_e32 v26, v26
	s_delay_alu instid0(VALU_DEP_1) | instskip(SKIP_1) | instid1(VALU_DEP_2)
	v_dual_fma_f32 v27, -v26, v25, v28 :: v_dual_ashrrev_i32 v6, 30, v6
	v_cvt_i32_f32_e32 v26, v26
	v_cmp_ge_f32_e64 vcc_lo, |v27|, |v25|
	s_delay_alu instid0(VALU_DEP_3) | instskip(NEXT) | instid1(VALU_DEP_1)
	v_or_b32_e32 v6, 1, v6
	v_cndmask_b32_e32 v6, 0, v6, vcc_lo
	s_delay_alu instid0(VALU_DEP_1) | instskip(NEXT) | instid1(VALU_DEP_1)
	v_add_nc_u32_e32 v6, v26, v6
	v_mul_lo_u32 v6, v6, v4
	s_delay_alu instid0(VALU_DEP_1) | instskip(NEXT) | instid1(VALU_DEP_1)
	v_sub_nc_u32_e32 v6, v5, v6
	v_and_b32_e32 v5, 0xffff, v6
	v_bfe_i32 v6, v6, 0, 16
	s_delay_alu instid0(VALU_DEP_2) | instskip(SKIP_2) | instid1(SALU_CYCLE_1)
	v_cmp_eq_u32_e32 vcc_lo, 0, v5
	v_mov_b32_e32 v5, v4
	s_or_b32 s7, vcc_lo, s7
	s_and_not1_b32 exec_lo, exec_lo, s7
	s_cbranch_execnz .LBB37_230
; %bb.231:
	s_or_b32 exec_lo, exec_lo, s7
.LBB37_232:
	s_delay_alu instid0(SALU_CYCLE_1)
	s_or_b32 exec_lo, exec_lo, s6
	global_load_u16 v5, v8, s[4:5]
	global_load_u16 v6, v9, s[2:3]
	s_mov_b32 s7, 0
	s_mov_b32 s6, exec_lo
	s_wait_loadcnt 0x1
	s_wait_xcnt 0x1
	v_sub_nc_u16 v8, 0, v5
	s_delay_alu instid0(VALU_DEP_1)
	v_max_i16 v5, v5, v8
	s_wait_loadcnt 0x0
	v_cmpx_ne_u16_e32 0, v6
	s_cbranch_execz .LBB37_236
; %bb.233:
	v_sub_nc_u16 v8, 0, v6
	s_delay_alu instid0(VALU_DEP_1) | instskip(SKIP_1) | instid1(VALU_DEP_2)
	v_max_i16 v8, v6, v8
	v_and_b32_e32 v6, 0xffff, v5
	v_and_b32_e32 v8, 0xffff, v8
.LBB37_234:                             ; =>This Inner Loop Header: Depth=1
	s_delay_alu instid0(VALU_DEP_1) | instskip(NEXT) | instid1(VALU_DEP_2)
	v_bfe_i32 v25, v6, 0, 16
	v_mov_b32_e32 v5, v8
	s_delay_alu instid0(VALU_DEP_2) | instskip(NEXT) | instid1(VALU_DEP_2)
	v_cvt_f32_i32_e32 v27, v25
	v_bfe_i32 v8, v5, 0, 16
	s_delay_alu instid0(VALU_DEP_1) | instskip(SKIP_1) | instid1(VALU_DEP_2)
	v_cvt_f32_i32_e32 v9, v8
	v_xor_b32_e32 v8, v25, v8
	v_rcp_iflag_f32_e32 v26, v9
	v_nop
	s_delay_alu instid0(TRANS32_DEP_1) | instskip(NEXT) | instid1(VALU_DEP_1)
	v_dual_mul_f32 v25, v27, v26 :: v_dual_ashrrev_i32 v8, 30, v8
	v_trunc_f32_e32 v25, v25
	s_delay_alu instid0(VALU_DEP_1) | instskip(SKIP_1) | instid1(VALU_DEP_2)
	v_dual_fma_f32 v26, -v25, v9, v27 :: v_dual_bitop2_b32 v8, 1, v8 bitop3:0x54
	v_cvt_i32_f32_e32 v25, v25
	v_cmp_ge_f32_e64 vcc_lo, |v26|, |v9|
	s_delay_alu instid0(VALU_DEP_3) | instskip(NEXT) | instid1(VALU_DEP_1)
	v_cndmask_b32_e32 v8, 0, v8, vcc_lo
	v_add_nc_u32_e32 v8, v25, v8
	s_delay_alu instid0(VALU_DEP_1) | instskip(NEXT) | instid1(VALU_DEP_1)
	v_mul_lo_u32 v8, v8, v5
	v_sub_nc_u32_e32 v8, v6, v8
	s_delay_alu instid0(VALU_DEP_1) | instskip(SKIP_1) | instid1(VALU_DEP_2)
	v_and_b32_e32 v6, 0xffff, v8
	v_bfe_i32 v8, v8, 0, 16
	v_cmp_eq_u32_e32 vcc_lo, 0, v6
	v_mov_b32_e32 v6, v5
	s_or_b32 s7, vcc_lo, s7
	s_delay_alu instid0(SALU_CYCLE_1)
	s_and_not1_b32 exec_lo, exec_lo, s7
	s_cbranch_execnz .LBB37_234
; %bb.235:
	s_or_b32 exec_lo, exec_lo, s7
.LBB37_236:
	s_delay_alu instid0(SALU_CYCLE_1)
	s_or_b32 exec_lo, exec_lo, s6
	global_load_u16 v6, v12, s[4:5]
	global_load_u16 v8, v13, s[2:3]
	s_mov_b32 s7, 0
	s_mov_b32 s6, exec_lo
	s_wait_loadcnt 0x1
	v_sub_nc_u16 v9, 0, v6
	s_delay_alu instid0(VALU_DEP_1)
	v_max_i16 v6, v6, v9
	s_wait_loadcnt 0x0
	v_cmpx_ne_u16_e32 0, v8
	s_cbranch_execz .LBB37_240
; %bb.237:
	v_sub_nc_u16 v9, 0, v8
	s_delay_alu instid0(VALU_DEP_1) | instskip(SKIP_1) | instid1(VALU_DEP_2)
	v_max_i16 v9, v8, v9
	v_and_b32_e32 v8, 0xffff, v6
	v_and_b32_e32 v9, 0xffff, v9
.LBB37_238:                             ; =>This Inner Loop Header: Depth=1
	s_delay_alu instid0(VALU_DEP_1) | instskip(NEXT) | instid1(VALU_DEP_1)
	v_bfe_i32 v13, v8, 0, 16
	v_cvt_f32_i32_e32 v26, v13
	s_delay_alu instid0(VALU_DEP_3) | instskip(NEXT) | instid1(VALU_DEP_1)
	v_mov_b32_e32 v6, v9
	v_bfe_i32 v9, v6, 0, 16
	s_delay_alu instid0(VALU_DEP_1) | instskip(SKIP_1) | instid1(VALU_DEP_2)
	v_cvt_f32_i32_e32 v12, v9
	v_xor_b32_e32 v9, v13, v9
	v_rcp_iflag_f32_e32 v25, v12
	v_nop
	s_delay_alu instid0(TRANS32_DEP_1) | instskip(NEXT) | instid1(VALU_DEP_1)
	v_mul_f32_e32 v13, v26, v25
	v_trunc_f32_e32 v13, v13
	s_delay_alu instid0(VALU_DEP_1) | instskip(SKIP_1) | instid1(VALU_DEP_2)
	v_dual_fma_f32 v25, -v13, v12, v26 :: v_dual_ashrrev_i32 v9, 30, v9
	v_cvt_i32_f32_e32 v13, v13
	v_cmp_ge_f32_e64 vcc_lo, |v25|, |v12|
	s_delay_alu instid0(VALU_DEP_3) | instskip(NEXT) | instid1(VALU_DEP_1)
	v_or_b32_e32 v9, 1, v9
	v_cndmask_b32_e32 v9, 0, v9, vcc_lo
	s_delay_alu instid0(VALU_DEP_1) | instskip(NEXT) | instid1(VALU_DEP_1)
	v_add_nc_u32_e32 v9, v13, v9
	v_mul_lo_u32 v9, v9, v6
	s_delay_alu instid0(VALU_DEP_1) | instskip(NEXT) | instid1(VALU_DEP_1)
	v_sub_nc_u32_e32 v9, v8, v9
	v_and_b32_e32 v8, 0xffff, v9
	v_bfe_i32 v9, v9, 0, 16
	s_delay_alu instid0(VALU_DEP_2) | instskip(SKIP_2) | instid1(SALU_CYCLE_1)
	v_cmp_eq_u32_e32 vcc_lo, 0, v8
	v_mov_b32_e32 v8, v6
	s_or_b32 s7, vcc_lo, s7
	s_and_not1_b32 exec_lo, exec_lo, s7
	s_cbranch_execnz .LBB37_238
; %bb.239:
	s_or_b32 exec_lo, exec_lo, s7
.LBB37_240:
	s_delay_alu instid0(SALU_CYCLE_1)
	s_or_b32 exec_lo, exec_lo, s6
	global_load_u16 v8, v14, s[4:5]
	global_load_u16 v9, v15, s[2:3]
	s_mov_b32 s7, 0
	s_mov_b32 s6, exec_lo
	s_wait_loadcnt 0x1
	v_sub_nc_u16 v12, 0, v8
	s_delay_alu instid0(VALU_DEP_1)
	v_max_i16 v8, v8, v12
	s_wait_loadcnt 0x0
	v_cmpx_ne_u16_e32 0, v9
	s_cbranch_execz .LBB37_244
; %bb.241:
	v_sub_nc_u16 v12, 0, v9
	s_delay_alu instid0(VALU_DEP_1) | instskip(SKIP_1) | instid1(VALU_DEP_2)
	v_max_i16 v12, v9, v12
	v_and_b32_e32 v9, 0xffff, v8
	v_and_b32_e32 v12, 0xffff, v12
.LBB37_242:                             ; =>This Inner Loop Header: Depth=1
	s_delay_alu instid0(VALU_DEP_1) | instskip(NEXT) | instid1(VALU_DEP_2)
	v_bfe_i32 v14, v9, 0, 16
	v_mov_b32_e32 v8, v12
	s_delay_alu instid0(VALU_DEP_2) | instskip(NEXT) | instid1(VALU_DEP_2)
	v_cvt_f32_i32_e32 v25, v14
	v_bfe_i32 v12, v8, 0, 16
	s_delay_alu instid0(VALU_DEP_1) | instskip(SKIP_1) | instid1(VALU_DEP_2)
	v_cvt_f32_i32_e32 v13, v12
	v_xor_b32_e32 v12, v14, v12
	v_rcp_iflag_f32_e32 v15, v13
	v_nop
	s_delay_alu instid0(TRANS32_DEP_1) | instskip(NEXT) | instid1(VALU_DEP_1)
	v_dual_ashrrev_i32 v12, 30, v12 :: v_dual_mul_f32 v14, v25, v15
	v_trunc_f32_e32 v14, v14
	s_delay_alu instid0(VALU_DEP_1) | instskip(SKIP_1) | instid1(VALU_DEP_2)
	v_dual_fma_f32 v15, -v14, v13, v25 :: v_dual_bitop2_b32 v12, 1, v12 bitop3:0x54
	v_cvt_i32_f32_e32 v14, v14
	v_cmp_ge_f32_e64 vcc_lo, |v15|, |v13|
	s_delay_alu instid0(VALU_DEP_3) | instskip(NEXT) | instid1(VALU_DEP_1)
	v_cndmask_b32_e32 v12, 0, v12, vcc_lo
	v_add_nc_u32_e32 v12, v14, v12
	s_delay_alu instid0(VALU_DEP_1) | instskip(NEXT) | instid1(VALU_DEP_1)
	v_mul_lo_u32 v12, v12, v8
	v_sub_nc_u32_e32 v12, v9, v12
	s_delay_alu instid0(VALU_DEP_1) | instskip(SKIP_1) | instid1(VALU_DEP_2)
	v_and_b32_e32 v9, 0xffff, v12
	v_bfe_i32 v12, v12, 0, 16
	v_cmp_eq_u32_e32 vcc_lo, 0, v9
	v_mov_b32_e32 v9, v8
	s_or_b32 s7, vcc_lo, s7
	s_delay_alu instid0(SALU_CYCLE_1)
	s_and_not1_b32 exec_lo, exec_lo, s7
	s_cbranch_execnz .LBB37_242
; %bb.243:
	s_or_b32 exec_lo, exec_lo, s7
.LBB37_244:
	s_delay_alu instid0(SALU_CYCLE_1)
	s_or_b32 exec_lo, exec_lo, s6
	global_load_u16 v9, v17, s[4:5]
	global_load_u16 v12, v18, s[2:3]
	s_mov_b32 s7, 0
	s_mov_b32 s6, exec_lo
	s_wait_loadcnt 0x1
	v_sub_nc_u16 v13, 0, v9
	s_delay_alu instid0(VALU_DEP_1)
	v_max_i16 v9, v9, v13
	s_wait_loadcnt 0x0
	v_cmpx_ne_u16_e32 0, v12
	s_cbranch_execz .LBB37_248
; %bb.245:
	v_sub_nc_u16 v13, 0, v12
	s_delay_alu instid0(VALU_DEP_1) | instskip(SKIP_1) | instid1(VALU_DEP_2)
	v_max_i16 v13, v12, v13
	v_and_b32_e32 v12, 0xffff, v9
	v_and_b32_e32 v13, 0xffff, v13
.LBB37_246:                             ; =>This Inner Loop Header: Depth=1
	s_delay_alu instid0(VALU_DEP_1) | instskip(NEXT) | instid1(VALU_DEP_2)
	v_bfe_i32 v15, v12, 0, 16
	v_mov_b32_e32 v9, v13
	s_delay_alu instid0(VALU_DEP_2) | instskip(NEXT) | instid1(VALU_DEP_2)
	v_cvt_f32_i32_e32 v18, v15
	v_bfe_i32 v13, v9, 0, 16
	s_delay_alu instid0(VALU_DEP_1) | instskip(SKIP_1) | instid1(VALU_DEP_2)
	v_cvt_f32_i32_e32 v14, v13
	v_xor_b32_e32 v13, v15, v13
	v_rcp_iflag_f32_e32 v17, v14
	v_nop
	s_delay_alu instid0(TRANS32_DEP_1) | instskip(NEXT) | instid1(VALU_DEP_1)
	v_mul_f32_e32 v15, v18, v17
	v_trunc_f32_e32 v15, v15
	s_delay_alu instid0(VALU_DEP_1) | instskip(NEXT) | instid1(VALU_DEP_1)
	v_dual_ashrrev_i32 v13, 30, v13 :: v_dual_fma_f32 v17, -v15, v14, v18
	v_or_b32_e32 v13, 1, v13
	v_cvt_i32_f32_e32 v15, v15
	s_delay_alu instid0(VALU_DEP_3) | instskip(NEXT) | instid1(VALU_DEP_3)
	v_cmp_ge_f32_e64 vcc_lo, |v17|, |v14|
	v_cndmask_b32_e32 v13, 0, v13, vcc_lo
	s_delay_alu instid0(VALU_DEP_1) | instskip(NEXT) | instid1(VALU_DEP_1)
	v_add_nc_u32_e32 v13, v15, v13
	v_mul_lo_u32 v13, v13, v9
	s_delay_alu instid0(VALU_DEP_1) | instskip(NEXT) | instid1(VALU_DEP_1)
	v_sub_nc_u32_e32 v13, v12, v13
	v_and_b32_e32 v12, 0xffff, v13
	v_bfe_i32 v13, v13, 0, 16
	s_delay_alu instid0(VALU_DEP_2) | instskip(SKIP_2) | instid1(SALU_CYCLE_1)
	v_cmp_eq_u32_e32 vcc_lo, 0, v12
	v_mov_b32_e32 v12, v9
	s_or_b32 s7, vcc_lo, s7
	s_and_not1_b32 exec_lo, exec_lo, s7
	s_cbranch_execnz .LBB37_246
; %bb.247:
	s_or_b32 exec_lo, exec_lo, s7
.LBB37_248:
	s_delay_alu instid0(SALU_CYCLE_1)
	s_or_b32 exec_lo, exec_lo, s6
	global_load_u16 v12, v19, s[4:5]
	global_load_u16 v13, v20, s[2:3]
	s_mov_b32 s7, 0
	s_mov_b32 s6, exec_lo
	s_wait_loadcnt 0x1
	v_sub_nc_u16 v14, 0, v12
	s_delay_alu instid0(VALU_DEP_1)
	v_max_i16 v12, v12, v14
	s_wait_loadcnt 0x0
	v_cmpx_ne_u16_e32 0, v13
	s_cbranch_execz .LBB37_252
; %bb.249:
	v_sub_nc_u16 v14, 0, v13
	s_delay_alu instid0(VALU_DEP_1) | instskip(SKIP_1) | instid1(VALU_DEP_2)
	v_max_i16 v14, v13, v14
	v_and_b32_e32 v13, 0xffff, v12
	v_and_b32_e32 v14, 0xffff, v14
.LBB37_250:                             ; =>This Inner Loop Header: Depth=1
	s_delay_alu instid0(VALU_DEP_1) | instskip(NEXT) | instid1(VALU_DEP_2)
	v_bfe_i32 v17, v13, 0, 16
	v_mov_b32_e32 v12, v14
	s_delay_alu instid0(VALU_DEP_2) | instskip(NEXT) | instid1(VALU_DEP_2)
	v_cvt_f32_i32_e32 v19, v17
	v_bfe_i32 v14, v12, 0, 16
	s_delay_alu instid0(VALU_DEP_1) | instskip(SKIP_1) | instid1(VALU_DEP_2)
	v_cvt_f32_i32_e32 v15, v14
	v_xor_b32_e32 v14, v17, v14
	v_rcp_iflag_f32_e32 v18, v15
	v_nop
	s_delay_alu instid0(TRANS32_DEP_1) | instskip(NEXT) | instid1(VALU_DEP_1)
	v_mul_f32_e32 v17, v19, v18
	v_trunc_f32_e32 v17, v17
	s_delay_alu instid0(VALU_DEP_1) | instskip(NEXT) | instid1(VALU_DEP_1)
	v_dual_ashrrev_i32 v14, 30, v14 :: v_dual_fma_f32 v18, -v17, v15, v19
	v_or_b32_e32 v14, 1, v14
	v_cvt_i32_f32_e32 v17, v17
	s_delay_alu instid0(VALU_DEP_3) | instskip(NEXT) | instid1(VALU_DEP_3)
	v_cmp_ge_f32_e64 vcc_lo, |v18|, |v15|
	v_cndmask_b32_e32 v14, 0, v14, vcc_lo
	s_delay_alu instid0(VALU_DEP_1) | instskip(NEXT) | instid1(VALU_DEP_1)
	v_add_nc_u32_e32 v14, v17, v14
	v_mul_lo_u32 v14, v14, v12
	s_delay_alu instid0(VALU_DEP_1) | instskip(NEXT) | instid1(VALU_DEP_1)
	v_sub_nc_u32_e32 v14, v13, v14
	v_and_b32_e32 v13, 0xffff, v14
	v_bfe_i32 v14, v14, 0, 16
	s_delay_alu instid0(VALU_DEP_2) | instskip(SKIP_2) | instid1(SALU_CYCLE_1)
	v_cmp_eq_u32_e32 vcc_lo, 0, v13
	v_mov_b32_e32 v13, v12
	s_or_b32 s7, vcc_lo, s7
	s_and_not1_b32 exec_lo, exec_lo, s7
	s_cbranch_execnz .LBB37_250
; %bb.251:
	s_or_b32 exec_lo, exec_lo, s7
.LBB37_252:
	;; [unrolled: 57-line block ×3, first 2 shown]
	s_delay_alu instid0(SALU_CYCLE_1)
	s_or_b32 exec_lo, exec_lo, s6
	global_load_u16 v14, v23, s[4:5]
	global_load_u16 v15, v24, s[2:3]
	s_wait_xcnt 0x0
	s_mov_b32 s3, 0
	s_mov_b32 s2, exec_lo
	s_wait_loadcnt 0x1
	v_sub_nc_u16 v17, 0, v14
	s_delay_alu instid0(VALU_DEP_1)
	v_max_i16 v14, v14, v17
	s_wait_loadcnt 0x0
	v_cmpx_ne_u16_e32 0, v15
	s_cbranch_execz .LBB37_260
; %bb.257:
	v_sub_nc_u16 v17, 0, v15
	s_delay_alu instid0(VALU_DEP_1) | instskip(SKIP_1) | instid1(VALU_DEP_2)
	v_max_i16 v17, v15, v17
	v_and_b32_e32 v15, 0xffff, v14
	v_and_b32_e32 v17, 0xffff, v17
.LBB37_258:                             ; =>This Inner Loop Header: Depth=1
	s_delay_alu instid0(VALU_DEP_1) | instskip(NEXT) | instid1(VALU_DEP_2)
	v_bfe_i32 v19, v15, 0, 16
	v_mov_b32_e32 v14, v17
	s_delay_alu instid0(VALU_DEP_2) | instskip(NEXT) | instid1(VALU_DEP_2)
	v_cvt_f32_i32_e32 v21, v19
	v_bfe_i32 v17, v14, 0, 16
	s_delay_alu instid0(VALU_DEP_1) | instskip(SKIP_1) | instid1(VALU_DEP_2)
	v_cvt_f32_i32_e32 v18, v17
	v_xor_b32_e32 v17, v19, v17
	v_rcp_iflag_f32_e32 v20, v18
	v_nop
	s_delay_alu instid0(TRANS32_DEP_1) | instskip(NEXT) | instid1(VALU_DEP_1)
	v_dual_ashrrev_i32 v17, 30, v17 :: v_dual_mul_f32 v19, v21, v20
	v_trunc_f32_e32 v19, v19
	s_delay_alu instid0(VALU_DEP_1) | instskip(SKIP_1) | instid1(VALU_DEP_2)
	v_dual_fma_f32 v20, -v19, v18, v21 :: v_dual_bitop2_b32 v17, 1, v17 bitop3:0x54
	v_cvt_i32_f32_e32 v19, v19
	v_cmp_ge_f32_e64 vcc_lo, |v20|, |v18|
	s_delay_alu instid0(VALU_DEP_3) | instskip(NEXT) | instid1(VALU_DEP_1)
	v_cndmask_b32_e32 v17, 0, v17, vcc_lo
	v_add_nc_u32_e32 v17, v19, v17
	s_delay_alu instid0(VALU_DEP_1) | instskip(NEXT) | instid1(VALU_DEP_1)
	v_mul_lo_u32 v17, v17, v14
	v_sub_nc_u32_e32 v17, v15, v17
	s_delay_alu instid0(VALU_DEP_1) | instskip(SKIP_1) | instid1(VALU_DEP_2)
	v_and_b32_e32 v15, 0xffff, v17
	v_bfe_i32 v17, v17, 0, 16
	v_cmp_eq_u32_e32 vcc_lo, 0, v15
	v_mov_b32_e32 v15, v14
	s_or_b32 s3, vcc_lo, s3
	s_delay_alu instid0(SALU_CYCLE_1)
	s_and_not1_b32 exec_lo, exec_lo, s3
	s_cbranch_execnz .LBB37_258
; %bb.259:
	s_or_b32 exec_lo, exec_lo, s3
.LBB37_260:
	s_delay_alu instid0(SALU_CYCLE_1)
	s_or_b32 exec_lo, exec_lo, s2
	s_clause 0x7
	global_store_b16 v1, v4, s[0:1]
	global_store_b16 v2, v5, s[0:1]
	;; [unrolled: 1-line block ×8, first 2 shown]
	s_endpgm
	.section	.rodata,"a",@progbits
	.p2align	6, 0x0
	.amdhsa_kernel _ZN2at6native32elementwise_kernel_manual_unrollILi128ELi8EZNS0_22gpu_kernel_impl_nocastIZZZNS0_15gcd_kernel_cudaERNS_18TensorIteratorBaseEENKUlvE_clEvENKUlvE3_clEvEUlssE_EEvS4_RKT_EUlibE_EEviT1_
		.amdhsa_group_segment_fixed_size 0
		.amdhsa_private_segment_fixed_size 0
		.amdhsa_kernarg_size 432
		.amdhsa_user_sgpr_count 2
		.amdhsa_user_sgpr_dispatch_ptr 0
		.amdhsa_user_sgpr_queue_ptr 0
		.amdhsa_user_sgpr_kernarg_segment_ptr 1
		.amdhsa_user_sgpr_dispatch_id 0
		.amdhsa_user_sgpr_kernarg_preload_length 0
		.amdhsa_user_sgpr_kernarg_preload_offset 0
		.amdhsa_user_sgpr_private_segment_size 0
		.amdhsa_wavefront_size32 1
		.amdhsa_uses_dynamic_stack 0
		.amdhsa_enable_private_segment 0
		.amdhsa_system_sgpr_workgroup_id_x 1
		.amdhsa_system_sgpr_workgroup_id_y 0
		.amdhsa_system_sgpr_workgroup_id_z 0
		.amdhsa_system_sgpr_workgroup_info 0
		.amdhsa_system_vgpr_workitem_id 0
		.amdhsa_next_free_vgpr 29
		.amdhsa_next_free_sgpr 46
		.amdhsa_named_barrier_count 0
		.amdhsa_reserve_vcc 1
		.amdhsa_float_round_mode_32 0
		.amdhsa_float_round_mode_16_64 0
		.amdhsa_float_denorm_mode_32 3
		.amdhsa_float_denorm_mode_16_64 3
		.amdhsa_fp16_overflow 0
		.amdhsa_memory_ordered 1
		.amdhsa_forward_progress 1
		.amdhsa_inst_pref_size 114
		.amdhsa_round_robin_scheduling 0
		.amdhsa_exception_fp_ieee_invalid_op 0
		.amdhsa_exception_fp_denorm_src 0
		.amdhsa_exception_fp_ieee_div_zero 0
		.amdhsa_exception_fp_ieee_overflow 0
		.amdhsa_exception_fp_ieee_underflow 0
		.amdhsa_exception_fp_ieee_inexact 0
		.amdhsa_exception_int_div_zero 0
	.end_amdhsa_kernel
	.section	.text._ZN2at6native32elementwise_kernel_manual_unrollILi128ELi8EZNS0_22gpu_kernel_impl_nocastIZZZNS0_15gcd_kernel_cudaERNS_18TensorIteratorBaseEENKUlvE_clEvENKUlvE3_clEvEUlssE_EEvS4_RKT_EUlibE_EEviT1_,"axG",@progbits,_ZN2at6native32elementwise_kernel_manual_unrollILi128ELi8EZNS0_22gpu_kernel_impl_nocastIZZZNS0_15gcd_kernel_cudaERNS_18TensorIteratorBaseEENKUlvE_clEvENKUlvE3_clEvEUlssE_EEvS4_RKT_EUlibE_EEviT1_,comdat
.Lfunc_end37:
	.size	_ZN2at6native32elementwise_kernel_manual_unrollILi128ELi8EZNS0_22gpu_kernel_impl_nocastIZZZNS0_15gcd_kernel_cudaERNS_18TensorIteratorBaseEENKUlvE_clEvENKUlvE3_clEvEUlssE_EEvS4_RKT_EUlibE_EEviT1_, .Lfunc_end37-_ZN2at6native32elementwise_kernel_manual_unrollILi128ELi8EZNS0_22gpu_kernel_impl_nocastIZZZNS0_15gcd_kernel_cudaERNS_18TensorIteratorBaseEENKUlvE_clEvENKUlvE3_clEvEUlssE_EEvS4_RKT_EUlibE_EEviT1_
                                        ; -- End function
	.set _ZN2at6native32elementwise_kernel_manual_unrollILi128ELi8EZNS0_22gpu_kernel_impl_nocastIZZZNS0_15gcd_kernel_cudaERNS_18TensorIteratorBaseEENKUlvE_clEvENKUlvE3_clEvEUlssE_EEvS4_RKT_EUlibE_EEviT1_.num_vgpr, 29
	.set _ZN2at6native32elementwise_kernel_manual_unrollILi128ELi8EZNS0_22gpu_kernel_impl_nocastIZZZNS0_15gcd_kernel_cudaERNS_18TensorIteratorBaseEENKUlvE_clEvENKUlvE3_clEvEUlssE_EEvS4_RKT_EUlibE_EEviT1_.num_agpr, 0
	.set _ZN2at6native32elementwise_kernel_manual_unrollILi128ELi8EZNS0_22gpu_kernel_impl_nocastIZZZNS0_15gcd_kernel_cudaERNS_18TensorIteratorBaseEENKUlvE_clEvENKUlvE3_clEvEUlssE_EEvS4_RKT_EUlibE_EEviT1_.numbered_sgpr, 46
	.set _ZN2at6native32elementwise_kernel_manual_unrollILi128ELi8EZNS0_22gpu_kernel_impl_nocastIZZZNS0_15gcd_kernel_cudaERNS_18TensorIteratorBaseEENKUlvE_clEvENKUlvE3_clEvEUlssE_EEvS4_RKT_EUlibE_EEviT1_.num_named_barrier, 0
	.set _ZN2at6native32elementwise_kernel_manual_unrollILi128ELi8EZNS0_22gpu_kernel_impl_nocastIZZZNS0_15gcd_kernel_cudaERNS_18TensorIteratorBaseEENKUlvE_clEvENKUlvE3_clEvEUlssE_EEvS4_RKT_EUlibE_EEviT1_.private_seg_size, 0
	.set _ZN2at6native32elementwise_kernel_manual_unrollILi128ELi8EZNS0_22gpu_kernel_impl_nocastIZZZNS0_15gcd_kernel_cudaERNS_18TensorIteratorBaseEENKUlvE_clEvENKUlvE3_clEvEUlssE_EEvS4_RKT_EUlibE_EEviT1_.uses_vcc, 1
	.set _ZN2at6native32elementwise_kernel_manual_unrollILi128ELi8EZNS0_22gpu_kernel_impl_nocastIZZZNS0_15gcd_kernel_cudaERNS_18TensorIteratorBaseEENKUlvE_clEvENKUlvE3_clEvEUlssE_EEvS4_RKT_EUlibE_EEviT1_.uses_flat_scratch, 0
	.set _ZN2at6native32elementwise_kernel_manual_unrollILi128ELi8EZNS0_22gpu_kernel_impl_nocastIZZZNS0_15gcd_kernel_cudaERNS_18TensorIteratorBaseEENKUlvE_clEvENKUlvE3_clEvEUlssE_EEvS4_RKT_EUlibE_EEviT1_.has_dyn_sized_stack, 0
	.set _ZN2at6native32elementwise_kernel_manual_unrollILi128ELi8EZNS0_22gpu_kernel_impl_nocastIZZZNS0_15gcd_kernel_cudaERNS_18TensorIteratorBaseEENKUlvE_clEvENKUlvE3_clEvEUlssE_EEvS4_RKT_EUlibE_EEviT1_.has_recursion, 0
	.set _ZN2at6native32elementwise_kernel_manual_unrollILi128ELi8EZNS0_22gpu_kernel_impl_nocastIZZZNS0_15gcd_kernel_cudaERNS_18TensorIteratorBaseEENKUlvE_clEvENKUlvE3_clEvEUlssE_EEvS4_RKT_EUlibE_EEviT1_.has_indirect_call, 0
	.section	.AMDGPU.csdata,"",@progbits
; Kernel info:
; codeLenInByte = 14504
; TotalNumSgprs: 48
; NumVgprs: 29
; ScratchSize: 0
; MemoryBound: 0
; FloatMode: 240
; IeeeMode: 1
; LDSByteSize: 0 bytes/workgroup (compile time only)
; SGPRBlocks: 0
; VGPRBlocks: 1
; NumSGPRsForWavesPerEU: 48
; NumVGPRsForWavesPerEU: 29
; NamedBarCnt: 0
; Occupancy: 16
; WaveLimiterHint : 1
; COMPUTE_PGM_RSRC2:SCRATCH_EN: 0
; COMPUTE_PGM_RSRC2:USER_SGPR: 2
; COMPUTE_PGM_RSRC2:TRAP_HANDLER: 0
; COMPUTE_PGM_RSRC2:TGID_X_EN: 1
; COMPUTE_PGM_RSRC2:TGID_Y_EN: 0
; COMPUTE_PGM_RSRC2:TGID_Z_EN: 0
; COMPUTE_PGM_RSRC2:TIDIG_COMP_CNT: 0
	.section	.text._ZN2at6native32elementwise_kernel_manual_unrollILi128ELi4EZNS0_15gpu_kernel_implIZZZNS0_15gcd_kernel_cudaERNS_18TensorIteratorBaseEENKUlvE_clEvENKUlvE3_clEvEUlssE_EEvS4_RKT_EUlibE_EEviT1_,"axG",@progbits,_ZN2at6native32elementwise_kernel_manual_unrollILi128ELi4EZNS0_15gpu_kernel_implIZZZNS0_15gcd_kernel_cudaERNS_18TensorIteratorBaseEENKUlvE_clEvENKUlvE3_clEvEUlssE_EEvS4_RKT_EUlibE_EEviT1_,comdat
	.globl	_ZN2at6native32elementwise_kernel_manual_unrollILi128ELi4EZNS0_15gpu_kernel_implIZZZNS0_15gcd_kernel_cudaERNS_18TensorIteratorBaseEENKUlvE_clEvENKUlvE3_clEvEUlssE_EEvS4_RKT_EUlibE_EEviT1_ ; -- Begin function _ZN2at6native32elementwise_kernel_manual_unrollILi128ELi4EZNS0_15gpu_kernel_implIZZZNS0_15gcd_kernel_cudaERNS_18TensorIteratorBaseEENKUlvE_clEvENKUlvE3_clEvEUlssE_EEvS4_RKT_EUlibE_EEviT1_
	.p2align	8
	.type	_ZN2at6native32elementwise_kernel_manual_unrollILi128ELi4EZNS0_15gpu_kernel_implIZZZNS0_15gcd_kernel_cudaERNS_18TensorIteratorBaseEENKUlvE_clEvENKUlvE3_clEvEUlssE_EEvS4_RKT_EUlibE_EEviT1_,@function
_ZN2at6native32elementwise_kernel_manual_unrollILi128ELi4EZNS0_15gpu_kernel_implIZZZNS0_15gcd_kernel_cudaERNS_18TensorIteratorBaseEENKUlvE_clEvENKUlvE3_clEvEUlssE_EEvS4_RKT_EUlibE_EEviT1_: ; @_ZN2at6native32elementwise_kernel_manual_unrollILi128ELi4EZNS0_15gpu_kernel_implIZZZNS0_15gcd_kernel_cudaERNS_18TensorIteratorBaseEENKUlvE_clEvENKUlvE3_clEvEUlssE_EEvS4_RKT_EUlibE_EEviT1_
; %bb.0:
	v_mov_b32_e32 v1, 0
	s_bfe_u32 s4, ttmp6, 0x4000c
	s_load_b32 s16, s[0:1], 0x0
	s_add_co_i32 s13, s4, 1
	s_load_b128 s[4:7], s[0:1], 0x8
	s_clause 0x1
	global_load_u16 v2, v1, s[0:1] offset:45
	global_load_i8 v3, v1, s[0:1] offset:47
	s_clause 0x1
	s_load_b64 s[2:3], s[0:1], 0x18
	s_load_b96 s[8:10], s[0:1], 0x20
	s_and_b32 s12, ttmp6, 15
	s_wait_xcnt 0x0
	s_mul_i32 s0, ttmp9, s13
	s_getreg_b32 s14, hwreg(HW_REG_IB_STS2, 6, 4)
	s_add_co_i32 s12, s12, s0
	s_mov_b32 s15, 0
	s_wait_loadcnt 0x1
	v_readfirstlane_b32 s11, v2
	s_wait_loadcnt 0x0
	v_readfirstlane_b32 s1, v3
	s_lshr_b32 s13, s11, 8
	s_cmp_eq_u32 s14, 0
	s_cselect_b32 s0, ttmp9, s12
	s_mov_b32 s12, 0
	v_lshl_or_b32 v10, s0, 9, v0
	s_mov_b32 s0, exec_lo
	s_delay_alu instid0(VALU_DEP_1) | instskip(SKIP_1) | instid1(VALU_DEP_1)
	v_or_b32_e32 v0, 0x180, v10
	s_wait_kmcnt 0x0
	v_cmpx_le_i32_e64 s16, v0
	s_xor_b32 s14, exec_lo, s0
	s_cbranch_execz .LBB38_1531
; %bb.1:
	s_mov_b32 s23, -1
	s_mov_b32 s20, 0
	s_mov_b32 s18, 0
	;; [unrolled: 1-line block ×3, first 2 shown]
	s_mov_b32 s19, exec_lo
	v_cmpx_gt_i32_e64 s16, v10
	s_cbranch_execz .LBB38_378
; %bb.2:
	v_mul_lo_u32 v0, v10, s9
	s_and_b32 s0, s13, 0xff
	s_delay_alu instid0(SALU_CYCLE_1) | instskip(NEXT) | instid1(VALU_DEP_1)
	s_cmp_lt_i32 s0, 11
	v_ashrrev_i32_e32 v1, 31, v0
	s_delay_alu instid0(VALU_DEP_1)
	v_add_nc_u64_e32 v[2:3], s[6:7], v[0:1]
	s_cbranch_scc1 .LBB38_9
; %bb.3:
	s_and_b32 s15, 0xffff, s0
	s_delay_alu instid0(SALU_CYCLE_1)
	s_cmp_gt_i32 s15, 25
	s_cbranch_scc0 .LBB38_18
; %bb.4:
	s_cmp_gt_i32 s15, 28
	s_cbranch_scc0 .LBB38_32
; %bb.5:
	;; [unrolled: 3-line block ×4, first 2 shown]
	s_cmp_eq_u32 s15, 46
	s_mov_b32 s21, 0
	s_cbranch_scc0 .LBB38_41
; %bb.8:
	global_load_b32 v0, v[2:3], off
	s_mov_b32 s17, -1
	s_wait_loadcnt 0x0
	v_lshlrev_b32_e32 v0, 16, v0
	s_delay_alu instid0(VALU_DEP_1)
	v_cvt_i32_f32_e32 v0, v0
	s_branch .LBB38_43
.LBB38_9:
                                        ; implicit-def: $vgpr0
	s_cbranch_execnz .LBB38_105
.LBB38_10:
	s_and_not1_b32 vcc_lo, exec_lo, s17
	s_cbranch_vccnz .LBB38_152
.LBB38_11:
	s_wait_xcnt 0x0
	v_mul_lo_u32 v2, v10, s10
	s_and_b32 s0, s1, 0xff
	s_delay_alu instid0(SALU_CYCLE_1) | instskip(NEXT) | instid1(VALU_DEP_1)
	s_cmp_lt_i32 s0, 11
	v_ashrrev_i32_e32 v3, 31, v2
	s_delay_alu instid0(VALU_DEP_1)
	v_add_nc_u64_e32 v[2:3], s[2:3], v[2:3]
	s_cbranch_scc1 .LBB38_19
; %bb.12:
	s_and_b32 s15, 0xffff, s0
	s_delay_alu instid0(SALU_CYCLE_1)
	s_cmp_gt_i32 s15, 25
	s_cbranch_scc0 .LBB38_33
; %bb.13:
	s_cmp_gt_i32 s15, 28
	s_cbranch_scc0 .LBB38_36
; %bb.14:
	;; [unrolled: 3-line block ×4, first 2 shown]
	s_cmp_eq_u32 s15, 46
	s_mov_b32 s22, 0
	s_cbranch_scc0 .LBB38_153
; %bb.17:
	s_wait_loadcnt 0x0
	global_load_b32 v1, v[2:3], off
	s_mov_b32 s21, -1
	s_mov_b32 s17, 0
	s_wait_loadcnt 0x0
	v_lshlrev_b32_e32 v1, 16, v1
	s_delay_alu instid0(VALU_DEP_1)
	v_cvt_i32_f32_e32 v4, v1
	s_branch .LBB38_155
.LBB38_18:
                                        ; implicit-def: $vgpr0
	s_cbranch_execnz .LBB38_72
	s_branch .LBB38_104
.LBB38_19:
	s_mov_b32 s17, 0
	s_mov_b32 s21, 0
                                        ; implicit-def: $vgpr4
	s_cbranch_execnz .LBB38_327
.LBB38_20:
	s_and_not1_b32 vcc_lo, exec_lo, s21
	s_cbranch_vccnz .LBB38_375
.LBB38_21:
	s_wait_loadcnt 0x0
	s_delay_alu instid0(VALU_DEP_1) | instskip(SKIP_2) | instid1(VALU_DEP_1)
	v_sub_nc_u16 v1, 0, v4
	s_mov_b32 s15, 0
	s_mov_b32 s0, exec_lo
	v_max_i16 v4, v4, v1
	v_cmpx_ne_u16_e32 0, v0
	s_cbranch_execz .LBB38_25
; %bb.22:
	v_sub_nc_u16 v1, 0, v0
	s_delay_alu instid0(VALU_DEP_1) | instskip(SKIP_1) | instid1(VALU_DEP_2)
	v_max_i16 v1, v0, v1
	v_and_b32_e32 v0, 0xffff, v4
	v_and_b32_e32 v1, 0xffff, v1
.LBB38_23:                              ; =>This Inner Loop Header: Depth=1
	s_delay_alu instid0(VALU_DEP_1) | instskip(NEXT) | instid1(VALU_DEP_2)
	v_bfe_i32 v3, v0, 0, 16
	v_mov_b32_e32 v4, v1
	s_delay_alu instid0(VALU_DEP_2) | instskip(NEXT) | instid1(VALU_DEP_2)
	v_cvt_f32_i32_e32 v6, v3
	v_bfe_i32 v1, v4, 0, 16
	s_delay_alu instid0(VALU_DEP_1) | instskip(SKIP_1) | instid1(VALU_DEP_2)
	v_cvt_f32_i32_e32 v2, v1
	v_xor_b32_e32 v1, v3, v1
	v_rcp_iflag_f32_e32 v5, v2
	v_nop
	s_delay_alu instid0(TRANS32_DEP_1) | instskip(NEXT) | instid1(VALU_DEP_1)
	v_mul_f32_e32 v3, v6, v5
	v_trunc_f32_e32 v3, v3
	s_delay_alu instid0(VALU_DEP_1) | instskip(NEXT) | instid1(VALU_DEP_1)
	v_dual_ashrrev_i32 v1, 30, v1 :: v_dual_fma_f32 v5, -v3, v2, v6
	v_or_b32_e32 v1, 1, v1
	v_cvt_i32_f32_e32 v3, v3
	s_delay_alu instid0(VALU_DEP_3) | instskip(NEXT) | instid1(VALU_DEP_3)
	v_cmp_ge_f32_e64 vcc_lo, |v5|, |v2|
	v_cndmask_b32_e32 v1, 0, v1, vcc_lo
	s_delay_alu instid0(VALU_DEP_1) | instskip(NEXT) | instid1(VALU_DEP_1)
	v_add_nc_u32_e32 v1, v3, v1
	v_mul_lo_u32 v1, v1, v4
	s_delay_alu instid0(VALU_DEP_1) | instskip(NEXT) | instid1(VALU_DEP_1)
	v_sub_nc_u32_e32 v1, v0, v1
	v_and_b32_e32 v0, 0xffff, v1
	v_bfe_i32 v1, v1, 0, 16
	s_delay_alu instid0(VALU_DEP_2) | instskip(SKIP_2) | instid1(SALU_CYCLE_1)
	v_cmp_eq_u32_e32 vcc_lo, 0, v0
	v_mov_b32_e32 v0, v4
	s_or_b32 s15, vcc_lo, s15
	s_and_not1_b32 exec_lo, exec_lo, s15
	s_cbranch_execnz .LBB38_23
; %bb.24:
	s_or_b32 exec_lo, exec_lo, s15
.LBB38_25:
	s_delay_alu instid0(SALU_CYCLE_1) | instskip(SKIP_2) | instid1(SALU_CYCLE_1)
	s_or_b32 exec_lo, exec_lo, s0
	v_mul_lo_u32 v0, v10, s8
	s_and_b32 s15, s11, 0xff
	s_cmp_lt_i32 s15, 11
	s_delay_alu instid0(VALU_DEP_1) | instskip(NEXT) | instid1(VALU_DEP_1)
	v_ashrrev_i32_e32 v1, 31, v0
	v_add_nc_u64_e32 v[0:1], s[4:5], v[0:1]
	s_cbranch_scc1 .LBB38_34
; %bb.26:
	s_and_b32 s21, 0xffff, s15
	s_delay_alu instid0(SALU_CYCLE_1)
	s_cmp_gt_i32 s21, 25
	s_cbranch_scc0 .LBB38_37
; %bb.27:
	s_cmp_gt_i32 s21, 28
	s_cbranch_scc0 .LBB38_40
; %bb.28:
	;; [unrolled: 3-line block ×4, first 2 shown]
	s_mov_b32 s23, 0
	s_mov_b32 s0, -1
	s_cmp_eq_u32 s21, 46
	s_mov_b32 s22, 0
	s_cbranch_scc0 .LBB38_159
; %bb.31:
	v_bfe_i32 v2, v4, 0, 16
	s_mov_b32 s22, -1
	s_mov_b32 s0, 0
	s_delay_alu instid0(VALU_DEP_1) | instskip(NEXT) | instid1(VALU_DEP_1)
	v_cvt_f32_i32_e32 v2, v2
	v_bfe_u32 v3, v2, 16, 1
	s_delay_alu instid0(VALU_DEP_1) | instskip(NEXT) | instid1(VALU_DEP_1)
	v_add3_u32 v2, v2, v3, 0x7fff
	v_lshrrev_b32_e32 v2, 16, v2
	global_store_b32 v[0:1], v2, off
	s_branch .LBB38_159
.LBB38_32:
	s_mov_b32 s21, -1
                                        ; implicit-def: $vgpr0
	s_branch .LBB38_55
.LBB38_33:
	s_mov_b32 s22, -1
	s_mov_b32 s17, 0
	s_mov_b32 s21, 0
                                        ; implicit-def: $vgpr4
	s_branch .LBB38_293
.LBB38_34:
	s_mov_b32 s21, -1
	s_mov_b32 s0, 0
	s_mov_b32 s22, 0
	s_branch .LBB38_228
.LBB38_35:
	s_mov_b32 s21, -1
                                        ; implicit-def: $vgpr0
	s_branch .LBB38_50
.LBB38_36:
	s_mov_b32 s22, -1
	s_mov_b32 s17, 0
	s_mov_b32 s21, 0
                                        ; implicit-def: $vgpr4
	s_branch .LBB38_276
.LBB38_37:
	s_mov_b32 s23, -1
	s_mov_b32 s0, 0
	s_mov_b32 s22, 0
	s_branch .LBB38_186
.LBB38_38:
	s_mov_b32 s21, -1
	s_branch .LBB38_42
.LBB38_39:
	s_mov_b32 s22, -1
	s_mov_b32 s17, 0
	s_mov_b32 s21, 0
                                        ; implicit-def: $vgpr4
	s_branch .LBB38_271
.LBB38_40:
	s_mov_b32 s23, -1
	s_mov_b32 s0, 0
	s_mov_b32 s22, 0
	s_branch .LBB38_169
.LBB38_41:
	s_mov_b32 s18, -1
.LBB38_42:
                                        ; implicit-def: $vgpr0
.LBB38_43:
	s_and_b32 vcc_lo, exec_lo, s21
	s_cbranch_vccz .LBB38_49
; %bb.44:
	s_cmp_eq_u32 s15, 44
	s_cbranch_scc0 .LBB38_48
; %bb.45:
	global_load_u8 v0, v[2:3], off
	s_mov_b32 s18, 0
	s_mov_b32 s17, -1
	s_wait_loadcnt 0x0
	v_lshlrev_b32_e32 v1, 23, v0
	v_cmp_ne_u32_e32 vcc_lo, 0, v0
	s_delay_alu instid0(VALU_DEP_2) | instskip(NEXT) | instid1(VALU_DEP_1)
	v_cvt_i32_f32_e32 v1, v1
	v_cndmask_b32_e32 v0, 0, v1, vcc_lo
	s_branch .LBB38_49
.LBB38_46:
	s_mov_b32 s22, -1
	s_mov_b32 s17, 0
	s_branch .LBB38_154
.LBB38_47:
	s_mov_b32 s23, -1
	s_mov_b32 s0, 0
	s_mov_b32 s22, 0
	s_branch .LBB38_165
.LBB38_48:
	s_mov_b32 s18, -1
                                        ; implicit-def: $vgpr0
.LBB38_49:
	s_mov_b32 s21, 0
.LBB38_50:
	s_delay_alu instid0(SALU_CYCLE_1)
	s_and_b32 vcc_lo, exec_lo, s21
	s_cbranch_vccz .LBB38_54
; %bb.51:
	s_cmp_eq_u32 s15, 29
	s_cbranch_scc0 .LBB38_53
; %bb.52:
	global_load_b64 v[0:1], v[2:3], off
	s_mov_b32 s17, -1
	s_mov_b32 s18, 0
	s_branch .LBB38_54
.LBB38_53:
	s_mov_b32 s18, -1
                                        ; implicit-def: $vgpr0
.LBB38_54:
	s_mov_b32 s21, 0
.LBB38_55:
	s_delay_alu instid0(SALU_CYCLE_1)
	s_and_b32 vcc_lo, exec_lo, s21
	s_cbranch_vccz .LBB38_71
; %bb.56:
	s_cmp_lt_i32 s15, 27
	s_cbranch_scc1 .LBB38_59
; %bb.57:
	s_cmp_gt_i32 s15, 27
	s_cbranch_scc0 .LBB38_60
; %bb.58:
	s_wait_loadcnt 0x0
	global_load_b32 v0, v[2:3], off
	s_mov_b32 s17, 0
	s_branch .LBB38_61
.LBB38_59:
	s_mov_b32 s17, -1
                                        ; implicit-def: $vgpr0
	s_branch .LBB38_64
.LBB38_60:
	s_mov_b32 s17, -1
                                        ; implicit-def: $vgpr0
.LBB38_61:
	s_delay_alu instid0(SALU_CYCLE_1)
	s_and_not1_b32 vcc_lo, exec_lo, s17
	s_cbranch_vccnz .LBB38_63
; %bb.62:
	s_wait_loadcnt 0x0
	global_load_u16 v0, v[2:3], off
.LBB38_63:
	s_mov_b32 s17, 0
.LBB38_64:
	s_delay_alu instid0(SALU_CYCLE_1)
	s_and_not1_b32 vcc_lo, exec_lo, s17
	s_cbranch_vccnz .LBB38_70
; %bb.65:
	s_wait_loadcnt 0x0
	global_load_u8 v1, v[2:3], off
	s_mov_b32 s21, 0
	s_mov_b32 s17, exec_lo
	s_wait_loadcnt 0x0
	v_cmpx_lt_i16_e32 0x7f, v1
	s_xor_b32 s17, exec_lo, s17
	s_cbranch_execz .LBB38_81
; %bb.66:
	v_cmp_ne_u16_e32 vcc_lo, 0x80, v1
	s_and_b32 s21, vcc_lo, exec_lo
	s_and_not1_saveexec_b32 s17, s17
	s_cbranch_execnz .LBB38_82
.LBB38_67:
	s_or_b32 exec_lo, exec_lo, s17
	v_mov_b32_e32 v0, 0
	s_and_saveexec_b32 s17, s21
	s_cbranch_execz .LBB38_69
.LBB38_68:
	v_and_b32_e32 v0, 0xffff, v1
	s_delay_alu instid0(VALU_DEP_1) | instskip(SKIP_1) | instid1(VALU_DEP_2)
	v_and_b32_e32 v4, 7, v0
	v_bfe_u32 v7, v0, 3, 4
	v_clz_i32_u32_e32 v5, v4
	s_delay_alu instid0(VALU_DEP_2) | instskip(NEXT) | instid1(VALU_DEP_2)
	v_cmp_eq_u32_e32 vcc_lo, 0, v7
	v_min_u32_e32 v5, 32, v5
	s_delay_alu instid0(VALU_DEP_1) | instskip(NEXT) | instid1(VALU_DEP_1)
	v_subrev_nc_u32_e32 v6, 28, v5
	v_dual_lshlrev_b32 v0, v6, v0 :: v_dual_sub_nc_u32 v5, 29, v5
	s_delay_alu instid0(VALU_DEP_1) | instskip(NEXT) | instid1(VALU_DEP_1)
	v_dual_lshlrev_b32 v1, 24, v1 :: v_dual_bitop2_b32 v0, 7, v0 bitop3:0x40
	v_dual_cndmask_b32 v0, v4, v0 :: v_dual_cndmask_b32 v5, v7, v5
	s_delay_alu instid0(VALU_DEP_2) | instskip(NEXT) | instid1(VALU_DEP_2)
	v_and_b32_e32 v1, 0x80000000, v1
	v_lshlrev_b32_e32 v0, 20, v0
	s_delay_alu instid0(VALU_DEP_3) | instskip(NEXT) | instid1(VALU_DEP_1)
	v_lshl_add_u32 v4, v5, 23, 0x3b800000
	v_or3_b32 v0, v1, v4, v0
	s_delay_alu instid0(VALU_DEP_1)
	v_cvt_i32_f32_e32 v0, v0
.LBB38_69:
	s_or_b32 exec_lo, exec_lo, s17
.LBB38_70:
	s_mov_b32 s17, -1
.LBB38_71:
	s_branch .LBB38_104
.LBB38_72:
	s_cmp_gt_i32 s15, 22
	s_cbranch_scc0 .LBB38_80
; %bb.73:
	s_cmp_lt_i32 s15, 24
	s_cbranch_scc1 .LBB38_83
; %bb.74:
	s_cmp_gt_i32 s15, 24
	s_cbranch_scc0 .LBB38_84
; %bb.75:
	s_wait_loadcnt 0x0
	global_load_u8 v1, v[2:3], off
	s_mov_b32 s21, 0
	s_mov_b32 s17, exec_lo
	s_wait_loadcnt 0x0
	v_cmpx_lt_i16_e32 0x7f, v1
	s_xor_b32 s17, exec_lo, s17
	s_cbranch_execz .LBB38_96
; %bb.76:
	v_cmp_ne_u16_e32 vcc_lo, 0x80, v1
	s_and_b32 s21, vcc_lo, exec_lo
	s_and_not1_saveexec_b32 s17, s17
	s_cbranch_execnz .LBB38_97
.LBB38_77:
	s_or_b32 exec_lo, exec_lo, s17
	v_mov_b32_e32 v0, 0
	s_and_saveexec_b32 s17, s21
	s_cbranch_execz .LBB38_79
.LBB38_78:
	v_and_b32_e32 v0, 0xffff, v1
	s_delay_alu instid0(VALU_DEP_1) | instskip(SKIP_1) | instid1(VALU_DEP_2)
	v_and_b32_e32 v4, 3, v0
	v_bfe_u32 v7, v0, 2, 5
	v_clz_i32_u32_e32 v5, v4
	s_delay_alu instid0(VALU_DEP_2) | instskip(NEXT) | instid1(VALU_DEP_2)
	v_cmp_eq_u32_e32 vcc_lo, 0, v7
	v_min_u32_e32 v5, 32, v5
	s_delay_alu instid0(VALU_DEP_1) | instskip(NEXT) | instid1(VALU_DEP_1)
	v_subrev_nc_u32_e32 v6, 29, v5
	v_dual_lshlrev_b32 v0, v6, v0 :: v_dual_sub_nc_u32 v5, 30, v5
	s_delay_alu instid0(VALU_DEP_1) | instskip(NEXT) | instid1(VALU_DEP_1)
	v_dual_lshlrev_b32 v1, 24, v1 :: v_dual_bitop2_b32 v0, 3, v0 bitop3:0x40
	v_dual_cndmask_b32 v0, v4, v0 :: v_dual_cndmask_b32 v5, v7, v5
	s_delay_alu instid0(VALU_DEP_2) | instskip(NEXT) | instid1(VALU_DEP_2)
	v_and_b32_e32 v1, 0x80000000, v1
	v_lshlrev_b32_e32 v0, 21, v0
	s_delay_alu instid0(VALU_DEP_3) | instskip(NEXT) | instid1(VALU_DEP_1)
	v_lshl_add_u32 v4, v5, 23, 0x37800000
	v_or3_b32 v0, v1, v4, v0
	s_delay_alu instid0(VALU_DEP_1)
	v_cvt_i32_f32_e32 v0, v0
.LBB38_79:
	s_or_b32 exec_lo, exec_lo, s17
	s_mov_b32 s17, 0
	s_branch .LBB38_85
.LBB38_80:
	s_mov_b32 s21, -1
                                        ; implicit-def: $vgpr0
	s_branch .LBB38_91
.LBB38_81:
	s_and_not1_saveexec_b32 s17, s17
	s_cbranch_execz .LBB38_67
.LBB38_82:
	v_cmp_ne_u16_e32 vcc_lo, 0, v1
	s_and_not1_b32 s21, s21, exec_lo
	s_and_b32 s22, vcc_lo, exec_lo
	s_delay_alu instid0(SALU_CYCLE_1)
	s_or_b32 s21, s21, s22
	s_or_b32 exec_lo, exec_lo, s17
	v_mov_b32_e32 v0, 0
	s_and_saveexec_b32 s17, s21
	s_cbranch_execnz .LBB38_68
	s_branch .LBB38_69
.LBB38_83:
	s_mov_b32 s17, -1
                                        ; implicit-def: $vgpr0
	s_branch .LBB38_88
.LBB38_84:
	s_mov_b32 s17, -1
                                        ; implicit-def: $vgpr0
.LBB38_85:
	s_delay_alu instid0(SALU_CYCLE_1)
	s_and_b32 vcc_lo, exec_lo, s17
	s_cbranch_vccz .LBB38_87
; %bb.86:
	s_wait_loadcnt 0x0
	global_load_u8 v0, v[2:3], off
	s_wait_loadcnt 0x0
	v_lshlrev_b32_e32 v0, 24, v0
	s_delay_alu instid0(VALU_DEP_1) | instskip(NEXT) | instid1(VALU_DEP_1)
	v_and_b32_e32 v1, 0x7f000000, v0
	v_clz_i32_u32_e32 v4, v1
	v_cmp_ne_u32_e32 vcc_lo, 0, v1
	v_add_nc_u32_e32 v6, 0x1000000, v1
	s_delay_alu instid0(VALU_DEP_3) | instskip(NEXT) | instid1(VALU_DEP_1)
	v_min_u32_e32 v4, 32, v4
	v_sub_nc_u32_e64 v4, v4, 4 clamp
	s_delay_alu instid0(VALU_DEP_1) | instskip(NEXT) | instid1(VALU_DEP_1)
	v_dual_lshlrev_b32 v5, v4, v1 :: v_dual_lshlrev_b32 v4, 23, v4
	v_lshrrev_b32_e32 v5, 4, v5
	s_delay_alu instid0(VALU_DEP_1) | instskip(NEXT) | instid1(VALU_DEP_1)
	v_dual_sub_nc_u32 v4, v5, v4 :: v_dual_ashrrev_i32 v5, 8, v6
	v_add_nc_u32_e32 v4, 0x3c000000, v4
	s_delay_alu instid0(VALU_DEP_1) | instskip(NEXT) | instid1(VALU_DEP_1)
	v_and_or_b32 v4, 0x7f800000, v5, v4
	v_cndmask_b32_e32 v1, 0, v4, vcc_lo
	s_delay_alu instid0(VALU_DEP_1) | instskip(NEXT) | instid1(VALU_DEP_1)
	v_and_or_b32 v0, 0x80000000, v0, v1
	v_cvt_i32_f32_e32 v0, v0
.LBB38_87:
	s_mov_b32 s17, 0
.LBB38_88:
	s_delay_alu instid0(SALU_CYCLE_1)
	s_and_not1_b32 vcc_lo, exec_lo, s17
	s_cbranch_vccnz .LBB38_90
; %bb.89:
	s_wait_loadcnt 0x0
	global_load_u8 v0, v[2:3], off
	s_wait_loadcnt 0x0
	v_lshlrev_b32_e32 v1, 25, v0
	v_lshlrev_b16 v0, 8, v0
	s_delay_alu instid0(VALU_DEP_1) | instskip(SKIP_1) | instid1(VALU_DEP_2)
	v_and_or_b32 v5, 0x7f00, v0, 0.5
	v_bfe_i32 v0, v0, 0, 16
	v_add_f32_e32 v5, -0.5, v5
	v_lshrrev_b32_e32 v4, 4, v1
	v_cmp_gt_u32_e32 vcc_lo, 0x8000000, v1
	s_delay_alu instid0(VALU_DEP_2) | instskip(NEXT) | instid1(VALU_DEP_1)
	v_or_b32_e32 v4, 0x70000000, v4
	v_mul_f32_e32 v4, 0x7800000, v4
	s_delay_alu instid0(VALU_DEP_1) | instskip(NEXT) | instid1(VALU_DEP_1)
	v_cndmask_b32_e32 v1, v4, v5, vcc_lo
	v_and_or_b32 v0, 0x80000000, v0, v1
	s_delay_alu instid0(VALU_DEP_1)
	v_cvt_i32_f32_e32 v0, v0
.LBB38_90:
	s_mov_b32 s21, 0
	s_mov_b32 s17, -1
.LBB38_91:
	s_and_not1_b32 vcc_lo, exec_lo, s21
	s_cbranch_vccnz .LBB38_104
; %bb.92:
	s_cmp_gt_i32 s15, 14
	s_cbranch_scc0 .LBB38_95
; %bb.93:
	s_cmp_eq_u32 s15, 15
	s_cbranch_scc0 .LBB38_98
; %bb.94:
	s_wait_loadcnt 0x0
	global_load_u16 v0, v[2:3], off
	s_mov_b32 s17, -1
	s_mov_b32 s18, 0
	s_wait_loadcnt 0x0
	v_lshlrev_b32_e32 v0, 16, v0
	s_delay_alu instid0(VALU_DEP_1)
	v_cvt_i32_f32_e32 v0, v0
	s_branch .LBB38_99
.LBB38_95:
	s_mov_b32 s21, -1
                                        ; implicit-def: $vgpr0
	s_branch .LBB38_100
.LBB38_96:
	s_and_not1_saveexec_b32 s17, s17
	s_cbranch_execz .LBB38_77
.LBB38_97:
	v_cmp_ne_u16_e32 vcc_lo, 0, v1
	s_and_not1_b32 s21, s21, exec_lo
	s_and_b32 s22, vcc_lo, exec_lo
	s_delay_alu instid0(SALU_CYCLE_1)
	s_or_b32 s21, s21, s22
	s_or_b32 exec_lo, exec_lo, s17
	v_mov_b32_e32 v0, 0
	s_and_saveexec_b32 s17, s21
	s_cbranch_execnz .LBB38_78
	s_branch .LBB38_79
.LBB38_98:
	s_mov_b32 s18, -1
                                        ; implicit-def: $vgpr0
.LBB38_99:
	s_mov_b32 s21, 0
.LBB38_100:
	s_delay_alu instid0(SALU_CYCLE_1)
	s_and_b32 vcc_lo, exec_lo, s21
	s_cbranch_vccz .LBB38_104
; %bb.101:
	s_cmp_eq_u32 s15, 11
	s_cbranch_scc0 .LBB38_103
; %bb.102:
	s_wait_loadcnt 0x0
	global_load_u8 v0, v[2:3], off
	s_mov_b32 s18, 0
	s_mov_b32 s17, -1
	s_wait_loadcnt 0x0
	v_cmp_ne_u16_e32 vcc_lo, 0, v0
	v_cndmask_b32_e64 v0, 0, 1, vcc_lo
	s_branch .LBB38_104
.LBB38_103:
	s_mov_b32 s18, -1
                                        ; implicit-def: $vgpr0
.LBB38_104:
	s_branch .LBB38_10
.LBB38_105:
	s_and_b32 s0, 0xffff, s0
	s_delay_alu instid0(SALU_CYCLE_1)
	s_cmp_lt_i32 s0, 5
	s_cbranch_scc1 .LBB38_110
; %bb.106:
	s_cmp_lt_i32 s0, 8
	s_cbranch_scc1 .LBB38_111
; %bb.107:
	;; [unrolled: 3-line block ×3, first 2 shown]
	s_cmp_gt_i32 s0, 9
	s_cbranch_scc0 .LBB38_113
; %bb.109:
	s_wait_loadcnt 0x0
	global_load_b64 v[0:1], v[2:3], off
	s_mov_b32 s15, 0
	s_wait_loadcnt 0x0
	v_cvt_i32_f64_e32 v0, v[0:1]
	s_branch .LBB38_114
.LBB38_110:
                                        ; implicit-def: $vgpr0
	s_branch .LBB38_132
.LBB38_111:
	s_mov_b32 s15, -1
                                        ; implicit-def: $vgpr0
	s_branch .LBB38_120
.LBB38_112:
	s_mov_b32 s15, -1
                                        ; implicit-def: $vgpr0
	s_branch .LBB38_117
.LBB38_113:
	s_mov_b32 s15, -1
                                        ; implicit-def: $vgpr0
.LBB38_114:
	s_delay_alu instid0(SALU_CYCLE_1)
	s_and_not1_b32 vcc_lo, exec_lo, s15
	s_cbranch_vccnz .LBB38_116
; %bb.115:
	s_wait_loadcnt 0x0
	global_load_b32 v0, v[2:3], off
	s_wait_loadcnt 0x0
	v_cvt_i32_f32_e32 v0, v0
.LBB38_116:
	s_mov_b32 s15, 0
.LBB38_117:
	s_delay_alu instid0(SALU_CYCLE_1)
	s_and_not1_b32 vcc_lo, exec_lo, s15
	s_cbranch_vccnz .LBB38_119
; %bb.118:
	s_wait_loadcnt 0x0
	global_load_b32 v0, v[2:3], off
	s_wait_loadcnt 0x0
	v_cvt_i16_f16_e32 v0, v0
.LBB38_119:
	s_mov_b32 s15, 0
.LBB38_120:
	s_delay_alu instid0(SALU_CYCLE_1)
	s_and_not1_b32 vcc_lo, exec_lo, s15
	s_cbranch_vccnz .LBB38_131
; %bb.121:
	s_cmp_lt_i32 s0, 6
	s_cbranch_scc1 .LBB38_124
; %bb.122:
	s_cmp_gt_i32 s0, 6
	s_cbranch_scc0 .LBB38_125
; %bb.123:
	s_wait_loadcnt 0x0
	global_load_b64 v[0:1], v[2:3], off
	s_mov_b32 s15, 0
	s_wait_loadcnt 0x0
	v_cvt_i32_f64_e32 v0, v[0:1]
	s_branch .LBB38_126
.LBB38_124:
	s_mov_b32 s15, -1
                                        ; implicit-def: $vgpr0
	s_branch .LBB38_129
.LBB38_125:
	s_mov_b32 s15, -1
                                        ; implicit-def: $vgpr0
.LBB38_126:
	s_delay_alu instid0(SALU_CYCLE_1)
	s_and_not1_b32 vcc_lo, exec_lo, s15
	s_cbranch_vccnz .LBB38_128
; %bb.127:
	s_wait_loadcnt 0x0
	global_load_b32 v0, v[2:3], off
	s_wait_loadcnt 0x0
	v_cvt_i32_f32_e32 v0, v0
.LBB38_128:
	s_mov_b32 s15, 0
.LBB38_129:
	s_delay_alu instid0(SALU_CYCLE_1)
	s_and_not1_b32 vcc_lo, exec_lo, s15
	s_cbranch_vccnz .LBB38_131
; %bb.130:
	s_wait_loadcnt 0x0
	global_load_u16 v0, v[2:3], off
	s_wait_loadcnt 0x0
	v_cvt_i16_f16_e32 v0, v0
.LBB38_131:
	s_cbranch_execnz .LBB38_151
.LBB38_132:
	s_cmp_lt_i32 s0, 2
	s_cbranch_scc1 .LBB38_136
; %bb.133:
	s_cmp_lt_i32 s0, 3
	s_cbranch_scc1 .LBB38_137
; %bb.134:
	s_cmp_gt_i32 s0, 3
	s_cbranch_scc0 .LBB38_138
; %bb.135:
	s_wait_loadcnt 0x0
	global_load_b64 v[0:1], v[2:3], off
	s_mov_b32 s15, 0
	s_branch .LBB38_139
.LBB38_136:
	s_mov_b32 s15, -1
                                        ; implicit-def: $vgpr0
	s_branch .LBB38_145
.LBB38_137:
	s_mov_b32 s15, -1
                                        ; implicit-def: $vgpr0
	s_branch .LBB38_142
.LBB38_138:
	s_mov_b32 s15, -1
                                        ; implicit-def: $vgpr0
.LBB38_139:
	s_delay_alu instid0(SALU_CYCLE_1)
	s_and_not1_b32 vcc_lo, exec_lo, s15
	s_cbranch_vccnz .LBB38_141
; %bb.140:
	s_wait_loadcnt 0x0
	global_load_b32 v0, v[2:3], off
.LBB38_141:
	s_mov_b32 s15, 0
.LBB38_142:
	s_delay_alu instid0(SALU_CYCLE_1)
	s_and_not1_b32 vcc_lo, exec_lo, s15
	s_cbranch_vccnz .LBB38_144
; %bb.143:
	s_wait_loadcnt 0x0
	global_load_u16 v0, v[2:3], off
.LBB38_144:
	s_mov_b32 s15, 0
.LBB38_145:
	s_delay_alu instid0(SALU_CYCLE_1)
	s_and_not1_b32 vcc_lo, exec_lo, s15
	s_cbranch_vccnz .LBB38_151
; %bb.146:
	s_cmp_gt_i32 s0, 0
	s_mov_b32 s0, 0
	s_cbranch_scc0 .LBB38_148
; %bb.147:
	s_wait_loadcnt 0x0
	global_load_i8 v0, v[2:3], off
	s_branch .LBB38_149
.LBB38_148:
	s_mov_b32 s0, -1
                                        ; implicit-def: $vgpr0
.LBB38_149:
	s_delay_alu instid0(SALU_CYCLE_1)
	s_and_not1_b32 vcc_lo, exec_lo, s0
	s_cbranch_vccnz .LBB38_151
; %bb.150:
	s_wait_loadcnt 0x0
	global_load_u8 v0, v[2:3], off
.LBB38_151:
	s_branch .LBB38_11
.LBB38_152:
	s_mov_b32 s0, 0
	s_mov_b32 s17, 0
	s_branch .LBB38_376
.LBB38_153:
	s_mov_b32 s17, -1
.LBB38_154:
	s_mov_b32 s21, 0
                                        ; implicit-def: $vgpr4
.LBB38_155:
	s_and_b32 vcc_lo, exec_lo, s22
	s_cbranch_vccz .LBB38_270
; %bb.156:
	s_cmp_eq_u32 s15, 44
	s_cbranch_scc0 .LBB38_269
; %bb.157:
	s_wait_loadcnt 0x0
	global_load_u8 v1, v[2:3], off
	s_mov_b32 s17, 0
	s_mov_b32 s21, -1
	s_wait_loadcnt 0x0
	v_lshlrev_b32_e32 v4, 23, v1
	v_cmp_ne_u32_e32 vcc_lo, 0, v1
	s_delay_alu instid0(VALU_DEP_2) | instskip(NEXT) | instid1(VALU_DEP_1)
	v_cvt_i32_f32_e32 v4, v4
	v_cndmask_b32_e32 v4, 0, v4, vcc_lo
	s_branch .LBB38_270
.LBB38_158:
	s_mov_b32 s23, -1
	s_mov_b32 s0, 0
	s_mov_b32 s22, 0
.LBB38_159:
	s_and_b32 vcc_lo, exec_lo, s23
	s_cbranch_vccz .LBB38_164
; %bb.160:
	s_cmp_eq_u32 s21, 44
	s_mov_b32 s0, -1
	s_cbranch_scc0 .LBB38_164
; %bb.161:
	s_wait_xcnt 0x0
	v_bfe_i32 v2, v4, 0, 16
	v_mov_b32_e32 v3, 0xff
	s_mov_b32 s22, exec_lo
	s_delay_alu instid0(VALU_DEP_2) | instskip(NEXT) | instid1(VALU_DEP_1)
	v_cvt_f32_i32_e32 v2, v2
	v_bfe_u32 v5, v2, 23, 8
	s_delay_alu instid0(VALU_DEP_1)
	v_cmpx_ne_u32_e32 0xff, v5
	s_cbranch_execz .LBB38_163
; %bb.162:
	v_and_b32_e32 v3, 0x400000, v2
	v_and_or_b32 v5, 0x3fffff, v2, v5
	v_lshrrev_b32_e32 v2, 23, v2
	s_delay_alu instid0(VALU_DEP_3) | instskip(NEXT) | instid1(VALU_DEP_3)
	v_cmp_ne_u32_e32 vcc_lo, 0, v3
	v_cmp_ne_u32_e64 s0, 0, v5
	s_and_b32 s0, vcc_lo, s0
	s_delay_alu instid0(SALU_CYCLE_1) | instskip(NEXT) | instid1(VALU_DEP_1)
	v_cndmask_b32_e64 v3, 0, 1, s0
	v_add_nc_u32_e32 v3, v2, v3
.LBB38_163:
	s_or_b32 exec_lo, exec_lo, s22
	s_mov_b32 s22, -1
	s_mov_b32 s0, 0
	global_store_b8 v[0:1], v3, off
.LBB38_164:
	s_mov_b32 s23, 0
.LBB38_165:
	s_delay_alu instid0(SALU_CYCLE_1)
	s_and_b32 vcc_lo, exec_lo, s23
	s_cbranch_vccz .LBB38_168
; %bb.166:
	s_cmp_eq_u32 s21, 29
	s_mov_b32 s0, -1
	s_cbranch_scc0 .LBB38_168
; %bb.167:
	s_wait_xcnt 0x0
	v_bfe_i32 v2, v4, 0, 16
	s_mov_b32 s0, 0
	s_mov_b32 s22, -1
	s_mov_b32 s23, 0
	s_delay_alu instid0(VALU_DEP_1)
	v_ashrrev_i32_e32 v3, 31, v2
	global_store_b64 v[0:1], v[2:3], off
	s_branch .LBB38_169
.LBB38_168:
	s_mov_b32 s23, 0
.LBB38_169:
	s_delay_alu instid0(SALU_CYCLE_1)
	s_and_b32 vcc_lo, exec_lo, s23
	s_cbranch_vccz .LBB38_185
; %bb.170:
	s_cmp_lt_i32 s21, 27
	s_mov_b32 s22, -1
	s_cbranch_scc1 .LBB38_176
; %bb.171:
	s_cmp_gt_i32 s21, 27
	s_cbranch_scc0 .LBB38_173
; %bb.172:
	s_wait_xcnt 0x0
	v_bfe_i32 v2, v4, 0, 16
	s_mov_b32 s22, 0
	global_store_b32 v[0:1], v2, off
.LBB38_173:
	s_and_not1_b32 vcc_lo, exec_lo, s22
	s_cbranch_vccnz .LBB38_175
; %bb.174:
	global_store_b16 v[0:1], v4, off
.LBB38_175:
	s_mov_b32 s22, 0
.LBB38_176:
	s_delay_alu instid0(SALU_CYCLE_1)
	s_and_not1_b32 vcc_lo, exec_lo, s22
	s_cbranch_vccnz .LBB38_184
; %bb.177:
	s_wait_xcnt 0x0
	v_bfe_i32 v2, v4, 0, 16
	v_mov_b32_e32 v5, 0x80
	s_mov_b32 s22, exec_lo
	s_delay_alu instid0(VALU_DEP_2) | instskip(NEXT) | instid1(VALU_DEP_1)
	v_cvt_f32_i32_e32 v2, v2
	v_and_b32_e32 v3, 0x7fffffff, v2
	s_delay_alu instid0(VALU_DEP_1)
	v_cmpx_gt_u32_e32 0x43800000, v3
	s_cbranch_execz .LBB38_183
; %bb.178:
	v_cmp_lt_u32_e32 vcc_lo, 0x3bffffff, v3
	s_mov_b32 s23, 0
                                        ; implicit-def: $vgpr3
	s_and_saveexec_b32 s24, vcc_lo
	s_delay_alu instid0(SALU_CYCLE_1)
	s_xor_b32 s24, exec_lo, s24
	s_cbranch_execz .LBB38_407
; %bb.179:
	v_bfe_u32 v3, v2, 20, 1
	s_mov_b32 s23, exec_lo
	s_delay_alu instid0(VALU_DEP_1) | instskip(NEXT) | instid1(VALU_DEP_1)
	v_add3_u32 v3, v2, v3, 0x487ffff
	v_lshrrev_b32_e32 v3, 20, v3
	s_and_not1_saveexec_b32 s24, s24
	s_cbranch_execnz .LBB38_408
.LBB38_180:
	s_or_b32 exec_lo, exec_lo, s24
	v_mov_b32_e32 v5, 0
	s_and_saveexec_b32 s24, s23
.LBB38_181:
	v_lshrrev_b32_e32 v2, 24, v2
	s_delay_alu instid0(VALU_DEP_1)
	v_and_or_b32 v5, 0x80, v2, v3
.LBB38_182:
	s_or_b32 exec_lo, exec_lo, s24
.LBB38_183:
	s_delay_alu instid0(SALU_CYCLE_1)
	s_or_b32 exec_lo, exec_lo, s22
	global_store_b8 v[0:1], v5, off
.LBB38_184:
	s_mov_b32 s22, -1
.LBB38_185:
	s_mov_b32 s23, 0
.LBB38_186:
	s_delay_alu instid0(SALU_CYCLE_1)
	s_and_b32 vcc_lo, exec_lo, s23
	s_cbranch_vccz .LBB38_227
; %bb.187:
	s_cmp_gt_i32 s21, 22
	s_mov_b32 s23, -1
	s_cbranch_scc0 .LBB38_219
; %bb.188:
	s_cmp_lt_i32 s21, 24
	s_mov_b32 s22, -1
	s_cbranch_scc1 .LBB38_208
; %bb.189:
	s_cmp_gt_i32 s21, 24
	s_cbranch_scc0 .LBB38_197
; %bb.190:
	s_wait_xcnt 0x0
	v_bfe_i32 v2, v4, 0, 16
	v_mov_b32_e32 v5, 0x80
	s_mov_b32 s22, exec_lo
	s_delay_alu instid0(VALU_DEP_2) | instskip(NEXT) | instid1(VALU_DEP_1)
	v_cvt_f32_i32_e32 v2, v2
	v_and_b32_e32 v3, 0x7fffffff, v2
	s_delay_alu instid0(VALU_DEP_1)
	v_cmpx_gt_u32_e32 0x47800000, v3
	s_cbranch_execz .LBB38_196
; %bb.191:
	v_cmp_lt_u32_e32 vcc_lo, 0x37ffffff, v3
	s_mov_b32 s23, 0
                                        ; implicit-def: $vgpr3
	s_and_saveexec_b32 s24, vcc_lo
	s_delay_alu instid0(SALU_CYCLE_1)
	s_xor_b32 s24, exec_lo, s24
	s_cbranch_execz .LBB38_522
; %bb.192:
	v_bfe_u32 v3, v2, 21, 1
	s_mov_b32 s23, exec_lo
	s_delay_alu instid0(VALU_DEP_1) | instskip(NEXT) | instid1(VALU_DEP_1)
	v_add3_u32 v3, v2, v3, 0x88fffff
	v_lshrrev_b32_e32 v3, 21, v3
	s_and_not1_saveexec_b32 s24, s24
	s_cbranch_execnz .LBB38_523
.LBB38_193:
	s_or_b32 exec_lo, exec_lo, s24
	v_mov_b32_e32 v5, 0
	s_and_saveexec_b32 s24, s23
.LBB38_194:
	v_lshrrev_b32_e32 v2, 24, v2
	s_delay_alu instid0(VALU_DEP_1)
	v_and_or_b32 v5, 0x80, v2, v3
.LBB38_195:
	s_or_b32 exec_lo, exec_lo, s24
.LBB38_196:
	s_delay_alu instid0(SALU_CYCLE_1)
	s_or_b32 exec_lo, exec_lo, s22
	s_mov_b32 s22, 0
	global_store_b8 v[0:1], v5, off
.LBB38_197:
	s_and_b32 vcc_lo, exec_lo, s22
	s_cbranch_vccz .LBB38_207
; %bb.198:
	s_wait_xcnt 0x0
	v_bfe_i32 v2, v4, 0, 16
	s_mov_b32 s22, exec_lo
                                        ; implicit-def: $vgpr3
	s_delay_alu instid0(VALU_DEP_1) | instskip(NEXT) | instid1(VALU_DEP_1)
	v_cvt_f32_i32_e32 v2, v2
	v_and_b32_e32 v5, 0x7fffffff, v2
	s_delay_alu instid0(VALU_DEP_1)
	v_cmpx_gt_u32_e32 0x43f00000, v5
	s_xor_b32 s22, exec_lo, s22
	s_cbranch_execz .LBB38_204
; %bb.199:
	s_mov_b32 s23, exec_lo
                                        ; implicit-def: $vgpr3
	v_cmpx_lt_u32_e32 0x3c7fffff, v5
	s_xor_b32 s23, exec_lo, s23
; %bb.200:
	v_bfe_u32 v3, v2, 20, 1
	s_delay_alu instid0(VALU_DEP_1) | instskip(NEXT) | instid1(VALU_DEP_1)
	v_add3_u32 v3, v2, v3, 0x407ffff
	v_and_b32_e32 v5, 0xff00000, v3
	v_lshrrev_b32_e32 v3, 20, v3
	s_delay_alu instid0(VALU_DEP_2) | instskip(NEXT) | instid1(VALU_DEP_2)
	v_cmp_ne_u32_e32 vcc_lo, 0x7f00000, v5
	v_cndmask_b32_e32 v3, 0x7e, v3, vcc_lo
; %bb.201:
	s_and_not1_saveexec_b32 s23, s23
; %bb.202:
	v_add_f32_e64 v3, 0x46800000, |v2|
; %bb.203:
	s_or_b32 exec_lo, exec_lo, s23
                                        ; implicit-def: $vgpr5
.LBB38_204:
	s_and_not1_saveexec_b32 s22, s22
; %bb.205:
	v_mov_b32_e32 v3, 0x7f
	v_cmp_lt_u32_e32 vcc_lo, 0x7f800000, v5
	s_delay_alu instid0(VALU_DEP_2)
	v_cndmask_b32_e32 v3, 0x7e, v3, vcc_lo
; %bb.206:
	s_or_b32 exec_lo, exec_lo, s22
	v_lshrrev_b32_e32 v2, 24, v2
	s_delay_alu instid0(VALU_DEP_1)
	v_and_or_b32 v2, 0x80, v2, v3
	global_store_b8 v[0:1], v2, off
.LBB38_207:
	s_mov_b32 s22, 0
.LBB38_208:
	s_delay_alu instid0(SALU_CYCLE_1)
	s_and_not1_b32 vcc_lo, exec_lo, s22
	s_cbranch_vccnz .LBB38_218
; %bb.209:
	s_wait_xcnt 0x0
	v_bfe_i32 v2, v4, 0, 16
	s_mov_b32 s22, exec_lo
                                        ; implicit-def: $vgpr3
	s_delay_alu instid0(VALU_DEP_1) | instskip(NEXT) | instid1(VALU_DEP_1)
	v_cvt_f32_i32_e32 v2, v2
	v_and_b32_e32 v5, 0x7fffffff, v2
	s_delay_alu instid0(VALU_DEP_1)
	v_cmpx_gt_u32_e32 0x47800000, v5
	s_xor_b32 s22, exec_lo, s22
	s_cbranch_execz .LBB38_215
; %bb.210:
	s_mov_b32 s23, exec_lo
                                        ; implicit-def: $vgpr3
	v_cmpx_lt_u32_e32 0x387fffff, v5
	s_xor_b32 s23, exec_lo, s23
; %bb.211:
	v_bfe_u32 v3, v2, 21, 1
	s_delay_alu instid0(VALU_DEP_1) | instskip(NEXT) | instid1(VALU_DEP_1)
	v_add3_u32 v3, v2, v3, 0x80fffff
	v_lshrrev_b32_e32 v3, 21, v3
; %bb.212:
	s_and_not1_saveexec_b32 s23, s23
; %bb.213:
	v_add_f32_e64 v3, 0x43000000, |v2|
; %bb.214:
	s_or_b32 exec_lo, exec_lo, s23
                                        ; implicit-def: $vgpr5
.LBB38_215:
	s_and_not1_saveexec_b32 s22, s22
; %bb.216:
	v_mov_b32_e32 v3, 0x7f
	v_cmp_lt_u32_e32 vcc_lo, 0x7f800000, v5
	s_delay_alu instid0(VALU_DEP_2)
	v_cndmask_b32_e32 v3, 0x7c, v3, vcc_lo
; %bb.217:
	s_or_b32 exec_lo, exec_lo, s22
	v_lshrrev_b32_e32 v2, 24, v2
	s_delay_alu instid0(VALU_DEP_1)
	v_and_or_b32 v2, 0x80, v2, v3
	global_store_b8 v[0:1], v2, off
.LBB38_218:
	s_mov_b32 s23, 0
	s_mov_b32 s22, -1
.LBB38_219:
	s_and_not1_b32 vcc_lo, exec_lo, s23
	s_cbranch_vccnz .LBB38_227
; %bb.220:
	s_cmp_gt_i32 s21, 14
	s_mov_b32 s23, -1
	s_cbranch_scc0 .LBB38_224
; %bb.221:
	s_cmp_eq_u32 s21, 15
	s_mov_b32 s0, -1
	s_cbranch_scc0 .LBB38_223
; %bb.222:
	s_wait_xcnt 0x0
	v_bfe_i32 v2, v4, 0, 16
	s_mov_b32 s22, -1
	s_mov_b32 s0, 0
	s_delay_alu instid0(VALU_DEP_1) | instskip(NEXT) | instid1(VALU_DEP_1)
	v_cvt_f32_i32_e32 v2, v2
	v_bfe_u32 v3, v2, 16, 1
	s_delay_alu instid0(VALU_DEP_1)
	v_add3_u32 v2, v2, v3, 0x7fff
	global_store_d16_hi_b16 v[0:1], v2, off
.LBB38_223:
	s_mov_b32 s23, 0
.LBB38_224:
	s_delay_alu instid0(SALU_CYCLE_1)
	s_and_b32 vcc_lo, exec_lo, s23
	s_cbranch_vccz .LBB38_227
; %bb.225:
	s_cmp_eq_u32 s21, 11
	s_mov_b32 s0, -1
	s_cbranch_scc0 .LBB38_227
; %bb.226:
	v_cmp_ne_u16_e32 vcc_lo, 0, v4
	s_mov_b32 s0, 0
	s_mov_b32 s22, -1
	s_wait_xcnt 0x0
	v_cndmask_b32_e64 v2, 0, 1, vcc_lo
	global_store_b8 v[0:1], v2, off
.LBB38_227:
	s_mov_b32 s21, 0
.LBB38_228:
	s_delay_alu instid0(SALU_CYCLE_1)
	s_and_b32 vcc_lo, exec_lo, s21
	s_cbranch_vccz .LBB38_267
; %bb.229:
	s_and_b32 s15, 0xffff, s15
	s_mov_b32 s21, -1
	s_cmp_lt_i32 s15, 5
	s_cbranch_scc1 .LBB38_250
; %bb.230:
	s_cmp_lt_i32 s15, 8
	s_cbranch_scc1 .LBB38_240
; %bb.231:
	;; [unrolled: 3-line block ×3, first 2 shown]
	s_cmp_gt_i32 s15, 9
	s_cbranch_scc0 .LBB38_234
; %bb.233:
	s_wait_xcnt 0x0
	v_bfe_i32 v2, v4, 0, 16
	v_mov_b32_e32 v8, 0
	s_mov_b32 s21, 0
	s_delay_alu instid0(VALU_DEP_2) | instskip(NEXT) | instid1(VALU_DEP_2)
	v_cvt_f64_i32_e32 v[6:7], v2
	v_mov_b32_e32 v9, v8
	global_store_b128 v[0:1], v[6:9], off
.LBB38_234:
	s_and_not1_b32 vcc_lo, exec_lo, s21
	s_cbranch_vccnz .LBB38_236
; %bb.235:
	s_wait_xcnt 0x0
	v_bfe_i32 v2, v4, 0, 16
	v_mov_b32_e32 v3, 0
	s_delay_alu instid0(VALU_DEP_2)
	v_cvt_f32_i32_e32 v2, v2
	global_store_b64 v[0:1], v[2:3], off
.LBB38_236:
	s_mov_b32 s21, 0
.LBB38_237:
	s_delay_alu instid0(SALU_CYCLE_1)
	s_and_not1_b32 vcc_lo, exec_lo, s21
	s_cbranch_vccnz .LBB38_239
; %bb.238:
	s_wait_xcnt 0x0
	v_cvt_f16_i16_e32 v2, v4
	s_delay_alu instid0(VALU_DEP_1)
	v_and_b32_e32 v2, 0xffff, v2
	global_store_b32 v[0:1], v2, off
.LBB38_239:
	s_mov_b32 s21, 0
.LBB38_240:
	s_delay_alu instid0(SALU_CYCLE_1)
	s_and_not1_b32 vcc_lo, exec_lo, s21
	s_cbranch_vccnz .LBB38_249
; %bb.241:
	s_cmp_lt_i32 s15, 6
	s_mov_b32 s21, -1
	s_cbranch_scc1 .LBB38_247
; %bb.242:
	s_cmp_gt_i32 s15, 6
	s_cbranch_scc0 .LBB38_244
; %bb.243:
	s_wait_xcnt 0x0
	v_bfe_i32 v2, v4, 0, 16
	s_mov_b32 s21, 0
	s_delay_alu instid0(VALU_DEP_1)
	v_cvt_f64_i32_e32 v[2:3], v2
	global_store_b64 v[0:1], v[2:3], off
.LBB38_244:
	s_and_not1_b32 vcc_lo, exec_lo, s21
	s_cbranch_vccnz .LBB38_246
; %bb.245:
	s_wait_xcnt 0x0
	v_bfe_i32 v2, v4, 0, 16
	s_delay_alu instid0(VALU_DEP_1)
	v_cvt_f32_i32_e32 v2, v2
	global_store_b32 v[0:1], v2, off
.LBB38_246:
	s_mov_b32 s21, 0
.LBB38_247:
	s_delay_alu instid0(SALU_CYCLE_1)
	s_and_not1_b32 vcc_lo, exec_lo, s21
	s_cbranch_vccnz .LBB38_249
; %bb.248:
	s_wait_xcnt 0x0
	v_cvt_f16_i16_e32 v2, v4
	global_store_b16 v[0:1], v2, off
.LBB38_249:
	s_mov_b32 s21, 0
.LBB38_250:
	s_delay_alu instid0(SALU_CYCLE_1)
	s_and_not1_b32 vcc_lo, exec_lo, s21
	s_cbranch_vccnz .LBB38_266
; %bb.251:
	s_cmp_lt_i32 s15, 2
	s_mov_b32 s21, -1
	s_cbranch_scc1 .LBB38_261
; %bb.252:
	s_cmp_lt_i32 s15, 3
	s_cbranch_scc1 .LBB38_258
; %bb.253:
	s_wait_xcnt 0x0
	v_bfe_i32 v2, v4, 0, 16
	s_cmp_gt_i32 s15, 3
	s_cbranch_scc0 .LBB38_255
; %bb.254:
	s_delay_alu instid0(VALU_DEP_1)
	v_ashrrev_i32_e32 v3, 31, v2
	s_mov_b32 s21, 0
	global_store_b64 v[0:1], v[2:3], off
.LBB38_255:
	s_and_not1_b32 vcc_lo, exec_lo, s21
	s_cbranch_vccnz .LBB38_257
; %bb.256:
	global_store_b32 v[0:1], v2, off
.LBB38_257:
	s_mov_b32 s21, 0
.LBB38_258:
	s_delay_alu instid0(SALU_CYCLE_1)
	s_and_not1_b32 vcc_lo, exec_lo, s21
	s_cbranch_vccnz .LBB38_260
; %bb.259:
	global_store_b16 v[0:1], v4, off
.LBB38_260:
	s_mov_b32 s21, 0
.LBB38_261:
	s_delay_alu instid0(SALU_CYCLE_1)
	s_and_not1_b32 vcc_lo, exec_lo, s21
	s_cbranch_vccnz .LBB38_266
; %bb.262:
	s_cmp_gt_i32 s15, 0
	s_mov_b32 s15, -1
	s_cbranch_scc0 .LBB38_264
; %bb.263:
	s_mov_b32 s15, 0
	global_store_b8 v[0:1], v4, off
.LBB38_264:
	s_and_not1_b32 vcc_lo, exec_lo, s15
	s_cbranch_vccnz .LBB38_266
; %bb.265:
	global_store_b8 v[0:1], v4, off
.LBB38_266:
	s_mov_b32 s22, -1
.LBB38_267:
	s_delay_alu instid0(SALU_CYCLE_1)
	s_and_not1_b32 vcc_lo, exec_lo, s22
	s_cbranch_vccnz .LBB38_376
; %bb.268:
	v_add_nc_u32_e32 v10, 0x80, v10
	s_mov_b32 s21, -1
	s_branch .LBB38_377
.LBB38_269:
	s_mov_b32 s17, -1
                                        ; implicit-def: $vgpr4
.LBB38_270:
	s_mov_b32 s22, 0
.LBB38_271:
	s_delay_alu instid0(SALU_CYCLE_1)
	s_and_b32 vcc_lo, exec_lo, s22
	s_cbranch_vccz .LBB38_275
; %bb.272:
	s_cmp_eq_u32 s15, 29
	s_cbranch_scc0 .LBB38_274
; %bb.273:
	global_load_b64 v[4:5], v[2:3], off
	s_mov_b32 s21, -1
	s_mov_b32 s17, 0
	s_branch .LBB38_275
.LBB38_274:
	s_mov_b32 s17, -1
                                        ; implicit-def: $vgpr4
.LBB38_275:
	s_mov_b32 s22, 0
.LBB38_276:
	s_delay_alu instid0(SALU_CYCLE_1)
	s_and_b32 vcc_lo, exec_lo, s22
	s_cbranch_vccz .LBB38_292
; %bb.277:
	s_cmp_lt_i32 s15, 27
	s_cbranch_scc1 .LBB38_280
; %bb.278:
	s_cmp_gt_i32 s15, 27
	s_cbranch_scc0 .LBB38_281
; %bb.279:
	s_wait_loadcnt 0x0
	global_load_b32 v4, v[2:3], off
	s_mov_b32 s21, 0
	s_branch .LBB38_282
.LBB38_280:
	s_mov_b32 s21, -1
                                        ; implicit-def: $vgpr4
	s_branch .LBB38_285
.LBB38_281:
	s_mov_b32 s21, -1
                                        ; implicit-def: $vgpr4
.LBB38_282:
	s_delay_alu instid0(SALU_CYCLE_1)
	s_and_not1_b32 vcc_lo, exec_lo, s21
	s_cbranch_vccnz .LBB38_284
; %bb.283:
	s_wait_loadcnt 0x0
	global_load_u16 v4, v[2:3], off
.LBB38_284:
	s_mov_b32 s21, 0
.LBB38_285:
	s_delay_alu instid0(SALU_CYCLE_1)
	s_and_not1_b32 vcc_lo, exec_lo, s21
	s_cbranch_vccnz .LBB38_291
; %bb.286:
	s_wait_loadcnt 0x0
	global_load_u8 v1, v[2:3], off
	s_mov_b32 s22, 0
	s_mov_b32 s21, exec_lo
	s_wait_loadcnt 0x0
	v_cmpx_lt_i16_e32 0x7f, v1
	s_xor_b32 s21, exec_lo, s21
	s_cbranch_execz .LBB38_303
; %bb.287:
	v_cmp_ne_u16_e32 vcc_lo, 0x80, v1
	s_and_b32 s22, vcc_lo, exec_lo
	s_and_not1_saveexec_b32 s21, s21
	s_cbranch_execnz .LBB38_304
.LBB38_288:
	s_or_b32 exec_lo, exec_lo, s21
	v_mov_b32_e32 v4, 0
	s_and_saveexec_b32 s21, s22
	s_cbranch_execz .LBB38_290
.LBB38_289:
	v_and_b32_e32 v4, 0xffff, v1
	s_delay_alu instid0(VALU_DEP_1) | instskip(SKIP_1) | instid1(VALU_DEP_2)
	v_and_b32_e32 v5, 7, v4
	v_bfe_u32 v8, v4, 3, 4
	v_clz_i32_u32_e32 v6, v5
	s_delay_alu instid0(VALU_DEP_2) | instskip(NEXT) | instid1(VALU_DEP_2)
	v_cmp_eq_u32_e32 vcc_lo, 0, v8
	v_min_u32_e32 v6, 32, v6
	s_delay_alu instid0(VALU_DEP_1) | instskip(NEXT) | instid1(VALU_DEP_1)
	v_subrev_nc_u32_e32 v7, 28, v6
	v_dual_lshlrev_b32 v4, v7, v4 :: v_dual_sub_nc_u32 v6, 29, v6
	s_delay_alu instid0(VALU_DEP_1) | instskip(NEXT) | instid1(VALU_DEP_1)
	v_dual_lshlrev_b32 v1, 24, v1 :: v_dual_bitop2_b32 v4, 7, v4 bitop3:0x40
	v_dual_cndmask_b32 v6, v8, v6, vcc_lo :: v_dual_cndmask_b32 v4, v5, v4, vcc_lo
	s_delay_alu instid0(VALU_DEP_2) | instskip(NEXT) | instid1(VALU_DEP_2)
	v_and_b32_e32 v1, 0x80000000, v1
	v_lshl_add_u32 v5, v6, 23, 0x3b800000
	s_delay_alu instid0(VALU_DEP_3) | instskip(NEXT) | instid1(VALU_DEP_1)
	v_lshlrev_b32_e32 v4, 20, v4
	v_or3_b32 v1, v1, v5, v4
	s_delay_alu instid0(VALU_DEP_1)
	v_cvt_i32_f32_e32 v4, v1
.LBB38_290:
	s_or_b32 exec_lo, exec_lo, s21
.LBB38_291:
	s_mov_b32 s21, -1
.LBB38_292:
	s_mov_b32 s22, 0
.LBB38_293:
	s_delay_alu instid0(SALU_CYCLE_1)
	s_and_b32 vcc_lo, exec_lo, s22
	s_cbranch_vccz .LBB38_326
; %bb.294:
	s_cmp_gt_i32 s15, 22
	s_cbranch_scc0 .LBB38_302
; %bb.295:
	s_cmp_lt_i32 s15, 24
	s_cbranch_scc1 .LBB38_305
; %bb.296:
	s_cmp_gt_i32 s15, 24
	s_cbranch_scc0 .LBB38_306
; %bb.297:
	s_wait_loadcnt 0x0
	global_load_u8 v1, v[2:3], off
	s_mov_b32 s22, 0
	s_mov_b32 s21, exec_lo
	s_wait_loadcnt 0x0
	v_cmpx_lt_i16_e32 0x7f, v1
	s_xor_b32 s21, exec_lo, s21
	s_cbranch_execz .LBB38_318
; %bb.298:
	v_cmp_ne_u16_e32 vcc_lo, 0x80, v1
	s_and_b32 s22, vcc_lo, exec_lo
	s_and_not1_saveexec_b32 s21, s21
	s_cbranch_execnz .LBB38_319
.LBB38_299:
	s_or_b32 exec_lo, exec_lo, s21
	v_mov_b32_e32 v4, 0
	s_and_saveexec_b32 s21, s22
	s_cbranch_execz .LBB38_301
.LBB38_300:
	v_and_b32_e32 v4, 0xffff, v1
	s_delay_alu instid0(VALU_DEP_1) | instskip(SKIP_1) | instid1(VALU_DEP_2)
	v_and_b32_e32 v5, 3, v4
	v_bfe_u32 v8, v4, 2, 5
	v_clz_i32_u32_e32 v6, v5
	s_delay_alu instid0(VALU_DEP_2) | instskip(NEXT) | instid1(VALU_DEP_2)
	v_cmp_eq_u32_e32 vcc_lo, 0, v8
	v_min_u32_e32 v6, 32, v6
	s_delay_alu instid0(VALU_DEP_1) | instskip(NEXT) | instid1(VALU_DEP_1)
	v_subrev_nc_u32_e32 v7, 29, v6
	v_dual_lshlrev_b32 v4, v7, v4 :: v_dual_sub_nc_u32 v6, 30, v6
	s_delay_alu instid0(VALU_DEP_1) | instskip(NEXT) | instid1(VALU_DEP_1)
	v_dual_lshlrev_b32 v1, 24, v1 :: v_dual_bitop2_b32 v4, 3, v4 bitop3:0x40
	v_dual_cndmask_b32 v6, v8, v6, vcc_lo :: v_dual_cndmask_b32 v4, v5, v4, vcc_lo
	s_delay_alu instid0(VALU_DEP_2) | instskip(NEXT) | instid1(VALU_DEP_2)
	v_and_b32_e32 v1, 0x80000000, v1
	v_lshl_add_u32 v5, v6, 23, 0x37800000
	s_delay_alu instid0(VALU_DEP_3) | instskip(NEXT) | instid1(VALU_DEP_1)
	v_lshlrev_b32_e32 v4, 21, v4
	v_or3_b32 v1, v1, v5, v4
	s_delay_alu instid0(VALU_DEP_1)
	v_cvt_i32_f32_e32 v4, v1
.LBB38_301:
	s_or_b32 exec_lo, exec_lo, s21
	s_mov_b32 s21, 0
	s_branch .LBB38_307
.LBB38_302:
	s_mov_b32 s22, -1
                                        ; implicit-def: $vgpr4
	s_branch .LBB38_313
.LBB38_303:
	s_and_not1_saveexec_b32 s21, s21
	s_cbranch_execz .LBB38_288
.LBB38_304:
	v_cmp_ne_u16_e32 vcc_lo, 0, v1
	s_and_not1_b32 s22, s22, exec_lo
	s_and_b32 s23, vcc_lo, exec_lo
	s_delay_alu instid0(SALU_CYCLE_1)
	s_or_b32 s22, s22, s23
	s_or_b32 exec_lo, exec_lo, s21
	v_mov_b32_e32 v4, 0
	s_and_saveexec_b32 s21, s22
	s_cbranch_execnz .LBB38_289
	s_branch .LBB38_290
.LBB38_305:
	s_mov_b32 s21, -1
                                        ; implicit-def: $vgpr4
	s_branch .LBB38_310
.LBB38_306:
	s_mov_b32 s21, -1
                                        ; implicit-def: $vgpr4
.LBB38_307:
	s_delay_alu instid0(SALU_CYCLE_1)
	s_and_b32 vcc_lo, exec_lo, s21
	s_cbranch_vccz .LBB38_309
; %bb.308:
	s_wait_loadcnt 0x0
	global_load_u8 v1, v[2:3], off
	s_wait_loadcnt 0x0
	v_lshlrev_b32_e32 v1, 24, v1
	s_delay_alu instid0(VALU_DEP_1) | instskip(NEXT) | instid1(VALU_DEP_1)
	v_and_b32_e32 v4, 0x7f000000, v1
	v_clz_i32_u32_e32 v5, v4
	v_cmp_ne_u32_e32 vcc_lo, 0, v4
	v_add_nc_u32_e32 v7, 0x1000000, v4
	s_delay_alu instid0(VALU_DEP_3) | instskip(NEXT) | instid1(VALU_DEP_1)
	v_min_u32_e32 v5, 32, v5
	v_sub_nc_u32_e64 v5, v5, 4 clamp
	s_delay_alu instid0(VALU_DEP_1) | instskip(NEXT) | instid1(VALU_DEP_1)
	v_dual_lshlrev_b32 v6, v5, v4 :: v_dual_lshlrev_b32 v5, 23, v5
	v_lshrrev_b32_e32 v6, 4, v6
	s_delay_alu instid0(VALU_DEP_1) | instskip(NEXT) | instid1(VALU_DEP_1)
	v_dual_sub_nc_u32 v5, v6, v5 :: v_dual_ashrrev_i32 v6, 8, v7
	v_add_nc_u32_e32 v5, 0x3c000000, v5
	s_delay_alu instid0(VALU_DEP_1) | instskip(NEXT) | instid1(VALU_DEP_1)
	v_and_or_b32 v5, 0x7f800000, v6, v5
	v_cndmask_b32_e32 v4, 0, v5, vcc_lo
	s_delay_alu instid0(VALU_DEP_1) | instskip(NEXT) | instid1(VALU_DEP_1)
	v_and_or_b32 v1, 0x80000000, v1, v4
	v_cvt_i32_f32_e32 v4, v1
.LBB38_309:
	s_mov_b32 s21, 0
.LBB38_310:
	s_delay_alu instid0(SALU_CYCLE_1)
	s_and_not1_b32 vcc_lo, exec_lo, s21
	s_cbranch_vccnz .LBB38_312
; %bb.311:
	s_wait_loadcnt 0x0
	global_load_u8 v1, v[2:3], off
	s_wait_loadcnt 0x0
	v_lshlrev_b32_e32 v4, 25, v1
	v_lshlrev_b16 v1, 8, v1
	s_delay_alu instid0(VALU_DEP_1) | instskip(SKIP_1) | instid1(VALU_DEP_2)
	v_and_or_b32 v6, 0x7f00, v1, 0.5
	v_bfe_i32 v1, v1, 0, 16
	v_dual_add_f32 v6, -0.5, v6 :: v_dual_lshrrev_b32 v5, 4, v4
	v_cmp_gt_u32_e32 vcc_lo, 0x8000000, v4
	s_delay_alu instid0(VALU_DEP_2) | instskip(NEXT) | instid1(VALU_DEP_1)
	v_or_b32_e32 v5, 0x70000000, v5
	v_mul_f32_e32 v5, 0x7800000, v5
	s_delay_alu instid0(VALU_DEP_1) | instskip(NEXT) | instid1(VALU_DEP_1)
	v_cndmask_b32_e32 v4, v5, v6, vcc_lo
	v_and_or_b32 v1, 0x80000000, v1, v4
	s_delay_alu instid0(VALU_DEP_1)
	v_cvt_i32_f32_e32 v4, v1
.LBB38_312:
	s_mov_b32 s22, 0
	s_mov_b32 s21, -1
.LBB38_313:
	s_and_not1_b32 vcc_lo, exec_lo, s22
	s_cbranch_vccnz .LBB38_326
; %bb.314:
	s_cmp_gt_i32 s15, 14
	s_cbranch_scc0 .LBB38_317
; %bb.315:
	s_cmp_eq_u32 s15, 15
	s_cbranch_scc0 .LBB38_320
; %bb.316:
	s_wait_loadcnt 0x0
	global_load_u16 v1, v[2:3], off
	s_mov_b32 s21, -1
	s_mov_b32 s17, 0
	s_wait_loadcnt 0x0
	v_lshlrev_b32_e32 v1, 16, v1
	s_delay_alu instid0(VALU_DEP_1)
	v_cvt_i32_f32_e32 v4, v1
	s_branch .LBB38_321
.LBB38_317:
	s_mov_b32 s22, -1
                                        ; implicit-def: $vgpr4
	s_branch .LBB38_322
.LBB38_318:
	s_and_not1_saveexec_b32 s21, s21
	s_cbranch_execz .LBB38_299
.LBB38_319:
	v_cmp_ne_u16_e32 vcc_lo, 0, v1
	s_and_not1_b32 s22, s22, exec_lo
	s_and_b32 s23, vcc_lo, exec_lo
	s_delay_alu instid0(SALU_CYCLE_1)
	s_or_b32 s22, s22, s23
	s_or_b32 exec_lo, exec_lo, s21
	v_mov_b32_e32 v4, 0
	s_and_saveexec_b32 s21, s22
	s_cbranch_execnz .LBB38_300
	s_branch .LBB38_301
.LBB38_320:
	s_mov_b32 s17, -1
                                        ; implicit-def: $vgpr4
.LBB38_321:
	s_mov_b32 s22, 0
.LBB38_322:
	s_delay_alu instid0(SALU_CYCLE_1)
	s_and_b32 vcc_lo, exec_lo, s22
	s_cbranch_vccz .LBB38_326
; %bb.323:
	s_cmp_eq_u32 s15, 11
	s_cbranch_scc0 .LBB38_325
; %bb.324:
	s_wait_loadcnt 0x0
	global_load_u8 v1, v[2:3], off
	s_mov_b32 s17, 0
	s_mov_b32 s21, -1
	s_wait_loadcnt 0x0
	v_cmp_ne_u16_e32 vcc_lo, 0, v1
	v_cndmask_b32_e64 v4, 0, 1, vcc_lo
	s_branch .LBB38_326
.LBB38_325:
	s_mov_b32 s17, -1
                                        ; implicit-def: $vgpr4
.LBB38_326:
	s_branch .LBB38_20
.LBB38_327:
	s_and_b32 s0, 0xffff, s0
	s_delay_alu instid0(SALU_CYCLE_1)
	s_cmp_lt_i32 s0, 5
	s_cbranch_scc1 .LBB38_332
; %bb.328:
	s_cmp_lt_i32 s0, 8
	s_cbranch_scc1 .LBB38_333
; %bb.329:
	;; [unrolled: 3-line block ×3, first 2 shown]
	s_cmp_gt_i32 s0, 9
	s_cbranch_scc0 .LBB38_335
; %bb.331:
	s_wait_loadcnt 0x0
	global_load_b64 v[4:5], v[2:3], off
	s_mov_b32 s15, 0
	s_wait_loadcnt 0x0
	v_cvt_i32_f64_e32 v4, v[4:5]
	s_branch .LBB38_336
.LBB38_332:
	s_mov_b32 s15, -1
                                        ; implicit-def: $vgpr4
	s_branch .LBB38_354
.LBB38_333:
	s_mov_b32 s15, -1
                                        ; implicit-def: $vgpr4
	s_branch .LBB38_342
.LBB38_334:
	s_mov_b32 s15, -1
                                        ; implicit-def: $vgpr4
	s_branch .LBB38_339
.LBB38_335:
	s_mov_b32 s15, -1
                                        ; implicit-def: $vgpr4
.LBB38_336:
	s_delay_alu instid0(SALU_CYCLE_1)
	s_and_not1_b32 vcc_lo, exec_lo, s15
	s_cbranch_vccnz .LBB38_338
; %bb.337:
	s_wait_loadcnt 0x0
	global_load_b32 v1, v[2:3], off
	s_wait_loadcnt 0x0
	v_cvt_i32_f32_e32 v4, v1
.LBB38_338:
	s_mov_b32 s15, 0
.LBB38_339:
	s_delay_alu instid0(SALU_CYCLE_1)
	s_and_not1_b32 vcc_lo, exec_lo, s15
	s_cbranch_vccnz .LBB38_341
; %bb.340:
	s_wait_loadcnt 0x0
	global_load_b32 v1, v[2:3], off
	s_wait_loadcnt 0x0
	v_cvt_i16_f16_e32 v4, v1
.LBB38_341:
	s_mov_b32 s15, 0
.LBB38_342:
	s_delay_alu instid0(SALU_CYCLE_1)
	s_and_not1_b32 vcc_lo, exec_lo, s15
	s_cbranch_vccnz .LBB38_353
; %bb.343:
	s_cmp_lt_i32 s0, 6
	s_cbranch_scc1 .LBB38_346
; %bb.344:
	s_cmp_gt_i32 s0, 6
	s_cbranch_scc0 .LBB38_347
; %bb.345:
	s_wait_loadcnt 0x0
	global_load_b64 v[4:5], v[2:3], off
	s_mov_b32 s15, 0
	s_wait_loadcnt 0x0
	v_cvt_i32_f64_e32 v4, v[4:5]
	s_branch .LBB38_348
.LBB38_346:
	s_mov_b32 s15, -1
                                        ; implicit-def: $vgpr4
	s_branch .LBB38_351
.LBB38_347:
	s_mov_b32 s15, -1
                                        ; implicit-def: $vgpr4
.LBB38_348:
	s_delay_alu instid0(SALU_CYCLE_1)
	s_and_not1_b32 vcc_lo, exec_lo, s15
	s_cbranch_vccnz .LBB38_350
; %bb.349:
	s_wait_loadcnt 0x0
	global_load_b32 v1, v[2:3], off
	s_wait_loadcnt 0x0
	v_cvt_i32_f32_e32 v4, v1
.LBB38_350:
	s_mov_b32 s15, 0
.LBB38_351:
	s_delay_alu instid0(SALU_CYCLE_1)
	s_and_not1_b32 vcc_lo, exec_lo, s15
	s_cbranch_vccnz .LBB38_353
; %bb.352:
	s_wait_loadcnt 0x0
	global_load_u16 v1, v[2:3], off
	s_wait_loadcnt 0x0
	v_cvt_i16_f16_e32 v4, v1
.LBB38_353:
	s_mov_b32 s15, 0
.LBB38_354:
	s_delay_alu instid0(SALU_CYCLE_1)
	s_and_not1_b32 vcc_lo, exec_lo, s15
	s_cbranch_vccnz .LBB38_374
; %bb.355:
	s_cmp_lt_i32 s0, 2
	s_cbranch_scc1 .LBB38_359
; %bb.356:
	s_cmp_lt_i32 s0, 3
	s_cbranch_scc1 .LBB38_360
; %bb.357:
	s_cmp_gt_i32 s0, 3
	s_cbranch_scc0 .LBB38_361
; %bb.358:
	s_wait_loadcnt 0x0
	global_load_b64 v[4:5], v[2:3], off
	s_mov_b32 s15, 0
	s_branch .LBB38_362
.LBB38_359:
	s_mov_b32 s15, -1
                                        ; implicit-def: $vgpr4
	s_branch .LBB38_368
.LBB38_360:
	s_mov_b32 s15, -1
                                        ; implicit-def: $vgpr4
	s_branch .LBB38_365
.LBB38_361:
	s_mov_b32 s15, -1
                                        ; implicit-def: $vgpr4
.LBB38_362:
	s_delay_alu instid0(SALU_CYCLE_1)
	s_and_not1_b32 vcc_lo, exec_lo, s15
	s_cbranch_vccnz .LBB38_364
; %bb.363:
	s_wait_loadcnt 0x0
	global_load_b32 v4, v[2:3], off
.LBB38_364:
	s_mov_b32 s15, 0
.LBB38_365:
	s_delay_alu instid0(SALU_CYCLE_1)
	s_and_not1_b32 vcc_lo, exec_lo, s15
	s_cbranch_vccnz .LBB38_367
; %bb.366:
	s_wait_loadcnt 0x0
	global_load_u16 v4, v[2:3], off
.LBB38_367:
	s_mov_b32 s15, 0
.LBB38_368:
	s_delay_alu instid0(SALU_CYCLE_1)
	s_and_not1_b32 vcc_lo, exec_lo, s15
	s_cbranch_vccnz .LBB38_374
; %bb.369:
	s_cmp_gt_i32 s0, 0
	s_mov_b32 s0, 0
	s_cbranch_scc0 .LBB38_371
; %bb.370:
	s_wait_loadcnt 0x0
	global_load_i8 v4, v[2:3], off
	s_branch .LBB38_372
.LBB38_371:
	s_mov_b32 s0, -1
                                        ; implicit-def: $vgpr4
.LBB38_372:
	s_delay_alu instid0(SALU_CYCLE_1)
	s_and_not1_b32 vcc_lo, exec_lo, s0
	s_cbranch_vccnz .LBB38_374
; %bb.373:
	s_wait_loadcnt 0x0
	global_load_u8 v4, v[2:3], off
.LBB38_374:
	s_branch .LBB38_21
.LBB38_375:
	s_mov_b32 s0, 0
.LBB38_376:
	s_mov_b32 s21, 0
                                        ; implicit-def: $vgpr10
.LBB38_377:
	s_and_b32 s15, s0, exec_lo
	s_and_b32 s17, s17, exec_lo
	;; [unrolled: 1-line block ×3, first 2 shown]
	s_or_not1_b32 s23, s21, exec_lo
.LBB38_378:
	s_wait_xcnt 0x0
	s_or_b32 exec_lo, exec_lo, s19
	s_mov_b32 s22, 0
	s_mov_b32 s21, 0
                                        ; implicit-def: $sgpr0
                                        ; implicit-def: $vgpr2_vgpr3
                                        ; implicit-def: $vgpr0
	s_and_saveexec_b32 s19, s23
	s_cbranch_execz .LBB38_387
; %bb.379:
	s_mov_b32 s25, -1
	s_mov_b32 s20, s18
	s_mov_b32 s22, s17
	;; [unrolled: 1-line block ×3, first 2 shown]
	s_mov_b32 s23, exec_lo
	v_cmpx_gt_i32_e64 s16, v10
	s_cbranch_execz .LBB38_767
; %bb.380:
	s_wait_loadcnt 0x0
	v_mul_lo_u32 v0, v10, s9
	s_and_b32 s0, s13, 0xff
	s_delay_alu instid0(SALU_CYCLE_1) | instskip(NEXT) | instid1(VALU_DEP_1)
	s_cmp_lt_i32 s0, 11
	v_ashrrev_i32_e32 v1, 31, v0
	s_delay_alu instid0(VALU_DEP_1)
	v_add_nc_u64_e32 v[2:3], s[6:7], v[0:1]
	s_cbranch_scc1 .LBB38_390
; %bb.381:
	s_and_b32 s21, 0xffff, s0
	s_delay_alu instid0(SALU_CYCLE_1)
	s_cmp_gt_i32 s21, 25
	s_cbranch_scc0 .LBB38_399
; %bb.382:
	s_cmp_gt_i32 s21, 28
	s_cbranch_scc0 .LBB38_401
; %bb.383:
	;; [unrolled: 3-line block ×4, first 2 shown]
	s_cmp_eq_u32 s21, 46
	s_mov_b32 s24, 0
	s_cbranch_scc0 .LBB38_409
; %bb.386:
	global_load_b32 v0, v[2:3], off
	s_mov_b32 s22, -1
	s_mov_b32 s20, 0
	s_wait_loadcnt 0x0
	v_lshlrev_b32_e32 v0, 16, v0
	s_delay_alu instid0(VALU_DEP_1)
	v_cvt_i32_f32_e32 v0, v0
	s_branch .LBB38_411
.LBB38_387:
	s_or_b32 exec_lo, exec_lo, s19
	s_mov_b32 s16, 0
	s_and_saveexec_b32 s19, s18
	s_cbranch_execnz .LBB38_1235
.LBB38_388:
	s_or_b32 exec_lo, exec_lo, s19
	s_and_saveexec_b32 s18, s20
	s_delay_alu instid0(SALU_CYCLE_1)
	s_xor_b32 s18, exec_lo, s18
	s_cbranch_execz .LBB38_1236
.LBB38_389:
	s_wait_loadcnt 0x0
	global_load_u8 v0, v[2:3], off
	s_or_b32 s21, s21, exec_lo
	s_wait_loadcnt 0x0
	v_cmp_ne_u16_e32 vcc_lo, 0, v0
	v_cndmask_b32_e64 v0, 0, 1, vcc_lo
	s_wait_xcnt 0x0
	s_or_b32 exec_lo, exec_lo, s18
	s_and_saveexec_b32 s18, s22
	s_cbranch_execz .LBB38_1282
	s_branch .LBB38_1237
.LBB38_390:
	s_mov_b32 s22, 0
	s_mov_b32 s20, s18
                                        ; implicit-def: $vgpr0
	s_cbranch_execnz .LBB38_473
.LBB38_391:
	s_and_not1_b32 vcc_lo, exec_lo, s22
	s_cbranch_vccnz .LBB38_521
.LBB38_392:
	s_wait_xcnt 0x0
	v_mul_lo_u32 v2, v10, s10
	s_and_b32 s0, s1, 0xff
	s_delay_alu instid0(SALU_CYCLE_1) | instskip(NEXT) | instid1(VALU_DEP_1)
	s_cmp_lt_i32 s0, 11
	v_ashrrev_i32_e32 v3, 31, v2
	s_delay_alu instid0(VALU_DEP_1)
	v_add_nc_u64_e32 v[2:3], s[2:3], v[2:3]
	s_cbranch_scc1 .LBB38_400
; %bb.393:
	s_and_b32 s21, 0xffff, s0
	s_delay_alu instid0(SALU_CYCLE_1)
	s_cmp_gt_i32 s21, 25
	s_cbranch_scc0 .LBB38_402
; %bb.394:
	s_cmp_gt_i32 s21, 28
	s_cbranch_scc0 .LBB38_404
; %bb.395:
	;; [unrolled: 3-line block ×4, first 2 shown]
	s_cmp_eq_u32 s21, 46
	s_mov_b32 s25, 0
	s_cbranch_scc0 .LBB38_524
; %bb.398:
	s_wait_loadcnt 0x0
	global_load_b32 v1, v[2:3], off
	s_mov_b32 s24, -1
	s_mov_b32 s22, 0
	s_wait_loadcnt 0x0
	v_lshlrev_b32_e32 v1, 16, v1
	s_delay_alu instid0(VALU_DEP_1)
	v_cvt_i32_f32_e32 v4, v1
	s_branch .LBB38_526
.LBB38_399:
	s_mov_b32 s24, -1
	s_mov_b32 s22, 0
	s_mov_b32 s20, s18
                                        ; implicit-def: $vgpr0
	s_branch .LBB38_439
.LBB38_400:
	s_mov_b32 s21, -1
	s_mov_b32 s24, 0
	s_mov_b32 s22, s17
                                        ; implicit-def: $vgpr4
	s_branch .LBB38_587
.LBB38_401:
	s_mov_b32 s24, -1
	s_mov_b32 s22, 0
	s_mov_b32 s20, s18
                                        ; implicit-def: $vgpr0
	s_branch .LBB38_422
.LBB38_402:
	s_mov_b32 s25, -1
	s_mov_b32 s24, 0
	s_mov_b32 s22, s17
                                        ; implicit-def: $vgpr4
	s_branch .LBB38_553
.LBB38_403:
	s_mov_b32 s24, -1
	s_mov_b32 s22, 0
	s_mov_b32 s20, s18
                                        ; implicit-def: $vgpr0
	s_branch .LBB38_417
.LBB38_404:
	s_mov_b32 s25, -1
	s_mov_b32 s24, 0
	s_mov_b32 s22, s17
                                        ; implicit-def: $vgpr4
	s_branch .LBB38_536
.LBB38_405:
	s_mov_b32 s24, -1
	s_mov_b32 s22, 0
	s_mov_b32 s20, s18
	s_branch .LBB38_410
.LBB38_406:
	s_mov_b32 s25, -1
	s_mov_b32 s24, 0
	s_mov_b32 s22, s17
                                        ; implicit-def: $vgpr4
	s_branch .LBB38_531
.LBB38_407:
	s_and_not1_saveexec_b32 s24, s24
	s_cbranch_execz .LBB38_180
.LBB38_408:
	v_add_f32_e64 v3, 0x46000000, |v2|
	s_and_not1_b32 s23, s23, exec_lo
	s_delay_alu instid0(VALU_DEP_1) | instskip(NEXT) | instid1(VALU_DEP_1)
	v_and_b32_e32 v3, 0xff, v3
	v_cmp_ne_u32_e32 vcc_lo, 0, v3
	s_and_b32 s25, vcc_lo, exec_lo
	s_delay_alu instid0(SALU_CYCLE_1)
	s_or_b32 s23, s23, s25
	s_or_b32 exec_lo, exec_lo, s24
	v_mov_b32_e32 v5, 0
	s_and_saveexec_b32 s24, s23
	s_cbranch_execnz .LBB38_181
	s_branch .LBB38_182
.LBB38_409:
	s_mov_b32 s20, -1
	s_mov_b32 s22, 0
.LBB38_410:
                                        ; implicit-def: $vgpr0
.LBB38_411:
	s_and_b32 vcc_lo, exec_lo, s24
	s_cbranch_vccz .LBB38_416
; %bb.412:
	s_cmp_eq_u32 s21, 44
	s_cbranch_scc0 .LBB38_415
; %bb.413:
	global_load_u8 v0, v[2:3], off
	s_mov_b32 s20, 0
	s_mov_b32 s22, -1
	s_wait_loadcnt 0x0
	v_lshlrev_b32_e32 v1, 23, v0
	v_cmp_ne_u32_e32 vcc_lo, 0, v0
	s_delay_alu instid0(VALU_DEP_2) | instskip(NEXT) | instid1(VALU_DEP_1)
	v_cvt_i32_f32_e32 v1, v1
	v_cndmask_b32_e32 v0, 0, v1, vcc_lo
	s_branch .LBB38_416
.LBB38_414:
	s_mov_b32 s25, -1
	s_mov_b32 s24, 0
	s_mov_b32 s22, s17
	s_branch .LBB38_525
.LBB38_415:
	s_mov_b32 s20, -1
                                        ; implicit-def: $vgpr0
.LBB38_416:
	s_mov_b32 s24, 0
.LBB38_417:
	s_delay_alu instid0(SALU_CYCLE_1)
	s_and_b32 vcc_lo, exec_lo, s24
	s_cbranch_vccz .LBB38_421
; %bb.418:
	s_cmp_eq_u32 s21, 29
	s_cbranch_scc0 .LBB38_420
; %bb.419:
	global_load_b64 v[0:1], v[2:3], off
	s_mov_b32 s22, -1
	s_mov_b32 s20, 0
	s_branch .LBB38_421
.LBB38_420:
	s_mov_b32 s20, -1
                                        ; implicit-def: $vgpr0
.LBB38_421:
	s_mov_b32 s24, 0
.LBB38_422:
	s_delay_alu instid0(SALU_CYCLE_1)
	s_and_b32 vcc_lo, exec_lo, s24
	s_cbranch_vccz .LBB38_438
; %bb.423:
	s_cmp_lt_i32 s21, 27
	s_cbranch_scc1 .LBB38_426
; %bb.424:
	s_cmp_gt_i32 s21, 27
	s_cbranch_scc0 .LBB38_427
; %bb.425:
	s_wait_loadcnt 0x0
	global_load_b32 v0, v[2:3], off
	s_mov_b32 s22, 0
	s_branch .LBB38_428
.LBB38_426:
	s_mov_b32 s22, -1
                                        ; implicit-def: $vgpr0
	s_branch .LBB38_431
.LBB38_427:
	s_mov_b32 s22, -1
                                        ; implicit-def: $vgpr0
.LBB38_428:
	s_delay_alu instid0(SALU_CYCLE_1)
	s_and_not1_b32 vcc_lo, exec_lo, s22
	s_cbranch_vccnz .LBB38_430
; %bb.429:
	s_wait_loadcnt 0x0
	global_load_u16 v0, v[2:3], off
.LBB38_430:
	s_mov_b32 s22, 0
.LBB38_431:
	s_delay_alu instid0(SALU_CYCLE_1)
	s_and_not1_b32 vcc_lo, exec_lo, s22
	s_cbranch_vccnz .LBB38_437
; %bb.432:
	s_wait_loadcnt 0x0
	global_load_u8 v1, v[2:3], off
	s_mov_b32 s24, 0
	s_mov_b32 s22, exec_lo
	s_wait_loadcnt 0x0
	v_cmpx_lt_i16_e32 0x7f, v1
	s_xor_b32 s22, exec_lo, s22
	s_cbranch_execz .LBB38_449
; %bb.433:
	v_cmp_ne_u16_e32 vcc_lo, 0x80, v1
	s_and_b32 s24, vcc_lo, exec_lo
	s_and_not1_saveexec_b32 s22, s22
	s_cbranch_execnz .LBB38_450
.LBB38_434:
	s_or_b32 exec_lo, exec_lo, s22
	v_mov_b32_e32 v0, 0
	s_and_saveexec_b32 s22, s24
	s_cbranch_execz .LBB38_436
.LBB38_435:
	v_and_b32_e32 v0, 0xffff, v1
	s_delay_alu instid0(VALU_DEP_1) | instskip(SKIP_1) | instid1(VALU_DEP_2)
	v_and_b32_e32 v4, 7, v0
	v_bfe_u32 v7, v0, 3, 4
	v_clz_i32_u32_e32 v5, v4
	s_delay_alu instid0(VALU_DEP_2) | instskip(NEXT) | instid1(VALU_DEP_2)
	v_cmp_eq_u32_e32 vcc_lo, 0, v7
	v_min_u32_e32 v5, 32, v5
	s_delay_alu instid0(VALU_DEP_1) | instskip(NEXT) | instid1(VALU_DEP_1)
	v_subrev_nc_u32_e32 v6, 28, v5
	v_dual_lshlrev_b32 v0, v6, v0 :: v_dual_sub_nc_u32 v5, 29, v5
	s_delay_alu instid0(VALU_DEP_1) | instskip(NEXT) | instid1(VALU_DEP_1)
	v_dual_lshlrev_b32 v1, 24, v1 :: v_dual_bitop2_b32 v0, 7, v0 bitop3:0x40
	v_dual_cndmask_b32 v0, v4, v0 :: v_dual_cndmask_b32 v5, v7, v5
	s_delay_alu instid0(VALU_DEP_2) | instskip(NEXT) | instid1(VALU_DEP_2)
	v_and_b32_e32 v1, 0x80000000, v1
	v_lshlrev_b32_e32 v0, 20, v0
	s_delay_alu instid0(VALU_DEP_3) | instskip(NEXT) | instid1(VALU_DEP_1)
	v_lshl_add_u32 v4, v5, 23, 0x3b800000
	v_or3_b32 v0, v1, v4, v0
	s_delay_alu instid0(VALU_DEP_1)
	v_cvt_i32_f32_e32 v0, v0
.LBB38_436:
	s_or_b32 exec_lo, exec_lo, s22
.LBB38_437:
	s_mov_b32 s22, -1
.LBB38_438:
	s_mov_b32 s24, 0
.LBB38_439:
	s_delay_alu instid0(SALU_CYCLE_1)
	s_and_b32 vcc_lo, exec_lo, s24
	s_cbranch_vccz .LBB38_472
; %bb.440:
	s_cmp_gt_i32 s21, 22
	s_cbranch_scc0 .LBB38_448
; %bb.441:
	s_cmp_lt_i32 s21, 24
	s_cbranch_scc1 .LBB38_451
; %bb.442:
	s_cmp_gt_i32 s21, 24
	s_cbranch_scc0 .LBB38_452
; %bb.443:
	s_wait_loadcnt 0x0
	global_load_u8 v1, v[2:3], off
	s_mov_b32 s24, 0
	s_mov_b32 s22, exec_lo
	s_wait_loadcnt 0x0
	v_cmpx_lt_i16_e32 0x7f, v1
	s_xor_b32 s22, exec_lo, s22
	s_cbranch_execz .LBB38_464
; %bb.444:
	v_cmp_ne_u16_e32 vcc_lo, 0x80, v1
	s_and_b32 s24, vcc_lo, exec_lo
	s_and_not1_saveexec_b32 s22, s22
	s_cbranch_execnz .LBB38_465
.LBB38_445:
	s_or_b32 exec_lo, exec_lo, s22
	v_mov_b32_e32 v0, 0
	s_and_saveexec_b32 s22, s24
	s_cbranch_execz .LBB38_447
.LBB38_446:
	v_and_b32_e32 v0, 0xffff, v1
	s_delay_alu instid0(VALU_DEP_1) | instskip(SKIP_1) | instid1(VALU_DEP_2)
	v_and_b32_e32 v4, 3, v0
	v_bfe_u32 v7, v0, 2, 5
	v_clz_i32_u32_e32 v5, v4
	s_delay_alu instid0(VALU_DEP_2) | instskip(NEXT) | instid1(VALU_DEP_2)
	v_cmp_eq_u32_e32 vcc_lo, 0, v7
	v_min_u32_e32 v5, 32, v5
	s_delay_alu instid0(VALU_DEP_1) | instskip(NEXT) | instid1(VALU_DEP_1)
	v_subrev_nc_u32_e32 v6, 29, v5
	v_dual_lshlrev_b32 v0, v6, v0 :: v_dual_sub_nc_u32 v5, 30, v5
	s_delay_alu instid0(VALU_DEP_1) | instskip(NEXT) | instid1(VALU_DEP_1)
	v_dual_lshlrev_b32 v1, 24, v1 :: v_dual_bitop2_b32 v0, 3, v0 bitop3:0x40
	v_dual_cndmask_b32 v0, v4, v0 :: v_dual_cndmask_b32 v5, v7, v5
	s_delay_alu instid0(VALU_DEP_2) | instskip(NEXT) | instid1(VALU_DEP_2)
	v_and_b32_e32 v1, 0x80000000, v1
	v_lshlrev_b32_e32 v0, 21, v0
	s_delay_alu instid0(VALU_DEP_3) | instskip(NEXT) | instid1(VALU_DEP_1)
	v_lshl_add_u32 v4, v5, 23, 0x37800000
	v_or3_b32 v0, v1, v4, v0
	s_delay_alu instid0(VALU_DEP_1)
	v_cvt_i32_f32_e32 v0, v0
.LBB38_447:
	s_or_b32 exec_lo, exec_lo, s22
	s_mov_b32 s22, 0
	s_branch .LBB38_453
.LBB38_448:
	s_mov_b32 s24, -1
                                        ; implicit-def: $vgpr0
	s_branch .LBB38_459
.LBB38_449:
	s_and_not1_saveexec_b32 s22, s22
	s_cbranch_execz .LBB38_434
.LBB38_450:
	v_cmp_ne_u16_e32 vcc_lo, 0, v1
	s_and_not1_b32 s24, s24, exec_lo
	s_and_b32 s25, vcc_lo, exec_lo
	s_delay_alu instid0(SALU_CYCLE_1)
	s_or_b32 s24, s24, s25
	s_or_b32 exec_lo, exec_lo, s22
	v_mov_b32_e32 v0, 0
	s_and_saveexec_b32 s22, s24
	s_cbranch_execnz .LBB38_435
	s_branch .LBB38_436
.LBB38_451:
	s_mov_b32 s22, -1
                                        ; implicit-def: $vgpr0
	s_branch .LBB38_456
.LBB38_452:
	s_mov_b32 s22, -1
                                        ; implicit-def: $vgpr0
.LBB38_453:
	s_delay_alu instid0(SALU_CYCLE_1)
	s_and_b32 vcc_lo, exec_lo, s22
	s_cbranch_vccz .LBB38_455
; %bb.454:
	s_wait_loadcnt 0x0
	global_load_u8 v0, v[2:3], off
	s_wait_loadcnt 0x0
	v_lshlrev_b32_e32 v0, 24, v0
	s_delay_alu instid0(VALU_DEP_1) | instskip(NEXT) | instid1(VALU_DEP_1)
	v_and_b32_e32 v1, 0x7f000000, v0
	v_clz_i32_u32_e32 v4, v1
	v_cmp_ne_u32_e32 vcc_lo, 0, v1
	v_add_nc_u32_e32 v6, 0x1000000, v1
	s_delay_alu instid0(VALU_DEP_3) | instskip(NEXT) | instid1(VALU_DEP_1)
	v_min_u32_e32 v4, 32, v4
	v_sub_nc_u32_e64 v4, v4, 4 clamp
	s_delay_alu instid0(VALU_DEP_1) | instskip(NEXT) | instid1(VALU_DEP_1)
	v_dual_lshlrev_b32 v5, v4, v1 :: v_dual_lshlrev_b32 v4, 23, v4
	v_lshrrev_b32_e32 v5, 4, v5
	s_delay_alu instid0(VALU_DEP_1) | instskip(NEXT) | instid1(VALU_DEP_1)
	v_dual_sub_nc_u32 v4, v5, v4 :: v_dual_ashrrev_i32 v5, 8, v6
	v_add_nc_u32_e32 v4, 0x3c000000, v4
	s_delay_alu instid0(VALU_DEP_1) | instskip(NEXT) | instid1(VALU_DEP_1)
	v_and_or_b32 v4, 0x7f800000, v5, v4
	v_cndmask_b32_e32 v1, 0, v4, vcc_lo
	s_delay_alu instid0(VALU_DEP_1) | instskip(NEXT) | instid1(VALU_DEP_1)
	v_and_or_b32 v0, 0x80000000, v0, v1
	v_cvt_i32_f32_e32 v0, v0
.LBB38_455:
	s_mov_b32 s22, 0
.LBB38_456:
	s_delay_alu instid0(SALU_CYCLE_1)
	s_and_not1_b32 vcc_lo, exec_lo, s22
	s_cbranch_vccnz .LBB38_458
; %bb.457:
	s_wait_loadcnt 0x0
	global_load_u8 v0, v[2:3], off
	s_wait_loadcnt 0x0
	v_lshlrev_b32_e32 v1, 25, v0
	v_lshlrev_b16 v0, 8, v0
	s_delay_alu instid0(VALU_DEP_1) | instskip(SKIP_1) | instid1(VALU_DEP_2)
	v_and_or_b32 v5, 0x7f00, v0, 0.5
	v_bfe_i32 v0, v0, 0, 16
	v_add_f32_e32 v5, -0.5, v5
	v_lshrrev_b32_e32 v4, 4, v1
	v_cmp_gt_u32_e32 vcc_lo, 0x8000000, v1
	s_delay_alu instid0(VALU_DEP_2) | instskip(NEXT) | instid1(VALU_DEP_1)
	v_or_b32_e32 v4, 0x70000000, v4
	v_mul_f32_e32 v4, 0x7800000, v4
	s_delay_alu instid0(VALU_DEP_1) | instskip(NEXT) | instid1(VALU_DEP_1)
	v_cndmask_b32_e32 v1, v4, v5, vcc_lo
	v_and_or_b32 v0, 0x80000000, v0, v1
	s_delay_alu instid0(VALU_DEP_1)
	v_cvt_i32_f32_e32 v0, v0
.LBB38_458:
	s_mov_b32 s24, 0
	s_mov_b32 s22, -1
.LBB38_459:
	s_and_not1_b32 vcc_lo, exec_lo, s24
	s_cbranch_vccnz .LBB38_472
; %bb.460:
	s_cmp_gt_i32 s21, 14
	s_cbranch_scc0 .LBB38_463
; %bb.461:
	s_cmp_eq_u32 s21, 15
	s_cbranch_scc0 .LBB38_466
; %bb.462:
	s_wait_loadcnt 0x0
	global_load_u16 v0, v[2:3], off
	s_mov_b32 s22, -1
	s_mov_b32 s20, 0
	s_wait_loadcnt 0x0
	v_lshlrev_b32_e32 v0, 16, v0
	s_delay_alu instid0(VALU_DEP_1)
	v_cvt_i32_f32_e32 v0, v0
	s_branch .LBB38_467
.LBB38_463:
	s_mov_b32 s24, -1
                                        ; implicit-def: $vgpr0
	s_branch .LBB38_468
.LBB38_464:
	s_and_not1_saveexec_b32 s22, s22
	s_cbranch_execz .LBB38_445
.LBB38_465:
	v_cmp_ne_u16_e32 vcc_lo, 0, v1
	s_and_not1_b32 s24, s24, exec_lo
	s_and_b32 s25, vcc_lo, exec_lo
	s_delay_alu instid0(SALU_CYCLE_1)
	s_or_b32 s24, s24, s25
	s_or_b32 exec_lo, exec_lo, s22
	v_mov_b32_e32 v0, 0
	s_and_saveexec_b32 s22, s24
	s_cbranch_execnz .LBB38_446
	s_branch .LBB38_447
.LBB38_466:
	s_mov_b32 s20, -1
                                        ; implicit-def: $vgpr0
.LBB38_467:
	s_mov_b32 s24, 0
.LBB38_468:
	s_delay_alu instid0(SALU_CYCLE_1)
	s_and_b32 vcc_lo, exec_lo, s24
	s_cbranch_vccz .LBB38_472
; %bb.469:
	s_cmp_eq_u32 s21, 11
	s_cbranch_scc0 .LBB38_471
; %bb.470:
	s_wait_loadcnt 0x0
	global_load_u8 v0, v[2:3], off
	s_mov_b32 s20, 0
	s_mov_b32 s22, -1
	s_wait_loadcnt 0x0
	v_cmp_ne_u16_e32 vcc_lo, 0, v0
	v_cndmask_b32_e64 v0, 0, 1, vcc_lo
	s_branch .LBB38_472
.LBB38_471:
	s_mov_b32 s20, -1
                                        ; implicit-def: $vgpr0
.LBB38_472:
	s_branch .LBB38_391
.LBB38_473:
	s_and_b32 s0, 0xffff, s0
	s_delay_alu instid0(SALU_CYCLE_1)
	s_cmp_lt_i32 s0, 5
	s_cbranch_scc1 .LBB38_478
; %bb.474:
	s_cmp_lt_i32 s0, 8
	s_cbranch_scc1 .LBB38_479
; %bb.475:
	s_cmp_lt_i32 s0, 9
	s_cbranch_scc1 .LBB38_480
; %bb.476:
	s_cmp_gt_i32 s0, 9
	s_cbranch_scc0 .LBB38_481
; %bb.477:
	s_wait_loadcnt 0x0
	global_load_b64 v[0:1], v[2:3], off
	s_mov_b32 s21, 0
	s_wait_loadcnt 0x0
	v_cvt_i32_f64_e32 v0, v[0:1]
	s_branch .LBB38_482
.LBB38_478:
	s_mov_b32 s21, -1
                                        ; implicit-def: $vgpr0
	s_branch .LBB38_500
.LBB38_479:
	s_mov_b32 s21, -1
                                        ; implicit-def: $vgpr0
	s_branch .LBB38_488
.LBB38_480:
	s_mov_b32 s21, -1
                                        ; implicit-def: $vgpr0
	s_branch .LBB38_485
.LBB38_481:
	s_mov_b32 s21, -1
                                        ; implicit-def: $vgpr0
.LBB38_482:
	s_delay_alu instid0(SALU_CYCLE_1)
	s_and_not1_b32 vcc_lo, exec_lo, s21
	s_cbranch_vccnz .LBB38_484
; %bb.483:
	s_wait_loadcnt 0x0
	global_load_b32 v0, v[2:3], off
	s_wait_loadcnt 0x0
	v_cvt_i32_f32_e32 v0, v0
.LBB38_484:
	s_mov_b32 s21, 0
.LBB38_485:
	s_delay_alu instid0(SALU_CYCLE_1)
	s_and_not1_b32 vcc_lo, exec_lo, s21
	s_cbranch_vccnz .LBB38_487
; %bb.486:
	s_wait_loadcnt 0x0
	global_load_b32 v0, v[2:3], off
	s_wait_loadcnt 0x0
	v_cvt_i16_f16_e32 v0, v0
.LBB38_487:
	s_mov_b32 s21, 0
.LBB38_488:
	s_delay_alu instid0(SALU_CYCLE_1)
	s_and_not1_b32 vcc_lo, exec_lo, s21
	s_cbranch_vccnz .LBB38_499
; %bb.489:
	s_cmp_lt_i32 s0, 6
	s_cbranch_scc1 .LBB38_492
; %bb.490:
	s_cmp_gt_i32 s0, 6
	s_cbranch_scc0 .LBB38_493
; %bb.491:
	s_wait_loadcnt 0x0
	global_load_b64 v[0:1], v[2:3], off
	s_mov_b32 s21, 0
	s_wait_loadcnt 0x0
	v_cvt_i32_f64_e32 v0, v[0:1]
	s_branch .LBB38_494
.LBB38_492:
	s_mov_b32 s21, -1
                                        ; implicit-def: $vgpr0
	s_branch .LBB38_497
.LBB38_493:
	s_mov_b32 s21, -1
                                        ; implicit-def: $vgpr0
.LBB38_494:
	s_delay_alu instid0(SALU_CYCLE_1)
	s_and_not1_b32 vcc_lo, exec_lo, s21
	s_cbranch_vccnz .LBB38_496
; %bb.495:
	s_wait_loadcnt 0x0
	global_load_b32 v0, v[2:3], off
	s_wait_loadcnt 0x0
	v_cvt_i32_f32_e32 v0, v0
.LBB38_496:
	s_mov_b32 s21, 0
.LBB38_497:
	s_delay_alu instid0(SALU_CYCLE_1)
	s_and_not1_b32 vcc_lo, exec_lo, s21
	s_cbranch_vccnz .LBB38_499
; %bb.498:
	s_wait_loadcnt 0x0
	global_load_u16 v0, v[2:3], off
	s_wait_loadcnt 0x0
	v_cvt_i16_f16_e32 v0, v0
.LBB38_499:
	s_mov_b32 s21, 0
.LBB38_500:
	s_delay_alu instid0(SALU_CYCLE_1)
	s_and_not1_b32 vcc_lo, exec_lo, s21
	s_cbranch_vccnz .LBB38_520
; %bb.501:
	s_cmp_lt_i32 s0, 2
	s_cbranch_scc1 .LBB38_505
; %bb.502:
	s_cmp_lt_i32 s0, 3
	s_cbranch_scc1 .LBB38_506
; %bb.503:
	s_cmp_gt_i32 s0, 3
	s_cbranch_scc0 .LBB38_507
; %bb.504:
	s_wait_loadcnt 0x0
	global_load_b64 v[0:1], v[2:3], off
	s_mov_b32 s21, 0
	s_branch .LBB38_508
.LBB38_505:
	s_mov_b32 s21, -1
                                        ; implicit-def: $vgpr0
	s_branch .LBB38_514
.LBB38_506:
	s_mov_b32 s21, -1
                                        ; implicit-def: $vgpr0
	s_branch .LBB38_511
.LBB38_507:
	s_mov_b32 s21, -1
                                        ; implicit-def: $vgpr0
.LBB38_508:
	s_delay_alu instid0(SALU_CYCLE_1)
	s_and_not1_b32 vcc_lo, exec_lo, s21
	s_cbranch_vccnz .LBB38_510
; %bb.509:
	s_wait_loadcnt 0x0
	global_load_b32 v0, v[2:3], off
.LBB38_510:
	s_mov_b32 s21, 0
.LBB38_511:
	s_delay_alu instid0(SALU_CYCLE_1)
	s_and_not1_b32 vcc_lo, exec_lo, s21
	s_cbranch_vccnz .LBB38_513
; %bb.512:
	s_wait_loadcnt 0x0
	global_load_u16 v0, v[2:3], off
.LBB38_513:
	s_mov_b32 s21, 0
.LBB38_514:
	s_delay_alu instid0(SALU_CYCLE_1)
	s_and_not1_b32 vcc_lo, exec_lo, s21
	s_cbranch_vccnz .LBB38_520
; %bb.515:
	s_cmp_gt_i32 s0, 0
	s_mov_b32 s0, 0
	s_cbranch_scc0 .LBB38_517
; %bb.516:
	s_wait_loadcnt 0x0
	global_load_i8 v0, v[2:3], off
	s_branch .LBB38_518
.LBB38_517:
	s_mov_b32 s0, -1
                                        ; implicit-def: $vgpr0
.LBB38_518:
	s_delay_alu instid0(SALU_CYCLE_1)
	s_and_not1_b32 vcc_lo, exec_lo, s0
	s_cbranch_vccnz .LBB38_520
; %bb.519:
	s_wait_loadcnt 0x0
	global_load_u8 v0, v[2:3], off
.LBB38_520:
	s_branch .LBB38_392
.LBB38_521:
	s_mov_b32 s24, 0
	s_mov_b32 s0, s15
	;; [unrolled: 1-line block ×3, first 2 shown]
	s_branch .LBB38_765
.LBB38_522:
	s_and_not1_saveexec_b32 s24, s24
	s_cbranch_execz .LBB38_193
.LBB38_523:
	v_add_f32_e64 v3, 0x42800000, |v2|
	s_and_not1_b32 s23, s23, exec_lo
	s_delay_alu instid0(VALU_DEP_1) | instskip(NEXT) | instid1(VALU_DEP_1)
	v_and_b32_e32 v3, 0xff, v3
	v_cmp_ne_u32_e32 vcc_lo, 0, v3
	s_and_b32 s25, vcc_lo, exec_lo
	s_delay_alu instid0(SALU_CYCLE_1)
	s_or_b32 s23, s23, s25
	s_or_b32 exec_lo, exec_lo, s24
	v_mov_b32_e32 v5, 0
	s_and_saveexec_b32 s24, s23
	s_cbranch_execnz .LBB38_194
	s_branch .LBB38_195
.LBB38_524:
	s_mov_b32 s22, -1
	s_mov_b32 s24, 0
.LBB38_525:
                                        ; implicit-def: $vgpr4
.LBB38_526:
	s_and_b32 vcc_lo, exec_lo, s25
	s_cbranch_vccz .LBB38_530
; %bb.527:
	s_cmp_eq_u32 s21, 44
	s_cbranch_scc0 .LBB38_529
; %bb.528:
	s_wait_loadcnt 0x0
	global_load_u8 v1, v[2:3], off
	s_mov_b32 s22, 0
	s_mov_b32 s24, -1
	s_wait_loadcnt 0x0
	v_lshlrev_b32_e32 v4, 23, v1
	v_cmp_ne_u32_e32 vcc_lo, 0, v1
	s_delay_alu instid0(VALU_DEP_2) | instskip(NEXT) | instid1(VALU_DEP_1)
	v_cvt_i32_f32_e32 v4, v4
	v_cndmask_b32_e32 v4, 0, v4, vcc_lo
	s_branch .LBB38_530
.LBB38_529:
	s_mov_b32 s22, -1
                                        ; implicit-def: $vgpr4
.LBB38_530:
	s_mov_b32 s25, 0
.LBB38_531:
	s_delay_alu instid0(SALU_CYCLE_1)
	s_and_b32 vcc_lo, exec_lo, s25
	s_cbranch_vccz .LBB38_535
; %bb.532:
	s_cmp_eq_u32 s21, 29
	s_cbranch_scc0 .LBB38_534
; %bb.533:
	global_load_b64 v[4:5], v[2:3], off
	s_mov_b32 s24, -1
	s_mov_b32 s22, 0
	s_branch .LBB38_535
.LBB38_534:
	s_mov_b32 s22, -1
                                        ; implicit-def: $vgpr4
.LBB38_535:
	s_mov_b32 s25, 0
.LBB38_536:
	s_delay_alu instid0(SALU_CYCLE_1)
	s_and_b32 vcc_lo, exec_lo, s25
	s_cbranch_vccz .LBB38_552
; %bb.537:
	s_cmp_lt_i32 s21, 27
	s_cbranch_scc1 .LBB38_540
; %bb.538:
	s_cmp_gt_i32 s21, 27
	s_cbranch_scc0 .LBB38_541
; %bb.539:
	s_wait_loadcnt 0x0
	global_load_b32 v4, v[2:3], off
	s_mov_b32 s24, 0
	s_branch .LBB38_542
.LBB38_540:
	s_mov_b32 s24, -1
                                        ; implicit-def: $vgpr4
	s_branch .LBB38_545
.LBB38_541:
	s_mov_b32 s24, -1
                                        ; implicit-def: $vgpr4
.LBB38_542:
	s_delay_alu instid0(SALU_CYCLE_1)
	s_and_not1_b32 vcc_lo, exec_lo, s24
	s_cbranch_vccnz .LBB38_544
; %bb.543:
	s_wait_loadcnt 0x0
	global_load_u16 v4, v[2:3], off
.LBB38_544:
	s_mov_b32 s24, 0
.LBB38_545:
	s_delay_alu instid0(SALU_CYCLE_1)
	s_and_not1_b32 vcc_lo, exec_lo, s24
	s_cbranch_vccnz .LBB38_551
; %bb.546:
	s_wait_loadcnt 0x0
	global_load_u8 v1, v[2:3], off
	s_mov_b32 s25, 0
	s_mov_b32 s24, exec_lo
	s_wait_loadcnt 0x0
	v_cmpx_lt_i16_e32 0x7f, v1
	s_xor_b32 s24, exec_lo, s24
	s_cbranch_execz .LBB38_563
; %bb.547:
	v_cmp_ne_u16_e32 vcc_lo, 0x80, v1
	s_and_b32 s25, vcc_lo, exec_lo
	s_and_not1_saveexec_b32 s24, s24
	s_cbranch_execnz .LBB38_564
.LBB38_548:
	s_or_b32 exec_lo, exec_lo, s24
	v_mov_b32_e32 v4, 0
	s_and_saveexec_b32 s24, s25
	s_cbranch_execz .LBB38_550
.LBB38_549:
	v_and_b32_e32 v4, 0xffff, v1
	s_delay_alu instid0(VALU_DEP_1) | instskip(SKIP_1) | instid1(VALU_DEP_2)
	v_and_b32_e32 v5, 7, v4
	v_bfe_u32 v8, v4, 3, 4
	v_clz_i32_u32_e32 v6, v5
	s_delay_alu instid0(VALU_DEP_2) | instskip(NEXT) | instid1(VALU_DEP_2)
	v_cmp_eq_u32_e32 vcc_lo, 0, v8
	v_min_u32_e32 v6, 32, v6
	s_delay_alu instid0(VALU_DEP_1) | instskip(NEXT) | instid1(VALU_DEP_1)
	v_subrev_nc_u32_e32 v7, 28, v6
	v_dual_lshlrev_b32 v4, v7, v4 :: v_dual_sub_nc_u32 v6, 29, v6
	s_delay_alu instid0(VALU_DEP_1) | instskip(NEXT) | instid1(VALU_DEP_1)
	v_dual_lshlrev_b32 v1, 24, v1 :: v_dual_bitop2_b32 v4, 7, v4 bitop3:0x40
	v_dual_cndmask_b32 v6, v8, v6, vcc_lo :: v_dual_cndmask_b32 v4, v5, v4, vcc_lo
	s_delay_alu instid0(VALU_DEP_2) | instskip(NEXT) | instid1(VALU_DEP_2)
	v_and_b32_e32 v1, 0x80000000, v1
	v_lshl_add_u32 v5, v6, 23, 0x3b800000
	s_delay_alu instid0(VALU_DEP_3) | instskip(NEXT) | instid1(VALU_DEP_1)
	v_lshlrev_b32_e32 v4, 20, v4
	v_or3_b32 v1, v1, v5, v4
	s_delay_alu instid0(VALU_DEP_1)
	v_cvt_i32_f32_e32 v4, v1
.LBB38_550:
	s_or_b32 exec_lo, exec_lo, s24
.LBB38_551:
	s_mov_b32 s24, -1
.LBB38_552:
	s_mov_b32 s25, 0
.LBB38_553:
	s_delay_alu instid0(SALU_CYCLE_1)
	s_and_b32 vcc_lo, exec_lo, s25
	s_cbranch_vccz .LBB38_586
; %bb.554:
	s_cmp_gt_i32 s21, 22
	s_cbranch_scc0 .LBB38_562
; %bb.555:
	s_cmp_lt_i32 s21, 24
	s_cbranch_scc1 .LBB38_565
; %bb.556:
	s_cmp_gt_i32 s21, 24
	s_cbranch_scc0 .LBB38_566
; %bb.557:
	s_wait_loadcnt 0x0
	global_load_u8 v1, v[2:3], off
	s_mov_b32 s25, 0
	s_mov_b32 s24, exec_lo
	s_wait_loadcnt 0x0
	v_cmpx_lt_i16_e32 0x7f, v1
	s_xor_b32 s24, exec_lo, s24
	s_cbranch_execz .LBB38_578
; %bb.558:
	v_cmp_ne_u16_e32 vcc_lo, 0x80, v1
	s_and_b32 s25, vcc_lo, exec_lo
	s_and_not1_saveexec_b32 s24, s24
	s_cbranch_execnz .LBB38_579
.LBB38_559:
	s_or_b32 exec_lo, exec_lo, s24
	v_mov_b32_e32 v4, 0
	s_and_saveexec_b32 s24, s25
	s_cbranch_execz .LBB38_561
.LBB38_560:
	v_and_b32_e32 v4, 0xffff, v1
	s_delay_alu instid0(VALU_DEP_1) | instskip(SKIP_1) | instid1(VALU_DEP_2)
	v_and_b32_e32 v5, 3, v4
	v_bfe_u32 v8, v4, 2, 5
	v_clz_i32_u32_e32 v6, v5
	s_delay_alu instid0(VALU_DEP_2) | instskip(NEXT) | instid1(VALU_DEP_2)
	v_cmp_eq_u32_e32 vcc_lo, 0, v8
	v_min_u32_e32 v6, 32, v6
	s_delay_alu instid0(VALU_DEP_1) | instskip(NEXT) | instid1(VALU_DEP_1)
	v_subrev_nc_u32_e32 v7, 29, v6
	v_dual_lshlrev_b32 v4, v7, v4 :: v_dual_sub_nc_u32 v6, 30, v6
	s_delay_alu instid0(VALU_DEP_1) | instskip(NEXT) | instid1(VALU_DEP_1)
	v_dual_lshlrev_b32 v1, 24, v1 :: v_dual_bitop2_b32 v4, 3, v4 bitop3:0x40
	v_dual_cndmask_b32 v6, v8, v6, vcc_lo :: v_dual_cndmask_b32 v4, v5, v4, vcc_lo
	s_delay_alu instid0(VALU_DEP_2) | instskip(NEXT) | instid1(VALU_DEP_2)
	v_and_b32_e32 v1, 0x80000000, v1
	v_lshl_add_u32 v5, v6, 23, 0x37800000
	s_delay_alu instid0(VALU_DEP_3) | instskip(NEXT) | instid1(VALU_DEP_1)
	v_lshlrev_b32_e32 v4, 21, v4
	v_or3_b32 v1, v1, v5, v4
	s_delay_alu instid0(VALU_DEP_1)
	v_cvt_i32_f32_e32 v4, v1
.LBB38_561:
	s_or_b32 exec_lo, exec_lo, s24
	s_mov_b32 s24, 0
	s_branch .LBB38_567
.LBB38_562:
	s_mov_b32 s25, -1
                                        ; implicit-def: $vgpr4
	s_branch .LBB38_573
.LBB38_563:
	s_and_not1_saveexec_b32 s24, s24
	s_cbranch_execz .LBB38_548
.LBB38_564:
	v_cmp_ne_u16_e32 vcc_lo, 0, v1
	s_and_not1_b32 s25, s25, exec_lo
	s_and_b32 s26, vcc_lo, exec_lo
	s_delay_alu instid0(SALU_CYCLE_1)
	s_or_b32 s25, s25, s26
	s_or_b32 exec_lo, exec_lo, s24
	v_mov_b32_e32 v4, 0
	s_and_saveexec_b32 s24, s25
	s_cbranch_execnz .LBB38_549
	s_branch .LBB38_550
.LBB38_565:
	s_mov_b32 s24, -1
                                        ; implicit-def: $vgpr4
	s_branch .LBB38_570
.LBB38_566:
	s_mov_b32 s24, -1
                                        ; implicit-def: $vgpr4
.LBB38_567:
	s_delay_alu instid0(SALU_CYCLE_1)
	s_and_b32 vcc_lo, exec_lo, s24
	s_cbranch_vccz .LBB38_569
; %bb.568:
	s_wait_loadcnt 0x0
	global_load_u8 v1, v[2:3], off
	s_wait_loadcnt 0x0
	v_lshlrev_b32_e32 v1, 24, v1
	s_delay_alu instid0(VALU_DEP_1) | instskip(NEXT) | instid1(VALU_DEP_1)
	v_and_b32_e32 v4, 0x7f000000, v1
	v_clz_i32_u32_e32 v5, v4
	v_cmp_ne_u32_e32 vcc_lo, 0, v4
	v_add_nc_u32_e32 v7, 0x1000000, v4
	s_delay_alu instid0(VALU_DEP_3) | instskip(NEXT) | instid1(VALU_DEP_1)
	v_min_u32_e32 v5, 32, v5
	v_sub_nc_u32_e64 v5, v5, 4 clamp
	s_delay_alu instid0(VALU_DEP_1) | instskip(NEXT) | instid1(VALU_DEP_1)
	v_dual_lshlrev_b32 v6, v5, v4 :: v_dual_lshlrev_b32 v5, 23, v5
	v_lshrrev_b32_e32 v6, 4, v6
	s_delay_alu instid0(VALU_DEP_1) | instskip(NEXT) | instid1(VALU_DEP_1)
	v_dual_sub_nc_u32 v5, v6, v5 :: v_dual_ashrrev_i32 v6, 8, v7
	v_add_nc_u32_e32 v5, 0x3c000000, v5
	s_delay_alu instid0(VALU_DEP_1) | instskip(NEXT) | instid1(VALU_DEP_1)
	v_and_or_b32 v5, 0x7f800000, v6, v5
	v_cndmask_b32_e32 v4, 0, v5, vcc_lo
	s_delay_alu instid0(VALU_DEP_1) | instskip(NEXT) | instid1(VALU_DEP_1)
	v_and_or_b32 v1, 0x80000000, v1, v4
	v_cvt_i32_f32_e32 v4, v1
.LBB38_569:
	s_mov_b32 s24, 0
.LBB38_570:
	s_delay_alu instid0(SALU_CYCLE_1)
	s_and_not1_b32 vcc_lo, exec_lo, s24
	s_cbranch_vccnz .LBB38_572
; %bb.571:
	s_wait_loadcnt 0x0
	global_load_u8 v1, v[2:3], off
	s_wait_loadcnt 0x0
	v_lshlrev_b32_e32 v4, 25, v1
	v_lshlrev_b16 v1, 8, v1
	s_delay_alu instid0(VALU_DEP_1) | instskip(SKIP_1) | instid1(VALU_DEP_2)
	v_and_or_b32 v6, 0x7f00, v1, 0.5
	v_bfe_i32 v1, v1, 0, 16
	v_dual_add_f32 v6, -0.5, v6 :: v_dual_lshrrev_b32 v5, 4, v4
	v_cmp_gt_u32_e32 vcc_lo, 0x8000000, v4
	s_delay_alu instid0(VALU_DEP_2) | instskip(NEXT) | instid1(VALU_DEP_1)
	v_or_b32_e32 v5, 0x70000000, v5
	v_mul_f32_e32 v5, 0x7800000, v5
	s_delay_alu instid0(VALU_DEP_1) | instskip(NEXT) | instid1(VALU_DEP_1)
	v_cndmask_b32_e32 v4, v5, v6, vcc_lo
	v_and_or_b32 v1, 0x80000000, v1, v4
	s_delay_alu instid0(VALU_DEP_1)
	v_cvt_i32_f32_e32 v4, v1
.LBB38_572:
	s_mov_b32 s25, 0
	s_mov_b32 s24, -1
.LBB38_573:
	s_and_not1_b32 vcc_lo, exec_lo, s25
	s_cbranch_vccnz .LBB38_586
; %bb.574:
	s_cmp_gt_i32 s21, 14
	s_cbranch_scc0 .LBB38_577
; %bb.575:
	s_cmp_eq_u32 s21, 15
	s_cbranch_scc0 .LBB38_580
; %bb.576:
	s_wait_loadcnt 0x0
	global_load_u16 v1, v[2:3], off
	s_mov_b32 s24, -1
	s_mov_b32 s22, 0
	s_wait_loadcnt 0x0
	v_lshlrev_b32_e32 v1, 16, v1
	s_delay_alu instid0(VALU_DEP_1)
	v_cvt_i32_f32_e32 v4, v1
	s_branch .LBB38_581
.LBB38_577:
	s_mov_b32 s25, -1
                                        ; implicit-def: $vgpr4
	s_branch .LBB38_582
.LBB38_578:
	s_and_not1_saveexec_b32 s24, s24
	s_cbranch_execz .LBB38_559
.LBB38_579:
	v_cmp_ne_u16_e32 vcc_lo, 0, v1
	s_and_not1_b32 s25, s25, exec_lo
	s_and_b32 s26, vcc_lo, exec_lo
	s_delay_alu instid0(SALU_CYCLE_1)
	s_or_b32 s25, s25, s26
	s_or_b32 exec_lo, exec_lo, s24
	v_mov_b32_e32 v4, 0
	s_and_saveexec_b32 s24, s25
	s_cbranch_execnz .LBB38_560
	s_branch .LBB38_561
.LBB38_580:
	s_mov_b32 s22, -1
                                        ; implicit-def: $vgpr4
.LBB38_581:
	s_mov_b32 s25, 0
.LBB38_582:
	s_delay_alu instid0(SALU_CYCLE_1)
	s_and_b32 vcc_lo, exec_lo, s25
	s_cbranch_vccz .LBB38_586
; %bb.583:
	s_cmp_eq_u32 s21, 11
	s_cbranch_scc0 .LBB38_585
; %bb.584:
	s_wait_loadcnt 0x0
	global_load_u8 v1, v[2:3], off
	s_mov_b32 s22, 0
	s_mov_b32 s24, -1
	s_wait_loadcnt 0x0
	v_cmp_ne_u16_e32 vcc_lo, 0, v1
	v_cndmask_b32_e64 v4, 0, 1, vcc_lo
	s_branch .LBB38_586
.LBB38_585:
	s_mov_b32 s22, -1
                                        ; implicit-def: $vgpr4
.LBB38_586:
	s_mov_b32 s21, 0
.LBB38_587:
	s_delay_alu instid0(SALU_CYCLE_1)
	s_and_b32 vcc_lo, exec_lo, s21
	s_cbranch_vccz .LBB38_636
; %bb.588:
	s_and_b32 s0, 0xffff, s0
	s_delay_alu instid0(SALU_CYCLE_1)
	s_cmp_lt_i32 s0, 5
	s_cbranch_scc1 .LBB38_593
; %bb.589:
	s_cmp_lt_i32 s0, 8
	s_cbranch_scc1 .LBB38_594
; %bb.590:
	;; [unrolled: 3-line block ×3, first 2 shown]
	s_cmp_gt_i32 s0, 9
	s_cbranch_scc0 .LBB38_596
; %bb.592:
	s_wait_loadcnt 0x0
	global_load_b64 v[4:5], v[2:3], off
	s_mov_b32 s21, 0
	s_wait_loadcnt 0x0
	v_cvt_i32_f64_e32 v4, v[4:5]
	s_branch .LBB38_597
.LBB38_593:
	s_mov_b32 s21, -1
                                        ; implicit-def: $vgpr4
	s_branch .LBB38_615
.LBB38_594:
	s_mov_b32 s21, -1
                                        ; implicit-def: $vgpr4
	s_branch .LBB38_603
.LBB38_595:
	s_mov_b32 s21, -1
                                        ; implicit-def: $vgpr4
	s_branch .LBB38_600
.LBB38_596:
	s_mov_b32 s21, -1
                                        ; implicit-def: $vgpr4
.LBB38_597:
	s_delay_alu instid0(SALU_CYCLE_1)
	s_and_not1_b32 vcc_lo, exec_lo, s21
	s_cbranch_vccnz .LBB38_599
; %bb.598:
	s_wait_loadcnt 0x0
	global_load_b32 v1, v[2:3], off
	s_wait_loadcnt 0x0
	v_cvt_i32_f32_e32 v4, v1
.LBB38_599:
	s_mov_b32 s21, 0
.LBB38_600:
	s_delay_alu instid0(SALU_CYCLE_1)
	s_and_not1_b32 vcc_lo, exec_lo, s21
	s_cbranch_vccnz .LBB38_602
; %bb.601:
	s_wait_loadcnt 0x0
	global_load_b32 v1, v[2:3], off
	s_wait_loadcnt 0x0
	v_cvt_i16_f16_e32 v4, v1
.LBB38_602:
	s_mov_b32 s21, 0
.LBB38_603:
	s_delay_alu instid0(SALU_CYCLE_1)
	s_and_not1_b32 vcc_lo, exec_lo, s21
	s_cbranch_vccnz .LBB38_614
; %bb.604:
	s_cmp_lt_i32 s0, 6
	s_cbranch_scc1 .LBB38_607
; %bb.605:
	s_cmp_gt_i32 s0, 6
	s_cbranch_scc0 .LBB38_608
; %bb.606:
	s_wait_loadcnt 0x0
	global_load_b64 v[4:5], v[2:3], off
	s_mov_b32 s21, 0
	s_wait_loadcnt 0x0
	v_cvt_i32_f64_e32 v4, v[4:5]
	s_branch .LBB38_609
.LBB38_607:
	s_mov_b32 s21, -1
                                        ; implicit-def: $vgpr4
	s_branch .LBB38_612
.LBB38_608:
	s_mov_b32 s21, -1
                                        ; implicit-def: $vgpr4
.LBB38_609:
	s_delay_alu instid0(SALU_CYCLE_1)
	s_and_not1_b32 vcc_lo, exec_lo, s21
	s_cbranch_vccnz .LBB38_611
; %bb.610:
	s_wait_loadcnt 0x0
	global_load_b32 v1, v[2:3], off
	s_wait_loadcnt 0x0
	v_cvt_i32_f32_e32 v4, v1
.LBB38_611:
	s_mov_b32 s21, 0
.LBB38_612:
	s_delay_alu instid0(SALU_CYCLE_1)
	s_and_not1_b32 vcc_lo, exec_lo, s21
	s_cbranch_vccnz .LBB38_614
; %bb.613:
	s_wait_loadcnt 0x0
	global_load_u16 v1, v[2:3], off
	s_wait_loadcnt 0x0
	v_cvt_i16_f16_e32 v4, v1
.LBB38_614:
	s_mov_b32 s21, 0
.LBB38_615:
	s_delay_alu instid0(SALU_CYCLE_1)
	s_and_not1_b32 vcc_lo, exec_lo, s21
	s_cbranch_vccnz .LBB38_635
; %bb.616:
	s_cmp_lt_i32 s0, 2
	s_cbranch_scc1 .LBB38_620
; %bb.617:
	s_cmp_lt_i32 s0, 3
	s_cbranch_scc1 .LBB38_621
; %bb.618:
	s_cmp_gt_i32 s0, 3
	s_cbranch_scc0 .LBB38_622
; %bb.619:
	s_wait_loadcnt 0x0
	global_load_b64 v[4:5], v[2:3], off
	s_mov_b32 s21, 0
	s_branch .LBB38_623
.LBB38_620:
	s_mov_b32 s21, -1
                                        ; implicit-def: $vgpr4
	s_branch .LBB38_629
.LBB38_621:
	s_mov_b32 s21, -1
                                        ; implicit-def: $vgpr4
	s_branch .LBB38_626
.LBB38_622:
	s_mov_b32 s21, -1
                                        ; implicit-def: $vgpr4
.LBB38_623:
	s_delay_alu instid0(SALU_CYCLE_1)
	s_and_not1_b32 vcc_lo, exec_lo, s21
	s_cbranch_vccnz .LBB38_625
; %bb.624:
	s_wait_loadcnt 0x0
	global_load_b32 v4, v[2:3], off
.LBB38_625:
	s_mov_b32 s21, 0
.LBB38_626:
	s_delay_alu instid0(SALU_CYCLE_1)
	s_and_not1_b32 vcc_lo, exec_lo, s21
	s_cbranch_vccnz .LBB38_628
; %bb.627:
	s_wait_loadcnt 0x0
	global_load_u16 v4, v[2:3], off
.LBB38_628:
	s_mov_b32 s21, 0
.LBB38_629:
	s_delay_alu instid0(SALU_CYCLE_1)
	s_and_not1_b32 vcc_lo, exec_lo, s21
	s_cbranch_vccnz .LBB38_635
; %bb.630:
	s_cmp_gt_i32 s0, 0
	s_mov_b32 s0, 0
	s_cbranch_scc0 .LBB38_632
; %bb.631:
	s_wait_loadcnt 0x0
	global_load_i8 v4, v[2:3], off
	s_branch .LBB38_633
.LBB38_632:
	s_mov_b32 s0, -1
                                        ; implicit-def: $vgpr4
.LBB38_633:
	s_delay_alu instid0(SALU_CYCLE_1)
	s_and_not1_b32 vcc_lo, exec_lo, s0
	s_cbranch_vccnz .LBB38_635
; %bb.634:
	s_wait_loadcnt 0x0
	global_load_u8 v4, v[2:3], off
.LBB38_635:
	s_mov_b32 s24, -1
.LBB38_636:
	s_delay_alu instid0(SALU_CYCLE_1)
	s_and_not1_b32 vcc_lo, exec_lo, s24
	s_cbranch_vccnz .LBB38_648
; %bb.637:
	s_wait_loadcnt 0x0
	s_delay_alu instid0(VALU_DEP_1) | instskip(SKIP_2) | instid1(VALU_DEP_1)
	v_sub_nc_u16 v1, 0, v4
	s_mov_b32 s21, 0
	s_mov_b32 s0, exec_lo
	v_max_i16 v4, v4, v1
	s_wait_xcnt 0x0
	v_cmpx_ne_u16_e32 0, v0
	s_cbranch_execz .LBB38_641
; %bb.638:
	v_sub_nc_u16 v1, 0, v0
	s_delay_alu instid0(VALU_DEP_1) | instskip(SKIP_1) | instid1(VALU_DEP_2)
	v_max_i16 v1, v0, v1
	v_and_b32_e32 v0, 0xffff, v4
	v_and_b32_e32 v1, 0xffff, v1
.LBB38_639:                             ; =>This Inner Loop Header: Depth=1
	s_delay_alu instid0(VALU_DEP_1) | instskip(NEXT) | instid1(VALU_DEP_2)
	v_bfe_i32 v3, v0, 0, 16
	v_mov_b32_e32 v4, v1
	s_delay_alu instid0(VALU_DEP_2) | instskip(NEXT) | instid1(VALU_DEP_2)
	v_cvt_f32_i32_e32 v6, v3
	v_bfe_i32 v1, v4, 0, 16
	s_delay_alu instid0(VALU_DEP_1) | instskip(SKIP_1) | instid1(VALU_DEP_2)
	v_cvt_f32_i32_e32 v2, v1
	v_xor_b32_e32 v1, v3, v1
	v_rcp_iflag_f32_e32 v5, v2
	v_nop
	s_delay_alu instid0(TRANS32_DEP_1) | instskip(NEXT) | instid1(VALU_DEP_1)
	v_mul_f32_e32 v3, v6, v5
	v_trunc_f32_e32 v3, v3
	s_delay_alu instid0(VALU_DEP_1) | instskip(NEXT) | instid1(VALU_DEP_1)
	v_dual_ashrrev_i32 v1, 30, v1 :: v_dual_fma_f32 v5, -v3, v2, v6
	v_or_b32_e32 v1, 1, v1
	v_cvt_i32_f32_e32 v3, v3
	s_delay_alu instid0(VALU_DEP_3) | instskip(NEXT) | instid1(VALU_DEP_3)
	v_cmp_ge_f32_e64 vcc_lo, |v5|, |v2|
	v_cndmask_b32_e32 v1, 0, v1, vcc_lo
	s_delay_alu instid0(VALU_DEP_1) | instskip(NEXT) | instid1(VALU_DEP_1)
	v_add_nc_u32_e32 v1, v3, v1
	v_mul_lo_u32 v1, v1, v4
	s_delay_alu instid0(VALU_DEP_1) | instskip(NEXT) | instid1(VALU_DEP_1)
	v_sub_nc_u32_e32 v1, v0, v1
	v_and_b32_e32 v0, 0xffff, v1
	v_bfe_i32 v1, v1, 0, 16
	s_delay_alu instid0(VALU_DEP_2) | instskip(SKIP_2) | instid1(SALU_CYCLE_1)
	v_cmp_eq_u32_e32 vcc_lo, 0, v0
	v_mov_b32_e32 v0, v4
	s_or_b32 s21, vcc_lo, s21
	s_and_not1_b32 exec_lo, exec_lo, s21
	s_cbranch_execnz .LBB38_639
; %bb.640:
	s_or_b32 exec_lo, exec_lo, s21
.LBB38_641:
	s_delay_alu instid0(SALU_CYCLE_1) | instskip(SKIP_2) | instid1(SALU_CYCLE_1)
	s_or_b32 exec_lo, exec_lo, s0
	v_mul_lo_u32 v0, v10, s8
	s_and_b32 s21, s11, 0xff
	s_cmp_lt_i32 s21, 11
	s_delay_alu instid0(VALU_DEP_1) | instskip(NEXT) | instid1(VALU_DEP_1)
	v_ashrrev_i32_e32 v1, 31, v0
	v_add_nc_u64_e32 v[0:1], s[4:5], v[0:1]
	s_cbranch_scc1 .LBB38_649
; %bb.642:
	s_and_b32 s24, 0xffff, s21
	s_delay_alu instid0(SALU_CYCLE_1)
	s_cmp_gt_i32 s24, 25
	s_cbranch_scc0 .LBB38_650
; %bb.643:
	s_cmp_gt_i32 s24, 28
	s_cbranch_scc0 .LBB38_651
; %bb.644:
	;; [unrolled: 3-line block ×4, first 2 shown]
	s_mov_b32 s26, 0
	s_mov_b32 s0, -1
	s_cmp_eq_u32 s24, 46
	s_mov_b32 s25, 0
	s_cbranch_scc0 .LBB38_654
; %bb.647:
	v_bfe_i32 v2, v4, 0, 16
	s_mov_b32 s25, -1
	s_mov_b32 s0, 0
	s_delay_alu instid0(VALU_DEP_1) | instskip(NEXT) | instid1(VALU_DEP_1)
	v_cvt_f32_i32_e32 v2, v2
	v_bfe_u32 v3, v2, 16, 1
	s_delay_alu instid0(VALU_DEP_1) | instskip(NEXT) | instid1(VALU_DEP_1)
	v_add3_u32 v2, v2, v3, 0x7fff
	v_lshrrev_b32_e32 v2, 16, v2
	global_store_b32 v[0:1], v2, off
	s_branch .LBB38_654
.LBB38_648:
	s_mov_b32 s24, 0
	s_mov_b32 s0, s15
	s_branch .LBB38_765
.LBB38_649:
	s_mov_b32 s24, -1
	s_mov_b32 s25, 0
	s_mov_b32 s0, s15
	s_branch .LBB38_723
.LBB38_650:
	s_mov_b32 s26, -1
	s_mov_b32 s25, 0
	s_mov_b32 s0, s15
	s_branch .LBB38_681
.LBB38_651:
	s_mov_b32 s26, -1
	s_mov_b32 s25, 0
	s_mov_b32 s0, s15
	s_branch .LBB38_664
.LBB38_652:
	s_mov_b32 s26, -1
	s_mov_b32 s25, 0
	s_mov_b32 s0, s15
	s_branch .LBB38_660
.LBB38_653:
	s_mov_b32 s26, -1
	s_mov_b32 s25, 0
	s_mov_b32 s0, s15
.LBB38_654:
	s_and_b32 vcc_lo, exec_lo, s26
	s_cbranch_vccz .LBB38_659
; %bb.655:
	s_cmp_eq_u32 s24, 44
	s_mov_b32 s0, -1
	s_cbranch_scc0 .LBB38_659
; %bb.656:
	s_wait_xcnt 0x0
	v_bfe_i32 v2, v4, 0, 16
	v_mov_b32_e32 v3, 0xff
	s_mov_b32 s25, exec_lo
	s_delay_alu instid0(VALU_DEP_2) | instskip(NEXT) | instid1(VALU_DEP_1)
	v_cvt_f32_i32_e32 v2, v2
	v_bfe_u32 v5, v2, 23, 8
	s_delay_alu instid0(VALU_DEP_1)
	v_cmpx_ne_u32_e32 0xff, v5
	s_cbranch_execz .LBB38_658
; %bb.657:
	v_and_b32_e32 v3, 0x400000, v2
	v_and_or_b32 v5, 0x3fffff, v2, v5
	v_lshrrev_b32_e32 v2, 23, v2
	s_delay_alu instid0(VALU_DEP_3) | instskip(NEXT) | instid1(VALU_DEP_3)
	v_cmp_ne_u32_e32 vcc_lo, 0, v3
	v_cmp_ne_u32_e64 s0, 0, v5
	s_and_b32 s0, vcc_lo, s0
	s_delay_alu instid0(SALU_CYCLE_1) | instskip(NEXT) | instid1(VALU_DEP_1)
	v_cndmask_b32_e64 v3, 0, 1, s0
	v_add_nc_u32_e32 v3, v2, v3
.LBB38_658:
	s_or_b32 exec_lo, exec_lo, s25
	s_mov_b32 s25, -1
	s_mov_b32 s0, 0
	global_store_b8 v[0:1], v3, off
.LBB38_659:
	s_mov_b32 s26, 0
.LBB38_660:
	s_delay_alu instid0(SALU_CYCLE_1)
	s_and_b32 vcc_lo, exec_lo, s26
	s_cbranch_vccz .LBB38_663
; %bb.661:
	s_cmp_eq_u32 s24, 29
	s_mov_b32 s0, -1
	s_cbranch_scc0 .LBB38_663
; %bb.662:
	s_wait_xcnt 0x0
	v_bfe_i32 v2, v4, 0, 16
	s_mov_b32 s0, 0
	s_mov_b32 s25, -1
	s_mov_b32 s26, 0
	s_delay_alu instid0(VALU_DEP_1)
	v_ashrrev_i32_e32 v3, 31, v2
	global_store_b64 v[0:1], v[2:3], off
	s_branch .LBB38_664
.LBB38_663:
	s_mov_b32 s26, 0
.LBB38_664:
	s_delay_alu instid0(SALU_CYCLE_1)
	s_and_b32 vcc_lo, exec_lo, s26
	s_cbranch_vccz .LBB38_680
; %bb.665:
	s_cmp_lt_i32 s24, 27
	s_mov_b32 s25, -1
	s_cbranch_scc1 .LBB38_671
; %bb.666:
	s_cmp_gt_i32 s24, 27
	s_cbranch_scc0 .LBB38_668
; %bb.667:
	s_wait_xcnt 0x0
	v_bfe_i32 v2, v4, 0, 16
	s_mov_b32 s25, 0
	global_store_b32 v[0:1], v2, off
.LBB38_668:
	s_and_not1_b32 vcc_lo, exec_lo, s25
	s_cbranch_vccnz .LBB38_670
; %bb.669:
	global_store_b16 v[0:1], v4, off
.LBB38_670:
	s_mov_b32 s25, 0
.LBB38_671:
	s_delay_alu instid0(SALU_CYCLE_1)
	s_and_not1_b32 vcc_lo, exec_lo, s25
	s_cbranch_vccnz .LBB38_679
; %bb.672:
	s_wait_xcnt 0x0
	v_bfe_i32 v2, v4, 0, 16
	v_mov_b32_e32 v5, 0x80
	s_mov_b32 s25, exec_lo
	s_delay_alu instid0(VALU_DEP_2) | instskip(NEXT) | instid1(VALU_DEP_1)
	v_cvt_f32_i32_e32 v2, v2
	v_and_b32_e32 v3, 0x7fffffff, v2
	s_delay_alu instid0(VALU_DEP_1)
	v_cmpx_gt_u32_e32 0x43800000, v3
	s_cbranch_execz .LBB38_678
; %bb.673:
	v_cmp_lt_u32_e32 vcc_lo, 0x3bffffff, v3
	s_mov_b32 s26, 0
                                        ; implicit-def: $vgpr3
	s_and_saveexec_b32 s27, vcc_lo
	s_delay_alu instid0(SALU_CYCLE_1)
	s_xor_b32 s27, exec_lo, s27
	s_cbranch_execz .LBB38_781
; %bb.674:
	v_bfe_u32 v3, v2, 20, 1
	s_mov_b32 s26, exec_lo
	s_delay_alu instid0(VALU_DEP_1) | instskip(NEXT) | instid1(VALU_DEP_1)
	v_add3_u32 v3, v2, v3, 0x487ffff
	v_lshrrev_b32_e32 v3, 20, v3
	s_and_not1_saveexec_b32 s27, s27
	s_cbranch_execnz .LBB38_782
.LBB38_675:
	s_or_b32 exec_lo, exec_lo, s27
	v_mov_b32_e32 v5, 0
	s_and_saveexec_b32 s27, s26
.LBB38_676:
	v_lshrrev_b32_e32 v2, 24, v2
	s_delay_alu instid0(VALU_DEP_1)
	v_and_or_b32 v5, 0x80, v2, v3
.LBB38_677:
	s_or_b32 exec_lo, exec_lo, s27
.LBB38_678:
	s_delay_alu instid0(SALU_CYCLE_1)
	s_or_b32 exec_lo, exec_lo, s25
	global_store_b8 v[0:1], v5, off
.LBB38_679:
	s_mov_b32 s25, -1
.LBB38_680:
	s_mov_b32 s26, 0
.LBB38_681:
	s_delay_alu instid0(SALU_CYCLE_1)
	s_and_b32 vcc_lo, exec_lo, s26
	s_cbranch_vccz .LBB38_722
; %bb.682:
	s_cmp_gt_i32 s24, 22
	s_mov_b32 s26, -1
	s_cbranch_scc0 .LBB38_714
; %bb.683:
	s_cmp_lt_i32 s24, 24
	s_mov_b32 s25, -1
	s_cbranch_scc1 .LBB38_703
; %bb.684:
	s_cmp_gt_i32 s24, 24
	s_cbranch_scc0 .LBB38_692
; %bb.685:
	s_wait_xcnt 0x0
	v_bfe_i32 v2, v4, 0, 16
	v_mov_b32_e32 v5, 0x80
	s_mov_b32 s25, exec_lo
	s_delay_alu instid0(VALU_DEP_2) | instskip(NEXT) | instid1(VALU_DEP_1)
	v_cvt_f32_i32_e32 v2, v2
	v_and_b32_e32 v3, 0x7fffffff, v2
	s_delay_alu instid0(VALU_DEP_1)
	v_cmpx_gt_u32_e32 0x47800000, v3
	s_cbranch_execz .LBB38_691
; %bb.686:
	v_cmp_lt_u32_e32 vcc_lo, 0x37ffffff, v3
	s_mov_b32 s26, 0
                                        ; implicit-def: $vgpr3
	s_and_saveexec_b32 s27, vcc_lo
	s_delay_alu instid0(SALU_CYCLE_1)
	s_xor_b32 s27, exec_lo, s27
	s_cbranch_execz .LBB38_909
; %bb.687:
	v_bfe_u32 v3, v2, 21, 1
	s_mov_b32 s26, exec_lo
	s_delay_alu instid0(VALU_DEP_1) | instskip(NEXT) | instid1(VALU_DEP_1)
	v_add3_u32 v3, v2, v3, 0x88fffff
	v_lshrrev_b32_e32 v3, 21, v3
	s_and_not1_saveexec_b32 s27, s27
	s_cbranch_execnz .LBB38_910
.LBB38_688:
	s_or_b32 exec_lo, exec_lo, s27
	v_mov_b32_e32 v5, 0
	s_and_saveexec_b32 s27, s26
.LBB38_689:
	v_lshrrev_b32_e32 v2, 24, v2
	s_delay_alu instid0(VALU_DEP_1)
	v_and_or_b32 v5, 0x80, v2, v3
.LBB38_690:
	s_or_b32 exec_lo, exec_lo, s27
.LBB38_691:
	s_delay_alu instid0(SALU_CYCLE_1)
	s_or_b32 exec_lo, exec_lo, s25
	s_mov_b32 s25, 0
	global_store_b8 v[0:1], v5, off
.LBB38_692:
	s_and_b32 vcc_lo, exec_lo, s25
	s_cbranch_vccz .LBB38_702
; %bb.693:
	s_wait_xcnt 0x0
	v_bfe_i32 v2, v4, 0, 16
	s_mov_b32 s25, exec_lo
                                        ; implicit-def: $vgpr3
	s_delay_alu instid0(VALU_DEP_1) | instskip(NEXT) | instid1(VALU_DEP_1)
	v_cvt_f32_i32_e32 v2, v2
	v_and_b32_e32 v5, 0x7fffffff, v2
	s_delay_alu instid0(VALU_DEP_1)
	v_cmpx_gt_u32_e32 0x43f00000, v5
	s_xor_b32 s25, exec_lo, s25
	s_cbranch_execz .LBB38_699
; %bb.694:
	s_mov_b32 s26, exec_lo
                                        ; implicit-def: $vgpr3
	v_cmpx_lt_u32_e32 0x3c7fffff, v5
	s_xor_b32 s26, exec_lo, s26
; %bb.695:
	v_bfe_u32 v3, v2, 20, 1
	s_delay_alu instid0(VALU_DEP_1) | instskip(NEXT) | instid1(VALU_DEP_1)
	v_add3_u32 v3, v2, v3, 0x407ffff
	v_and_b32_e32 v5, 0xff00000, v3
	v_lshrrev_b32_e32 v3, 20, v3
	s_delay_alu instid0(VALU_DEP_2) | instskip(NEXT) | instid1(VALU_DEP_2)
	v_cmp_ne_u32_e32 vcc_lo, 0x7f00000, v5
	v_cndmask_b32_e32 v3, 0x7e, v3, vcc_lo
; %bb.696:
	s_and_not1_saveexec_b32 s26, s26
; %bb.697:
	v_add_f32_e64 v3, 0x46800000, |v2|
; %bb.698:
	s_or_b32 exec_lo, exec_lo, s26
                                        ; implicit-def: $vgpr5
.LBB38_699:
	s_and_not1_saveexec_b32 s25, s25
; %bb.700:
	v_mov_b32_e32 v3, 0x7f
	v_cmp_lt_u32_e32 vcc_lo, 0x7f800000, v5
	s_delay_alu instid0(VALU_DEP_2)
	v_cndmask_b32_e32 v3, 0x7e, v3, vcc_lo
; %bb.701:
	s_or_b32 exec_lo, exec_lo, s25
	v_lshrrev_b32_e32 v2, 24, v2
	s_delay_alu instid0(VALU_DEP_1)
	v_and_or_b32 v2, 0x80, v2, v3
	global_store_b8 v[0:1], v2, off
.LBB38_702:
	s_mov_b32 s25, 0
.LBB38_703:
	s_delay_alu instid0(SALU_CYCLE_1)
	s_and_not1_b32 vcc_lo, exec_lo, s25
	s_cbranch_vccnz .LBB38_713
; %bb.704:
	s_wait_xcnt 0x0
	v_bfe_i32 v2, v4, 0, 16
	s_mov_b32 s25, exec_lo
                                        ; implicit-def: $vgpr3
	s_delay_alu instid0(VALU_DEP_1) | instskip(NEXT) | instid1(VALU_DEP_1)
	v_cvt_f32_i32_e32 v2, v2
	v_and_b32_e32 v5, 0x7fffffff, v2
	s_delay_alu instid0(VALU_DEP_1)
	v_cmpx_gt_u32_e32 0x47800000, v5
	s_xor_b32 s25, exec_lo, s25
	s_cbranch_execz .LBB38_710
; %bb.705:
	s_mov_b32 s26, exec_lo
                                        ; implicit-def: $vgpr3
	v_cmpx_lt_u32_e32 0x387fffff, v5
	s_xor_b32 s26, exec_lo, s26
; %bb.706:
	v_bfe_u32 v3, v2, 21, 1
	s_delay_alu instid0(VALU_DEP_1) | instskip(NEXT) | instid1(VALU_DEP_1)
	v_add3_u32 v3, v2, v3, 0x80fffff
	v_lshrrev_b32_e32 v3, 21, v3
; %bb.707:
	s_and_not1_saveexec_b32 s26, s26
; %bb.708:
	v_add_f32_e64 v3, 0x43000000, |v2|
; %bb.709:
	s_or_b32 exec_lo, exec_lo, s26
                                        ; implicit-def: $vgpr5
.LBB38_710:
	s_and_not1_saveexec_b32 s25, s25
; %bb.711:
	v_mov_b32_e32 v3, 0x7f
	v_cmp_lt_u32_e32 vcc_lo, 0x7f800000, v5
	s_delay_alu instid0(VALU_DEP_2)
	v_cndmask_b32_e32 v3, 0x7c, v3, vcc_lo
; %bb.712:
	s_or_b32 exec_lo, exec_lo, s25
	v_lshrrev_b32_e32 v2, 24, v2
	s_delay_alu instid0(VALU_DEP_1)
	v_and_or_b32 v2, 0x80, v2, v3
	global_store_b8 v[0:1], v2, off
.LBB38_713:
	s_mov_b32 s26, 0
	s_mov_b32 s25, -1
.LBB38_714:
	s_and_not1_b32 vcc_lo, exec_lo, s26
	s_cbranch_vccnz .LBB38_722
; %bb.715:
	s_cmp_gt_i32 s24, 14
	s_mov_b32 s26, -1
	s_cbranch_scc0 .LBB38_719
; %bb.716:
	s_cmp_eq_u32 s24, 15
	s_mov_b32 s0, -1
	s_cbranch_scc0 .LBB38_718
; %bb.717:
	s_wait_xcnt 0x0
	v_bfe_i32 v2, v4, 0, 16
	s_mov_b32 s25, -1
	s_mov_b32 s0, 0
	s_delay_alu instid0(VALU_DEP_1) | instskip(NEXT) | instid1(VALU_DEP_1)
	v_cvt_f32_i32_e32 v2, v2
	v_bfe_u32 v3, v2, 16, 1
	s_delay_alu instid0(VALU_DEP_1)
	v_add3_u32 v2, v2, v3, 0x7fff
	global_store_d16_hi_b16 v[0:1], v2, off
.LBB38_718:
	s_mov_b32 s26, 0
.LBB38_719:
	s_delay_alu instid0(SALU_CYCLE_1)
	s_and_b32 vcc_lo, exec_lo, s26
	s_cbranch_vccz .LBB38_722
; %bb.720:
	s_cmp_eq_u32 s24, 11
	s_mov_b32 s0, -1
	s_cbranch_scc0 .LBB38_722
; %bb.721:
	v_cmp_ne_u16_e32 vcc_lo, 0, v4
	s_mov_b32 s0, 0
	s_mov_b32 s25, -1
	s_wait_xcnt 0x0
	v_cndmask_b32_e64 v2, 0, 1, vcc_lo
	global_store_b8 v[0:1], v2, off
.LBB38_722:
	s_mov_b32 s24, 0
.LBB38_723:
	s_delay_alu instid0(SALU_CYCLE_1)
	s_and_b32 vcc_lo, exec_lo, s24
	s_cbranch_vccz .LBB38_762
; %bb.724:
	s_and_b32 s21, 0xffff, s21
	s_mov_b32 s24, -1
	s_cmp_lt_i32 s21, 5
	s_cbranch_scc1 .LBB38_745
; %bb.725:
	s_cmp_lt_i32 s21, 8
	s_cbranch_scc1 .LBB38_735
; %bb.726:
	;; [unrolled: 3-line block ×3, first 2 shown]
	s_cmp_gt_i32 s21, 9
	s_cbranch_scc0 .LBB38_729
; %bb.728:
	s_wait_xcnt 0x0
	v_bfe_i32 v2, v4, 0, 16
	v_mov_b32_e32 v8, 0
	s_mov_b32 s24, 0
	s_delay_alu instid0(VALU_DEP_2) | instskip(NEXT) | instid1(VALU_DEP_2)
	v_cvt_f64_i32_e32 v[6:7], v2
	v_mov_b32_e32 v9, v8
	global_store_b128 v[0:1], v[6:9], off
.LBB38_729:
	s_and_not1_b32 vcc_lo, exec_lo, s24
	s_cbranch_vccnz .LBB38_731
; %bb.730:
	s_wait_xcnt 0x0
	v_bfe_i32 v2, v4, 0, 16
	v_mov_b32_e32 v3, 0
	s_delay_alu instid0(VALU_DEP_2)
	v_cvt_f32_i32_e32 v2, v2
	global_store_b64 v[0:1], v[2:3], off
.LBB38_731:
	s_mov_b32 s24, 0
.LBB38_732:
	s_delay_alu instid0(SALU_CYCLE_1)
	s_and_not1_b32 vcc_lo, exec_lo, s24
	s_cbranch_vccnz .LBB38_734
; %bb.733:
	s_wait_xcnt 0x0
	v_cvt_f16_i16_e32 v2, v4
	s_delay_alu instid0(VALU_DEP_1)
	v_and_b32_e32 v2, 0xffff, v2
	global_store_b32 v[0:1], v2, off
.LBB38_734:
	s_mov_b32 s24, 0
.LBB38_735:
	s_delay_alu instid0(SALU_CYCLE_1)
	s_and_not1_b32 vcc_lo, exec_lo, s24
	s_cbranch_vccnz .LBB38_744
; %bb.736:
	s_cmp_lt_i32 s21, 6
	s_mov_b32 s24, -1
	s_cbranch_scc1 .LBB38_742
; %bb.737:
	s_cmp_gt_i32 s21, 6
	s_cbranch_scc0 .LBB38_739
; %bb.738:
	s_wait_xcnt 0x0
	v_bfe_i32 v2, v4, 0, 16
	s_mov_b32 s24, 0
	s_delay_alu instid0(VALU_DEP_1)
	v_cvt_f64_i32_e32 v[2:3], v2
	global_store_b64 v[0:1], v[2:3], off
.LBB38_739:
	s_and_not1_b32 vcc_lo, exec_lo, s24
	s_cbranch_vccnz .LBB38_741
; %bb.740:
	s_wait_xcnt 0x0
	v_bfe_i32 v2, v4, 0, 16
	s_delay_alu instid0(VALU_DEP_1)
	v_cvt_f32_i32_e32 v2, v2
	global_store_b32 v[0:1], v2, off
.LBB38_741:
	s_mov_b32 s24, 0
.LBB38_742:
	s_delay_alu instid0(SALU_CYCLE_1)
	s_and_not1_b32 vcc_lo, exec_lo, s24
	s_cbranch_vccnz .LBB38_744
; %bb.743:
	s_wait_xcnt 0x0
	v_cvt_f16_i16_e32 v2, v4
	global_store_b16 v[0:1], v2, off
.LBB38_744:
	s_mov_b32 s24, 0
.LBB38_745:
	s_delay_alu instid0(SALU_CYCLE_1)
	s_and_not1_b32 vcc_lo, exec_lo, s24
	s_cbranch_vccnz .LBB38_761
; %bb.746:
	s_cmp_lt_i32 s21, 2
	s_mov_b32 s24, -1
	s_cbranch_scc1 .LBB38_756
; %bb.747:
	s_cmp_lt_i32 s21, 3
	s_cbranch_scc1 .LBB38_753
; %bb.748:
	s_wait_xcnt 0x0
	v_bfe_i32 v2, v4, 0, 16
	s_cmp_gt_i32 s21, 3
	s_cbranch_scc0 .LBB38_750
; %bb.749:
	s_delay_alu instid0(VALU_DEP_1)
	v_ashrrev_i32_e32 v3, 31, v2
	s_mov_b32 s24, 0
	global_store_b64 v[0:1], v[2:3], off
.LBB38_750:
	s_and_not1_b32 vcc_lo, exec_lo, s24
	s_cbranch_vccnz .LBB38_752
; %bb.751:
	global_store_b32 v[0:1], v2, off
.LBB38_752:
	s_mov_b32 s24, 0
.LBB38_753:
	s_delay_alu instid0(SALU_CYCLE_1)
	s_and_not1_b32 vcc_lo, exec_lo, s24
	s_cbranch_vccnz .LBB38_755
; %bb.754:
	global_store_b16 v[0:1], v4, off
.LBB38_755:
	s_mov_b32 s24, 0
.LBB38_756:
	s_delay_alu instid0(SALU_CYCLE_1)
	s_and_not1_b32 vcc_lo, exec_lo, s24
	s_cbranch_vccnz .LBB38_761
; %bb.757:
	s_cmp_gt_i32 s21, 0
	s_mov_b32 s21, -1
	s_cbranch_scc0 .LBB38_759
; %bb.758:
	s_mov_b32 s21, 0
	global_store_b8 v[0:1], v4, off
.LBB38_759:
	s_and_not1_b32 vcc_lo, exec_lo, s21
	s_cbranch_vccnz .LBB38_761
; %bb.760:
	global_store_b8 v[0:1], v4, off
.LBB38_761:
	s_mov_b32 s25, -1
.LBB38_762:
	s_delay_alu instid0(SALU_CYCLE_1)
	s_and_not1_b32 vcc_lo, exec_lo, s25
	s_cbranch_vccnz .LBB38_764
; %bb.763:
	v_add_nc_u32_e32 v10, 0x80, v10
	s_mov_b32 s24, -1
	s_branch .LBB38_766
.LBB38_764:
	s_mov_b32 s24, 0
.LBB38_765:
                                        ; implicit-def: $vgpr10
.LBB38_766:
	s_and_not1_b32 s21, s15, exec_lo
	s_and_b32 s0, s0, exec_lo
	s_and_b32 s22, s22, exec_lo
	s_or_b32 s21, s21, s0
	s_and_not1_b32 s0, s17, exec_lo
	s_and_not1_b32 s25, s18, exec_lo
	s_and_b32 s20, s20, exec_lo
	s_or_b32 s22, s0, s22
	s_or_b32 s20, s25, s20
	s_or_not1_b32 s25, s24, exec_lo
.LBB38_767:
	s_wait_xcnt 0x0
	s_or_b32 exec_lo, exec_lo, s23
	s_mov_b32 s24, 0
	s_mov_b32 s26, 0
	;; [unrolled: 1-line block ×3, first 2 shown]
                                        ; implicit-def: $sgpr0
                                        ; implicit-def: $vgpr2_vgpr3
                                        ; implicit-def: $vgpr0
	s_and_saveexec_b32 s23, s25
	s_cbranch_execz .LBB38_1234
; %bb.768:
	s_mov_b32 s31, -1
	s_mov_b32 s25, s20
	s_mov_b32 s26, s22
	;; [unrolled: 1-line block ×3, first 2 shown]
	s_mov_b32 s24, exec_lo
	v_cmpx_gt_i32_e64 s16, v10
	s_cbranch_execz .LBB38_1154
; %bb.769:
	s_wait_loadcnt 0x0
	v_mul_lo_u32 v0, v10, s9
	s_and_b32 s0, s13, 0xff
	s_delay_alu instid0(SALU_CYCLE_1) | instskip(NEXT) | instid1(VALU_DEP_1)
	s_cmp_lt_i32 s0, 11
	v_ashrrev_i32_e32 v1, 31, v0
	s_delay_alu instid0(VALU_DEP_1)
	v_add_nc_u64_e32 v[2:3], s[6:7], v[0:1]
	s_cbranch_scc1 .LBB38_776
; %bb.770:
	s_and_b32 s26, 0xffff, s0
	s_delay_alu instid0(SALU_CYCLE_1)
	s_cmp_gt_i32 s26, 25
	s_cbranch_scc0 .LBB38_777
; %bb.771:
	s_cmp_gt_i32 s26, 28
	s_cbranch_scc0 .LBB38_778
; %bb.772:
	;; [unrolled: 3-line block ×4, first 2 shown]
	s_cmp_eq_u32 s26, 46
	s_mov_b32 s28, 0
	s_cbranch_scc0 .LBB38_783
; %bb.775:
	global_load_b32 v0, v[2:3], off
	s_mov_b32 s27, -1
	s_mov_b32 s25, 0
	s_wait_loadcnt 0x0
	v_lshlrev_b32_e32 v0, 16, v0
	s_delay_alu instid0(VALU_DEP_1)
	v_cvt_i32_f32_e32 v0, v0
	s_branch .LBB38_785
.LBB38_776:
	s_mov_b32 s26, -1
	s_mov_b32 s27, 0
	s_mov_b32 s25, s20
                                        ; implicit-def: $vgpr0
	s_branch .LBB38_846
.LBB38_777:
	s_mov_b32 s28, -1
	s_mov_b32 s27, 0
	s_mov_b32 s25, s20
                                        ; implicit-def: $vgpr0
	s_branch .LBB38_812
.LBB38_778:
	s_mov_b32 s28, -1
	s_mov_b32 s27, 0
	s_mov_b32 s25, s20
                                        ; implicit-def: $vgpr0
	s_branch .LBB38_795
.LBB38_779:
	s_mov_b32 s28, -1
	s_mov_b32 s27, 0
	s_mov_b32 s25, s20
                                        ; implicit-def: $vgpr0
	s_branch .LBB38_790
.LBB38_780:
	s_mov_b32 s28, -1
	s_mov_b32 s27, 0
	s_mov_b32 s25, s20
	s_branch .LBB38_784
.LBB38_781:
	s_and_not1_saveexec_b32 s27, s27
	s_cbranch_execz .LBB38_675
.LBB38_782:
	v_add_f32_e64 v3, 0x46000000, |v2|
	s_and_not1_b32 s26, s26, exec_lo
	s_delay_alu instid0(VALU_DEP_1) | instskip(NEXT) | instid1(VALU_DEP_1)
	v_and_b32_e32 v3, 0xff, v3
	v_cmp_ne_u32_e32 vcc_lo, 0, v3
	s_and_b32 s28, vcc_lo, exec_lo
	s_delay_alu instid0(SALU_CYCLE_1)
	s_or_b32 s26, s26, s28
	s_or_b32 exec_lo, exec_lo, s27
	v_mov_b32_e32 v5, 0
	s_and_saveexec_b32 s27, s26
	s_cbranch_execnz .LBB38_676
	s_branch .LBB38_677
.LBB38_783:
	s_mov_b32 s25, -1
	s_mov_b32 s27, 0
.LBB38_784:
                                        ; implicit-def: $vgpr0
.LBB38_785:
	s_and_b32 vcc_lo, exec_lo, s28
	s_cbranch_vccz .LBB38_789
; %bb.786:
	s_cmp_eq_u32 s26, 44
	s_cbranch_scc0 .LBB38_788
; %bb.787:
	global_load_u8 v0, v[2:3], off
	s_mov_b32 s25, 0
	s_mov_b32 s27, -1
	s_wait_loadcnt 0x0
	v_lshlrev_b32_e32 v1, 23, v0
	v_cmp_ne_u32_e32 vcc_lo, 0, v0
	s_delay_alu instid0(VALU_DEP_2) | instskip(NEXT) | instid1(VALU_DEP_1)
	v_cvt_i32_f32_e32 v1, v1
	v_cndmask_b32_e32 v0, 0, v1, vcc_lo
	s_branch .LBB38_789
.LBB38_788:
	s_mov_b32 s25, -1
                                        ; implicit-def: $vgpr0
.LBB38_789:
	s_mov_b32 s28, 0
.LBB38_790:
	s_delay_alu instid0(SALU_CYCLE_1)
	s_and_b32 vcc_lo, exec_lo, s28
	s_cbranch_vccz .LBB38_794
; %bb.791:
	s_cmp_eq_u32 s26, 29
	s_cbranch_scc0 .LBB38_793
; %bb.792:
	global_load_b64 v[0:1], v[2:3], off
	s_mov_b32 s27, -1
	s_mov_b32 s25, 0
	s_branch .LBB38_794
.LBB38_793:
	s_mov_b32 s25, -1
                                        ; implicit-def: $vgpr0
.LBB38_794:
	s_mov_b32 s28, 0
.LBB38_795:
	s_delay_alu instid0(SALU_CYCLE_1)
	s_and_b32 vcc_lo, exec_lo, s28
	s_cbranch_vccz .LBB38_811
; %bb.796:
	s_cmp_lt_i32 s26, 27
	s_cbranch_scc1 .LBB38_799
; %bb.797:
	s_cmp_gt_i32 s26, 27
	s_cbranch_scc0 .LBB38_800
; %bb.798:
	s_wait_loadcnt 0x0
	global_load_b32 v0, v[2:3], off
	s_mov_b32 s27, 0
	s_branch .LBB38_801
.LBB38_799:
	s_mov_b32 s27, -1
                                        ; implicit-def: $vgpr0
	s_branch .LBB38_804
.LBB38_800:
	s_mov_b32 s27, -1
                                        ; implicit-def: $vgpr0
.LBB38_801:
	s_delay_alu instid0(SALU_CYCLE_1)
	s_and_not1_b32 vcc_lo, exec_lo, s27
	s_cbranch_vccnz .LBB38_803
; %bb.802:
	s_wait_loadcnt 0x0
	global_load_u16 v0, v[2:3], off
.LBB38_803:
	s_mov_b32 s27, 0
.LBB38_804:
	s_delay_alu instid0(SALU_CYCLE_1)
	s_and_not1_b32 vcc_lo, exec_lo, s27
	s_cbranch_vccnz .LBB38_810
; %bb.805:
	s_wait_loadcnt 0x0
	global_load_u8 v1, v[2:3], off
	s_mov_b32 s28, 0
	s_mov_b32 s27, exec_lo
	s_wait_loadcnt 0x0
	v_cmpx_lt_i16_e32 0x7f, v1
	s_xor_b32 s27, exec_lo, s27
	s_cbranch_execz .LBB38_822
; %bb.806:
	v_cmp_ne_u16_e32 vcc_lo, 0x80, v1
	s_and_b32 s28, vcc_lo, exec_lo
	s_and_not1_saveexec_b32 s27, s27
	s_cbranch_execnz .LBB38_823
.LBB38_807:
	s_or_b32 exec_lo, exec_lo, s27
	v_mov_b32_e32 v0, 0
	s_and_saveexec_b32 s27, s28
	s_cbranch_execz .LBB38_809
.LBB38_808:
	v_and_b32_e32 v0, 0xffff, v1
	s_delay_alu instid0(VALU_DEP_1) | instskip(SKIP_1) | instid1(VALU_DEP_2)
	v_and_b32_e32 v4, 7, v0
	v_bfe_u32 v7, v0, 3, 4
	v_clz_i32_u32_e32 v5, v4
	s_delay_alu instid0(VALU_DEP_2) | instskip(NEXT) | instid1(VALU_DEP_2)
	v_cmp_eq_u32_e32 vcc_lo, 0, v7
	v_min_u32_e32 v5, 32, v5
	s_delay_alu instid0(VALU_DEP_1) | instskip(NEXT) | instid1(VALU_DEP_1)
	v_subrev_nc_u32_e32 v6, 28, v5
	v_dual_lshlrev_b32 v0, v6, v0 :: v_dual_sub_nc_u32 v5, 29, v5
	s_delay_alu instid0(VALU_DEP_1) | instskip(NEXT) | instid1(VALU_DEP_1)
	v_dual_lshlrev_b32 v1, 24, v1 :: v_dual_bitop2_b32 v0, 7, v0 bitop3:0x40
	v_dual_cndmask_b32 v0, v4, v0 :: v_dual_cndmask_b32 v5, v7, v5
	s_delay_alu instid0(VALU_DEP_2) | instskip(NEXT) | instid1(VALU_DEP_2)
	v_and_b32_e32 v1, 0x80000000, v1
	v_lshlrev_b32_e32 v0, 20, v0
	s_delay_alu instid0(VALU_DEP_3) | instskip(NEXT) | instid1(VALU_DEP_1)
	v_lshl_add_u32 v4, v5, 23, 0x3b800000
	v_or3_b32 v0, v1, v4, v0
	s_delay_alu instid0(VALU_DEP_1)
	v_cvt_i32_f32_e32 v0, v0
.LBB38_809:
	s_or_b32 exec_lo, exec_lo, s27
.LBB38_810:
	s_mov_b32 s27, -1
.LBB38_811:
	s_mov_b32 s28, 0
.LBB38_812:
	s_delay_alu instid0(SALU_CYCLE_1)
	s_and_b32 vcc_lo, exec_lo, s28
	s_cbranch_vccz .LBB38_845
; %bb.813:
	s_cmp_gt_i32 s26, 22
	s_cbranch_scc0 .LBB38_821
; %bb.814:
	s_cmp_lt_i32 s26, 24
	s_cbranch_scc1 .LBB38_824
; %bb.815:
	s_cmp_gt_i32 s26, 24
	s_cbranch_scc0 .LBB38_825
; %bb.816:
	s_wait_loadcnt 0x0
	global_load_u8 v1, v[2:3], off
	s_mov_b32 s28, 0
	s_mov_b32 s27, exec_lo
	s_wait_loadcnt 0x0
	v_cmpx_lt_i16_e32 0x7f, v1
	s_xor_b32 s27, exec_lo, s27
	s_cbranch_execz .LBB38_837
; %bb.817:
	v_cmp_ne_u16_e32 vcc_lo, 0x80, v1
	s_and_b32 s28, vcc_lo, exec_lo
	s_and_not1_saveexec_b32 s27, s27
	s_cbranch_execnz .LBB38_838
.LBB38_818:
	s_or_b32 exec_lo, exec_lo, s27
	v_mov_b32_e32 v0, 0
	s_and_saveexec_b32 s27, s28
	s_cbranch_execz .LBB38_820
.LBB38_819:
	v_and_b32_e32 v0, 0xffff, v1
	s_delay_alu instid0(VALU_DEP_1) | instskip(SKIP_1) | instid1(VALU_DEP_2)
	v_and_b32_e32 v4, 3, v0
	v_bfe_u32 v7, v0, 2, 5
	v_clz_i32_u32_e32 v5, v4
	s_delay_alu instid0(VALU_DEP_2) | instskip(NEXT) | instid1(VALU_DEP_2)
	v_cmp_eq_u32_e32 vcc_lo, 0, v7
	v_min_u32_e32 v5, 32, v5
	s_delay_alu instid0(VALU_DEP_1) | instskip(NEXT) | instid1(VALU_DEP_1)
	v_subrev_nc_u32_e32 v6, 29, v5
	v_dual_lshlrev_b32 v0, v6, v0 :: v_dual_sub_nc_u32 v5, 30, v5
	s_delay_alu instid0(VALU_DEP_1) | instskip(NEXT) | instid1(VALU_DEP_1)
	v_dual_lshlrev_b32 v1, 24, v1 :: v_dual_bitop2_b32 v0, 3, v0 bitop3:0x40
	v_dual_cndmask_b32 v0, v4, v0 :: v_dual_cndmask_b32 v5, v7, v5
	s_delay_alu instid0(VALU_DEP_2) | instskip(NEXT) | instid1(VALU_DEP_2)
	v_and_b32_e32 v1, 0x80000000, v1
	v_lshlrev_b32_e32 v0, 21, v0
	s_delay_alu instid0(VALU_DEP_3) | instskip(NEXT) | instid1(VALU_DEP_1)
	v_lshl_add_u32 v4, v5, 23, 0x37800000
	v_or3_b32 v0, v1, v4, v0
	s_delay_alu instid0(VALU_DEP_1)
	v_cvt_i32_f32_e32 v0, v0
.LBB38_820:
	s_or_b32 exec_lo, exec_lo, s27
	s_mov_b32 s27, 0
	s_branch .LBB38_826
.LBB38_821:
	s_mov_b32 s28, -1
                                        ; implicit-def: $vgpr0
	s_branch .LBB38_832
.LBB38_822:
	s_and_not1_saveexec_b32 s27, s27
	s_cbranch_execz .LBB38_807
.LBB38_823:
	v_cmp_ne_u16_e32 vcc_lo, 0, v1
	s_and_not1_b32 s28, s28, exec_lo
	s_and_b32 s29, vcc_lo, exec_lo
	s_delay_alu instid0(SALU_CYCLE_1)
	s_or_b32 s28, s28, s29
	s_or_b32 exec_lo, exec_lo, s27
	v_mov_b32_e32 v0, 0
	s_and_saveexec_b32 s27, s28
	s_cbranch_execnz .LBB38_808
	s_branch .LBB38_809
.LBB38_824:
	s_mov_b32 s27, -1
                                        ; implicit-def: $vgpr0
	s_branch .LBB38_829
.LBB38_825:
	s_mov_b32 s27, -1
                                        ; implicit-def: $vgpr0
.LBB38_826:
	s_delay_alu instid0(SALU_CYCLE_1)
	s_and_b32 vcc_lo, exec_lo, s27
	s_cbranch_vccz .LBB38_828
; %bb.827:
	s_wait_loadcnt 0x0
	global_load_u8 v0, v[2:3], off
	s_wait_loadcnt 0x0
	v_lshlrev_b32_e32 v0, 24, v0
	s_delay_alu instid0(VALU_DEP_1) | instskip(NEXT) | instid1(VALU_DEP_1)
	v_and_b32_e32 v1, 0x7f000000, v0
	v_clz_i32_u32_e32 v4, v1
	v_cmp_ne_u32_e32 vcc_lo, 0, v1
	v_add_nc_u32_e32 v6, 0x1000000, v1
	s_delay_alu instid0(VALU_DEP_3) | instskip(NEXT) | instid1(VALU_DEP_1)
	v_min_u32_e32 v4, 32, v4
	v_sub_nc_u32_e64 v4, v4, 4 clamp
	s_delay_alu instid0(VALU_DEP_1) | instskip(NEXT) | instid1(VALU_DEP_1)
	v_dual_lshlrev_b32 v5, v4, v1 :: v_dual_lshlrev_b32 v4, 23, v4
	v_lshrrev_b32_e32 v5, 4, v5
	s_delay_alu instid0(VALU_DEP_1) | instskip(NEXT) | instid1(VALU_DEP_1)
	v_dual_sub_nc_u32 v4, v5, v4 :: v_dual_ashrrev_i32 v5, 8, v6
	v_add_nc_u32_e32 v4, 0x3c000000, v4
	s_delay_alu instid0(VALU_DEP_1) | instskip(NEXT) | instid1(VALU_DEP_1)
	v_and_or_b32 v4, 0x7f800000, v5, v4
	v_cndmask_b32_e32 v1, 0, v4, vcc_lo
	s_delay_alu instid0(VALU_DEP_1) | instskip(NEXT) | instid1(VALU_DEP_1)
	v_and_or_b32 v0, 0x80000000, v0, v1
	v_cvt_i32_f32_e32 v0, v0
.LBB38_828:
	s_mov_b32 s27, 0
.LBB38_829:
	s_delay_alu instid0(SALU_CYCLE_1)
	s_and_not1_b32 vcc_lo, exec_lo, s27
	s_cbranch_vccnz .LBB38_831
; %bb.830:
	s_wait_loadcnt 0x0
	global_load_u8 v0, v[2:3], off
	s_wait_loadcnt 0x0
	v_lshlrev_b32_e32 v1, 25, v0
	v_lshlrev_b16 v0, 8, v0
	s_delay_alu instid0(VALU_DEP_1) | instskip(SKIP_1) | instid1(VALU_DEP_2)
	v_and_or_b32 v5, 0x7f00, v0, 0.5
	v_bfe_i32 v0, v0, 0, 16
	v_add_f32_e32 v5, -0.5, v5
	v_lshrrev_b32_e32 v4, 4, v1
	v_cmp_gt_u32_e32 vcc_lo, 0x8000000, v1
	s_delay_alu instid0(VALU_DEP_2) | instskip(NEXT) | instid1(VALU_DEP_1)
	v_or_b32_e32 v4, 0x70000000, v4
	v_mul_f32_e32 v4, 0x7800000, v4
	s_delay_alu instid0(VALU_DEP_1) | instskip(NEXT) | instid1(VALU_DEP_1)
	v_cndmask_b32_e32 v1, v4, v5, vcc_lo
	v_and_or_b32 v0, 0x80000000, v0, v1
	s_delay_alu instid0(VALU_DEP_1)
	v_cvt_i32_f32_e32 v0, v0
.LBB38_831:
	s_mov_b32 s28, 0
	s_mov_b32 s27, -1
.LBB38_832:
	s_and_not1_b32 vcc_lo, exec_lo, s28
	s_cbranch_vccnz .LBB38_845
; %bb.833:
	s_cmp_gt_i32 s26, 14
	s_cbranch_scc0 .LBB38_836
; %bb.834:
	s_cmp_eq_u32 s26, 15
	s_cbranch_scc0 .LBB38_839
; %bb.835:
	s_wait_loadcnt 0x0
	global_load_u16 v0, v[2:3], off
	s_mov_b32 s27, -1
	s_mov_b32 s25, 0
	s_wait_loadcnt 0x0
	v_lshlrev_b32_e32 v0, 16, v0
	s_delay_alu instid0(VALU_DEP_1)
	v_cvt_i32_f32_e32 v0, v0
	s_branch .LBB38_840
.LBB38_836:
	s_mov_b32 s28, -1
                                        ; implicit-def: $vgpr0
	s_branch .LBB38_841
.LBB38_837:
	s_and_not1_saveexec_b32 s27, s27
	s_cbranch_execz .LBB38_818
.LBB38_838:
	v_cmp_ne_u16_e32 vcc_lo, 0, v1
	s_and_not1_b32 s28, s28, exec_lo
	s_and_b32 s29, vcc_lo, exec_lo
	s_delay_alu instid0(SALU_CYCLE_1)
	s_or_b32 s28, s28, s29
	s_or_b32 exec_lo, exec_lo, s27
	v_mov_b32_e32 v0, 0
	s_and_saveexec_b32 s27, s28
	s_cbranch_execnz .LBB38_819
	s_branch .LBB38_820
.LBB38_839:
	s_mov_b32 s25, -1
                                        ; implicit-def: $vgpr0
.LBB38_840:
	s_mov_b32 s28, 0
.LBB38_841:
	s_delay_alu instid0(SALU_CYCLE_1)
	s_and_b32 vcc_lo, exec_lo, s28
	s_cbranch_vccz .LBB38_845
; %bb.842:
	s_cmp_eq_u32 s26, 11
	s_cbranch_scc0 .LBB38_844
; %bb.843:
	s_wait_loadcnt 0x0
	global_load_u8 v0, v[2:3], off
	s_mov_b32 s25, 0
	s_mov_b32 s27, -1
	s_wait_loadcnt 0x0
	v_cmp_ne_u16_e32 vcc_lo, 0, v0
	v_cndmask_b32_e64 v0, 0, 1, vcc_lo
	s_branch .LBB38_845
.LBB38_844:
	s_mov_b32 s25, -1
                                        ; implicit-def: $vgpr0
.LBB38_845:
	s_mov_b32 s26, 0
.LBB38_846:
	s_delay_alu instid0(SALU_CYCLE_1)
	s_and_b32 vcc_lo, exec_lo, s26
	s_cbranch_vccz .LBB38_895
; %bb.847:
	s_and_b32 s0, 0xffff, s0
	s_delay_alu instid0(SALU_CYCLE_1)
	s_cmp_lt_i32 s0, 5
	s_cbranch_scc1 .LBB38_852
; %bb.848:
	s_cmp_lt_i32 s0, 8
	s_cbranch_scc1 .LBB38_853
; %bb.849:
	;; [unrolled: 3-line block ×3, first 2 shown]
	s_cmp_gt_i32 s0, 9
	s_cbranch_scc0 .LBB38_855
; %bb.851:
	s_wait_loadcnt 0x0
	global_load_b64 v[0:1], v[2:3], off
	s_mov_b32 s26, 0
	s_wait_loadcnt 0x0
	v_cvt_i32_f64_e32 v0, v[0:1]
	s_branch .LBB38_856
.LBB38_852:
	s_mov_b32 s26, -1
                                        ; implicit-def: $vgpr0
	s_branch .LBB38_874
.LBB38_853:
	s_mov_b32 s26, -1
                                        ; implicit-def: $vgpr0
	s_branch .LBB38_862
.LBB38_854:
	s_mov_b32 s26, -1
                                        ; implicit-def: $vgpr0
	s_branch .LBB38_859
.LBB38_855:
	s_mov_b32 s26, -1
                                        ; implicit-def: $vgpr0
.LBB38_856:
	s_delay_alu instid0(SALU_CYCLE_1)
	s_and_not1_b32 vcc_lo, exec_lo, s26
	s_cbranch_vccnz .LBB38_858
; %bb.857:
	s_wait_loadcnt 0x0
	global_load_b32 v0, v[2:3], off
	s_wait_loadcnt 0x0
	v_cvt_i32_f32_e32 v0, v0
.LBB38_858:
	s_mov_b32 s26, 0
.LBB38_859:
	s_delay_alu instid0(SALU_CYCLE_1)
	s_and_not1_b32 vcc_lo, exec_lo, s26
	s_cbranch_vccnz .LBB38_861
; %bb.860:
	s_wait_loadcnt 0x0
	global_load_b32 v0, v[2:3], off
	s_wait_loadcnt 0x0
	v_cvt_i16_f16_e32 v0, v0
.LBB38_861:
	s_mov_b32 s26, 0
.LBB38_862:
	s_delay_alu instid0(SALU_CYCLE_1)
	s_and_not1_b32 vcc_lo, exec_lo, s26
	s_cbranch_vccnz .LBB38_873
; %bb.863:
	s_cmp_lt_i32 s0, 6
	s_cbranch_scc1 .LBB38_866
; %bb.864:
	s_cmp_gt_i32 s0, 6
	s_cbranch_scc0 .LBB38_867
; %bb.865:
	s_wait_loadcnt 0x0
	global_load_b64 v[0:1], v[2:3], off
	s_mov_b32 s26, 0
	s_wait_loadcnt 0x0
	v_cvt_i32_f64_e32 v0, v[0:1]
	s_branch .LBB38_868
.LBB38_866:
	s_mov_b32 s26, -1
                                        ; implicit-def: $vgpr0
	s_branch .LBB38_871
.LBB38_867:
	s_mov_b32 s26, -1
                                        ; implicit-def: $vgpr0
.LBB38_868:
	s_delay_alu instid0(SALU_CYCLE_1)
	s_and_not1_b32 vcc_lo, exec_lo, s26
	s_cbranch_vccnz .LBB38_870
; %bb.869:
	s_wait_loadcnt 0x0
	global_load_b32 v0, v[2:3], off
	s_wait_loadcnt 0x0
	v_cvt_i32_f32_e32 v0, v0
.LBB38_870:
	s_mov_b32 s26, 0
.LBB38_871:
	s_delay_alu instid0(SALU_CYCLE_1)
	s_and_not1_b32 vcc_lo, exec_lo, s26
	s_cbranch_vccnz .LBB38_873
; %bb.872:
	s_wait_loadcnt 0x0
	global_load_u16 v0, v[2:3], off
	s_wait_loadcnt 0x0
	v_cvt_i16_f16_e32 v0, v0
.LBB38_873:
	s_mov_b32 s26, 0
.LBB38_874:
	s_delay_alu instid0(SALU_CYCLE_1)
	s_and_not1_b32 vcc_lo, exec_lo, s26
	s_cbranch_vccnz .LBB38_894
; %bb.875:
	s_cmp_lt_i32 s0, 2
	s_cbranch_scc1 .LBB38_879
; %bb.876:
	s_cmp_lt_i32 s0, 3
	s_cbranch_scc1 .LBB38_880
; %bb.877:
	s_cmp_gt_i32 s0, 3
	s_cbranch_scc0 .LBB38_881
; %bb.878:
	s_wait_loadcnt 0x0
	global_load_b64 v[0:1], v[2:3], off
	s_mov_b32 s26, 0
	s_branch .LBB38_882
.LBB38_879:
	s_mov_b32 s26, -1
                                        ; implicit-def: $vgpr0
	s_branch .LBB38_888
.LBB38_880:
	s_mov_b32 s26, -1
                                        ; implicit-def: $vgpr0
	s_branch .LBB38_885
.LBB38_881:
	s_mov_b32 s26, -1
                                        ; implicit-def: $vgpr0
.LBB38_882:
	s_delay_alu instid0(SALU_CYCLE_1)
	s_and_not1_b32 vcc_lo, exec_lo, s26
	s_cbranch_vccnz .LBB38_884
; %bb.883:
	s_wait_loadcnt 0x0
	global_load_b32 v0, v[2:3], off
.LBB38_884:
	s_mov_b32 s26, 0
.LBB38_885:
	s_delay_alu instid0(SALU_CYCLE_1)
	s_and_not1_b32 vcc_lo, exec_lo, s26
	s_cbranch_vccnz .LBB38_887
; %bb.886:
	s_wait_loadcnt 0x0
	global_load_u16 v0, v[2:3], off
.LBB38_887:
	s_mov_b32 s26, 0
.LBB38_888:
	s_delay_alu instid0(SALU_CYCLE_1)
	s_and_not1_b32 vcc_lo, exec_lo, s26
	s_cbranch_vccnz .LBB38_894
; %bb.889:
	s_cmp_gt_i32 s0, 0
	s_mov_b32 s0, 0
	s_cbranch_scc0 .LBB38_891
; %bb.890:
	s_wait_loadcnt 0x0
	global_load_i8 v0, v[2:3], off
	s_branch .LBB38_892
.LBB38_891:
	s_mov_b32 s0, -1
                                        ; implicit-def: $vgpr0
.LBB38_892:
	s_delay_alu instid0(SALU_CYCLE_1)
	s_and_not1_b32 vcc_lo, exec_lo, s0
	s_cbranch_vccnz .LBB38_894
; %bb.893:
	s_wait_loadcnt 0x0
	global_load_u8 v0, v[2:3], off
.LBB38_894:
	s_mov_b32 s27, -1
.LBB38_895:
	s_delay_alu instid0(SALU_CYCLE_1)
	s_and_not1_b32 vcc_lo, exec_lo, s27
	s_cbranch_vccnz .LBB38_903
; %bb.896:
	s_wait_xcnt 0x0
	v_mul_lo_u32 v2, v10, s10
	s_and_b32 s0, s1, 0xff
	s_delay_alu instid0(SALU_CYCLE_1) | instskip(NEXT) | instid1(VALU_DEP_1)
	s_cmp_lt_i32 s0, 11
	v_ashrrev_i32_e32 v3, 31, v2
	s_delay_alu instid0(VALU_DEP_1)
	v_add_nc_u64_e32 v[2:3], s[2:3], v[2:3]
	s_cbranch_scc1 .LBB38_904
; %bb.897:
	s_and_b32 s27, 0xffff, s0
	s_delay_alu instid0(SALU_CYCLE_1)
	s_cmp_gt_i32 s27, 25
	s_cbranch_scc0 .LBB38_905
; %bb.898:
	s_cmp_gt_i32 s27, 28
	s_cbranch_scc0 .LBB38_906
; %bb.899:
	;; [unrolled: 3-line block ×4, first 2 shown]
	s_cmp_eq_u32 s27, 46
	s_mov_b32 s29, 0
	s_cbranch_scc0 .LBB38_911
; %bb.902:
	s_wait_loadcnt 0x0
	global_load_b32 v1, v[2:3], off
	s_mov_b32 s28, -1
	s_mov_b32 s26, 0
	s_wait_loadcnt 0x0
	v_lshlrev_b32_e32 v1, 16, v1
	s_delay_alu instid0(VALU_DEP_1)
	v_cvt_i32_f32_e32 v4, v1
	s_branch .LBB38_913
.LBB38_903:
	s_mov_b32 s28, 0
	s_mov_b32 s0, s21
	;; [unrolled: 1-line block ×3, first 2 shown]
	s_branch .LBB38_1152
.LBB38_904:
	s_mov_b32 s27, -1
	s_mov_b32 s28, 0
	s_mov_b32 s26, s22
                                        ; implicit-def: $vgpr4
	s_branch .LBB38_974
.LBB38_905:
	s_mov_b32 s29, -1
	s_mov_b32 s28, 0
	s_mov_b32 s26, s22
                                        ; implicit-def: $vgpr4
	s_branch .LBB38_940
.LBB38_906:
	s_mov_b32 s29, -1
	s_mov_b32 s28, 0
	s_mov_b32 s26, s22
                                        ; implicit-def: $vgpr4
	s_branch .LBB38_923
.LBB38_907:
	s_mov_b32 s29, -1
	s_mov_b32 s28, 0
	s_mov_b32 s26, s22
                                        ; implicit-def: $vgpr4
	s_branch .LBB38_918
.LBB38_908:
	s_mov_b32 s29, -1
	s_mov_b32 s28, 0
	s_mov_b32 s26, s22
	s_branch .LBB38_912
.LBB38_909:
	s_and_not1_saveexec_b32 s27, s27
	s_cbranch_execz .LBB38_688
.LBB38_910:
	v_add_f32_e64 v3, 0x42800000, |v2|
	s_and_not1_b32 s26, s26, exec_lo
	s_delay_alu instid0(VALU_DEP_1) | instskip(NEXT) | instid1(VALU_DEP_1)
	v_and_b32_e32 v3, 0xff, v3
	v_cmp_ne_u32_e32 vcc_lo, 0, v3
	s_and_b32 s28, vcc_lo, exec_lo
	s_delay_alu instid0(SALU_CYCLE_1)
	s_or_b32 s26, s26, s28
	s_or_b32 exec_lo, exec_lo, s27
	v_mov_b32_e32 v5, 0
	s_and_saveexec_b32 s27, s26
	s_cbranch_execnz .LBB38_689
	s_branch .LBB38_690
.LBB38_911:
	s_mov_b32 s26, -1
	s_mov_b32 s28, 0
.LBB38_912:
                                        ; implicit-def: $vgpr4
.LBB38_913:
	s_and_b32 vcc_lo, exec_lo, s29
	s_cbranch_vccz .LBB38_917
; %bb.914:
	s_cmp_eq_u32 s27, 44
	s_cbranch_scc0 .LBB38_916
; %bb.915:
	s_wait_loadcnt 0x0
	global_load_u8 v1, v[2:3], off
	s_mov_b32 s26, 0
	s_mov_b32 s28, -1
	s_wait_loadcnt 0x0
	v_lshlrev_b32_e32 v4, 23, v1
	v_cmp_ne_u32_e32 vcc_lo, 0, v1
	s_delay_alu instid0(VALU_DEP_2) | instskip(NEXT) | instid1(VALU_DEP_1)
	v_cvt_i32_f32_e32 v4, v4
	v_cndmask_b32_e32 v4, 0, v4, vcc_lo
	s_branch .LBB38_917
.LBB38_916:
	s_mov_b32 s26, -1
                                        ; implicit-def: $vgpr4
.LBB38_917:
	s_mov_b32 s29, 0
.LBB38_918:
	s_delay_alu instid0(SALU_CYCLE_1)
	s_and_b32 vcc_lo, exec_lo, s29
	s_cbranch_vccz .LBB38_922
; %bb.919:
	s_cmp_eq_u32 s27, 29
	s_cbranch_scc0 .LBB38_921
; %bb.920:
	global_load_b64 v[4:5], v[2:3], off
	s_mov_b32 s28, -1
	s_mov_b32 s26, 0
	s_branch .LBB38_922
.LBB38_921:
	s_mov_b32 s26, -1
                                        ; implicit-def: $vgpr4
.LBB38_922:
	s_mov_b32 s29, 0
.LBB38_923:
	s_delay_alu instid0(SALU_CYCLE_1)
	s_and_b32 vcc_lo, exec_lo, s29
	s_cbranch_vccz .LBB38_939
; %bb.924:
	s_cmp_lt_i32 s27, 27
	s_cbranch_scc1 .LBB38_927
; %bb.925:
	s_cmp_gt_i32 s27, 27
	s_cbranch_scc0 .LBB38_928
; %bb.926:
	s_wait_loadcnt 0x0
	global_load_b32 v4, v[2:3], off
	s_mov_b32 s28, 0
	s_branch .LBB38_929
.LBB38_927:
	s_mov_b32 s28, -1
                                        ; implicit-def: $vgpr4
	s_branch .LBB38_932
.LBB38_928:
	s_mov_b32 s28, -1
                                        ; implicit-def: $vgpr4
.LBB38_929:
	s_delay_alu instid0(SALU_CYCLE_1)
	s_and_not1_b32 vcc_lo, exec_lo, s28
	s_cbranch_vccnz .LBB38_931
; %bb.930:
	s_wait_loadcnt 0x0
	global_load_u16 v4, v[2:3], off
.LBB38_931:
	s_mov_b32 s28, 0
.LBB38_932:
	s_delay_alu instid0(SALU_CYCLE_1)
	s_and_not1_b32 vcc_lo, exec_lo, s28
	s_cbranch_vccnz .LBB38_938
; %bb.933:
	s_wait_loadcnt 0x0
	global_load_u8 v1, v[2:3], off
	s_mov_b32 s29, 0
	s_mov_b32 s28, exec_lo
	s_wait_loadcnt 0x0
	v_cmpx_lt_i16_e32 0x7f, v1
	s_xor_b32 s28, exec_lo, s28
	s_cbranch_execz .LBB38_950
; %bb.934:
	v_cmp_ne_u16_e32 vcc_lo, 0x80, v1
	s_and_b32 s29, vcc_lo, exec_lo
	s_and_not1_saveexec_b32 s28, s28
	s_cbranch_execnz .LBB38_951
.LBB38_935:
	s_or_b32 exec_lo, exec_lo, s28
	v_mov_b32_e32 v4, 0
	s_and_saveexec_b32 s28, s29
	s_cbranch_execz .LBB38_937
.LBB38_936:
	v_and_b32_e32 v4, 0xffff, v1
	s_delay_alu instid0(VALU_DEP_1) | instskip(SKIP_1) | instid1(VALU_DEP_2)
	v_and_b32_e32 v5, 7, v4
	v_bfe_u32 v8, v4, 3, 4
	v_clz_i32_u32_e32 v6, v5
	s_delay_alu instid0(VALU_DEP_2) | instskip(NEXT) | instid1(VALU_DEP_2)
	v_cmp_eq_u32_e32 vcc_lo, 0, v8
	v_min_u32_e32 v6, 32, v6
	s_delay_alu instid0(VALU_DEP_1) | instskip(NEXT) | instid1(VALU_DEP_1)
	v_subrev_nc_u32_e32 v7, 28, v6
	v_dual_lshlrev_b32 v4, v7, v4 :: v_dual_sub_nc_u32 v6, 29, v6
	s_delay_alu instid0(VALU_DEP_1) | instskip(NEXT) | instid1(VALU_DEP_1)
	v_dual_lshlrev_b32 v1, 24, v1 :: v_dual_bitop2_b32 v4, 7, v4 bitop3:0x40
	v_dual_cndmask_b32 v6, v8, v6, vcc_lo :: v_dual_cndmask_b32 v4, v5, v4, vcc_lo
	s_delay_alu instid0(VALU_DEP_2) | instskip(NEXT) | instid1(VALU_DEP_2)
	v_and_b32_e32 v1, 0x80000000, v1
	v_lshl_add_u32 v5, v6, 23, 0x3b800000
	s_delay_alu instid0(VALU_DEP_3) | instskip(NEXT) | instid1(VALU_DEP_1)
	v_lshlrev_b32_e32 v4, 20, v4
	v_or3_b32 v1, v1, v5, v4
	s_delay_alu instid0(VALU_DEP_1)
	v_cvt_i32_f32_e32 v4, v1
.LBB38_937:
	s_or_b32 exec_lo, exec_lo, s28
.LBB38_938:
	s_mov_b32 s28, -1
.LBB38_939:
	s_mov_b32 s29, 0
.LBB38_940:
	s_delay_alu instid0(SALU_CYCLE_1)
	s_and_b32 vcc_lo, exec_lo, s29
	s_cbranch_vccz .LBB38_973
; %bb.941:
	s_cmp_gt_i32 s27, 22
	s_cbranch_scc0 .LBB38_949
; %bb.942:
	s_cmp_lt_i32 s27, 24
	s_cbranch_scc1 .LBB38_952
; %bb.943:
	s_cmp_gt_i32 s27, 24
	s_cbranch_scc0 .LBB38_953
; %bb.944:
	s_wait_loadcnt 0x0
	global_load_u8 v1, v[2:3], off
	s_mov_b32 s29, 0
	s_mov_b32 s28, exec_lo
	s_wait_loadcnt 0x0
	v_cmpx_lt_i16_e32 0x7f, v1
	s_xor_b32 s28, exec_lo, s28
	s_cbranch_execz .LBB38_965
; %bb.945:
	v_cmp_ne_u16_e32 vcc_lo, 0x80, v1
	s_and_b32 s29, vcc_lo, exec_lo
	s_and_not1_saveexec_b32 s28, s28
	s_cbranch_execnz .LBB38_966
.LBB38_946:
	s_or_b32 exec_lo, exec_lo, s28
	v_mov_b32_e32 v4, 0
	s_and_saveexec_b32 s28, s29
	s_cbranch_execz .LBB38_948
.LBB38_947:
	v_and_b32_e32 v4, 0xffff, v1
	s_delay_alu instid0(VALU_DEP_1) | instskip(SKIP_1) | instid1(VALU_DEP_2)
	v_and_b32_e32 v5, 3, v4
	v_bfe_u32 v8, v4, 2, 5
	v_clz_i32_u32_e32 v6, v5
	s_delay_alu instid0(VALU_DEP_2) | instskip(NEXT) | instid1(VALU_DEP_2)
	v_cmp_eq_u32_e32 vcc_lo, 0, v8
	v_min_u32_e32 v6, 32, v6
	s_delay_alu instid0(VALU_DEP_1) | instskip(NEXT) | instid1(VALU_DEP_1)
	v_subrev_nc_u32_e32 v7, 29, v6
	v_dual_lshlrev_b32 v4, v7, v4 :: v_dual_sub_nc_u32 v6, 30, v6
	s_delay_alu instid0(VALU_DEP_1) | instskip(NEXT) | instid1(VALU_DEP_1)
	v_dual_lshlrev_b32 v1, 24, v1 :: v_dual_bitop2_b32 v4, 3, v4 bitop3:0x40
	v_dual_cndmask_b32 v6, v8, v6, vcc_lo :: v_dual_cndmask_b32 v4, v5, v4, vcc_lo
	s_delay_alu instid0(VALU_DEP_2) | instskip(NEXT) | instid1(VALU_DEP_2)
	v_and_b32_e32 v1, 0x80000000, v1
	v_lshl_add_u32 v5, v6, 23, 0x37800000
	s_delay_alu instid0(VALU_DEP_3) | instskip(NEXT) | instid1(VALU_DEP_1)
	v_lshlrev_b32_e32 v4, 21, v4
	v_or3_b32 v1, v1, v5, v4
	s_delay_alu instid0(VALU_DEP_1)
	v_cvt_i32_f32_e32 v4, v1
.LBB38_948:
	s_or_b32 exec_lo, exec_lo, s28
	s_mov_b32 s28, 0
	s_branch .LBB38_954
.LBB38_949:
	s_mov_b32 s29, -1
                                        ; implicit-def: $vgpr4
	s_branch .LBB38_960
.LBB38_950:
	s_and_not1_saveexec_b32 s28, s28
	s_cbranch_execz .LBB38_935
.LBB38_951:
	v_cmp_ne_u16_e32 vcc_lo, 0, v1
	s_and_not1_b32 s29, s29, exec_lo
	s_and_b32 s30, vcc_lo, exec_lo
	s_delay_alu instid0(SALU_CYCLE_1)
	s_or_b32 s29, s29, s30
	s_or_b32 exec_lo, exec_lo, s28
	v_mov_b32_e32 v4, 0
	s_and_saveexec_b32 s28, s29
	s_cbranch_execnz .LBB38_936
	s_branch .LBB38_937
.LBB38_952:
	s_mov_b32 s28, -1
                                        ; implicit-def: $vgpr4
	s_branch .LBB38_957
.LBB38_953:
	s_mov_b32 s28, -1
                                        ; implicit-def: $vgpr4
.LBB38_954:
	s_delay_alu instid0(SALU_CYCLE_1)
	s_and_b32 vcc_lo, exec_lo, s28
	s_cbranch_vccz .LBB38_956
; %bb.955:
	s_wait_loadcnt 0x0
	global_load_u8 v1, v[2:3], off
	s_wait_loadcnt 0x0
	v_lshlrev_b32_e32 v1, 24, v1
	s_delay_alu instid0(VALU_DEP_1) | instskip(NEXT) | instid1(VALU_DEP_1)
	v_and_b32_e32 v4, 0x7f000000, v1
	v_clz_i32_u32_e32 v5, v4
	v_cmp_ne_u32_e32 vcc_lo, 0, v4
	v_add_nc_u32_e32 v7, 0x1000000, v4
	s_delay_alu instid0(VALU_DEP_3) | instskip(NEXT) | instid1(VALU_DEP_1)
	v_min_u32_e32 v5, 32, v5
	v_sub_nc_u32_e64 v5, v5, 4 clamp
	s_delay_alu instid0(VALU_DEP_1) | instskip(NEXT) | instid1(VALU_DEP_1)
	v_dual_lshlrev_b32 v6, v5, v4 :: v_dual_lshlrev_b32 v5, 23, v5
	v_lshrrev_b32_e32 v6, 4, v6
	s_delay_alu instid0(VALU_DEP_1) | instskip(NEXT) | instid1(VALU_DEP_1)
	v_dual_sub_nc_u32 v5, v6, v5 :: v_dual_ashrrev_i32 v6, 8, v7
	v_add_nc_u32_e32 v5, 0x3c000000, v5
	s_delay_alu instid0(VALU_DEP_1) | instskip(NEXT) | instid1(VALU_DEP_1)
	v_and_or_b32 v5, 0x7f800000, v6, v5
	v_cndmask_b32_e32 v4, 0, v5, vcc_lo
	s_delay_alu instid0(VALU_DEP_1) | instskip(NEXT) | instid1(VALU_DEP_1)
	v_and_or_b32 v1, 0x80000000, v1, v4
	v_cvt_i32_f32_e32 v4, v1
.LBB38_956:
	s_mov_b32 s28, 0
.LBB38_957:
	s_delay_alu instid0(SALU_CYCLE_1)
	s_and_not1_b32 vcc_lo, exec_lo, s28
	s_cbranch_vccnz .LBB38_959
; %bb.958:
	s_wait_loadcnt 0x0
	global_load_u8 v1, v[2:3], off
	s_wait_loadcnt 0x0
	v_lshlrev_b32_e32 v4, 25, v1
	v_lshlrev_b16 v1, 8, v1
	s_delay_alu instid0(VALU_DEP_1) | instskip(SKIP_1) | instid1(VALU_DEP_2)
	v_and_or_b32 v6, 0x7f00, v1, 0.5
	v_bfe_i32 v1, v1, 0, 16
	v_dual_add_f32 v6, -0.5, v6 :: v_dual_lshrrev_b32 v5, 4, v4
	v_cmp_gt_u32_e32 vcc_lo, 0x8000000, v4
	s_delay_alu instid0(VALU_DEP_2) | instskip(NEXT) | instid1(VALU_DEP_1)
	v_or_b32_e32 v5, 0x70000000, v5
	v_mul_f32_e32 v5, 0x7800000, v5
	s_delay_alu instid0(VALU_DEP_1) | instskip(NEXT) | instid1(VALU_DEP_1)
	v_cndmask_b32_e32 v4, v5, v6, vcc_lo
	v_and_or_b32 v1, 0x80000000, v1, v4
	s_delay_alu instid0(VALU_DEP_1)
	v_cvt_i32_f32_e32 v4, v1
.LBB38_959:
	s_mov_b32 s29, 0
	s_mov_b32 s28, -1
.LBB38_960:
	s_and_not1_b32 vcc_lo, exec_lo, s29
	s_cbranch_vccnz .LBB38_973
; %bb.961:
	s_cmp_gt_i32 s27, 14
	s_cbranch_scc0 .LBB38_964
; %bb.962:
	s_cmp_eq_u32 s27, 15
	s_cbranch_scc0 .LBB38_967
; %bb.963:
	s_wait_loadcnt 0x0
	global_load_u16 v1, v[2:3], off
	s_mov_b32 s28, -1
	s_mov_b32 s26, 0
	s_wait_loadcnt 0x0
	v_lshlrev_b32_e32 v1, 16, v1
	s_delay_alu instid0(VALU_DEP_1)
	v_cvt_i32_f32_e32 v4, v1
	s_branch .LBB38_968
.LBB38_964:
	s_mov_b32 s29, -1
                                        ; implicit-def: $vgpr4
	s_branch .LBB38_969
.LBB38_965:
	s_and_not1_saveexec_b32 s28, s28
	s_cbranch_execz .LBB38_946
.LBB38_966:
	v_cmp_ne_u16_e32 vcc_lo, 0, v1
	s_and_not1_b32 s29, s29, exec_lo
	s_and_b32 s30, vcc_lo, exec_lo
	s_delay_alu instid0(SALU_CYCLE_1)
	s_or_b32 s29, s29, s30
	s_or_b32 exec_lo, exec_lo, s28
	v_mov_b32_e32 v4, 0
	s_and_saveexec_b32 s28, s29
	s_cbranch_execnz .LBB38_947
	s_branch .LBB38_948
.LBB38_967:
	s_mov_b32 s26, -1
                                        ; implicit-def: $vgpr4
.LBB38_968:
	s_mov_b32 s29, 0
.LBB38_969:
	s_delay_alu instid0(SALU_CYCLE_1)
	s_and_b32 vcc_lo, exec_lo, s29
	s_cbranch_vccz .LBB38_973
; %bb.970:
	s_cmp_eq_u32 s27, 11
	s_cbranch_scc0 .LBB38_972
; %bb.971:
	s_wait_loadcnt 0x0
	global_load_u8 v1, v[2:3], off
	s_mov_b32 s26, 0
	s_mov_b32 s28, -1
	s_wait_loadcnt 0x0
	v_cmp_ne_u16_e32 vcc_lo, 0, v1
	v_cndmask_b32_e64 v4, 0, 1, vcc_lo
	s_branch .LBB38_973
.LBB38_972:
	s_mov_b32 s26, -1
                                        ; implicit-def: $vgpr4
.LBB38_973:
	s_mov_b32 s27, 0
.LBB38_974:
	s_delay_alu instid0(SALU_CYCLE_1)
	s_and_b32 vcc_lo, exec_lo, s27
	s_cbranch_vccz .LBB38_1023
; %bb.975:
	s_and_b32 s0, 0xffff, s0
	s_delay_alu instid0(SALU_CYCLE_1)
	s_cmp_lt_i32 s0, 5
	s_cbranch_scc1 .LBB38_980
; %bb.976:
	s_cmp_lt_i32 s0, 8
	s_cbranch_scc1 .LBB38_981
; %bb.977:
	;; [unrolled: 3-line block ×3, first 2 shown]
	s_cmp_gt_i32 s0, 9
	s_cbranch_scc0 .LBB38_983
; %bb.979:
	s_wait_loadcnt 0x0
	global_load_b64 v[4:5], v[2:3], off
	s_mov_b32 s27, 0
	s_wait_loadcnt 0x0
	v_cvt_i32_f64_e32 v4, v[4:5]
	s_branch .LBB38_984
.LBB38_980:
	s_mov_b32 s27, -1
                                        ; implicit-def: $vgpr4
	s_branch .LBB38_1002
.LBB38_981:
	s_mov_b32 s27, -1
                                        ; implicit-def: $vgpr4
	s_branch .LBB38_990
.LBB38_982:
	s_mov_b32 s27, -1
                                        ; implicit-def: $vgpr4
	s_branch .LBB38_987
.LBB38_983:
	s_mov_b32 s27, -1
                                        ; implicit-def: $vgpr4
.LBB38_984:
	s_delay_alu instid0(SALU_CYCLE_1)
	s_and_not1_b32 vcc_lo, exec_lo, s27
	s_cbranch_vccnz .LBB38_986
; %bb.985:
	s_wait_loadcnt 0x0
	global_load_b32 v1, v[2:3], off
	s_wait_loadcnt 0x0
	v_cvt_i32_f32_e32 v4, v1
.LBB38_986:
	s_mov_b32 s27, 0
.LBB38_987:
	s_delay_alu instid0(SALU_CYCLE_1)
	s_and_not1_b32 vcc_lo, exec_lo, s27
	s_cbranch_vccnz .LBB38_989
; %bb.988:
	s_wait_loadcnt 0x0
	global_load_b32 v1, v[2:3], off
	s_wait_loadcnt 0x0
	v_cvt_i16_f16_e32 v4, v1
.LBB38_989:
	s_mov_b32 s27, 0
.LBB38_990:
	s_delay_alu instid0(SALU_CYCLE_1)
	s_and_not1_b32 vcc_lo, exec_lo, s27
	s_cbranch_vccnz .LBB38_1001
; %bb.991:
	s_cmp_lt_i32 s0, 6
	s_cbranch_scc1 .LBB38_994
; %bb.992:
	s_cmp_gt_i32 s0, 6
	s_cbranch_scc0 .LBB38_995
; %bb.993:
	s_wait_loadcnt 0x0
	global_load_b64 v[4:5], v[2:3], off
	s_mov_b32 s27, 0
	s_wait_loadcnt 0x0
	v_cvt_i32_f64_e32 v4, v[4:5]
	s_branch .LBB38_996
.LBB38_994:
	s_mov_b32 s27, -1
                                        ; implicit-def: $vgpr4
	s_branch .LBB38_999
.LBB38_995:
	s_mov_b32 s27, -1
                                        ; implicit-def: $vgpr4
.LBB38_996:
	s_delay_alu instid0(SALU_CYCLE_1)
	s_and_not1_b32 vcc_lo, exec_lo, s27
	s_cbranch_vccnz .LBB38_998
; %bb.997:
	s_wait_loadcnt 0x0
	global_load_b32 v1, v[2:3], off
	s_wait_loadcnt 0x0
	v_cvt_i32_f32_e32 v4, v1
.LBB38_998:
	s_mov_b32 s27, 0
.LBB38_999:
	s_delay_alu instid0(SALU_CYCLE_1)
	s_and_not1_b32 vcc_lo, exec_lo, s27
	s_cbranch_vccnz .LBB38_1001
; %bb.1000:
	s_wait_loadcnt 0x0
	global_load_u16 v1, v[2:3], off
	s_wait_loadcnt 0x0
	v_cvt_i16_f16_e32 v4, v1
.LBB38_1001:
	s_mov_b32 s27, 0
.LBB38_1002:
	s_delay_alu instid0(SALU_CYCLE_1)
	s_and_not1_b32 vcc_lo, exec_lo, s27
	s_cbranch_vccnz .LBB38_1022
; %bb.1003:
	s_cmp_lt_i32 s0, 2
	s_cbranch_scc1 .LBB38_1007
; %bb.1004:
	s_cmp_lt_i32 s0, 3
	s_cbranch_scc1 .LBB38_1008
; %bb.1005:
	s_cmp_gt_i32 s0, 3
	s_cbranch_scc0 .LBB38_1009
; %bb.1006:
	s_wait_loadcnt 0x0
	global_load_b64 v[4:5], v[2:3], off
	s_mov_b32 s27, 0
	s_branch .LBB38_1010
.LBB38_1007:
	s_mov_b32 s27, -1
                                        ; implicit-def: $vgpr4
	s_branch .LBB38_1016
.LBB38_1008:
	s_mov_b32 s27, -1
                                        ; implicit-def: $vgpr4
	s_branch .LBB38_1013
.LBB38_1009:
	s_mov_b32 s27, -1
                                        ; implicit-def: $vgpr4
.LBB38_1010:
	s_delay_alu instid0(SALU_CYCLE_1)
	s_and_not1_b32 vcc_lo, exec_lo, s27
	s_cbranch_vccnz .LBB38_1012
; %bb.1011:
	s_wait_loadcnt 0x0
	global_load_b32 v4, v[2:3], off
.LBB38_1012:
	s_mov_b32 s27, 0
.LBB38_1013:
	s_delay_alu instid0(SALU_CYCLE_1)
	s_and_not1_b32 vcc_lo, exec_lo, s27
	s_cbranch_vccnz .LBB38_1015
; %bb.1014:
	s_wait_loadcnt 0x0
	global_load_u16 v4, v[2:3], off
.LBB38_1015:
	s_mov_b32 s27, 0
.LBB38_1016:
	s_delay_alu instid0(SALU_CYCLE_1)
	s_and_not1_b32 vcc_lo, exec_lo, s27
	s_cbranch_vccnz .LBB38_1022
; %bb.1017:
	s_cmp_gt_i32 s0, 0
	s_mov_b32 s0, 0
	s_cbranch_scc0 .LBB38_1019
; %bb.1018:
	s_wait_loadcnt 0x0
	global_load_i8 v4, v[2:3], off
	s_branch .LBB38_1020
.LBB38_1019:
	s_mov_b32 s0, -1
                                        ; implicit-def: $vgpr4
.LBB38_1020:
	s_delay_alu instid0(SALU_CYCLE_1)
	s_and_not1_b32 vcc_lo, exec_lo, s0
	s_cbranch_vccnz .LBB38_1022
; %bb.1021:
	s_wait_loadcnt 0x0
	global_load_u8 v4, v[2:3], off
.LBB38_1022:
	s_mov_b32 s28, -1
.LBB38_1023:
	s_delay_alu instid0(SALU_CYCLE_1)
	s_and_not1_b32 vcc_lo, exec_lo, s28
	s_cbranch_vccnz .LBB38_1035
; %bb.1024:
	s_wait_loadcnt 0x0
	s_delay_alu instid0(VALU_DEP_1) | instskip(SKIP_2) | instid1(VALU_DEP_1)
	v_sub_nc_u16 v1, 0, v4
	s_mov_b32 s27, 0
	s_mov_b32 s0, exec_lo
	v_max_i16 v4, v4, v1
	s_wait_xcnt 0x0
	v_cmpx_ne_u16_e32 0, v0
	s_cbranch_execz .LBB38_1028
; %bb.1025:
	v_sub_nc_u16 v1, 0, v0
	s_delay_alu instid0(VALU_DEP_1) | instskip(SKIP_1) | instid1(VALU_DEP_2)
	v_max_i16 v1, v0, v1
	v_and_b32_e32 v0, 0xffff, v4
	v_and_b32_e32 v1, 0xffff, v1
.LBB38_1026:                            ; =>This Inner Loop Header: Depth=1
	s_delay_alu instid0(VALU_DEP_1) | instskip(NEXT) | instid1(VALU_DEP_2)
	v_bfe_i32 v3, v0, 0, 16
	v_mov_b32_e32 v4, v1
	s_delay_alu instid0(VALU_DEP_2) | instskip(NEXT) | instid1(VALU_DEP_2)
	v_cvt_f32_i32_e32 v6, v3
	v_bfe_i32 v1, v4, 0, 16
	s_delay_alu instid0(VALU_DEP_1) | instskip(SKIP_1) | instid1(VALU_DEP_2)
	v_cvt_f32_i32_e32 v2, v1
	v_xor_b32_e32 v1, v3, v1
	v_rcp_iflag_f32_e32 v5, v2
	v_nop
	s_delay_alu instid0(TRANS32_DEP_1) | instskip(NEXT) | instid1(VALU_DEP_1)
	v_mul_f32_e32 v3, v6, v5
	v_trunc_f32_e32 v3, v3
	s_delay_alu instid0(VALU_DEP_1) | instskip(NEXT) | instid1(VALU_DEP_1)
	v_dual_ashrrev_i32 v1, 30, v1 :: v_dual_fma_f32 v5, -v3, v2, v6
	v_or_b32_e32 v1, 1, v1
	v_cvt_i32_f32_e32 v3, v3
	s_delay_alu instid0(VALU_DEP_3) | instskip(NEXT) | instid1(VALU_DEP_3)
	v_cmp_ge_f32_e64 vcc_lo, |v5|, |v2|
	v_cndmask_b32_e32 v1, 0, v1, vcc_lo
	s_delay_alu instid0(VALU_DEP_1) | instskip(NEXT) | instid1(VALU_DEP_1)
	v_add_nc_u32_e32 v1, v3, v1
	v_mul_lo_u32 v1, v1, v4
	s_delay_alu instid0(VALU_DEP_1) | instskip(NEXT) | instid1(VALU_DEP_1)
	v_sub_nc_u32_e32 v1, v0, v1
	v_and_b32_e32 v0, 0xffff, v1
	v_bfe_i32 v1, v1, 0, 16
	s_delay_alu instid0(VALU_DEP_2) | instskip(SKIP_2) | instid1(SALU_CYCLE_1)
	v_cmp_eq_u32_e32 vcc_lo, 0, v0
	v_mov_b32_e32 v0, v4
	s_or_b32 s27, vcc_lo, s27
	s_and_not1_b32 exec_lo, exec_lo, s27
	s_cbranch_execnz .LBB38_1026
; %bb.1027:
	s_or_b32 exec_lo, exec_lo, s27
.LBB38_1028:
	s_delay_alu instid0(SALU_CYCLE_1) | instskip(SKIP_2) | instid1(SALU_CYCLE_1)
	s_or_b32 exec_lo, exec_lo, s0
	v_mul_lo_u32 v0, v10, s8
	s_and_b32 s27, s11, 0xff
	s_cmp_lt_i32 s27, 11
	s_delay_alu instid0(VALU_DEP_1) | instskip(NEXT) | instid1(VALU_DEP_1)
	v_ashrrev_i32_e32 v1, 31, v0
	v_add_nc_u64_e32 v[0:1], s[4:5], v[0:1]
	s_cbranch_scc1 .LBB38_1036
; %bb.1029:
	s_and_b32 s28, 0xffff, s27
	s_delay_alu instid0(SALU_CYCLE_1)
	s_cmp_gt_i32 s28, 25
	s_cbranch_scc0 .LBB38_1037
; %bb.1030:
	s_cmp_gt_i32 s28, 28
	s_cbranch_scc0 .LBB38_1038
; %bb.1031:
	;; [unrolled: 3-line block ×4, first 2 shown]
	s_mov_b32 s30, 0
	s_mov_b32 s0, -1
	s_cmp_eq_u32 s28, 46
	s_mov_b32 s29, 0
	s_cbranch_scc0 .LBB38_1041
; %bb.1034:
	v_bfe_i32 v2, v4, 0, 16
	s_mov_b32 s29, -1
	s_mov_b32 s0, 0
	s_delay_alu instid0(VALU_DEP_1) | instskip(NEXT) | instid1(VALU_DEP_1)
	v_cvt_f32_i32_e32 v2, v2
	v_bfe_u32 v3, v2, 16, 1
	s_delay_alu instid0(VALU_DEP_1) | instskip(NEXT) | instid1(VALU_DEP_1)
	v_add3_u32 v2, v2, v3, 0x7fff
	v_lshrrev_b32_e32 v2, 16, v2
	global_store_b32 v[0:1], v2, off
	s_branch .LBB38_1041
.LBB38_1035:
	s_mov_b32 s28, 0
	s_mov_b32 s0, s21
	s_branch .LBB38_1152
.LBB38_1036:
	s_mov_b32 s28, -1
	s_mov_b32 s29, 0
	s_mov_b32 s0, s21
	s_branch .LBB38_1110
.LBB38_1037:
	s_mov_b32 s30, -1
	s_mov_b32 s29, 0
	s_mov_b32 s0, s21
	s_branch .LBB38_1068
.LBB38_1038:
	s_mov_b32 s30, -1
	s_mov_b32 s29, 0
	s_mov_b32 s0, s21
	s_branch .LBB38_1051
.LBB38_1039:
	s_mov_b32 s30, -1
	s_mov_b32 s29, 0
	s_mov_b32 s0, s21
	s_branch .LBB38_1047
.LBB38_1040:
	s_mov_b32 s30, -1
	s_mov_b32 s29, 0
	s_mov_b32 s0, s21
.LBB38_1041:
	s_and_b32 vcc_lo, exec_lo, s30
	s_cbranch_vccz .LBB38_1046
; %bb.1042:
	s_cmp_eq_u32 s28, 44
	s_mov_b32 s0, -1
	s_cbranch_scc0 .LBB38_1046
; %bb.1043:
	s_wait_xcnt 0x0
	v_bfe_i32 v2, v4, 0, 16
	v_mov_b32_e32 v3, 0xff
	s_mov_b32 s29, exec_lo
	s_delay_alu instid0(VALU_DEP_2) | instskip(NEXT) | instid1(VALU_DEP_1)
	v_cvt_f32_i32_e32 v2, v2
	v_bfe_u32 v5, v2, 23, 8
	s_delay_alu instid0(VALU_DEP_1)
	v_cmpx_ne_u32_e32 0xff, v5
	s_cbranch_execz .LBB38_1045
; %bb.1044:
	v_and_b32_e32 v3, 0x400000, v2
	v_and_or_b32 v5, 0x3fffff, v2, v5
	v_lshrrev_b32_e32 v2, 23, v2
	s_delay_alu instid0(VALU_DEP_3) | instskip(NEXT) | instid1(VALU_DEP_3)
	v_cmp_ne_u32_e32 vcc_lo, 0, v3
	v_cmp_ne_u32_e64 s0, 0, v5
	s_and_b32 s0, vcc_lo, s0
	s_delay_alu instid0(SALU_CYCLE_1) | instskip(NEXT) | instid1(VALU_DEP_1)
	v_cndmask_b32_e64 v3, 0, 1, s0
	v_add_nc_u32_e32 v3, v2, v3
.LBB38_1045:
	s_or_b32 exec_lo, exec_lo, s29
	s_mov_b32 s29, -1
	s_mov_b32 s0, 0
	global_store_b8 v[0:1], v3, off
.LBB38_1046:
	s_mov_b32 s30, 0
.LBB38_1047:
	s_delay_alu instid0(SALU_CYCLE_1)
	s_and_b32 vcc_lo, exec_lo, s30
	s_cbranch_vccz .LBB38_1050
; %bb.1048:
	s_cmp_eq_u32 s28, 29
	s_mov_b32 s0, -1
	s_cbranch_scc0 .LBB38_1050
; %bb.1049:
	s_wait_xcnt 0x0
	v_bfe_i32 v2, v4, 0, 16
	s_mov_b32 s0, 0
	s_mov_b32 s29, -1
	s_mov_b32 s30, 0
	s_delay_alu instid0(VALU_DEP_1)
	v_ashrrev_i32_e32 v3, 31, v2
	global_store_b64 v[0:1], v[2:3], off
	s_branch .LBB38_1051
.LBB38_1050:
	s_mov_b32 s30, 0
.LBB38_1051:
	s_delay_alu instid0(SALU_CYCLE_1)
	s_and_b32 vcc_lo, exec_lo, s30
	s_cbranch_vccz .LBB38_1067
; %bb.1052:
	s_cmp_lt_i32 s28, 27
	s_mov_b32 s29, -1
	s_cbranch_scc1 .LBB38_1058
; %bb.1053:
	s_cmp_gt_i32 s28, 27
	s_cbranch_scc0 .LBB38_1055
; %bb.1054:
	s_wait_xcnt 0x0
	v_bfe_i32 v2, v4, 0, 16
	s_mov_b32 s29, 0
	global_store_b32 v[0:1], v2, off
.LBB38_1055:
	s_and_not1_b32 vcc_lo, exec_lo, s29
	s_cbranch_vccnz .LBB38_1057
; %bb.1056:
	global_store_b16 v[0:1], v4, off
.LBB38_1057:
	s_mov_b32 s29, 0
.LBB38_1058:
	s_delay_alu instid0(SALU_CYCLE_1)
	s_and_not1_b32 vcc_lo, exec_lo, s29
	s_cbranch_vccnz .LBB38_1066
; %bb.1059:
	s_wait_xcnt 0x0
	v_bfe_i32 v2, v4, 0, 16
	v_mov_b32_e32 v5, 0x80
	s_mov_b32 s29, exec_lo
	s_delay_alu instid0(VALU_DEP_2) | instskip(NEXT) | instid1(VALU_DEP_1)
	v_cvt_f32_i32_e32 v2, v2
	v_and_b32_e32 v3, 0x7fffffff, v2
	s_delay_alu instid0(VALU_DEP_1)
	v_cmpx_gt_u32_e32 0x43800000, v3
	s_cbranch_execz .LBB38_1065
; %bb.1060:
	v_cmp_lt_u32_e32 vcc_lo, 0x3bffffff, v3
	s_mov_b32 s30, 0
                                        ; implicit-def: $vgpr3
	s_and_saveexec_b32 s31, vcc_lo
	s_delay_alu instid0(SALU_CYCLE_1)
	s_xor_b32 s31, exec_lo, s31
	s_cbranch_execz .LBB38_1168
; %bb.1061:
	v_bfe_u32 v3, v2, 20, 1
	s_mov_b32 s30, exec_lo
	s_delay_alu instid0(VALU_DEP_1) | instskip(NEXT) | instid1(VALU_DEP_1)
	v_add3_u32 v3, v2, v3, 0x487ffff
	v_lshrrev_b32_e32 v3, 20, v3
	s_and_not1_saveexec_b32 s31, s31
	s_cbranch_execnz .LBB38_1169
.LBB38_1062:
	s_or_b32 exec_lo, exec_lo, s31
	v_mov_b32_e32 v5, 0
	s_and_saveexec_b32 s31, s30
.LBB38_1063:
	v_lshrrev_b32_e32 v2, 24, v2
	s_delay_alu instid0(VALU_DEP_1)
	v_and_or_b32 v5, 0x80, v2, v3
.LBB38_1064:
	s_or_b32 exec_lo, exec_lo, s31
.LBB38_1065:
	s_delay_alu instid0(SALU_CYCLE_1)
	s_or_b32 exec_lo, exec_lo, s29
	global_store_b8 v[0:1], v5, off
.LBB38_1066:
	s_mov_b32 s29, -1
.LBB38_1067:
	s_mov_b32 s30, 0
.LBB38_1068:
	s_delay_alu instid0(SALU_CYCLE_1)
	s_and_b32 vcc_lo, exec_lo, s30
	s_cbranch_vccz .LBB38_1109
; %bb.1069:
	s_cmp_gt_i32 s28, 22
	s_mov_b32 s30, -1
	s_cbranch_scc0 .LBB38_1101
; %bb.1070:
	s_cmp_lt_i32 s28, 24
	s_mov_b32 s29, -1
	s_cbranch_scc1 .LBB38_1090
; %bb.1071:
	s_cmp_gt_i32 s28, 24
	s_cbranch_scc0 .LBB38_1079
; %bb.1072:
	s_wait_xcnt 0x0
	v_bfe_i32 v2, v4, 0, 16
	v_mov_b32_e32 v5, 0x80
	s_mov_b32 s29, exec_lo
	s_delay_alu instid0(VALU_DEP_2) | instskip(NEXT) | instid1(VALU_DEP_1)
	v_cvt_f32_i32_e32 v2, v2
	v_and_b32_e32 v3, 0x7fffffff, v2
	s_delay_alu instid0(VALU_DEP_1)
	v_cmpx_gt_u32_e32 0x47800000, v3
	s_cbranch_execz .LBB38_1078
; %bb.1073:
	v_cmp_lt_u32_e32 vcc_lo, 0x37ffffff, v3
	s_mov_b32 s30, 0
                                        ; implicit-def: $vgpr3
	s_and_saveexec_b32 s31, vcc_lo
	s_delay_alu instid0(SALU_CYCLE_1)
	s_xor_b32 s31, exec_lo, s31
	s_cbranch_execz .LBB38_2179
; %bb.1074:
	v_bfe_u32 v3, v2, 21, 1
	s_mov_b32 s30, exec_lo
	s_delay_alu instid0(VALU_DEP_1) | instskip(NEXT) | instid1(VALU_DEP_1)
	v_add3_u32 v3, v2, v3, 0x88fffff
	v_lshrrev_b32_e32 v3, 21, v3
	s_and_not1_saveexec_b32 s31, s31
	s_cbranch_execnz .LBB38_2180
.LBB38_1075:
	s_or_b32 exec_lo, exec_lo, s31
	v_mov_b32_e32 v5, 0
	s_and_saveexec_b32 s31, s30
.LBB38_1076:
	v_lshrrev_b32_e32 v2, 24, v2
	s_delay_alu instid0(VALU_DEP_1)
	v_and_or_b32 v5, 0x80, v2, v3
.LBB38_1077:
	s_or_b32 exec_lo, exec_lo, s31
.LBB38_1078:
	s_delay_alu instid0(SALU_CYCLE_1)
	s_or_b32 exec_lo, exec_lo, s29
	s_mov_b32 s29, 0
	global_store_b8 v[0:1], v5, off
.LBB38_1079:
	s_and_b32 vcc_lo, exec_lo, s29
	s_cbranch_vccz .LBB38_1089
; %bb.1080:
	s_wait_xcnt 0x0
	v_bfe_i32 v2, v4, 0, 16
	s_mov_b32 s29, exec_lo
                                        ; implicit-def: $vgpr3
	s_delay_alu instid0(VALU_DEP_1) | instskip(NEXT) | instid1(VALU_DEP_1)
	v_cvt_f32_i32_e32 v2, v2
	v_and_b32_e32 v5, 0x7fffffff, v2
	s_delay_alu instid0(VALU_DEP_1)
	v_cmpx_gt_u32_e32 0x43f00000, v5
	s_xor_b32 s29, exec_lo, s29
	s_cbranch_execz .LBB38_1086
; %bb.1081:
	s_mov_b32 s30, exec_lo
                                        ; implicit-def: $vgpr3
	v_cmpx_lt_u32_e32 0x3c7fffff, v5
	s_xor_b32 s30, exec_lo, s30
; %bb.1082:
	v_bfe_u32 v3, v2, 20, 1
	s_delay_alu instid0(VALU_DEP_1) | instskip(NEXT) | instid1(VALU_DEP_1)
	v_add3_u32 v3, v2, v3, 0x407ffff
	v_and_b32_e32 v5, 0xff00000, v3
	v_lshrrev_b32_e32 v3, 20, v3
	s_delay_alu instid0(VALU_DEP_2) | instskip(NEXT) | instid1(VALU_DEP_2)
	v_cmp_ne_u32_e32 vcc_lo, 0x7f00000, v5
	v_cndmask_b32_e32 v3, 0x7e, v3, vcc_lo
; %bb.1083:
	s_and_not1_saveexec_b32 s30, s30
; %bb.1084:
	v_add_f32_e64 v3, 0x46800000, |v2|
; %bb.1085:
	s_or_b32 exec_lo, exec_lo, s30
                                        ; implicit-def: $vgpr5
.LBB38_1086:
	s_and_not1_saveexec_b32 s29, s29
; %bb.1087:
	v_mov_b32_e32 v3, 0x7f
	v_cmp_lt_u32_e32 vcc_lo, 0x7f800000, v5
	s_delay_alu instid0(VALU_DEP_2)
	v_cndmask_b32_e32 v3, 0x7e, v3, vcc_lo
; %bb.1088:
	s_or_b32 exec_lo, exec_lo, s29
	v_lshrrev_b32_e32 v2, 24, v2
	s_delay_alu instid0(VALU_DEP_1)
	v_and_or_b32 v2, 0x80, v2, v3
	global_store_b8 v[0:1], v2, off
.LBB38_1089:
	s_mov_b32 s29, 0
.LBB38_1090:
	s_delay_alu instid0(SALU_CYCLE_1)
	s_and_not1_b32 vcc_lo, exec_lo, s29
	s_cbranch_vccnz .LBB38_1100
; %bb.1091:
	s_wait_xcnt 0x0
	v_bfe_i32 v2, v4, 0, 16
	s_mov_b32 s29, exec_lo
                                        ; implicit-def: $vgpr3
	s_delay_alu instid0(VALU_DEP_1) | instskip(NEXT) | instid1(VALU_DEP_1)
	v_cvt_f32_i32_e32 v2, v2
	v_and_b32_e32 v5, 0x7fffffff, v2
	s_delay_alu instid0(VALU_DEP_1)
	v_cmpx_gt_u32_e32 0x47800000, v5
	s_xor_b32 s29, exec_lo, s29
	s_cbranch_execz .LBB38_1097
; %bb.1092:
	s_mov_b32 s30, exec_lo
                                        ; implicit-def: $vgpr3
	v_cmpx_lt_u32_e32 0x387fffff, v5
	s_xor_b32 s30, exec_lo, s30
; %bb.1093:
	v_bfe_u32 v3, v2, 21, 1
	s_delay_alu instid0(VALU_DEP_1) | instskip(NEXT) | instid1(VALU_DEP_1)
	v_add3_u32 v3, v2, v3, 0x80fffff
	v_lshrrev_b32_e32 v3, 21, v3
; %bb.1094:
	s_and_not1_saveexec_b32 s30, s30
; %bb.1095:
	v_add_f32_e64 v3, 0x43000000, |v2|
; %bb.1096:
	s_or_b32 exec_lo, exec_lo, s30
                                        ; implicit-def: $vgpr5
.LBB38_1097:
	s_and_not1_saveexec_b32 s29, s29
; %bb.1098:
	v_mov_b32_e32 v3, 0x7f
	v_cmp_lt_u32_e32 vcc_lo, 0x7f800000, v5
	s_delay_alu instid0(VALU_DEP_2)
	v_cndmask_b32_e32 v3, 0x7c, v3, vcc_lo
; %bb.1099:
	s_or_b32 exec_lo, exec_lo, s29
	v_lshrrev_b32_e32 v2, 24, v2
	s_delay_alu instid0(VALU_DEP_1)
	v_and_or_b32 v2, 0x80, v2, v3
	global_store_b8 v[0:1], v2, off
.LBB38_1100:
	s_mov_b32 s30, 0
	s_mov_b32 s29, -1
.LBB38_1101:
	s_and_not1_b32 vcc_lo, exec_lo, s30
	s_cbranch_vccnz .LBB38_1109
; %bb.1102:
	s_cmp_gt_i32 s28, 14
	s_mov_b32 s30, -1
	s_cbranch_scc0 .LBB38_1106
; %bb.1103:
	s_cmp_eq_u32 s28, 15
	s_mov_b32 s0, -1
	s_cbranch_scc0 .LBB38_1105
; %bb.1104:
	s_wait_xcnt 0x0
	v_bfe_i32 v2, v4, 0, 16
	s_mov_b32 s29, -1
	s_mov_b32 s0, 0
	s_delay_alu instid0(VALU_DEP_1) | instskip(NEXT) | instid1(VALU_DEP_1)
	v_cvt_f32_i32_e32 v2, v2
	v_bfe_u32 v3, v2, 16, 1
	s_delay_alu instid0(VALU_DEP_1)
	v_add3_u32 v2, v2, v3, 0x7fff
	global_store_d16_hi_b16 v[0:1], v2, off
.LBB38_1105:
	s_mov_b32 s30, 0
.LBB38_1106:
	s_delay_alu instid0(SALU_CYCLE_1)
	s_and_b32 vcc_lo, exec_lo, s30
	s_cbranch_vccz .LBB38_1109
; %bb.1107:
	s_cmp_eq_u32 s28, 11
	s_mov_b32 s0, -1
	s_cbranch_scc0 .LBB38_1109
; %bb.1108:
	v_cmp_ne_u16_e32 vcc_lo, 0, v4
	s_mov_b32 s0, 0
	s_mov_b32 s29, -1
	s_wait_xcnt 0x0
	v_cndmask_b32_e64 v2, 0, 1, vcc_lo
	global_store_b8 v[0:1], v2, off
.LBB38_1109:
	s_mov_b32 s28, 0
.LBB38_1110:
	s_delay_alu instid0(SALU_CYCLE_1)
	s_and_b32 vcc_lo, exec_lo, s28
	s_cbranch_vccz .LBB38_1149
; %bb.1111:
	s_and_b32 s27, 0xffff, s27
	s_mov_b32 s28, -1
	s_cmp_lt_i32 s27, 5
	s_cbranch_scc1 .LBB38_1132
; %bb.1112:
	s_cmp_lt_i32 s27, 8
	s_cbranch_scc1 .LBB38_1122
; %bb.1113:
	;; [unrolled: 3-line block ×3, first 2 shown]
	s_cmp_gt_i32 s27, 9
	s_cbranch_scc0 .LBB38_1116
; %bb.1115:
	s_wait_xcnt 0x0
	v_bfe_i32 v2, v4, 0, 16
	v_mov_b32_e32 v8, 0
	s_mov_b32 s28, 0
	s_delay_alu instid0(VALU_DEP_2) | instskip(NEXT) | instid1(VALU_DEP_2)
	v_cvt_f64_i32_e32 v[6:7], v2
	v_mov_b32_e32 v9, v8
	global_store_b128 v[0:1], v[6:9], off
.LBB38_1116:
	s_and_not1_b32 vcc_lo, exec_lo, s28
	s_cbranch_vccnz .LBB38_1118
; %bb.1117:
	s_wait_xcnt 0x0
	v_bfe_i32 v2, v4, 0, 16
	v_mov_b32_e32 v3, 0
	s_delay_alu instid0(VALU_DEP_2)
	v_cvt_f32_i32_e32 v2, v2
	global_store_b64 v[0:1], v[2:3], off
.LBB38_1118:
	s_mov_b32 s28, 0
.LBB38_1119:
	s_delay_alu instid0(SALU_CYCLE_1)
	s_and_not1_b32 vcc_lo, exec_lo, s28
	s_cbranch_vccnz .LBB38_1121
; %bb.1120:
	s_wait_xcnt 0x0
	v_cvt_f16_i16_e32 v2, v4
	s_delay_alu instid0(VALU_DEP_1)
	v_and_b32_e32 v2, 0xffff, v2
	global_store_b32 v[0:1], v2, off
.LBB38_1121:
	s_mov_b32 s28, 0
.LBB38_1122:
	s_delay_alu instid0(SALU_CYCLE_1)
	s_and_not1_b32 vcc_lo, exec_lo, s28
	s_cbranch_vccnz .LBB38_1131
; %bb.1123:
	s_cmp_lt_i32 s27, 6
	s_mov_b32 s28, -1
	s_cbranch_scc1 .LBB38_1129
; %bb.1124:
	s_cmp_gt_i32 s27, 6
	s_cbranch_scc0 .LBB38_1126
; %bb.1125:
	s_wait_xcnt 0x0
	v_bfe_i32 v2, v4, 0, 16
	s_mov_b32 s28, 0
	s_delay_alu instid0(VALU_DEP_1)
	v_cvt_f64_i32_e32 v[2:3], v2
	global_store_b64 v[0:1], v[2:3], off
.LBB38_1126:
	s_and_not1_b32 vcc_lo, exec_lo, s28
	s_cbranch_vccnz .LBB38_1128
; %bb.1127:
	s_wait_xcnt 0x0
	v_bfe_i32 v2, v4, 0, 16
	s_delay_alu instid0(VALU_DEP_1)
	v_cvt_f32_i32_e32 v2, v2
	global_store_b32 v[0:1], v2, off
.LBB38_1128:
	s_mov_b32 s28, 0
.LBB38_1129:
	s_delay_alu instid0(SALU_CYCLE_1)
	s_and_not1_b32 vcc_lo, exec_lo, s28
	s_cbranch_vccnz .LBB38_1131
; %bb.1130:
	s_wait_xcnt 0x0
	v_cvt_f16_i16_e32 v2, v4
	global_store_b16 v[0:1], v2, off
.LBB38_1131:
	s_mov_b32 s28, 0
.LBB38_1132:
	s_delay_alu instid0(SALU_CYCLE_1)
	s_and_not1_b32 vcc_lo, exec_lo, s28
	s_cbranch_vccnz .LBB38_1148
; %bb.1133:
	s_cmp_lt_i32 s27, 2
	s_mov_b32 s28, -1
	s_cbranch_scc1 .LBB38_1143
; %bb.1134:
	s_cmp_lt_i32 s27, 3
	s_cbranch_scc1 .LBB38_1140
; %bb.1135:
	s_wait_xcnt 0x0
	v_bfe_i32 v2, v4, 0, 16
	s_cmp_gt_i32 s27, 3
	s_cbranch_scc0 .LBB38_1137
; %bb.1136:
	s_delay_alu instid0(VALU_DEP_1)
	v_ashrrev_i32_e32 v3, 31, v2
	s_mov_b32 s28, 0
	global_store_b64 v[0:1], v[2:3], off
.LBB38_1137:
	s_and_not1_b32 vcc_lo, exec_lo, s28
	s_cbranch_vccnz .LBB38_1139
; %bb.1138:
	global_store_b32 v[0:1], v2, off
.LBB38_1139:
	s_mov_b32 s28, 0
.LBB38_1140:
	s_delay_alu instid0(SALU_CYCLE_1)
	s_and_not1_b32 vcc_lo, exec_lo, s28
	s_cbranch_vccnz .LBB38_1142
; %bb.1141:
	global_store_b16 v[0:1], v4, off
.LBB38_1142:
	s_mov_b32 s28, 0
.LBB38_1143:
	s_delay_alu instid0(SALU_CYCLE_1)
	s_and_not1_b32 vcc_lo, exec_lo, s28
	s_cbranch_vccnz .LBB38_1148
; %bb.1144:
	s_cmp_gt_i32 s27, 0
	s_mov_b32 s27, -1
	s_cbranch_scc0 .LBB38_1146
; %bb.1145:
	s_mov_b32 s27, 0
	global_store_b8 v[0:1], v4, off
.LBB38_1146:
	s_and_not1_b32 vcc_lo, exec_lo, s27
	s_cbranch_vccnz .LBB38_1148
; %bb.1147:
	global_store_b8 v[0:1], v4, off
.LBB38_1148:
	s_mov_b32 s29, -1
.LBB38_1149:
	s_delay_alu instid0(SALU_CYCLE_1)
	s_and_not1_b32 vcc_lo, exec_lo, s29
	s_cbranch_vccnz .LBB38_1151
; %bb.1150:
	v_add_nc_u32_e32 v10, 0x80, v10
	s_mov_b32 s28, -1
	s_branch .LBB38_1153
.LBB38_1151:
	s_mov_b32 s28, 0
.LBB38_1152:
                                        ; implicit-def: $vgpr10
.LBB38_1153:
	s_and_not1_b32 s27, s21, exec_lo
	s_and_b32 s0, s0, exec_lo
	s_and_b32 s26, s26, exec_lo
	s_or_b32 s27, s27, s0
	s_and_not1_b32 s0, s22, exec_lo
	s_and_not1_b32 s29, s20, exec_lo
	s_and_b32 s25, s25, exec_lo
	s_or_b32 s26, s0, s26
	s_or_b32 s25, s29, s25
	s_or_not1_b32 s31, s28, exec_lo
.LBB38_1154:
	s_wait_xcnt 0x0
	s_or_b32 exec_lo, exec_lo, s24
	s_mov_b32 s28, 0
	s_mov_b32 s29, 0
	;; [unrolled: 1-line block ×3, first 2 shown]
                                        ; implicit-def: $sgpr0
                                        ; implicit-def: $vgpr2_vgpr3
                                        ; implicit-def: $vgpr0
	s_and_saveexec_b32 s24, s31
	s_cbranch_execz .LBB38_1233
; %bb.1155:
	v_cmp_gt_i32_e32 vcc_lo, s16, v10
	s_mov_b32 s33, s25
	s_mov_b32 s31, 0
	;; [unrolled: 1-line block ×3, first 2 shown]
                                        ; implicit-def: $sgpr0
                                        ; implicit-def: $vgpr2_vgpr3
                                        ; implicit-def: $vgpr0
	s_and_saveexec_b32 s16, vcc_lo
	s_cbranch_execz .LBB38_1232
; %bb.1156:
	s_wait_loadcnt 0x0
	v_mul_lo_u32 v0, v10, s9
	s_and_b32 s0, s13, 0xff
	s_delay_alu instid0(SALU_CYCLE_1) | instskip(NEXT) | instid1(VALU_DEP_1)
	s_cmp_lt_i32 s0, 11
	v_ashrrev_i32_e32 v1, 31, v0
	s_delay_alu instid0(VALU_DEP_1)
	v_add_nc_u64_e32 v[2:3], s[6:7], v[0:1]
	s_cbranch_scc1 .LBB38_1163
; %bb.1157:
	s_and_b32 s28, 0xffff, s0
	s_delay_alu instid0(SALU_CYCLE_1)
	s_cmp_gt_i32 s28, 25
	s_cbranch_scc0 .LBB38_1164
; %bb.1158:
	s_cmp_gt_i32 s28, 28
	s_cbranch_scc0 .LBB38_1165
; %bb.1159:
	;; [unrolled: 3-line block ×4, first 2 shown]
	s_cmp_eq_u32 s28, 46
	s_mov_b32 s33, 0
	s_cbranch_scc0 .LBB38_1170
; %bb.1162:
	global_load_b32 v0, v[2:3], off
	s_mov_b32 s31, -1
	s_wait_loadcnt 0x0
	v_lshlrev_b32_e32 v0, 16, v0
	s_delay_alu instid0(VALU_DEP_1)
	v_cvt_i32_f32_e32 v0, v0
	s_branch .LBB38_1172
.LBB38_1163:
	s_mov_b32 s28, -1
	s_mov_b32 s29, s25
                                        ; implicit-def: $vgpr0
	s_branch .LBB38_1231
.LBB38_1164:
	s_mov_b32 s33, -1
	s_mov_b32 s29, s25
                                        ; implicit-def: $vgpr0
	s_branch .LBB38_1199
.LBB38_1165:
	s_mov_b32 s33, -1
	s_mov_b32 s29, s25
                                        ; implicit-def: $vgpr0
	s_branch .LBB38_1182
.LBB38_1166:
	s_mov_b32 s33, -1
	s_mov_b32 s29, s25
                                        ; implicit-def: $vgpr0
	s_branch .LBB38_1177
.LBB38_1167:
	s_mov_b32 s33, -1
	s_mov_b32 s29, s25
	s_branch .LBB38_1171
.LBB38_1168:
	s_and_not1_saveexec_b32 s31, s31
	s_cbranch_execz .LBB38_1062
.LBB38_1169:
	v_add_f32_e64 v3, 0x46000000, |v2|
	s_and_not1_b32 s30, s30, exec_lo
	s_delay_alu instid0(VALU_DEP_1) | instskip(NEXT) | instid1(VALU_DEP_1)
	v_and_b32_e32 v3, 0xff, v3
	v_cmp_ne_u32_e32 vcc_lo, 0, v3
	s_and_b32 s33, vcc_lo, exec_lo
	s_delay_alu instid0(SALU_CYCLE_1)
	s_or_b32 s30, s30, s33
	s_or_b32 exec_lo, exec_lo, s31
	v_mov_b32_e32 v5, 0
	s_and_saveexec_b32 s31, s30
	s_cbranch_execnz .LBB38_1063
	s_branch .LBB38_1064
.LBB38_1170:
	s_mov_b32 s29, -1
.LBB38_1171:
                                        ; implicit-def: $vgpr0
.LBB38_1172:
	s_and_b32 vcc_lo, exec_lo, s33
	s_cbranch_vccz .LBB38_1176
; %bb.1173:
	s_cmp_eq_u32 s28, 44
	s_cbranch_scc0 .LBB38_1175
; %bb.1174:
	global_load_u8 v0, v[2:3], off
	s_mov_b32 s29, 0
	s_mov_b32 s31, -1
	s_wait_loadcnt 0x0
	v_lshlrev_b32_e32 v1, 23, v0
	v_cmp_ne_u32_e32 vcc_lo, 0, v0
	s_delay_alu instid0(VALU_DEP_2) | instskip(NEXT) | instid1(VALU_DEP_1)
	v_cvt_i32_f32_e32 v1, v1
	v_cndmask_b32_e32 v0, 0, v1, vcc_lo
	s_branch .LBB38_1176
.LBB38_1175:
	s_mov_b32 s29, -1
                                        ; implicit-def: $vgpr0
.LBB38_1176:
	s_mov_b32 s33, 0
.LBB38_1177:
	s_delay_alu instid0(SALU_CYCLE_1)
	s_and_b32 vcc_lo, exec_lo, s33
	s_cbranch_vccz .LBB38_1181
; %bb.1178:
	s_cmp_eq_u32 s28, 29
	s_cbranch_scc0 .LBB38_1180
; %bb.1179:
	global_load_b64 v[0:1], v[2:3], off
	s_mov_b32 s29, 0
	s_mov_b32 s31, -1
	s_branch .LBB38_1181
.LBB38_1180:
	s_mov_b32 s29, -1
                                        ; implicit-def: $vgpr0
.LBB38_1181:
	s_mov_b32 s33, 0
.LBB38_1182:
	s_delay_alu instid0(SALU_CYCLE_1)
	s_and_b32 vcc_lo, exec_lo, s33
	s_cbranch_vccz .LBB38_1198
; %bb.1183:
	s_cmp_lt_i32 s28, 27
	s_cbranch_scc1 .LBB38_1186
; %bb.1184:
	s_cmp_gt_i32 s28, 27
	s_cbranch_scc0 .LBB38_1187
; %bb.1185:
	s_wait_loadcnt 0x0
	global_load_b32 v0, v[2:3], off
	s_mov_b32 s31, 0
	s_branch .LBB38_1188
.LBB38_1186:
	s_mov_b32 s31, -1
                                        ; implicit-def: $vgpr0
	s_branch .LBB38_1191
.LBB38_1187:
	s_mov_b32 s31, -1
                                        ; implicit-def: $vgpr0
.LBB38_1188:
	s_delay_alu instid0(SALU_CYCLE_1)
	s_and_not1_b32 vcc_lo, exec_lo, s31
	s_cbranch_vccnz .LBB38_1190
; %bb.1189:
	s_wait_loadcnt 0x0
	global_load_u16 v0, v[2:3], off
.LBB38_1190:
	s_mov_b32 s31, 0
.LBB38_1191:
	s_delay_alu instid0(SALU_CYCLE_1)
	s_and_not1_b32 vcc_lo, exec_lo, s31
	s_cbranch_vccnz .LBB38_1197
; %bb.1192:
	s_wait_loadcnt 0x0
	global_load_u8 v1, v[2:3], off
	s_mov_b32 s33, 0
	s_mov_b32 s31, exec_lo
	s_wait_loadcnt 0x0
	v_cmpx_lt_i16_e32 0x7f, v1
	s_xor_b32 s31, exec_lo, s31
	s_cbranch_execz .LBB38_1209
; %bb.1193:
	v_cmp_ne_u16_e32 vcc_lo, 0x80, v1
	s_and_b32 s33, vcc_lo, exec_lo
	s_and_not1_saveexec_b32 s31, s31
	s_cbranch_execnz .LBB38_1210
.LBB38_1194:
	s_or_b32 exec_lo, exec_lo, s31
	v_mov_b32_e32 v0, 0
	s_and_saveexec_b32 s31, s33
	s_cbranch_execz .LBB38_1196
.LBB38_1195:
	v_and_b32_e32 v0, 0xffff, v1
	s_delay_alu instid0(VALU_DEP_1) | instskip(SKIP_1) | instid1(VALU_DEP_2)
	v_and_b32_e32 v4, 7, v0
	v_bfe_u32 v7, v0, 3, 4
	v_clz_i32_u32_e32 v5, v4
	s_delay_alu instid0(VALU_DEP_2) | instskip(NEXT) | instid1(VALU_DEP_2)
	v_cmp_eq_u32_e32 vcc_lo, 0, v7
	v_min_u32_e32 v5, 32, v5
	s_delay_alu instid0(VALU_DEP_1) | instskip(NEXT) | instid1(VALU_DEP_1)
	v_subrev_nc_u32_e32 v6, 28, v5
	v_dual_lshlrev_b32 v0, v6, v0 :: v_dual_sub_nc_u32 v5, 29, v5
	s_delay_alu instid0(VALU_DEP_1) | instskip(NEXT) | instid1(VALU_DEP_1)
	v_dual_lshlrev_b32 v1, 24, v1 :: v_dual_bitop2_b32 v0, 7, v0 bitop3:0x40
	v_dual_cndmask_b32 v0, v4, v0 :: v_dual_cndmask_b32 v5, v7, v5
	s_delay_alu instid0(VALU_DEP_2) | instskip(NEXT) | instid1(VALU_DEP_2)
	v_and_b32_e32 v1, 0x80000000, v1
	v_lshlrev_b32_e32 v0, 20, v0
	s_delay_alu instid0(VALU_DEP_3) | instskip(NEXT) | instid1(VALU_DEP_1)
	v_lshl_add_u32 v4, v5, 23, 0x3b800000
	v_or3_b32 v0, v1, v4, v0
	s_delay_alu instid0(VALU_DEP_1)
	v_cvt_i32_f32_e32 v0, v0
.LBB38_1196:
	s_or_b32 exec_lo, exec_lo, s31
.LBB38_1197:
	s_mov_b32 s31, -1
.LBB38_1198:
	s_mov_b32 s33, 0
.LBB38_1199:
	s_delay_alu instid0(SALU_CYCLE_1)
	s_and_b32 vcc_lo, exec_lo, s33
	s_cbranch_vccz .LBB38_1230
; %bb.1200:
	s_cmp_gt_i32 s28, 22
	s_cbranch_scc0 .LBB38_1208
; %bb.1201:
	s_cmp_lt_i32 s28, 24
	s_cbranch_scc1 .LBB38_1211
; %bb.1202:
	s_cmp_gt_i32 s28, 24
	s_cbranch_scc0 .LBB38_1212
; %bb.1203:
	s_wait_loadcnt 0x0
	global_load_u8 v1, v[2:3], off
	s_mov_b32 s31, 0
	s_mov_b32 s30, exec_lo
	s_wait_loadcnt 0x0
	v_cmpx_lt_i16_e32 0x7f, v1
	s_xor_b32 s30, exec_lo, s30
	s_cbranch_execz .LBB38_1224
; %bb.1204:
	v_cmp_ne_u16_e32 vcc_lo, 0x80, v1
	s_and_b32 s31, vcc_lo, exec_lo
	s_and_not1_saveexec_b32 s30, s30
	s_cbranch_execnz .LBB38_1225
.LBB38_1205:
	s_or_b32 exec_lo, exec_lo, s30
	v_mov_b32_e32 v0, 0
	s_and_saveexec_b32 s30, s31
	s_cbranch_execz .LBB38_1207
.LBB38_1206:
	v_and_b32_e32 v0, 0xffff, v1
	s_delay_alu instid0(VALU_DEP_1) | instskip(SKIP_1) | instid1(VALU_DEP_2)
	v_and_b32_e32 v4, 3, v0
	v_bfe_u32 v7, v0, 2, 5
	v_clz_i32_u32_e32 v5, v4
	s_delay_alu instid0(VALU_DEP_2) | instskip(NEXT) | instid1(VALU_DEP_2)
	v_cmp_eq_u32_e32 vcc_lo, 0, v7
	v_min_u32_e32 v5, 32, v5
	s_delay_alu instid0(VALU_DEP_1) | instskip(NEXT) | instid1(VALU_DEP_1)
	v_subrev_nc_u32_e32 v6, 29, v5
	v_dual_lshlrev_b32 v0, v6, v0 :: v_dual_sub_nc_u32 v5, 30, v5
	s_delay_alu instid0(VALU_DEP_1) | instskip(NEXT) | instid1(VALU_DEP_1)
	v_dual_lshlrev_b32 v1, 24, v1 :: v_dual_bitop2_b32 v0, 3, v0 bitop3:0x40
	v_dual_cndmask_b32 v0, v4, v0 :: v_dual_cndmask_b32 v5, v7, v5
	s_delay_alu instid0(VALU_DEP_2) | instskip(NEXT) | instid1(VALU_DEP_2)
	v_and_b32_e32 v1, 0x80000000, v1
	v_lshlrev_b32_e32 v0, 21, v0
	s_delay_alu instid0(VALU_DEP_3) | instskip(NEXT) | instid1(VALU_DEP_1)
	v_lshl_add_u32 v4, v5, 23, 0x37800000
	v_or3_b32 v0, v1, v4, v0
	s_delay_alu instid0(VALU_DEP_1)
	v_cvt_i32_f32_e32 v0, v0
.LBB38_1207:
	s_or_b32 exec_lo, exec_lo, s30
	s_mov_b32 s30, 0
	s_branch .LBB38_1213
.LBB38_1208:
	s_mov_b32 s30, -1
                                        ; implicit-def: $vgpr0
	s_branch .LBB38_1219
.LBB38_1209:
	s_and_not1_saveexec_b32 s31, s31
	s_cbranch_execz .LBB38_1194
.LBB38_1210:
	v_cmp_ne_u16_e32 vcc_lo, 0, v1
	s_and_not1_b32 s33, s33, exec_lo
	s_and_b32 s34, vcc_lo, exec_lo
	s_delay_alu instid0(SALU_CYCLE_1)
	s_or_b32 s33, s33, s34
	s_or_b32 exec_lo, exec_lo, s31
	v_mov_b32_e32 v0, 0
	s_and_saveexec_b32 s31, s33
	s_cbranch_execnz .LBB38_1195
	s_branch .LBB38_1196
.LBB38_1211:
	s_mov_b32 s30, -1
                                        ; implicit-def: $vgpr0
	s_branch .LBB38_1216
.LBB38_1212:
	s_mov_b32 s30, -1
                                        ; implicit-def: $vgpr0
.LBB38_1213:
	s_delay_alu instid0(SALU_CYCLE_1)
	s_and_b32 vcc_lo, exec_lo, s30
	s_cbranch_vccz .LBB38_1215
; %bb.1214:
	s_wait_loadcnt 0x0
	global_load_u8 v0, v[2:3], off
	s_wait_loadcnt 0x0
	v_lshlrev_b32_e32 v0, 24, v0
	s_delay_alu instid0(VALU_DEP_1) | instskip(NEXT) | instid1(VALU_DEP_1)
	v_and_b32_e32 v1, 0x7f000000, v0
	v_clz_i32_u32_e32 v4, v1
	v_cmp_ne_u32_e32 vcc_lo, 0, v1
	v_add_nc_u32_e32 v6, 0x1000000, v1
	s_delay_alu instid0(VALU_DEP_3) | instskip(NEXT) | instid1(VALU_DEP_1)
	v_min_u32_e32 v4, 32, v4
	v_sub_nc_u32_e64 v4, v4, 4 clamp
	s_delay_alu instid0(VALU_DEP_1) | instskip(NEXT) | instid1(VALU_DEP_1)
	v_dual_lshlrev_b32 v5, v4, v1 :: v_dual_lshlrev_b32 v4, 23, v4
	v_lshrrev_b32_e32 v5, 4, v5
	s_delay_alu instid0(VALU_DEP_1) | instskip(NEXT) | instid1(VALU_DEP_1)
	v_dual_sub_nc_u32 v4, v5, v4 :: v_dual_ashrrev_i32 v5, 8, v6
	v_add_nc_u32_e32 v4, 0x3c000000, v4
	s_delay_alu instid0(VALU_DEP_1) | instskip(NEXT) | instid1(VALU_DEP_1)
	v_and_or_b32 v4, 0x7f800000, v5, v4
	v_cndmask_b32_e32 v1, 0, v4, vcc_lo
	s_delay_alu instid0(VALU_DEP_1) | instskip(NEXT) | instid1(VALU_DEP_1)
	v_and_or_b32 v0, 0x80000000, v0, v1
	v_cvt_i32_f32_e32 v0, v0
.LBB38_1215:
	s_mov_b32 s30, 0
.LBB38_1216:
	s_delay_alu instid0(SALU_CYCLE_1)
	s_and_not1_b32 vcc_lo, exec_lo, s30
	s_cbranch_vccnz .LBB38_1218
; %bb.1217:
	s_wait_loadcnt 0x0
	global_load_u8 v0, v[2:3], off
	s_wait_loadcnt 0x0
	v_lshlrev_b32_e32 v1, 25, v0
	v_lshlrev_b16 v0, 8, v0
	s_delay_alu instid0(VALU_DEP_1) | instskip(SKIP_1) | instid1(VALU_DEP_2)
	v_and_or_b32 v5, 0x7f00, v0, 0.5
	v_bfe_i32 v0, v0, 0, 16
	v_add_f32_e32 v5, -0.5, v5
	v_lshrrev_b32_e32 v4, 4, v1
	v_cmp_gt_u32_e32 vcc_lo, 0x8000000, v1
	s_delay_alu instid0(VALU_DEP_2) | instskip(NEXT) | instid1(VALU_DEP_1)
	v_or_b32_e32 v4, 0x70000000, v4
	v_mul_f32_e32 v4, 0x7800000, v4
	s_delay_alu instid0(VALU_DEP_1) | instskip(NEXT) | instid1(VALU_DEP_1)
	v_cndmask_b32_e32 v1, v4, v5, vcc_lo
	v_and_or_b32 v0, 0x80000000, v0, v1
	s_delay_alu instid0(VALU_DEP_1)
	v_cvt_i32_f32_e32 v0, v0
.LBB38_1218:
	s_mov_b32 s30, 0
	s_mov_b32 s31, -1
.LBB38_1219:
	s_and_not1_b32 vcc_lo, exec_lo, s30
	s_mov_b32 s30, 0
	s_cbranch_vccnz .LBB38_1230
; %bb.1220:
	s_cmp_gt_i32 s28, 14
	s_cbranch_scc0 .LBB38_1223
; %bb.1221:
	s_cmp_eq_u32 s28, 15
	s_cbranch_scc0 .LBB38_1226
; %bb.1222:
	s_wait_loadcnt 0x0
	global_load_u16 v0, v[2:3], off
	s_mov_b32 s29, 0
	s_mov_b32 s31, -1
	s_wait_loadcnt 0x0
	v_lshlrev_b32_e32 v0, 16, v0
	s_delay_alu instid0(VALU_DEP_1)
	v_cvt_i32_f32_e32 v0, v0
	s_branch .LBB38_1228
.LBB38_1223:
	s_mov_b32 s30, -1
	s_branch .LBB38_1227
.LBB38_1224:
	s_and_not1_saveexec_b32 s30, s30
	s_cbranch_execz .LBB38_1205
.LBB38_1225:
	v_cmp_ne_u16_e32 vcc_lo, 0, v1
	s_and_not1_b32 s31, s31, exec_lo
	s_and_b32 s33, vcc_lo, exec_lo
	s_delay_alu instid0(SALU_CYCLE_1)
	s_or_b32 s31, s31, s33
	s_or_b32 exec_lo, exec_lo, s30
	v_mov_b32_e32 v0, 0
	s_and_saveexec_b32 s30, s31
	s_cbranch_execnz .LBB38_1206
	s_branch .LBB38_1207
.LBB38_1226:
	s_mov_b32 s29, -1
.LBB38_1227:
                                        ; implicit-def: $vgpr0
.LBB38_1228:
	s_and_b32 vcc_lo, exec_lo, s30
	s_mov_b32 s30, 0
	s_cbranch_vccz .LBB38_1230
; %bb.1229:
	s_cmp_lg_u32 s28, 11
	s_mov_b32 s30, -1
	s_cselect_b32 s28, -1, 0
	s_and_not1_b32 s29, s29, exec_lo
	s_and_b32 s28, s28, exec_lo
	s_delay_alu instid0(SALU_CYCLE_1)
	s_or_b32 s29, s29, s28
.LBB38_1230:
	s_mov_b32 s28, 0
.LBB38_1231:
	s_and_not1_b32 s33, s25, exec_lo
	s_and_b32 s29, s29, exec_lo
	s_and_b32 s34, s31, exec_lo
	;; [unrolled: 1-line block ×4, first 2 shown]
	s_or_b32 s33, s33, s29
.LBB38_1232:
	s_wait_xcnt 0x0
	s_or_b32 exec_lo, exec_lo, s16
	s_delay_alu instid0(SALU_CYCLE_1)
	s_and_not1_b32 s16, s25, exec_lo
	s_and_b32 s25, s33, exec_lo
	s_and_b32 s30, s34, exec_lo
	s_and_b32 s29, s31, exec_lo
	s_and_b32 s28, s28, exec_lo
	s_or_b32 s25, s16, s25
.LBB38_1233:
	s_or_b32 exec_lo, exec_lo, s24
	s_delay_alu instid0(SALU_CYCLE_1)
	s_and_not1_b32 s16, s21, exec_lo
	s_and_b32 s21, s27, exec_lo
	s_and_not1_b32 s22, s22, exec_lo
	s_and_b32 s24, s26, exec_lo
	s_or_b32 s21, s16, s21
	s_and_not1_b32 s16, s20, exec_lo
	s_and_b32 s20, s25, exec_lo
	s_or_b32 s22, s22, s24
	s_and_b32 s27, s30, exec_lo
	s_and_b32 s26, s29, exec_lo
	;; [unrolled: 1-line block ×3, first 2 shown]
	s_or_b32 s20, s16, s20
.LBB38_1234:
	s_or_b32 exec_lo, exec_lo, s23
	s_delay_alu instid0(SALU_CYCLE_1)
	s_and_not1_b32 s15, s15, exec_lo
	s_and_b32 s16, s21, exec_lo
	s_and_not1_b32 s17, s17, exec_lo
	s_and_b32 s21, s22, exec_lo
	s_or_b32 s15, s15, s16
	s_and_not1_b32 s16, s18, exec_lo
	s_and_b32 s18, s20, exec_lo
	s_or_b32 s17, s17, s21
	s_and_b32 s21, s27, exec_lo
	s_and_b32 s22, s26, exec_lo
	;; [unrolled: 1-line block ×3, first 2 shown]
	s_or_b32 s18, s16, s18
	s_or_b32 exec_lo, exec_lo, s19
	s_mov_b32 s16, 0
	s_and_saveexec_b32 s19, s18
	s_cbranch_execz .LBB38_388
.LBB38_1235:
	s_mov_b32 s16, exec_lo
	s_and_not1_b32 s20, s20, exec_lo
	s_trap 2
	s_or_b32 exec_lo, exec_lo, s19
	s_and_saveexec_b32 s18, s20
	s_delay_alu instid0(SALU_CYCLE_1)
	s_xor_b32 s18, exec_lo, s18
	s_cbranch_execnz .LBB38_389
.LBB38_1236:
	s_or_b32 exec_lo, exec_lo, s18
	s_and_saveexec_b32 s18, s22
	s_cbranch_execz .LBB38_1282
.LBB38_1237:
	s_sext_i32_i16 s19, s0
	s_delay_alu instid0(SALU_CYCLE_1)
	s_cmp_lt_i32 s19, 5
	s_cbranch_scc1 .LBB38_1242
; %bb.1238:
	s_cmp_lt_i32 s19, 8
	s_cbranch_scc1 .LBB38_1243
; %bb.1239:
	;; [unrolled: 3-line block ×3, first 2 shown]
	s_cmp_gt_i32 s19, 9
	s_cbranch_scc0 .LBB38_1245
; %bb.1241:
	s_wait_loadcnt 0x0
	global_load_b64 v[0:1], v[2:3], off
	s_mov_b32 s19, 0
	s_wait_loadcnt 0x0
	v_cvt_i32_f64_e32 v0, v[0:1]
	s_branch .LBB38_1246
.LBB38_1242:
                                        ; implicit-def: $vgpr0
	s_branch .LBB38_1263
.LBB38_1243:
                                        ; implicit-def: $vgpr0
	s_branch .LBB38_1252
.LBB38_1244:
	s_mov_b32 s19, -1
                                        ; implicit-def: $vgpr0
	s_branch .LBB38_1249
.LBB38_1245:
	s_mov_b32 s19, -1
                                        ; implicit-def: $vgpr0
.LBB38_1246:
	s_delay_alu instid0(SALU_CYCLE_1)
	s_and_not1_b32 vcc_lo, exec_lo, s19
	s_cbranch_vccnz .LBB38_1248
; %bb.1247:
	s_wait_loadcnt 0x0
	global_load_b32 v0, v[2:3], off
	s_wait_loadcnt 0x0
	v_cvt_i32_f32_e32 v0, v0
.LBB38_1248:
	s_mov_b32 s19, 0
.LBB38_1249:
	s_delay_alu instid0(SALU_CYCLE_1)
	s_and_not1_b32 vcc_lo, exec_lo, s19
	s_cbranch_vccnz .LBB38_1251
; %bb.1250:
	s_wait_loadcnt 0x0
	global_load_b32 v0, v[2:3], off
	s_wait_loadcnt 0x0
	v_cvt_i16_f16_e32 v0, v0
.LBB38_1251:
	s_cbranch_execnz .LBB38_1262
.LBB38_1252:
	s_sext_i32_i16 s19, s0
	s_delay_alu instid0(SALU_CYCLE_1)
	s_cmp_lt_i32 s19, 6
	s_cbranch_scc1 .LBB38_1255
; %bb.1253:
	s_cmp_gt_i32 s19, 6
	s_cbranch_scc0 .LBB38_1256
; %bb.1254:
	s_wait_loadcnt 0x0
	global_load_b64 v[0:1], v[2:3], off
	s_mov_b32 s19, 0
	s_wait_loadcnt 0x0
	v_cvt_i32_f64_e32 v0, v[0:1]
	s_branch .LBB38_1257
.LBB38_1255:
	s_mov_b32 s19, -1
                                        ; implicit-def: $vgpr0
	s_branch .LBB38_1260
.LBB38_1256:
	s_mov_b32 s19, -1
                                        ; implicit-def: $vgpr0
.LBB38_1257:
	s_delay_alu instid0(SALU_CYCLE_1)
	s_and_not1_b32 vcc_lo, exec_lo, s19
	s_cbranch_vccnz .LBB38_1259
; %bb.1258:
	s_wait_loadcnt 0x0
	global_load_b32 v0, v[2:3], off
	s_wait_loadcnt 0x0
	v_cvt_i32_f32_e32 v0, v0
.LBB38_1259:
	s_mov_b32 s19, 0
.LBB38_1260:
	s_delay_alu instid0(SALU_CYCLE_1)
	s_and_not1_b32 vcc_lo, exec_lo, s19
	s_cbranch_vccnz .LBB38_1262
; %bb.1261:
	s_wait_loadcnt 0x0
	global_load_u16 v0, v[2:3], off
	s_wait_loadcnt 0x0
	v_cvt_i16_f16_e32 v0, v0
.LBB38_1262:
	s_cbranch_execnz .LBB38_1281
.LBB38_1263:
	s_sext_i32_i16 s19, s0
	s_delay_alu instid0(SALU_CYCLE_1)
	s_cmp_lt_i32 s19, 2
	s_cbranch_scc1 .LBB38_1267
; %bb.1264:
	s_cmp_lt_i32 s19, 3
	s_cbranch_scc1 .LBB38_1268
; %bb.1265:
	s_cmp_gt_i32 s19, 3
	s_cbranch_scc0 .LBB38_1269
; %bb.1266:
	s_wait_loadcnt 0x0
	global_load_b64 v[0:1], v[2:3], off
	s_mov_b32 s19, 0
	s_branch .LBB38_1270
.LBB38_1267:
                                        ; implicit-def: $vgpr0
	s_branch .LBB38_1276
.LBB38_1268:
	s_mov_b32 s19, -1
                                        ; implicit-def: $vgpr0
	s_branch .LBB38_1273
.LBB38_1269:
	s_mov_b32 s19, -1
                                        ; implicit-def: $vgpr0
.LBB38_1270:
	s_delay_alu instid0(SALU_CYCLE_1)
	s_and_not1_b32 vcc_lo, exec_lo, s19
	s_cbranch_vccnz .LBB38_1272
; %bb.1271:
	s_wait_loadcnt 0x0
	global_load_b32 v0, v[2:3], off
.LBB38_1272:
	s_mov_b32 s19, 0
.LBB38_1273:
	s_delay_alu instid0(SALU_CYCLE_1)
	s_and_not1_b32 vcc_lo, exec_lo, s19
	s_cbranch_vccnz .LBB38_1275
; %bb.1274:
	s_wait_loadcnt 0x0
	global_load_u16 v0, v[2:3], off
.LBB38_1275:
	s_cbranch_execnz .LBB38_1281
.LBB38_1276:
	s_sext_i32_i16 s0, s0
	s_delay_alu instid0(SALU_CYCLE_1)
	s_cmp_gt_i32 s0, 0
	s_mov_b32 s0, 0
	s_cbranch_scc0 .LBB38_1278
; %bb.1277:
	s_wait_loadcnt 0x0
	global_load_i8 v0, v[2:3], off
	s_branch .LBB38_1279
.LBB38_1278:
	s_mov_b32 s0, -1
                                        ; implicit-def: $vgpr0
.LBB38_1279:
	s_delay_alu instid0(SALU_CYCLE_1)
	s_and_not1_b32 vcc_lo, exec_lo, s0
	s_cbranch_vccnz .LBB38_1281
; %bb.1280:
	s_wait_loadcnt 0x0
	global_load_u8 v0, v[2:3], off
.LBB38_1281:
	s_or_b32 s21, s21, exec_lo
.LBB38_1282:
	s_wait_xcnt 0x0
	s_or_b32 exec_lo, exec_lo, s18
	s_mov_b32 s20, 0
	s_mov_b32 s22, 0
	;; [unrolled: 1-line block ×3, first 2 shown]
                                        ; implicit-def: $sgpr0
                                        ; implicit-def: $vgpr2_vgpr3
                                        ; implicit-def: $vgpr4
	s_and_saveexec_b32 s18, s21
	s_cbranch_execz .LBB38_1290
; %bb.1283:
	v_mul_lo_u32 v2, v10, s10
	s_and_b32 s0, s1, 0xff
	s_delay_alu instid0(SALU_CYCLE_1) | instskip(NEXT) | instid1(VALU_DEP_1)
	s_cmp_lt_i32 s0, 11
	v_ashrrev_i32_e32 v3, 31, v2
	s_delay_alu instid0(VALU_DEP_1)
	v_add_nc_u64_e32 v[2:3], s[2:3], v[2:3]
	s_cbranch_scc1 .LBB38_1293
; %bb.1284:
	s_and_b32 s19, 0xffff, s0
	s_mov_b32 s21, 0
	s_cmp_gt_i32 s19, 25
	s_cbranch_scc0 .LBB38_1294
; %bb.1285:
	s_cmp_gt_i32 s19, 28
	s_cbranch_scc0 .LBB38_1295
; %bb.1286:
	;; [unrolled: 3-line block ×4, first 2 shown]
	s_cmp_eq_u32 s19, 46
	s_mov_b32 s23, 0
	s_cbranch_scc0 .LBB38_1298
; %bb.1289:
	s_wait_loadcnt 0x0
	global_load_b32 v1, v[2:3], off
	s_mov_b32 s22, -1
	s_wait_loadcnt 0x0
	v_lshlrev_b32_e32 v1, 16, v1
	s_delay_alu instid0(VALU_DEP_1)
	v_cvt_i32_f32_e32 v4, v1
	s_branch .LBB38_1300
.LBB38_1290:
	s_or_b32 exec_lo, exec_lo, s18
	s_and_saveexec_b32 s18, s17
	s_cbranch_execnz .LBB38_1359
.LBB38_1291:
	s_or_b32 exec_lo, exec_lo, s18
	s_and_saveexec_b32 s17, s20
	s_delay_alu instid0(SALU_CYCLE_1)
	s_xor_b32 s17, exec_lo, s17
	s_cbranch_execz .LBB38_1360
.LBB38_1292:
	s_wait_loadcnt 0x0
	global_load_u8 v1, v[2:3], off
	s_or_b32 s19, s19, exec_lo
	s_wait_loadcnt 0x0
	v_cmp_ne_u16_e32 vcc_lo, 0, v1
	v_cndmask_b32_e64 v4, 0, 1, vcc_lo
	s_wait_xcnt 0x0
	s_or_b32 exec_lo, exec_lo, s17
	s_and_saveexec_b32 s17, s22
	s_cbranch_execz .LBB38_1406
	s_branch .LBB38_1361
.LBB38_1293:
	s_mov_b32 s23, -1
	s_mov_b32 s21, 0
	s_mov_b32 s20, s17
                                        ; implicit-def: $vgpr4
	s_branch .LBB38_1358
.LBB38_1294:
	s_mov_b32 s20, s17
                                        ; implicit-def: $vgpr4
	s_cbranch_execnz .LBB38_1327
	s_branch .LBB38_1357
.LBB38_1295:
	s_mov_b32 s23, -1
	s_mov_b32 s20, s17
                                        ; implicit-def: $vgpr4
	s_branch .LBB38_1310
.LBB38_1296:
	s_mov_b32 s23, -1
	s_mov_b32 s20, s17
                                        ; implicit-def: $vgpr4
	s_branch .LBB38_1305
.LBB38_1297:
	s_mov_b32 s23, -1
	s_mov_b32 s20, s17
	s_branch .LBB38_1299
.LBB38_1298:
	s_mov_b32 s20, -1
.LBB38_1299:
                                        ; implicit-def: $vgpr4
.LBB38_1300:
	s_and_b32 vcc_lo, exec_lo, s23
	s_cbranch_vccz .LBB38_1304
; %bb.1301:
	s_cmp_eq_u32 s19, 44
	s_cbranch_scc0 .LBB38_1303
; %bb.1302:
	s_wait_loadcnt 0x0
	global_load_u8 v1, v[2:3], off
	s_mov_b32 s20, 0
	s_mov_b32 s22, -1
	s_wait_loadcnt 0x0
	v_lshlrev_b32_e32 v4, 23, v1
	v_cmp_ne_u32_e32 vcc_lo, 0, v1
	s_delay_alu instid0(VALU_DEP_2) | instskip(NEXT) | instid1(VALU_DEP_1)
	v_cvt_i32_f32_e32 v4, v4
	v_cndmask_b32_e32 v4, 0, v4, vcc_lo
	s_branch .LBB38_1304
.LBB38_1303:
	s_mov_b32 s20, -1
                                        ; implicit-def: $vgpr4
.LBB38_1304:
	s_mov_b32 s23, 0
.LBB38_1305:
	s_delay_alu instid0(SALU_CYCLE_1)
	s_and_b32 vcc_lo, exec_lo, s23
	s_cbranch_vccz .LBB38_1309
; %bb.1306:
	s_cmp_eq_u32 s19, 29
	s_cbranch_scc0 .LBB38_1308
; %bb.1307:
	s_wait_loadcnt 0x0
	global_load_b64 v[4:5], v[2:3], off
	s_mov_b32 s20, 0
	s_mov_b32 s22, -1
	s_branch .LBB38_1309
.LBB38_1308:
	s_mov_b32 s20, -1
                                        ; implicit-def: $vgpr4
.LBB38_1309:
	s_mov_b32 s23, 0
.LBB38_1310:
	s_delay_alu instid0(SALU_CYCLE_1)
	s_and_b32 vcc_lo, exec_lo, s23
	s_cbranch_vccz .LBB38_1326
; %bb.1311:
	s_cmp_lt_i32 s19, 27
	s_cbranch_scc1 .LBB38_1314
; %bb.1312:
	s_cmp_gt_i32 s19, 27
	s_cbranch_scc0 .LBB38_1315
; %bb.1313:
	s_wait_loadcnt 0x0
	global_load_b32 v4, v[2:3], off
	s_mov_b32 s22, 0
	s_branch .LBB38_1316
.LBB38_1314:
	s_mov_b32 s22, -1
                                        ; implicit-def: $vgpr4
	s_branch .LBB38_1319
.LBB38_1315:
	s_mov_b32 s22, -1
                                        ; implicit-def: $vgpr4
.LBB38_1316:
	s_delay_alu instid0(SALU_CYCLE_1)
	s_and_not1_b32 vcc_lo, exec_lo, s22
	s_cbranch_vccnz .LBB38_1318
; %bb.1317:
	s_wait_loadcnt 0x0
	global_load_u16 v4, v[2:3], off
.LBB38_1318:
	s_mov_b32 s22, 0
.LBB38_1319:
	s_delay_alu instid0(SALU_CYCLE_1)
	s_and_not1_b32 vcc_lo, exec_lo, s22
	s_cbranch_vccnz .LBB38_1325
; %bb.1320:
	s_wait_loadcnt 0x0
	global_load_u8 v1, v[2:3], off
	s_mov_b32 s23, 0
	s_mov_b32 s22, exec_lo
	s_wait_loadcnt 0x0
	v_cmpx_lt_i16_e32 0x7f, v1
	s_xor_b32 s22, exec_lo, s22
	s_cbranch_execz .LBB38_1336
; %bb.1321:
	v_cmp_ne_u16_e32 vcc_lo, 0x80, v1
	s_and_b32 s23, vcc_lo, exec_lo
	s_and_not1_saveexec_b32 s22, s22
	s_cbranch_execnz .LBB38_1337
.LBB38_1322:
	s_or_b32 exec_lo, exec_lo, s22
	v_mov_b32_e32 v4, 0
	s_and_saveexec_b32 s22, s23
	s_cbranch_execz .LBB38_1324
.LBB38_1323:
	v_and_b32_e32 v4, 0xffff, v1
	s_delay_alu instid0(VALU_DEP_1) | instskip(SKIP_1) | instid1(VALU_DEP_2)
	v_and_b32_e32 v5, 7, v4
	v_bfe_u32 v8, v4, 3, 4
	v_clz_i32_u32_e32 v6, v5
	s_delay_alu instid0(VALU_DEP_2) | instskip(NEXT) | instid1(VALU_DEP_2)
	v_cmp_eq_u32_e32 vcc_lo, 0, v8
	v_min_u32_e32 v6, 32, v6
	s_delay_alu instid0(VALU_DEP_1) | instskip(NEXT) | instid1(VALU_DEP_1)
	v_subrev_nc_u32_e32 v7, 28, v6
	v_dual_lshlrev_b32 v4, v7, v4 :: v_dual_sub_nc_u32 v6, 29, v6
	s_delay_alu instid0(VALU_DEP_1) | instskip(NEXT) | instid1(VALU_DEP_1)
	v_dual_lshlrev_b32 v1, 24, v1 :: v_dual_bitop2_b32 v4, 7, v4 bitop3:0x40
	v_dual_cndmask_b32 v6, v8, v6, vcc_lo :: v_dual_cndmask_b32 v4, v5, v4, vcc_lo
	s_delay_alu instid0(VALU_DEP_2) | instskip(NEXT) | instid1(VALU_DEP_2)
	v_and_b32_e32 v1, 0x80000000, v1
	v_lshl_add_u32 v5, v6, 23, 0x3b800000
	s_delay_alu instid0(VALU_DEP_3) | instskip(NEXT) | instid1(VALU_DEP_1)
	v_lshlrev_b32_e32 v4, 20, v4
	v_or3_b32 v1, v1, v5, v4
	s_delay_alu instid0(VALU_DEP_1)
	v_cvt_i32_f32_e32 v4, v1
.LBB38_1324:
	s_or_b32 exec_lo, exec_lo, s22
.LBB38_1325:
	s_mov_b32 s22, -1
.LBB38_1326:
	s_branch .LBB38_1357
.LBB38_1327:
	s_cmp_gt_i32 s19, 22
	s_cbranch_scc0 .LBB38_1335
; %bb.1328:
	s_cmp_lt_i32 s19, 24
	s_cbranch_scc1 .LBB38_1338
; %bb.1329:
	s_cmp_gt_i32 s19, 24
	s_cbranch_scc0 .LBB38_1339
; %bb.1330:
	s_wait_loadcnt 0x0
	global_load_u8 v1, v[2:3], off
	s_mov_b32 s22, 0
	s_mov_b32 s21, exec_lo
	s_wait_loadcnt 0x0
	v_cmpx_lt_i16_e32 0x7f, v1
	s_xor_b32 s21, exec_lo, s21
	s_cbranch_execz .LBB38_1351
; %bb.1331:
	v_cmp_ne_u16_e32 vcc_lo, 0x80, v1
	s_and_b32 s22, vcc_lo, exec_lo
	s_and_not1_saveexec_b32 s21, s21
	s_cbranch_execnz .LBB38_1352
.LBB38_1332:
	s_or_b32 exec_lo, exec_lo, s21
	v_mov_b32_e32 v4, 0
	s_and_saveexec_b32 s21, s22
	s_cbranch_execz .LBB38_1334
.LBB38_1333:
	v_and_b32_e32 v4, 0xffff, v1
	s_delay_alu instid0(VALU_DEP_1) | instskip(SKIP_1) | instid1(VALU_DEP_2)
	v_and_b32_e32 v5, 3, v4
	v_bfe_u32 v8, v4, 2, 5
	v_clz_i32_u32_e32 v6, v5
	s_delay_alu instid0(VALU_DEP_2) | instskip(NEXT) | instid1(VALU_DEP_2)
	v_cmp_eq_u32_e32 vcc_lo, 0, v8
	v_min_u32_e32 v6, 32, v6
	s_delay_alu instid0(VALU_DEP_1) | instskip(NEXT) | instid1(VALU_DEP_1)
	v_subrev_nc_u32_e32 v7, 29, v6
	v_dual_lshlrev_b32 v4, v7, v4 :: v_dual_sub_nc_u32 v6, 30, v6
	s_delay_alu instid0(VALU_DEP_1) | instskip(NEXT) | instid1(VALU_DEP_1)
	v_dual_lshlrev_b32 v1, 24, v1 :: v_dual_bitop2_b32 v4, 3, v4 bitop3:0x40
	v_dual_cndmask_b32 v6, v8, v6, vcc_lo :: v_dual_cndmask_b32 v4, v5, v4, vcc_lo
	s_delay_alu instid0(VALU_DEP_2) | instskip(NEXT) | instid1(VALU_DEP_2)
	v_and_b32_e32 v1, 0x80000000, v1
	v_lshl_add_u32 v5, v6, 23, 0x37800000
	s_delay_alu instid0(VALU_DEP_3) | instskip(NEXT) | instid1(VALU_DEP_1)
	v_lshlrev_b32_e32 v4, 21, v4
	v_or3_b32 v1, v1, v5, v4
	s_delay_alu instid0(VALU_DEP_1)
	v_cvt_i32_f32_e32 v4, v1
.LBB38_1334:
	s_or_b32 exec_lo, exec_lo, s21
	s_mov_b32 s21, 0
	s_branch .LBB38_1340
.LBB38_1335:
	s_mov_b32 s21, -1
                                        ; implicit-def: $vgpr4
	s_branch .LBB38_1346
.LBB38_1336:
	s_and_not1_saveexec_b32 s22, s22
	s_cbranch_execz .LBB38_1322
.LBB38_1337:
	v_cmp_ne_u16_e32 vcc_lo, 0, v1
	s_and_not1_b32 s23, s23, exec_lo
	s_and_b32 s24, vcc_lo, exec_lo
	s_delay_alu instid0(SALU_CYCLE_1)
	s_or_b32 s23, s23, s24
	s_or_b32 exec_lo, exec_lo, s22
	v_mov_b32_e32 v4, 0
	s_and_saveexec_b32 s22, s23
	s_cbranch_execnz .LBB38_1323
	s_branch .LBB38_1324
.LBB38_1338:
	s_mov_b32 s21, -1
                                        ; implicit-def: $vgpr4
	s_branch .LBB38_1343
.LBB38_1339:
	s_mov_b32 s21, -1
                                        ; implicit-def: $vgpr4
.LBB38_1340:
	s_delay_alu instid0(SALU_CYCLE_1)
	s_and_b32 vcc_lo, exec_lo, s21
	s_cbranch_vccz .LBB38_1342
; %bb.1341:
	s_wait_loadcnt 0x0
	global_load_u8 v1, v[2:3], off
	s_wait_loadcnt 0x0
	v_lshlrev_b32_e32 v1, 24, v1
	s_delay_alu instid0(VALU_DEP_1) | instskip(NEXT) | instid1(VALU_DEP_1)
	v_and_b32_e32 v4, 0x7f000000, v1
	v_clz_i32_u32_e32 v5, v4
	v_cmp_ne_u32_e32 vcc_lo, 0, v4
	v_add_nc_u32_e32 v7, 0x1000000, v4
	s_delay_alu instid0(VALU_DEP_3) | instskip(NEXT) | instid1(VALU_DEP_1)
	v_min_u32_e32 v5, 32, v5
	v_sub_nc_u32_e64 v5, v5, 4 clamp
	s_delay_alu instid0(VALU_DEP_1) | instskip(NEXT) | instid1(VALU_DEP_1)
	v_dual_lshlrev_b32 v6, v5, v4 :: v_dual_lshlrev_b32 v5, 23, v5
	v_lshrrev_b32_e32 v6, 4, v6
	s_delay_alu instid0(VALU_DEP_1) | instskip(NEXT) | instid1(VALU_DEP_1)
	v_dual_sub_nc_u32 v5, v6, v5 :: v_dual_ashrrev_i32 v6, 8, v7
	v_add_nc_u32_e32 v5, 0x3c000000, v5
	s_delay_alu instid0(VALU_DEP_1) | instskip(NEXT) | instid1(VALU_DEP_1)
	v_and_or_b32 v5, 0x7f800000, v6, v5
	v_cndmask_b32_e32 v4, 0, v5, vcc_lo
	s_delay_alu instid0(VALU_DEP_1) | instskip(NEXT) | instid1(VALU_DEP_1)
	v_and_or_b32 v1, 0x80000000, v1, v4
	v_cvt_i32_f32_e32 v4, v1
.LBB38_1342:
	s_mov_b32 s21, 0
.LBB38_1343:
	s_delay_alu instid0(SALU_CYCLE_1)
	s_and_not1_b32 vcc_lo, exec_lo, s21
	s_cbranch_vccnz .LBB38_1345
; %bb.1344:
	s_wait_loadcnt 0x0
	global_load_u8 v1, v[2:3], off
	s_wait_loadcnt 0x0
	v_lshlrev_b32_e32 v4, 25, v1
	v_lshlrev_b16 v1, 8, v1
	s_delay_alu instid0(VALU_DEP_1) | instskip(SKIP_1) | instid1(VALU_DEP_2)
	v_and_or_b32 v6, 0x7f00, v1, 0.5
	v_bfe_i32 v1, v1, 0, 16
	v_dual_add_f32 v6, -0.5, v6 :: v_dual_lshrrev_b32 v5, 4, v4
	v_cmp_gt_u32_e32 vcc_lo, 0x8000000, v4
	s_delay_alu instid0(VALU_DEP_2) | instskip(NEXT) | instid1(VALU_DEP_1)
	v_or_b32_e32 v5, 0x70000000, v5
	v_mul_f32_e32 v5, 0x7800000, v5
	s_delay_alu instid0(VALU_DEP_1) | instskip(NEXT) | instid1(VALU_DEP_1)
	v_cndmask_b32_e32 v4, v5, v6, vcc_lo
	v_and_or_b32 v1, 0x80000000, v1, v4
	s_delay_alu instid0(VALU_DEP_1)
	v_cvt_i32_f32_e32 v4, v1
.LBB38_1345:
	s_mov_b32 s21, 0
	s_mov_b32 s22, -1
.LBB38_1346:
	s_and_not1_b32 vcc_lo, exec_lo, s21
	s_mov_b32 s21, 0
	s_cbranch_vccnz .LBB38_1357
; %bb.1347:
	s_cmp_gt_i32 s19, 14
	s_cbranch_scc0 .LBB38_1350
; %bb.1348:
	s_cmp_eq_u32 s19, 15
	s_cbranch_scc0 .LBB38_1353
; %bb.1349:
	s_wait_loadcnt 0x0
	global_load_u16 v1, v[2:3], off
	s_mov_b32 s20, 0
	s_mov_b32 s22, -1
	s_wait_loadcnt 0x0
	v_lshlrev_b32_e32 v1, 16, v1
	s_delay_alu instid0(VALU_DEP_1)
	v_cvt_i32_f32_e32 v4, v1
	s_branch .LBB38_1355
.LBB38_1350:
	s_mov_b32 s21, -1
	s_branch .LBB38_1354
.LBB38_1351:
	s_and_not1_saveexec_b32 s21, s21
	s_cbranch_execz .LBB38_1332
.LBB38_1352:
	v_cmp_ne_u16_e32 vcc_lo, 0, v1
	s_and_not1_b32 s22, s22, exec_lo
	s_and_b32 s23, vcc_lo, exec_lo
	s_delay_alu instid0(SALU_CYCLE_1)
	s_or_b32 s22, s22, s23
	s_or_b32 exec_lo, exec_lo, s21
	v_mov_b32_e32 v4, 0
	s_and_saveexec_b32 s21, s22
	s_cbranch_execnz .LBB38_1333
	s_branch .LBB38_1334
.LBB38_1353:
	s_mov_b32 s20, -1
.LBB38_1354:
                                        ; implicit-def: $vgpr4
.LBB38_1355:
	s_and_b32 vcc_lo, exec_lo, s21
	s_mov_b32 s21, 0
	s_cbranch_vccz .LBB38_1357
; %bb.1356:
	s_cmp_lg_u32 s19, 11
	s_mov_b32 s21, -1
	s_cselect_b32 s19, -1, 0
	s_and_not1_b32 s20, s20, exec_lo
	s_and_b32 s19, s19, exec_lo
	s_delay_alu instid0(SALU_CYCLE_1)
	s_or_b32 s20, s20, s19
.LBB38_1357:
	s_mov_b32 s23, 0
.LBB38_1358:
	s_and_b32 s19, s22, exec_lo
	s_and_b32 s22, s23, exec_lo
	s_and_not1_b32 s17, s17, exec_lo
	s_and_b32 s23, s20, exec_lo
	s_and_b32 s20, s21, exec_lo
	s_or_b32 s17, s17, s23
	s_wait_xcnt 0x0
	s_or_b32 exec_lo, exec_lo, s18
	s_and_saveexec_b32 s18, s17
	s_cbranch_execz .LBB38_1291
.LBB38_1359:
	s_or_b32 s16, s16, exec_lo
	s_and_not1_b32 s20, s20, exec_lo
	s_trap 2
	s_or_b32 exec_lo, exec_lo, s18
	s_and_saveexec_b32 s17, s20
	s_delay_alu instid0(SALU_CYCLE_1)
	s_xor_b32 s17, exec_lo, s17
	s_cbranch_execnz .LBB38_1292
.LBB38_1360:
	s_or_b32 exec_lo, exec_lo, s17
	s_and_saveexec_b32 s17, s22
	s_cbranch_execz .LBB38_1406
.LBB38_1361:
	s_sext_i32_i16 s18, s0
	s_delay_alu instid0(SALU_CYCLE_1)
	s_cmp_lt_i32 s18, 5
	s_cbranch_scc1 .LBB38_1366
; %bb.1362:
	s_cmp_lt_i32 s18, 8
	s_cbranch_scc1 .LBB38_1367
; %bb.1363:
	;; [unrolled: 3-line block ×3, first 2 shown]
	s_cmp_gt_i32 s18, 9
	s_cbranch_scc0 .LBB38_1369
; %bb.1365:
	s_wait_loadcnt 0x0
	global_load_b64 v[4:5], v[2:3], off
	s_mov_b32 s18, 0
	s_wait_loadcnt 0x0
	v_cvt_i32_f64_e32 v4, v[4:5]
	s_branch .LBB38_1370
.LBB38_1366:
                                        ; implicit-def: $vgpr4
	s_branch .LBB38_1387
.LBB38_1367:
                                        ; implicit-def: $vgpr4
	s_branch .LBB38_1376
.LBB38_1368:
	s_mov_b32 s18, -1
                                        ; implicit-def: $vgpr4
	s_branch .LBB38_1373
.LBB38_1369:
	s_mov_b32 s18, -1
                                        ; implicit-def: $vgpr4
.LBB38_1370:
	s_delay_alu instid0(SALU_CYCLE_1)
	s_and_not1_b32 vcc_lo, exec_lo, s18
	s_cbranch_vccnz .LBB38_1372
; %bb.1371:
	s_wait_loadcnt 0x0
	global_load_b32 v1, v[2:3], off
	s_wait_loadcnt 0x0
	v_cvt_i32_f32_e32 v4, v1
.LBB38_1372:
	s_mov_b32 s18, 0
.LBB38_1373:
	s_delay_alu instid0(SALU_CYCLE_1)
	s_and_not1_b32 vcc_lo, exec_lo, s18
	s_cbranch_vccnz .LBB38_1375
; %bb.1374:
	s_wait_loadcnt 0x0
	global_load_b32 v1, v[2:3], off
	s_wait_loadcnt 0x0
	v_cvt_i16_f16_e32 v4, v1
.LBB38_1375:
	s_cbranch_execnz .LBB38_1386
.LBB38_1376:
	s_sext_i32_i16 s18, s0
	s_delay_alu instid0(SALU_CYCLE_1)
	s_cmp_lt_i32 s18, 6
	s_cbranch_scc1 .LBB38_1379
; %bb.1377:
	s_cmp_gt_i32 s18, 6
	s_cbranch_scc0 .LBB38_1380
; %bb.1378:
	s_wait_loadcnt 0x0
	global_load_b64 v[4:5], v[2:3], off
	s_mov_b32 s18, 0
	s_wait_loadcnt 0x0
	v_cvt_i32_f64_e32 v4, v[4:5]
	s_branch .LBB38_1381
.LBB38_1379:
	s_mov_b32 s18, -1
                                        ; implicit-def: $vgpr4
	s_branch .LBB38_1384
.LBB38_1380:
	s_mov_b32 s18, -1
                                        ; implicit-def: $vgpr4
.LBB38_1381:
	s_delay_alu instid0(SALU_CYCLE_1)
	s_and_not1_b32 vcc_lo, exec_lo, s18
	s_cbranch_vccnz .LBB38_1383
; %bb.1382:
	s_wait_loadcnt 0x0
	global_load_b32 v1, v[2:3], off
	s_wait_loadcnt 0x0
	v_cvt_i32_f32_e32 v4, v1
.LBB38_1383:
	s_mov_b32 s18, 0
.LBB38_1384:
	s_delay_alu instid0(SALU_CYCLE_1)
	s_and_not1_b32 vcc_lo, exec_lo, s18
	s_cbranch_vccnz .LBB38_1386
; %bb.1385:
	s_wait_loadcnt 0x0
	global_load_u16 v1, v[2:3], off
	s_wait_loadcnt 0x0
	v_cvt_i16_f16_e32 v4, v1
.LBB38_1386:
	s_cbranch_execnz .LBB38_1405
.LBB38_1387:
	s_sext_i32_i16 s18, s0
	s_delay_alu instid0(SALU_CYCLE_1)
	s_cmp_lt_i32 s18, 2
	s_cbranch_scc1 .LBB38_1391
; %bb.1388:
	s_cmp_lt_i32 s18, 3
	s_cbranch_scc1 .LBB38_1392
; %bb.1389:
	s_cmp_gt_i32 s18, 3
	s_cbranch_scc0 .LBB38_1393
; %bb.1390:
	s_wait_loadcnt 0x0
	global_load_b64 v[4:5], v[2:3], off
	s_mov_b32 s18, 0
	s_branch .LBB38_1394
.LBB38_1391:
                                        ; implicit-def: $vgpr4
	s_branch .LBB38_1400
.LBB38_1392:
	s_mov_b32 s18, -1
                                        ; implicit-def: $vgpr4
	s_branch .LBB38_1397
.LBB38_1393:
	s_mov_b32 s18, -1
                                        ; implicit-def: $vgpr4
.LBB38_1394:
	s_delay_alu instid0(SALU_CYCLE_1)
	s_and_not1_b32 vcc_lo, exec_lo, s18
	s_cbranch_vccnz .LBB38_1396
; %bb.1395:
	s_wait_loadcnt 0x0
	global_load_b32 v4, v[2:3], off
.LBB38_1396:
	s_mov_b32 s18, 0
.LBB38_1397:
	s_delay_alu instid0(SALU_CYCLE_1)
	s_and_not1_b32 vcc_lo, exec_lo, s18
	s_cbranch_vccnz .LBB38_1399
; %bb.1398:
	s_wait_loadcnt 0x0
	global_load_u16 v4, v[2:3], off
.LBB38_1399:
	s_cbranch_execnz .LBB38_1405
.LBB38_1400:
	s_sext_i32_i16 s0, s0
	s_delay_alu instid0(SALU_CYCLE_1)
	s_cmp_gt_i32 s0, 0
	s_mov_b32 s0, 0
	s_cbranch_scc0 .LBB38_1402
; %bb.1401:
	s_wait_loadcnt 0x0
	global_load_i8 v4, v[2:3], off
	s_branch .LBB38_1403
.LBB38_1402:
	s_mov_b32 s0, -1
                                        ; implicit-def: $vgpr4
.LBB38_1403:
	s_delay_alu instid0(SALU_CYCLE_1)
	s_and_not1_b32 vcc_lo, exec_lo, s0
	s_cbranch_vccnz .LBB38_1405
; %bb.1404:
	s_wait_loadcnt 0x0
	global_load_u8 v4, v[2:3], off
.LBB38_1405:
	s_or_b32 s19, s19, exec_lo
.LBB38_1406:
	s_wait_xcnt 0x0
	s_or_b32 exec_lo, exec_lo, s17
	s_mov_b32 s0, 0
	s_mov_b32 s20, 0
                                        ; implicit-def: $sgpr17
                                        ; implicit-def: $vgpr2_vgpr3
                                        ; implicit-def: $vgpr5
	s_and_saveexec_b32 s18, s19
	s_cbranch_execz .LBB38_1418
; %bb.1407:
	s_wait_loadcnt 0x0
	s_delay_alu instid0(VALU_DEP_1) | instskip(SKIP_2) | instid1(VALU_DEP_1)
	v_sub_nc_u16 v1, 0, v4
	s_mov_b32 s17, 0
	s_mov_b32 s0, exec_lo
	v_max_i16 v5, v4, v1
	v_cmpx_ne_u16_e32 0, v0
	s_cbranch_execz .LBB38_1411
; %bb.1408:
	v_sub_nc_u16 v1, 0, v0
	s_delay_alu instid0(VALU_DEP_1) | instskip(SKIP_1) | instid1(VALU_DEP_2)
	v_max_i16 v1, v0, v1
	v_and_b32_e32 v0, 0xffff, v5
	v_and_b32_e32 v1, 0xffff, v1
.LBB38_1409:                            ; =>This Inner Loop Header: Depth=1
	s_delay_alu instid0(VALU_DEP_1) | instskip(NEXT) | instid1(VALU_DEP_2)
	v_bfe_i32 v3, v0, 0, 16
	v_mov_b32_e32 v5, v1
	s_delay_alu instid0(VALU_DEP_2) | instskip(NEXT) | instid1(VALU_DEP_2)
	v_cvt_f32_i32_e32 v6, v3
	v_bfe_i32 v1, v5, 0, 16
	s_delay_alu instid0(VALU_DEP_1) | instskip(SKIP_1) | instid1(VALU_DEP_2)
	v_cvt_f32_i32_e32 v2, v1
	v_xor_b32_e32 v1, v3, v1
	v_rcp_iflag_f32_e32 v4, v2
	v_nop
	s_delay_alu instid0(TRANS32_DEP_1) | instskip(NEXT) | instid1(VALU_DEP_1)
	v_dual_ashrrev_i32 v1, 30, v1 :: v_dual_mul_f32 v3, v6, v4
	v_trunc_f32_e32 v3, v3
	s_delay_alu instid0(VALU_DEP_1) | instskip(SKIP_1) | instid1(VALU_DEP_2)
	v_dual_fma_f32 v4, -v3, v2, v6 :: v_dual_bitop2_b32 v1, 1, v1 bitop3:0x54
	v_cvt_i32_f32_e32 v3, v3
	v_cmp_ge_f32_e64 vcc_lo, |v4|, |v2|
	s_delay_alu instid0(VALU_DEP_3) | instskip(NEXT) | instid1(VALU_DEP_1)
	v_cndmask_b32_e32 v1, 0, v1, vcc_lo
	v_add_nc_u32_e32 v1, v3, v1
	s_delay_alu instid0(VALU_DEP_1) | instskip(NEXT) | instid1(VALU_DEP_1)
	v_mul_lo_u32 v1, v1, v5
	v_sub_nc_u32_e32 v1, v0, v1
	s_delay_alu instid0(VALU_DEP_1) | instskip(SKIP_1) | instid1(VALU_DEP_2)
	v_and_b32_e32 v0, 0xffff, v1
	v_bfe_i32 v1, v1, 0, 16
	v_cmp_eq_u32_e32 vcc_lo, 0, v0
	v_mov_b32_e32 v0, v5
	s_or_b32 s17, vcc_lo, s17
	s_delay_alu instid0(SALU_CYCLE_1)
	s_and_not1_b32 exec_lo, exec_lo, s17
	s_cbranch_execnz .LBB38_1409
; %bb.1410:
	s_or_b32 exec_lo, exec_lo, s17
.LBB38_1411:
	s_delay_alu instid0(SALU_CYCLE_1) | instskip(SKIP_2) | instid1(SALU_CYCLE_1)
	s_or_b32 exec_lo, exec_lo, s0
	v_mul_lo_u32 v0, v10, s8
	s_and_b32 s17, s11, 0xff
	s_cmp_lt_i32 s17, 11
	s_delay_alu instid0(VALU_DEP_1) | instskip(NEXT) | instid1(VALU_DEP_1)
	v_ashrrev_i32_e32 v1, 31, v0
	v_add_nc_u64_e32 v[2:3], s[4:5], v[0:1]
	s_cbranch_scc1 .LBB38_1421
; %bb.1412:
	s_and_b32 s19, 0xffff, s17
	s_mov_b32 s20, -1
	s_cmp_gt_i32 s19, 25
	s_mov_b32 s0, s15
	s_cbranch_scc0 .LBB38_1449
; %bb.1413:
	s_cmp_gt_i32 s19, 28
	s_mov_b32 s0, s15
	s_cbranch_scc0 .LBB38_1433
; %bb.1414:
	;; [unrolled: 4-line block ×4, first 2 shown]
	s_cmp_eq_u32 s19, 46
	s_mov_b32 s0, -1
	s_cbranch_scc0 .LBB38_1422
; %bb.1417:
	v_bfe_i32 v0, v5, 0, 16
	s_mov_b32 s0, 0
	s_mov_b32 s20, 0
	s_delay_alu instid0(VALU_DEP_1) | instskip(NEXT) | instid1(VALU_DEP_1)
	v_cvt_f32_i32_e32 v0, v0
	v_bfe_u32 v1, v0, 16, 1
	s_delay_alu instid0(VALU_DEP_1) | instskip(NEXT) | instid1(VALU_DEP_1)
	v_add3_u32 v0, v0, v1, 0x7fff
	v_lshrrev_b32_e32 v0, 16, v0
	global_store_b32 v[2:3], v0, off
	s_branch .LBB38_1423
.LBB38_1418:
	s_or_b32 exec_lo, exec_lo, s18
	s_and_saveexec_b32 s18, s15
	s_cbranch_execnz .LBB38_1491
.LBB38_1419:
	s_or_b32 exec_lo, exec_lo, s18
	s_and_saveexec_b32 s15, s0
	s_delay_alu instid0(SALU_CYCLE_1)
	s_xor_b32 s0, exec_lo, s15
	s_cbranch_execz .LBB38_1492
.LBB38_1420:
	s_wait_loadcnt 0x0
	v_cmp_ne_u16_e32 vcc_lo, 0, v5
	v_cndmask_b32_e64 v0, 0, 1, vcc_lo
	global_store_b8 v[2:3], v0, off
	s_wait_xcnt 0x0
	s_or_b32 exec_lo, exec_lo, s0
	s_and_saveexec_b32 s0, s20
	s_delay_alu instid0(SALU_CYCLE_1)
	s_xor_b32 s0, exec_lo, s0
	s_cbranch_execz .LBB38_1530
	s_branch .LBB38_1493
.LBB38_1421:
	s_mov_b32 s21, 0
	s_mov_b32 s20, -1
	s_mov_b32 s0, s15
	s_branch .LBB38_1490
.LBB38_1422:
	s_mov_b32 s20, 0
.LBB38_1423:
	s_delay_alu instid0(SALU_CYCLE_1)
	s_and_b32 vcc_lo, exec_lo, s20
	s_cbranch_vccz .LBB38_1428
; %bb.1424:
	s_cmp_eq_u32 s19, 44
	s_mov_b32 s0, -1
	s_cbranch_scc0 .LBB38_1428
; %bb.1425:
	s_wait_xcnt 0x0
	v_bfe_i32 v0, v5, 0, 16
	v_mov_b32_e32 v1, 0xff
	s_mov_b32 s20, exec_lo
	s_delay_alu instid0(VALU_DEP_2) | instskip(NEXT) | instid1(VALU_DEP_1)
	v_cvt_f32_i32_e32 v0, v0
	v_bfe_u32 v4, v0, 23, 8
	s_delay_alu instid0(VALU_DEP_1)
	v_cmpx_ne_u32_e32 0xff, v4
	s_cbranch_execz .LBB38_1427
; %bb.1426:
	v_and_b32_e32 v1, 0x400000, v0
	v_and_or_b32 v4, 0x3fffff, v0, v4
	v_lshrrev_b32_e32 v0, 23, v0
	s_delay_alu instid0(VALU_DEP_3) | instskip(NEXT) | instid1(VALU_DEP_3)
	v_cmp_ne_u32_e32 vcc_lo, 0, v1
	v_cmp_ne_u32_e64 s0, 0, v4
	s_and_b32 s0, vcc_lo, s0
	s_delay_alu instid0(SALU_CYCLE_1) | instskip(NEXT) | instid1(VALU_DEP_1)
	v_cndmask_b32_e64 v1, 0, 1, s0
	v_add_nc_u32_e32 v1, v0, v1
.LBB38_1427:
	s_or_b32 exec_lo, exec_lo, s20
	s_mov_b32 s0, 0
	global_store_b8 v[2:3], v1, off
.LBB38_1428:
	s_mov_b32 s20, 0
.LBB38_1429:
	s_delay_alu instid0(SALU_CYCLE_1)
	s_and_b32 vcc_lo, exec_lo, s20
	s_cbranch_vccz .LBB38_1432
; %bb.1430:
	s_cmp_eq_u32 s19, 29
	s_mov_b32 s0, -1
	s_cbranch_scc0 .LBB38_1432
; %bb.1431:
	s_wait_xcnt 0x0
	v_bfe_i32 v0, v5, 0, 16
	s_mov_b32 s0, 0
	s_mov_b32 s20, 0
	s_delay_alu instid0(VALU_DEP_1)
	v_ashrrev_i32_e32 v1, 31, v0
	global_store_b64 v[2:3], v[0:1], off
	s_branch .LBB38_1433
.LBB38_1432:
	s_mov_b32 s20, 0
.LBB38_1433:
	s_delay_alu instid0(SALU_CYCLE_1)
	s_and_b32 vcc_lo, exec_lo, s20
	s_cbranch_vccz .LBB38_1448
; %bb.1434:
	s_cmp_lt_i32 s19, 27
	s_mov_b32 s20, -1
	s_cbranch_scc1 .LBB38_1440
; %bb.1435:
	s_cmp_gt_i32 s19, 27
	s_cbranch_scc0 .LBB38_1437
; %bb.1436:
	s_wait_xcnt 0x0
	v_bfe_i32 v0, v5, 0, 16
	s_mov_b32 s20, 0
	global_store_b32 v[2:3], v0, off
.LBB38_1437:
	s_and_not1_b32 vcc_lo, exec_lo, s20
	s_cbranch_vccnz .LBB38_1439
; %bb.1438:
	global_store_b16 v[2:3], v5, off
.LBB38_1439:
	s_mov_b32 s20, 0
.LBB38_1440:
	s_delay_alu instid0(SALU_CYCLE_1)
	s_and_not1_b32 vcc_lo, exec_lo, s20
	s_cbranch_vccnz .LBB38_1448
; %bb.1441:
	s_wait_xcnt 0x0
	v_bfe_i32 v0, v5, 0, 16
	v_mov_b32_e32 v4, 0x80
	s_mov_b32 s20, exec_lo
	s_delay_alu instid0(VALU_DEP_2) | instskip(NEXT) | instid1(VALU_DEP_1)
	v_cvt_f32_i32_e32 v0, v0
	v_and_b32_e32 v1, 0x7fffffff, v0
	s_delay_alu instid0(VALU_DEP_1)
	v_cmpx_gt_u32_e32 0x43800000, v1
	s_cbranch_execz .LBB38_1447
; %bb.1442:
	v_cmp_lt_u32_e32 vcc_lo, 0x3bffffff, v1
	s_mov_b32 s21, 0
                                        ; implicit-def: $vgpr1
	s_and_saveexec_b32 s22, vcc_lo
	s_delay_alu instid0(SALU_CYCLE_1)
	s_xor_b32 s22, exec_lo, s22
	s_cbranch_execz .LBB38_1545
; %bb.1443:
	v_bfe_u32 v1, v0, 20, 1
	s_mov_b32 s21, exec_lo
	s_delay_alu instid0(VALU_DEP_1) | instskip(NEXT) | instid1(VALU_DEP_1)
	v_add3_u32 v1, v0, v1, 0x487ffff
	v_lshrrev_b32_e32 v1, 20, v1
	s_and_not1_saveexec_b32 s22, s22
	s_cbranch_execnz .LBB38_1546
.LBB38_1444:
	s_or_b32 exec_lo, exec_lo, s22
	v_mov_b32_e32 v4, 0
	s_and_saveexec_b32 s22, s21
.LBB38_1445:
	v_lshrrev_b32_e32 v0, 24, v0
	s_delay_alu instid0(VALU_DEP_1)
	v_and_or_b32 v4, 0x80, v0, v1
.LBB38_1446:
	s_or_b32 exec_lo, exec_lo, s22
.LBB38_1447:
	s_delay_alu instid0(SALU_CYCLE_1)
	s_or_b32 exec_lo, exec_lo, s20
	global_store_b8 v[2:3], v4, off
.LBB38_1448:
	s_mov_b32 s20, 0
.LBB38_1449:
	s_delay_alu instid0(SALU_CYCLE_1)
	s_and_b32 vcc_lo, exec_lo, s20
	s_mov_b32 s20, 0
	s_cbranch_vccz .LBB38_1489
; %bb.1450:
	s_cmp_gt_i32 s19, 22
	s_mov_b32 s21, -1
	s_cbranch_scc0 .LBB38_1482
; %bb.1451:
	s_cmp_lt_i32 s19, 24
	s_cbranch_scc1 .LBB38_1471
; %bb.1452:
	s_cmp_gt_i32 s19, 24
	s_cbranch_scc0 .LBB38_1460
; %bb.1453:
	s_wait_xcnt 0x0
	v_bfe_i32 v0, v5, 0, 16
	v_mov_b32_e32 v4, 0x80
	s_mov_b32 s21, exec_lo
	s_delay_alu instid0(VALU_DEP_2) | instskip(NEXT) | instid1(VALU_DEP_1)
	v_cvt_f32_i32_e32 v0, v0
	v_and_b32_e32 v1, 0x7fffffff, v0
	s_delay_alu instid0(VALU_DEP_1)
	v_cmpx_gt_u32_e32 0x47800000, v1
	s_cbranch_execz .LBB38_1459
; %bb.1454:
	v_cmp_lt_u32_e32 vcc_lo, 0x37ffffff, v1
	s_mov_b32 s22, 0
                                        ; implicit-def: $vgpr1
	s_and_saveexec_b32 s23, vcc_lo
	s_delay_alu instid0(SALU_CYCLE_1)
	s_xor_b32 s23, exec_lo, s23
	s_cbranch_execz .LBB38_1666
; %bb.1455:
	v_bfe_u32 v1, v0, 21, 1
	s_mov_b32 s22, exec_lo
	s_delay_alu instid0(VALU_DEP_1) | instskip(NEXT) | instid1(VALU_DEP_1)
	v_add3_u32 v1, v0, v1, 0x88fffff
	v_lshrrev_b32_e32 v1, 21, v1
	s_and_not1_saveexec_b32 s23, s23
	s_cbranch_execnz .LBB38_1667
.LBB38_1456:
	s_or_b32 exec_lo, exec_lo, s23
	v_mov_b32_e32 v4, 0
	s_and_saveexec_b32 s23, s22
.LBB38_1457:
	v_lshrrev_b32_e32 v0, 24, v0
	s_delay_alu instid0(VALU_DEP_1)
	v_and_or_b32 v4, 0x80, v0, v1
.LBB38_1458:
	s_or_b32 exec_lo, exec_lo, s23
.LBB38_1459:
	s_delay_alu instid0(SALU_CYCLE_1)
	s_or_b32 exec_lo, exec_lo, s21
	s_mov_b32 s21, 0
	global_store_b8 v[2:3], v4, off
.LBB38_1460:
	s_and_b32 vcc_lo, exec_lo, s21
	s_cbranch_vccz .LBB38_1470
; %bb.1461:
	s_wait_xcnt 0x0
	v_bfe_i32 v0, v5, 0, 16
	s_mov_b32 s21, exec_lo
                                        ; implicit-def: $vgpr1
	s_delay_alu instid0(VALU_DEP_1) | instskip(NEXT) | instid1(VALU_DEP_1)
	v_cvt_f32_i32_e32 v0, v0
	v_and_b32_e32 v4, 0x7fffffff, v0
	s_delay_alu instid0(VALU_DEP_1)
	v_cmpx_gt_u32_e32 0x43f00000, v4
	s_xor_b32 s21, exec_lo, s21
	s_cbranch_execz .LBB38_1467
; %bb.1462:
	s_mov_b32 s22, exec_lo
                                        ; implicit-def: $vgpr1
	v_cmpx_lt_u32_e32 0x3c7fffff, v4
	s_xor_b32 s22, exec_lo, s22
; %bb.1463:
	v_bfe_u32 v1, v0, 20, 1
	s_delay_alu instid0(VALU_DEP_1) | instskip(NEXT) | instid1(VALU_DEP_1)
	v_add3_u32 v1, v0, v1, 0x407ffff
	v_and_b32_e32 v4, 0xff00000, v1
	v_lshrrev_b32_e32 v1, 20, v1
	s_delay_alu instid0(VALU_DEP_2) | instskip(NEXT) | instid1(VALU_DEP_2)
	v_cmp_ne_u32_e32 vcc_lo, 0x7f00000, v4
	v_cndmask_b32_e32 v1, 0x7e, v1, vcc_lo
; %bb.1464:
	s_and_not1_saveexec_b32 s22, s22
; %bb.1465:
	v_add_f32_e64 v1, 0x46800000, |v0|
; %bb.1466:
	s_or_b32 exec_lo, exec_lo, s22
                                        ; implicit-def: $vgpr4
.LBB38_1467:
	s_and_not1_saveexec_b32 s21, s21
; %bb.1468:
	v_mov_b32_e32 v1, 0x7f
	v_cmp_lt_u32_e32 vcc_lo, 0x7f800000, v4
	s_delay_alu instid0(VALU_DEP_2)
	v_cndmask_b32_e32 v1, 0x7e, v1, vcc_lo
; %bb.1469:
	s_or_b32 exec_lo, exec_lo, s21
	v_lshrrev_b32_e32 v0, 24, v0
	s_delay_alu instid0(VALU_DEP_1)
	v_and_or_b32 v0, 0x80, v0, v1
	global_store_b8 v[2:3], v0, off
.LBB38_1470:
	s_mov_b32 s21, 0
.LBB38_1471:
	s_delay_alu instid0(SALU_CYCLE_1)
	s_and_not1_b32 vcc_lo, exec_lo, s21
	s_cbranch_vccnz .LBB38_1481
; %bb.1472:
	s_wait_xcnt 0x0
	v_bfe_i32 v0, v5, 0, 16
	s_mov_b32 s21, exec_lo
                                        ; implicit-def: $vgpr1
	s_delay_alu instid0(VALU_DEP_1) | instskip(NEXT) | instid1(VALU_DEP_1)
	v_cvt_f32_i32_e32 v0, v0
	v_and_b32_e32 v4, 0x7fffffff, v0
	s_delay_alu instid0(VALU_DEP_1)
	v_cmpx_gt_u32_e32 0x47800000, v4
	s_xor_b32 s21, exec_lo, s21
	s_cbranch_execz .LBB38_1478
; %bb.1473:
	s_mov_b32 s22, exec_lo
                                        ; implicit-def: $vgpr1
	v_cmpx_lt_u32_e32 0x387fffff, v4
	s_xor_b32 s22, exec_lo, s22
; %bb.1474:
	v_bfe_u32 v1, v0, 21, 1
	s_delay_alu instid0(VALU_DEP_1) | instskip(NEXT) | instid1(VALU_DEP_1)
	v_add3_u32 v1, v0, v1, 0x80fffff
	v_lshrrev_b32_e32 v1, 21, v1
; %bb.1475:
	s_and_not1_saveexec_b32 s22, s22
; %bb.1476:
	v_add_f32_e64 v1, 0x43000000, |v0|
; %bb.1477:
	s_or_b32 exec_lo, exec_lo, s22
                                        ; implicit-def: $vgpr4
.LBB38_1478:
	s_and_not1_saveexec_b32 s21, s21
; %bb.1479:
	v_mov_b32_e32 v1, 0x7f
	v_cmp_lt_u32_e32 vcc_lo, 0x7f800000, v4
	s_delay_alu instid0(VALU_DEP_2)
	v_cndmask_b32_e32 v1, 0x7c, v1, vcc_lo
; %bb.1480:
	s_or_b32 exec_lo, exec_lo, s21
	v_lshrrev_b32_e32 v0, 24, v0
	s_delay_alu instid0(VALU_DEP_1)
	v_and_or_b32 v0, 0x80, v0, v1
	global_store_b8 v[2:3], v0, off
.LBB38_1481:
	s_mov_b32 s21, 0
.LBB38_1482:
	s_delay_alu instid0(SALU_CYCLE_1)
	s_and_not1_b32 vcc_lo, exec_lo, s21
	s_mov_b32 s21, 0
	s_cbranch_vccnz .LBB38_1490
; %bb.1483:
	s_cmp_gt_i32 s19, 14
	s_mov_b32 s21, -1
	s_cbranch_scc0 .LBB38_1487
; %bb.1484:
	s_cmp_eq_u32 s19, 15
	s_mov_b32 s0, -1
	s_cbranch_scc0 .LBB38_1486
; %bb.1485:
	s_wait_xcnt 0x0
	v_bfe_i32 v0, v5, 0, 16
	s_mov_b32 s0, 0
	s_delay_alu instid0(VALU_DEP_1) | instskip(NEXT) | instid1(VALU_DEP_1)
	v_cvt_f32_i32_e32 v0, v0
	v_bfe_u32 v1, v0, 16, 1
	s_delay_alu instid0(VALU_DEP_1)
	v_add3_u32 v0, v0, v1, 0x7fff
	global_store_d16_hi_b16 v[2:3], v0, off
.LBB38_1486:
	s_mov_b32 s21, 0
.LBB38_1487:
	s_delay_alu instid0(SALU_CYCLE_1)
	s_and_b32 vcc_lo, exec_lo, s21
	s_mov_b32 s21, 0
	s_cbranch_vccz .LBB38_1490
; %bb.1488:
	s_cmp_lg_u32 s19, 11
	s_mov_b32 s21, -1
	s_cselect_b32 s19, -1, 0
	s_and_not1_b32 s0, s0, exec_lo
	s_and_b32 s19, s19, exec_lo
	s_delay_alu instid0(SALU_CYCLE_1)
	s_or_b32 s0, s0, s19
	s_branch .LBB38_1490
.LBB38_1489:
	s_mov_b32 s21, 0
.LBB38_1490:
	s_and_not1_b32 s15, s15, exec_lo
	s_and_b32 s19, s0, exec_lo
	s_and_b32 s20, s20, exec_lo
	;; [unrolled: 1-line block ×3, first 2 shown]
	s_or_b32 s15, s15, s19
	s_wait_xcnt 0x0
	s_or_b32 exec_lo, exec_lo, s18
	s_and_saveexec_b32 s18, s15
	s_cbranch_execz .LBB38_1419
.LBB38_1491:
	s_or_b32 s16, s16, exec_lo
	s_and_not1_b32 s0, s0, exec_lo
	s_trap 2
	s_or_b32 exec_lo, exec_lo, s18
	s_and_saveexec_b32 s15, s0
	s_delay_alu instid0(SALU_CYCLE_1)
	s_xor_b32 s0, exec_lo, s15
	s_cbranch_execnz .LBB38_1420
.LBB38_1492:
	s_or_b32 exec_lo, exec_lo, s0
	s_and_saveexec_b32 s0, s20
	s_delay_alu instid0(SALU_CYCLE_1)
	s_xor_b32 s0, exec_lo, s0
	s_cbranch_execz .LBB38_1530
.LBB38_1493:
	s_sext_i32_i16 s18, s17
	s_mov_b32 s15, -1
	s_cmp_lt_i32 s18, 5
	s_cbranch_scc1 .LBB38_1514
; %bb.1494:
	s_cmp_lt_i32 s18, 8
	s_cbranch_scc1 .LBB38_1504
; %bb.1495:
	;; [unrolled: 3-line block ×3, first 2 shown]
	s_wait_loadcnt 0x0
	v_bfe_i32 v0, v5, 0, 16
	s_cmp_gt_i32 s18, 9
	s_cbranch_scc0 .LBB38_1498
; %bb.1497:
	s_delay_alu instid0(VALU_DEP_1) | instskip(SKIP_2) | instid1(VALU_DEP_1)
	v_cvt_f64_i32_e32 v[6:7], v0
	v_mov_b32_e32 v8, 0
	s_mov_b32 s15, 0
	v_mov_b32_e32 v9, v8
	global_store_b128 v[2:3], v[6:9], off
.LBB38_1498:
	s_and_not1_b32 vcc_lo, exec_lo, s15
	s_cbranch_vccnz .LBB38_1500
; %bb.1499:
	v_cvt_f32_i32_e32 v0, v0
	v_mov_b32_e32 v1, 0
	global_store_b64 v[2:3], v[0:1], off
.LBB38_1500:
	s_mov_b32 s15, 0
.LBB38_1501:
	s_delay_alu instid0(SALU_CYCLE_1)
	s_and_not1_b32 vcc_lo, exec_lo, s15
	s_cbranch_vccnz .LBB38_1503
; %bb.1502:
	s_wait_loadcnt 0x0
	v_cvt_f16_i16_e32 v0, v5
	s_delay_alu instid0(VALU_DEP_1)
	v_and_b32_e32 v0, 0xffff, v0
	global_store_b32 v[2:3], v0, off
.LBB38_1503:
	s_mov_b32 s15, 0
.LBB38_1504:
	s_delay_alu instid0(SALU_CYCLE_1)
	s_and_not1_b32 vcc_lo, exec_lo, s15
	s_cbranch_vccnz .LBB38_1513
; %bb.1505:
	s_sext_i32_i16 s18, s17
	s_mov_b32 s15, -1
	s_cmp_lt_i32 s18, 6
	s_cbranch_scc1 .LBB38_1511
; %bb.1506:
	s_wait_loadcnt 0x0
	v_bfe_i32 v0, v5, 0, 16
	s_cmp_gt_i32 s18, 6
	s_cbranch_scc0 .LBB38_1508
; %bb.1507:
	s_delay_alu instid0(VALU_DEP_1)
	v_cvt_f64_i32_e32 v[6:7], v0
	s_mov_b32 s15, 0
	global_store_b64 v[2:3], v[6:7], off
.LBB38_1508:
	s_and_not1_b32 vcc_lo, exec_lo, s15
	s_cbranch_vccnz .LBB38_1510
; %bb.1509:
	v_cvt_f32_i32_e32 v0, v0
	global_store_b32 v[2:3], v0, off
.LBB38_1510:
	s_mov_b32 s15, 0
.LBB38_1511:
	s_delay_alu instid0(SALU_CYCLE_1)
	s_and_not1_b32 vcc_lo, exec_lo, s15
	s_cbranch_vccnz .LBB38_1513
; %bb.1512:
	s_wait_loadcnt 0x0
	v_cvt_f16_i16_e32 v0, v5
	global_store_b16 v[2:3], v0, off
.LBB38_1513:
	s_mov_b32 s15, 0
.LBB38_1514:
	s_delay_alu instid0(SALU_CYCLE_1)
	s_and_not1_b32 vcc_lo, exec_lo, s15
	s_cbranch_vccnz .LBB38_1530
; %bb.1515:
	s_sext_i32_i16 s18, s17
	s_mov_b32 s15, -1
	s_cmp_lt_i32 s18, 2
	s_cbranch_scc1 .LBB38_1525
; %bb.1516:
	s_cmp_lt_i32 s18, 3
	s_cbranch_scc1 .LBB38_1522
; %bb.1517:
	s_wait_loadcnt 0x0
	v_bfe_i32 v0, v5, 0, 16
	s_cmp_gt_i32 s18, 3
	s_cbranch_scc0 .LBB38_1519
; %bb.1518:
	s_delay_alu instid0(VALU_DEP_1)
	v_ashrrev_i32_e32 v1, 31, v0
	s_mov_b32 s15, 0
	global_store_b64 v[2:3], v[0:1], off
.LBB38_1519:
	s_and_not1_b32 vcc_lo, exec_lo, s15
	s_cbranch_vccnz .LBB38_1521
; %bb.1520:
	global_store_b32 v[2:3], v0, off
.LBB38_1521:
	s_mov_b32 s15, 0
.LBB38_1522:
	s_delay_alu instid0(SALU_CYCLE_1)
	s_and_not1_b32 vcc_lo, exec_lo, s15
	s_cbranch_vccnz .LBB38_1524
; %bb.1523:
	s_wait_loadcnt 0x0
	global_store_b16 v[2:3], v5, off
.LBB38_1524:
	s_mov_b32 s15, 0
.LBB38_1525:
	s_delay_alu instid0(SALU_CYCLE_1)
	s_and_not1_b32 vcc_lo, exec_lo, s15
	s_cbranch_vccnz .LBB38_1530
; %bb.1526:
	s_sext_i32_i16 s15, s17
	s_delay_alu instid0(SALU_CYCLE_1)
	s_cmp_gt_i32 s15, 0
	s_mov_b32 s15, -1
	s_cbranch_scc0 .LBB38_1528
; %bb.1527:
	s_mov_b32 s15, 0
	s_wait_loadcnt 0x0
	global_store_b8 v[2:3], v5, off
.LBB38_1528:
	s_and_not1_b32 vcc_lo, exec_lo, s15
	s_cbranch_vccnz .LBB38_1530
; %bb.1529:
	s_wait_loadcnt 0x0
	global_store_b8 v[2:3], v5, off
.LBB38_1530:
	s_wait_xcnt 0x0
	s_or_b32 exec_lo, exec_lo, s0
	s_delay_alu instid0(SALU_CYCLE_1)
	s_and_b32 s15, s16, exec_lo
                                        ; implicit-def: $vgpr10
.LBB38_1531:
	s_or_saveexec_b32 s14, s14
	s_mov_b32 s0, 0
                                        ; implicit-def: $sgpr16
                                        ; implicit-def: $vgpr0_vgpr1
                                        ; implicit-def: $vgpr7
	s_xor_b32 exec_lo, exec_lo, s14
	s_cbranch_execz .LBB38_2637
; %bb.1532:
	s_wait_loadcnt 0x0
	v_mul_lo_u32 v0, s9, v10
	s_and_b32 s0, s13, 0xff
	s_delay_alu instid0(SALU_CYCLE_1) | instskip(NEXT) | instid1(VALU_DEP_1)
	s_cmp_lt_i32 s0, 11
	v_ashrrev_i32_e32 v1, 31, v0
	s_delay_alu instid0(VALU_DEP_1)
	v_add_nc_u64_e32 v[2:3], s[6:7], v[0:1]
	s_cbranch_scc1 .LBB38_1539
; %bb.1533:
	s_and_b32 s12, 0xffff, s0
	s_mov_b32 s16, 0
	s_cmp_gt_i32 s12, 25
	s_cbranch_scc0 .LBB38_1541
; %bb.1534:
	s_cmp_gt_i32 s12, 28
	s_cbranch_scc0 .LBB38_1542
; %bb.1535:
	;; [unrolled: 3-line block ×4, first 2 shown]
	s_cmp_eq_u32 s12, 46
	s_mov_b32 s18, 0
	s_cbranch_scc0 .LBB38_1547
; %bb.1538:
	global_load_b32 v1, v[2:3], off
	s_mov_b32 s13, 0
	s_mov_b32 s17, -1
	s_wait_loadcnt 0x0
	v_lshlrev_b32_e32 v1, 16, v1
	s_delay_alu instid0(VALU_DEP_1)
	v_cvt_i32_f32_e32 v4, v1
	s_branch .LBB38_1549
.LBB38_1539:
	s_mov_b32 s17, 0
	s_mov_b32 s12, s15
                                        ; implicit-def: $vgpr4
	s_cbranch_execnz .LBB38_1607
.LBB38_1540:
	s_and_not1_b32 vcc_lo, exec_lo, s17
	s_cbranch_vccz .LBB38_1652
	s_branch .LBB38_2635
.LBB38_1541:
	s_mov_b32 s17, 0
	s_mov_b32 s13, 0
                                        ; implicit-def: $vgpr4
	s_cbranch_execnz .LBB38_1574
	s_branch .LBB38_1603
.LBB38_1542:
	s_mov_b32 s17, 0
	s_mov_b32 s13, 0
                                        ; implicit-def: $vgpr4
	s_cbranch_execz .LBB38_1573
	s_branch .LBB38_1558
.LBB38_1543:
	s_mov_b32 s17, 0
	s_mov_b32 s13, 0
                                        ; implicit-def: $vgpr4
	s_cbranch_execnz .LBB38_1554
	s_branch .LBB38_1557
.LBB38_1544:
	s_mov_b32 s18, -1
	s_mov_b32 s17, 0
	s_mov_b32 s13, 0
	s_branch .LBB38_1548
.LBB38_1545:
	s_and_not1_saveexec_b32 s22, s22
	s_cbranch_execz .LBB38_1444
.LBB38_1546:
	v_add_f32_e64 v1, 0x46000000, |v0|
	s_and_not1_b32 s21, s21, exec_lo
	s_delay_alu instid0(VALU_DEP_1) | instskip(NEXT) | instid1(VALU_DEP_1)
	v_and_b32_e32 v1, 0xff, v1
	v_cmp_ne_u32_e32 vcc_lo, 0, v1
	s_and_b32 s23, vcc_lo, exec_lo
	s_delay_alu instid0(SALU_CYCLE_1)
	s_or_b32 s21, s21, s23
	s_or_b32 exec_lo, exec_lo, s22
	v_mov_b32_e32 v4, 0
	s_and_saveexec_b32 s22, s21
	s_cbranch_execnz .LBB38_1445
	s_branch .LBB38_1446
.LBB38_1547:
	s_mov_b32 s13, -1
	s_mov_b32 s17, 0
.LBB38_1548:
                                        ; implicit-def: $vgpr4
.LBB38_1549:
	s_and_b32 vcc_lo, exec_lo, s18
	s_cbranch_vccz .LBB38_1552
; %bb.1550:
	s_cmp_eq_u32 s12, 44
	s_cbranch_scc0 .LBB38_1553
; %bb.1551:
	global_load_u8 v1, v[2:3], off
	s_mov_b32 s13, 0
	s_mov_b32 s17, -1
	s_wait_loadcnt 0x0
	v_lshlrev_b32_e32 v4, 23, v1
	v_cmp_ne_u32_e32 vcc_lo, 0, v1
	s_delay_alu instid0(VALU_DEP_2) | instskip(NEXT) | instid1(VALU_DEP_1)
	v_cvt_i32_f32_e32 v4, v4
	v_cndmask_b32_e32 v4, 0, v4, vcc_lo
.LBB38_1552:
	s_branch .LBB38_1557
.LBB38_1553:
	s_mov_b32 s13, -1
                                        ; implicit-def: $vgpr4
	s_branch .LBB38_1557
.LBB38_1554:
	s_cmp_eq_u32 s12, 29
	s_cbranch_scc0 .LBB38_1556
; %bb.1555:
	global_load_b64 v[4:5], v[2:3], off
	s_mov_b32 s13, 0
	s_mov_b32 s17, -1
	s_branch .LBB38_1557
.LBB38_1556:
	s_mov_b32 s13, -1
                                        ; implicit-def: $vgpr4
.LBB38_1557:
	s_branch .LBB38_1573
.LBB38_1558:
	s_cmp_lt_i32 s12, 27
	s_cbranch_scc1 .LBB38_1561
; %bb.1559:
	s_cmp_gt_i32 s12, 27
	s_cbranch_scc0 .LBB38_1562
; %bb.1560:
	s_wait_loadcnt 0x0
	global_load_b32 v4, v[2:3], off
	s_mov_b32 s17, 0
	s_branch .LBB38_1563
.LBB38_1561:
	s_mov_b32 s17, -1
                                        ; implicit-def: $vgpr4
	s_branch .LBB38_1566
.LBB38_1562:
	s_mov_b32 s17, -1
                                        ; implicit-def: $vgpr4
.LBB38_1563:
	s_delay_alu instid0(SALU_CYCLE_1)
	s_and_not1_b32 vcc_lo, exec_lo, s17
	s_cbranch_vccnz .LBB38_1565
; %bb.1564:
	s_wait_loadcnt 0x0
	global_load_u16 v4, v[2:3], off
.LBB38_1565:
	s_mov_b32 s17, 0
.LBB38_1566:
	s_delay_alu instid0(SALU_CYCLE_1)
	s_and_not1_b32 vcc_lo, exec_lo, s17
	s_cbranch_vccnz .LBB38_1572
; %bb.1567:
	global_load_u8 v1, v[2:3], off
	s_mov_b32 s18, 0
	s_mov_b32 s17, exec_lo
	s_wait_loadcnt 0x0
	v_cmpx_lt_i16_e32 0x7f, v1
	s_xor_b32 s17, exec_lo, s17
	s_cbranch_execz .LBB38_1583
; %bb.1568:
	v_cmp_ne_u16_e32 vcc_lo, 0x80, v1
	s_and_b32 s18, vcc_lo, exec_lo
	s_and_not1_saveexec_b32 s17, s17
	s_cbranch_execnz .LBB38_1584
.LBB38_1569:
	s_or_b32 exec_lo, exec_lo, s17
	v_mov_b32_e32 v4, 0
	s_and_saveexec_b32 s17, s18
	s_cbranch_execz .LBB38_1571
.LBB38_1570:
	v_and_b32_e32 v4, 0xffff, v1
	s_delay_alu instid0(VALU_DEP_1) | instskip(SKIP_1) | instid1(VALU_DEP_2)
	v_and_b32_e32 v5, 7, v4
	v_bfe_u32 v8, v4, 3, 4
	v_clz_i32_u32_e32 v6, v5
	s_delay_alu instid0(VALU_DEP_2) | instskip(NEXT) | instid1(VALU_DEP_2)
	v_cmp_eq_u32_e32 vcc_lo, 0, v8
	v_min_u32_e32 v6, 32, v6
	s_delay_alu instid0(VALU_DEP_1) | instskip(NEXT) | instid1(VALU_DEP_1)
	v_subrev_nc_u32_e32 v7, 28, v6
	v_dual_lshlrev_b32 v4, v7, v4 :: v_dual_sub_nc_u32 v6, 29, v6
	s_delay_alu instid0(VALU_DEP_1) | instskip(NEXT) | instid1(VALU_DEP_1)
	v_dual_lshlrev_b32 v1, 24, v1 :: v_dual_bitop2_b32 v4, 7, v4 bitop3:0x40
	v_dual_cndmask_b32 v6, v8, v6, vcc_lo :: v_dual_cndmask_b32 v4, v5, v4, vcc_lo
	s_delay_alu instid0(VALU_DEP_2) | instskip(NEXT) | instid1(VALU_DEP_2)
	v_and_b32_e32 v1, 0x80000000, v1
	v_lshl_add_u32 v5, v6, 23, 0x3b800000
	s_delay_alu instid0(VALU_DEP_3) | instskip(NEXT) | instid1(VALU_DEP_1)
	v_lshlrev_b32_e32 v4, 20, v4
	v_or3_b32 v1, v1, v5, v4
	s_delay_alu instid0(VALU_DEP_1)
	v_cvt_i32_f32_e32 v4, v1
.LBB38_1571:
	s_or_b32 exec_lo, exec_lo, s17
.LBB38_1572:
	s_mov_b32 s17, -1
.LBB38_1573:
	s_branch .LBB38_1603
.LBB38_1574:
	s_cmp_gt_i32 s12, 22
	s_cbranch_scc0 .LBB38_1582
; %bb.1575:
	s_cmp_lt_i32 s12, 24
	s_cbranch_scc1 .LBB38_1585
; %bb.1576:
	s_cmp_gt_i32 s12, 24
	s_cbranch_scc0 .LBB38_1586
; %bb.1577:
	global_load_u8 v1, v[2:3], off
	s_mov_b32 s17, 0
	s_mov_b32 s16, exec_lo
	s_wait_loadcnt 0x0
	v_cmpx_lt_i16_e32 0x7f, v1
	s_xor_b32 s16, exec_lo, s16
	s_cbranch_execz .LBB38_1597
; %bb.1578:
	v_cmp_ne_u16_e32 vcc_lo, 0x80, v1
	s_and_b32 s17, vcc_lo, exec_lo
	s_and_not1_saveexec_b32 s16, s16
	s_cbranch_execnz .LBB38_1598
.LBB38_1579:
	s_or_b32 exec_lo, exec_lo, s16
	v_mov_b32_e32 v4, 0
	s_and_saveexec_b32 s16, s17
	s_cbranch_execz .LBB38_1581
.LBB38_1580:
	v_and_b32_e32 v4, 0xffff, v1
	s_delay_alu instid0(VALU_DEP_1) | instskip(SKIP_1) | instid1(VALU_DEP_2)
	v_and_b32_e32 v5, 3, v4
	v_bfe_u32 v8, v4, 2, 5
	v_clz_i32_u32_e32 v6, v5
	s_delay_alu instid0(VALU_DEP_2) | instskip(NEXT) | instid1(VALU_DEP_2)
	v_cmp_eq_u32_e32 vcc_lo, 0, v8
	v_min_u32_e32 v6, 32, v6
	s_delay_alu instid0(VALU_DEP_1) | instskip(NEXT) | instid1(VALU_DEP_1)
	v_subrev_nc_u32_e32 v7, 29, v6
	v_dual_lshlrev_b32 v4, v7, v4 :: v_dual_sub_nc_u32 v6, 30, v6
	s_delay_alu instid0(VALU_DEP_1) | instskip(NEXT) | instid1(VALU_DEP_1)
	v_dual_lshlrev_b32 v1, 24, v1 :: v_dual_bitop2_b32 v4, 3, v4 bitop3:0x40
	v_dual_cndmask_b32 v6, v8, v6, vcc_lo :: v_dual_cndmask_b32 v4, v5, v4, vcc_lo
	s_delay_alu instid0(VALU_DEP_2) | instskip(NEXT) | instid1(VALU_DEP_2)
	v_and_b32_e32 v1, 0x80000000, v1
	v_lshl_add_u32 v5, v6, 23, 0x37800000
	s_delay_alu instid0(VALU_DEP_3) | instskip(NEXT) | instid1(VALU_DEP_1)
	v_lshlrev_b32_e32 v4, 21, v4
	v_or3_b32 v1, v1, v5, v4
	s_delay_alu instid0(VALU_DEP_1)
	v_cvt_i32_f32_e32 v4, v1
.LBB38_1581:
	s_or_b32 exec_lo, exec_lo, s16
	s_mov_b32 s16, 0
	s_branch .LBB38_1587
.LBB38_1582:
                                        ; implicit-def: $vgpr4
	s_mov_b32 s16, 0
	s_branch .LBB38_1593
.LBB38_1583:
	s_and_not1_saveexec_b32 s17, s17
	s_cbranch_execz .LBB38_1569
.LBB38_1584:
	v_cmp_ne_u16_e32 vcc_lo, 0, v1
	s_and_not1_b32 s18, s18, exec_lo
	s_and_b32 s19, vcc_lo, exec_lo
	s_delay_alu instid0(SALU_CYCLE_1)
	s_or_b32 s18, s18, s19
	s_or_b32 exec_lo, exec_lo, s17
	v_mov_b32_e32 v4, 0
	s_and_saveexec_b32 s17, s18
	s_cbranch_execnz .LBB38_1570
	s_branch .LBB38_1571
.LBB38_1585:
	s_mov_b32 s16, -1
                                        ; implicit-def: $vgpr4
	s_branch .LBB38_1590
.LBB38_1586:
	s_mov_b32 s16, -1
                                        ; implicit-def: $vgpr4
.LBB38_1587:
	s_delay_alu instid0(SALU_CYCLE_1)
	s_and_b32 vcc_lo, exec_lo, s16
	s_cbranch_vccz .LBB38_1589
; %bb.1588:
	global_load_u8 v1, v[2:3], off
	s_wait_loadcnt 0x0
	v_lshlrev_b32_e32 v1, 24, v1
	s_delay_alu instid0(VALU_DEP_1) | instskip(NEXT) | instid1(VALU_DEP_1)
	v_and_b32_e32 v4, 0x7f000000, v1
	v_clz_i32_u32_e32 v5, v4
	v_cmp_ne_u32_e32 vcc_lo, 0, v4
	v_add_nc_u32_e32 v7, 0x1000000, v4
	s_delay_alu instid0(VALU_DEP_3) | instskip(NEXT) | instid1(VALU_DEP_1)
	v_min_u32_e32 v5, 32, v5
	v_sub_nc_u32_e64 v5, v5, 4 clamp
	s_delay_alu instid0(VALU_DEP_1) | instskip(NEXT) | instid1(VALU_DEP_1)
	v_dual_lshlrev_b32 v6, v5, v4 :: v_dual_lshlrev_b32 v5, 23, v5
	v_lshrrev_b32_e32 v6, 4, v6
	s_delay_alu instid0(VALU_DEP_1) | instskip(NEXT) | instid1(VALU_DEP_1)
	v_dual_sub_nc_u32 v5, v6, v5 :: v_dual_ashrrev_i32 v6, 8, v7
	v_add_nc_u32_e32 v5, 0x3c000000, v5
	s_delay_alu instid0(VALU_DEP_1) | instskip(NEXT) | instid1(VALU_DEP_1)
	v_and_or_b32 v5, 0x7f800000, v6, v5
	v_cndmask_b32_e32 v4, 0, v5, vcc_lo
	s_delay_alu instid0(VALU_DEP_1) | instskip(NEXT) | instid1(VALU_DEP_1)
	v_and_or_b32 v1, 0x80000000, v1, v4
	v_cvt_i32_f32_e32 v4, v1
.LBB38_1589:
	s_mov_b32 s16, 0
.LBB38_1590:
	s_delay_alu instid0(SALU_CYCLE_1)
	s_and_not1_b32 vcc_lo, exec_lo, s16
	s_cbranch_vccnz .LBB38_1592
; %bb.1591:
	global_load_u8 v1, v[2:3], off
	s_wait_loadcnt 0x0
	v_lshlrev_b32_e32 v4, 25, v1
	v_lshlrev_b16 v1, 8, v1
	s_delay_alu instid0(VALU_DEP_1) | instskip(SKIP_1) | instid1(VALU_DEP_2)
	v_and_or_b32 v6, 0x7f00, v1, 0.5
	v_bfe_i32 v1, v1, 0, 16
	v_dual_add_f32 v6, -0.5, v6 :: v_dual_lshrrev_b32 v5, 4, v4
	v_cmp_gt_u32_e32 vcc_lo, 0x8000000, v4
	s_delay_alu instid0(VALU_DEP_2) | instskip(NEXT) | instid1(VALU_DEP_1)
	v_or_b32_e32 v5, 0x70000000, v5
	v_mul_f32_e32 v5, 0x7800000, v5
	s_delay_alu instid0(VALU_DEP_1) | instskip(NEXT) | instid1(VALU_DEP_1)
	v_cndmask_b32_e32 v4, v5, v6, vcc_lo
	v_and_or_b32 v1, 0x80000000, v1, v4
	s_delay_alu instid0(VALU_DEP_1)
	v_cvt_i32_f32_e32 v4, v1
.LBB38_1592:
	s_mov_b32 s17, -1
	s_mov_b32 s16, 0
	s_cbranch_execnz .LBB38_1603
.LBB38_1593:
	s_cmp_gt_i32 s12, 14
	s_cbranch_scc0 .LBB38_1596
; %bb.1594:
	s_cmp_eq_u32 s12, 15
	s_cbranch_scc0 .LBB38_1599
; %bb.1595:
	global_load_u16 v1, v[2:3], off
	s_mov_b32 s13, 0
	s_mov_b32 s17, -1
	s_wait_loadcnt 0x0
	v_lshlrev_b32_e32 v1, 16, v1
	s_delay_alu instid0(VALU_DEP_1)
	v_cvt_i32_f32_e32 v4, v1
	s_branch .LBB38_1601
.LBB38_1596:
	s_mov_b32 s16, -1
	s_branch .LBB38_1600
.LBB38_1597:
	s_and_not1_saveexec_b32 s16, s16
	s_cbranch_execz .LBB38_1579
.LBB38_1598:
	v_cmp_ne_u16_e32 vcc_lo, 0, v1
	s_and_not1_b32 s17, s17, exec_lo
	s_and_b32 s18, vcc_lo, exec_lo
	s_delay_alu instid0(SALU_CYCLE_1)
	s_or_b32 s17, s17, s18
	s_or_b32 exec_lo, exec_lo, s16
	v_mov_b32_e32 v4, 0
	s_and_saveexec_b32 s16, s17
	s_cbranch_execnz .LBB38_1580
	s_branch .LBB38_1581
.LBB38_1599:
	s_mov_b32 s13, -1
.LBB38_1600:
                                        ; implicit-def: $vgpr4
.LBB38_1601:
	s_and_b32 vcc_lo, exec_lo, s16
	s_mov_b32 s16, 0
	s_cbranch_vccz .LBB38_1603
; %bb.1602:
	s_cmp_lg_u32 s12, 11
	s_mov_b32 s16, -1
	s_cselect_b32 s13, -1, 0
.LBB38_1603:
	s_delay_alu instid0(SALU_CYCLE_1)
	s_and_b32 vcc_lo, exec_lo, s13
	s_mov_b32 s12, s15
	s_cbranch_vccnz .LBB38_1664
; %bb.1604:
	s_and_not1_b32 vcc_lo, exec_lo, s16
	s_cbranch_vccnz .LBB38_1606
.LBB38_1605:
	global_load_u8 v1, v[2:3], off
	s_mov_b32 s17, -1
	s_wait_loadcnt 0x0
	v_cmp_ne_u16_e32 vcc_lo, 0, v1
	v_cndmask_b32_e64 v4, 0, 1, vcc_lo
.LBB38_1606:
	s_branch .LBB38_1540
.LBB38_1607:
	s_and_b32 s13, 0xffff, s0
	s_delay_alu instid0(SALU_CYCLE_1)
	s_cmp_lt_i32 s13, 5
	s_cbranch_scc1 .LBB38_1612
; %bb.1608:
	s_cmp_lt_i32 s13, 8
	s_cbranch_scc1 .LBB38_1613
; %bb.1609:
	;; [unrolled: 3-line block ×3, first 2 shown]
	s_cmp_gt_i32 s13, 9
	s_cbranch_scc0 .LBB38_1615
; %bb.1611:
	s_wait_loadcnt 0x0
	global_load_b64 v[4:5], v[2:3], off
	s_mov_b32 s16, 0
	s_wait_loadcnt 0x0
	v_cvt_i32_f64_e32 v4, v[4:5]
	s_branch .LBB38_1616
.LBB38_1612:
                                        ; implicit-def: $vgpr4
	s_branch .LBB38_1633
.LBB38_1613:
                                        ; implicit-def: $vgpr4
	s_branch .LBB38_1622
.LBB38_1614:
	s_mov_b32 s16, -1
                                        ; implicit-def: $vgpr4
	s_branch .LBB38_1619
.LBB38_1615:
	s_mov_b32 s16, -1
                                        ; implicit-def: $vgpr4
.LBB38_1616:
	s_delay_alu instid0(SALU_CYCLE_1)
	s_and_not1_b32 vcc_lo, exec_lo, s16
	s_cbranch_vccnz .LBB38_1618
; %bb.1617:
	global_load_b32 v1, v[2:3], off
	s_wait_loadcnt 0x0
	v_cvt_i32_f32_e32 v4, v1
.LBB38_1618:
	s_mov_b32 s16, 0
.LBB38_1619:
	s_delay_alu instid0(SALU_CYCLE_1)
	s_and_not1_b32 vcc_lo, exec_lo, s16
	s_cbranch_vccnz .LBB38_1621
; %bb.1620:
	global_load_b32 v1, v[2:3], off
	s_wait_loadcnt 0x0
	v_cvt_i16_f16_e32 v4, v1
.LBB38_1621:
	s_cbranch_execnz .LBB38_1632
.LBB38_1622:
	s_cmp_lt_i32 s13, 6
	s_cbranch_scc1 .LBB38_1625
; %bb.1623:
	s_cmp_gt_i32 s13, 6
	s_cbranch_scc0 .LBB38_1626
; %bb.1624:
	s_wait_loadcnt 0x0
	global_load_b64 v[4:5], v[2:3], off
	s_mov_b32 s16, 0
	s_wait_loadcnt 0x0
	v_cvt_i32_f64_e32 v4, v[4:5]
	s_branch .LBB38_1627
.LBB38_1625:
	s_mov_b32 s16, -1
                                        ; implicit-def: $vgpr4
	s_branch .LBB38_1630
.LBB38_1626:
	s_mov_b32 s16, -1
                                        ; implicit-def: $vgpr4
.LBB38_1627:
	s_delay_alu instid0(SALU_CYCLE_1)
	s_and_not1_b32 vcc_lo, exec_lo, s16
	s_cbranch_vccnz .LBB38_1629
; %bb.1628:
	global_load_b32 v1, v[2:3], off
	s_wait_loadcnt 0x0
	v_cvt_i32_f32_e32 v4, v1
.LBB38_1629:
	s_mov_b32 s16, 0
.LBB38_1630:
	s_delay_alu instid0(SALU_CYCLE_1)
	s_and_not1_b32 vcc_lo, exec_lo, s16
	s_cbranch_vccnz .LBB38_1632
; %bb.1631:
	global_load_u16 v1, v[2:3], off
	s_wait_loadcnt 0x0
	v_cvt_i16_f16_e32 v4, v1
.LBB38_1632:
	s_cbranch_execnz .LBB38_1651
.LBB38_1633:
	s_cmp_lt_i32 s13, 2
	s_cbranch_scc1 .LBB38_1637
; %bb.1634:
	s_cmp_lt_i32 s13, 3
	s_cbranch_scc1 .LBB38_1638
; %bb.1635:
	s_cmp_gt_i32 s13, 3
	s_cbranch_scc0 .LBB38_1639
; %bb.1636:
	s_wait_loadcnt 0x0
	global_load_b64 v[4:5], v[2:3], off
	s_mov_b32 s16, 0
	s_branch .LBB38_1640
.LBB38_1637:
                                        ; implicit-def: $vgpr4
	s_branch .LBB38_1646
.LBB38_1638:
	s_mov_b32 s16, -1
                                        ; implicit-def: $vgpr4
	s_branch .LBB38_1643
.LBB38_1639:
	s_mov_b32 s16, -1
                                        ; implicit-def: $vgpr4
.LBB38_1640:
	s_delay_alu instid0(SALU_CYCLE_1)
	s_and_not1_b32 vcc_lo, exec_lo, s16
	s_cbranch_vccnz .LBB38_1642
; %bb.1641:
	s_wait_loadcnt 0x0
	global_load_b32 v4, v[2:3], off
.LBB38_1642:
	s_mov_b32 s16, 0
.LBB38_1643:
	s_delay_alu instid0(SALU_CYCLE_1)
	s_and_not1_b32 vcc_lo, exec_lo, s16
	s_cbranch_vccnz .LBB38_1645
; %bb.1644:
	s_wait_loadcnt 0x0
	global_load_u16 v4, v[2:3], off
.LBB38_1645:
	s_cbranch_execnz .LBB38_1651
.LBB38_1646:
	s_cmp_gt_i32 s13, 0
	s_mov_b32 s13, 0
	s_cbranch_scc0 .LBB38_1648
; %bb.1647:
	s_wait_loadcnt 0x0
	global_load_i8 v4, v[2:3], off
	s_branch .LBB38_1649
.LBB38_1648:
	s_mov_b32 s13, -1
                                        ; implicit-def: $vgpr4
.LBB38_1649:
	s_delay_alu instid0(SALU_CYCLE_1)
	s_and_not1_b32 vcc_lo, exec_lo, s13
	s_cbranch_vccnz .LBB38_1651
; %bb.1650:
	s_wait_loadcnt 0x0
	global_load_u8 v4, v[2:3], off
.LBB38_1651:
.LBB38_1652:
	s_wait_xcnt 0x0
	v_mul_lo_u32 v2, s10, v10
	s_and_b32 s1, s1, 0xff
	s_delay_alu instid0(SALU_CYCLE_1) | instskip(NEXT) | instid1(VALU_DEP_1)
	s_cmp_lt_i32 s1, 11
	v_ashrrev_i32_e32 v3, 31, v2
	s_delay_alu instid0(VALU_DEP_1)
	v_add_nc_u64_e32 v[6:7], s[2:3], v[2:3]
	s_cbranch_scc1 .LBB38_1659
; %bb.1653:
	s_and_b32 s13, 0xffff, s1
	s_mov_b32 s17, 0
	s_cmp_gt_i32 s13, 25
	s_cbranch_scc0 .LBB38_1661
; %bb.1654:
	s_cmp_gt_i32 s13, 28
	s_cbranch_scc0 .LBB38_1662
; %bb.1655:
	;; [unrolled: 3-line block ×4, first 2 shown]
	s_cmp_eq_u32 s13, 46
	s_mov_b32 s19, 0
	s_cbranch_scc0 .LBB38_1668
; %bb.1658:
	global_load_b32 v1, v[6:7], off
	s_mov_b32 s16, 0
	s_mov_b32 s18, -1
	s_wait_loadcnt 0x0
	v_lshlrev_b32_e32 v1, 16, v1
	s_delay_alu instid0(VALU_DEP_1)
	v_cvt_i32_f32_e32 v8, v1
	s_branch .LBB38_1670
.LBB38_1659:
	s_mov_b32 s18, 0
                                        ; implicit-def: $vgpr8
	s_cbranch_execnz .LBB38_1731
.LBB38_1660:
	s_and_not1_b32 vcc_lo, exec_lo, s18
	s_cbranch_vccnz .LBB38_2635
	s_branch .LBB38_1778
.LBB38_1661:
	s_mov_b32 s18, 0
	s_mov_b32 s16, 0
                                        ; implicit-def: $vgpr8
	s_cbranch_execnz .LBB38_1697
	s_branch .LBB38_1727
.LBB38_1662:
	s_mov_b32 s19, -1
	s_mov_b32 s18, 0
	s_mov_b32 s16, 0
                                        ; implicit-def: $vgpr8
	s_branch .LBB38_1680
.LBB38_1663:
	s_mov_b32 s19, -1
	s_mov_b32 s18, 0
	s_mov_b32 s16, 0
                                        ; implicit-def: $vgpr8
	s_branch .LBB38_1675
.LBB38_1664:
	s_or_b32 s12, s15, exec_lo
	s_trap 2
	s_cbranch_execz .LBB38_1605
	s_branch .LBB38_1606
.LBB38_1665:
	s_mov_b32 s19, -1
	s_mov_b32 s18, 0
	s_mov_b32 s16, 0
	s_branch .LBB38_1669
.LBB38_1666:
	s_and_not1_saveexec_b32 s23, s23
	s_cbranch_execz .LBB38_1456
.LBB38_1667:
	v_add_f32_e64 v1, 0x42800000, |v0|
	s_and_not1_b32 s22, s22, exec_lo
	s_delay_alu instid0(VALU_DEP_1) | instskip(NEXT) | instid1(VALU_DEP_1)
	v_and_b32_e32 v1, 0xff, v1
	v_cmp_ne_u32_e32 vcc_lo, 0, v1
	s_and_b32 s24, vcc_lo, exec_lo
	s_delay_alu instid0(SALU_CYCLE_1)
	s_or_b32 s22, s22, s24
	s_or_b32 exec_lo, exec_lo, s23
	v_mov_b32_e32 v4, 0
	s_and_saveexec_b32 s23, s22
	s_cbranch_execnz .LBB38_1457
	s_branch .LBB38_1458
.LBB38_1668:
	s_mov_b32 s16, -1
	s_mov_b32 s18, 0
.LBB38_1669:
                                        ; implicit-def: $vgpr8
.LBB38_1670:
	s_and_b32 vcc_lo, exec_lo, s19
	s_cbranch_vccz .LBB38_1674
; %bb.1671:
	s_cmp_eq_u32 s13, 44
	s_cbranch_scc0 .LBB38_1673
; %bb.1672:
	global_load_u8 v1, v[6:7], off
	s_mov_b32 s16, 0
	s_mov_b32 s18, -1
	s_wait_loadcnt 0x0
	v_lshlrev_b32_e32 v3, 23, v1
	v_cmp_ne_u32_e32 vcc_lo, 0, v1
	s_delay_alu instid0(VALU_DEP_2) | instskip(NEXT) | instid1(VALU_DEP_1)
	v_cvt_i32_f32_e32 v3, v3
	v_cndmask_b32_e32 v8, 0, v3, vcc_lo
	s_branch .LBB38_1674
.LBB38_1673:
	s_mov_b32 s16, -1
                                        ; implicit-def: $vgpr8
.LBB38_1674:
	s_mov_b32 s19, 0
.LBB38_1675:
	s_delay_alu instid0(SALU_CYCLE_1)
	s_and_b32 vcc_lo, exec_lo, s19
	s_cbranch_vccz .LBB38_1679
; %bb.1676:
	s_cmp_eq_u32 s13, 29
	s_cbranch_scc0 .LBB38_1678
; %bb.1677:
	global_load_b64 v[8:9], v[6:7], off
	s_mov_b32 s16, 0
	s_mov_b32 s18, -1
	s_branch .LBB38_1679
.LBB38_1678:
	s_mov_b32 s16, -1
                                        ; implicit-def: $vgpr8
.LBB38_1679:
	s_mov_b32 s19, 0
.LBB38_1680:
	s_delay_alu instid0(SALU_CYCLE_1)
	s_and_b32 vcc_lo, exec_lo, s19
	s_cbranch_vccz .LBB38_1696
; %bb.1681:
	s_cmp_lt_i32 s13, 27
	s_cbranch_scc1 .LBB38_1684
; %bb.1682:
	s_cmp_gt_i32 s13, 27
	s_cbranch_scc0 .LBB38_1685
; %bb.1683:
	s_wait_loadcnt 0x0
	global_load_b32 v8, v[6:7], off
	s_mov_b32 s18, 0
	s_branch .LBB38_1686
.LBB38_1684:
	s_mov_b32 s18, -1
                                        ; implicit-def: $vgpr8
	s_branch .LBB38_1689
.LBB38_1685:
	s_mov_b32 s18, -1
                                        ; implicit-def: $vgpr8
.LBB38_1686:
	s_delay_alu instid0(SALU_CYCLE_1)
	s_and_not1_b32 vcc_lo, exec_lo, s18
	s_cbranch_vccnz .LBB38_1688
; %bb.1687:
	s_wait_loadcnt 0x0
	global_load_u16 v8, v[6:7], off
.LBB38_1688:
	s_mov_b32 s18, 0
.LBB38_1689:
	s_delay_alu instid0(SALU_CYCLE_1)
	s_and_not1_b32 vcc_lo, exec_lo, s18
	s_cbranch_vccnz .LBB38_1695
; %bb.1690:
	global_load_u8 v1, v[6:7], off
	s_mov_b32 s19, 0
	s_mov_b32 s18, exec_lo
	s_wait_loadcnt 0x0
	v_cmpx_lt_i16_e32 0x7f, v1
	s_xor_b32 s18, exec_lo, s18
	s_cbranch_execz .LBB38_1706
; %bb.1691:
	v_cmp_ne_u16_e32 vcc_lo, 0x80, v1
	s_and_b32 s19, vcc_lo, exec_lo
	s_and_not1_saveexec_b32 s18, s18
	s_cbranch_execnz .LBB38_1707
.LBB38_1692:
	s_or_b32 exec_lo, exec_lo, s18
	v_mov_b32_e32 v8, 0
	s_and_saveexec_b32 s18, s19
	s_cbranch_execz .LBB38_1694
.LBB38_1693:
	v_and_b32_e32 v3, 0xffff, v1
	s_delay_alu instid0(VALU_DEP_1) | instskip(SKIP_1) | instid1(VALU_DEP_2)
	v_and_b32_e32 v5, 7, v3
	v_bfe_u32 v11, v3, 3, 4
	v_clz_i32_u32_e32 v8, v5
	s_delay_alu instid0(VALU_DEP_2) | instskip(NEXT) | instid1(VALU_DEP_2)
	v_cmp_eq_u32_e32 vcc_lo, 0, v11
	v_min_u32_e32 v8, 32, v8
	s_delay_alu instid0(VALU_DEP_1) | instskip(NEXT) | instid1(VALU_DEP_1)
	v_subrev_nc_u32_e32 v9, 28, v8
	v_dual_lshlrev_b32 v3, v9, v3 :: v_dual_sub_nc_u32 v8, 29, v8
	s_delay_alu instid0(VALU_DEP_1) | instskip(NEXT) | instid1(VALU_DEP_1)
	v_dual_lshlrev_b32 v1, 24, v1 :: v_dual_bitop2_b32 v3, 7, v3 bitop3:0x40
	v_dual_cndmask_b32 v8, v11, v8 :: v_dual_cndmask_b32 v3, v5, v3
	s_delay_alu instid0(VALU_DEP_2) | instskip(NEXT) | instid1(VALU_DEP_2)
	v_and_b32_e32 v1, 0x80000000, v1
	v_lshl_add_u32 v5, v8, 23, 0x3b800000
	s_delay_alu instid0(VALU_DEP_3) | instskip(NEXT) | instid1(VALU_DEP_1)
	v_lshlrev_b32_e32 v3, 20, v3
	v_or3_b32 v1, v1, v5, v3
	s_delay_alu instid0(VALU_DEP_1)
	v_cvt_i32_f32_e32 v8, v1
.LBB38_1694:
	s_or_b32 exec_lo, exec_lo, s18
.LBB38_1695:
	s_mov_b32 s18, -1
.LBB38_1696:
	s_branch .LBB38_1727
.LBB38_1697:
	s_cmp_gt_i32 s13, 22
	s_cbranch_scc0 .LBB38_1705
; %bb.1698:
	s_cmp_lt_i32 s13, 24
	s_cbranch_scc1 .LBB38_1708
; %bb.1699:
	s_cmp_gt_i32 s13, 24
	s_cbranch_scc0 .LBB38_1709
; %bb.1700:
	global_load_u8 v1, v[6:7], off
	s_mov_b32 s18, 0
	s_mov_b32 s17, exec_lo
	s_wait_loadcnt 0x0
	v_cmpx_lt_i16_e32 0x7f, v1
	s_xor_b32 s17, exec_lo, s17
	s_cbranch_execz .LBB38_1721
; %bb.1701:
	v_cmp_ne_u16_e32 vcc_lo, 0x80, v1
	s_and_b32 s18, vcc_lo, exec_lo
	s_and_not1_saveexec_b32 s17, s17
	s_cbranch_execnz .LBB38_1722
.LBB38_1702:
	s_or_b32 exec_lo, exec_lo, s17
	v_mov_b32_e32 v8, 0
	s_and_saveexec_b32 s17, s18
	s_cbranch_execz .LBB38_1704
.LBB38_1703:
	v_and_b32_e32 v3, 0xffff, v1
	s_delay_alu instid0(VALU_DEP_1) | instskip(SKIP_1) | instid1(VALU_DEP_2)
	v_and_b32_e32 v5, 3, v3
	v_bfe_u32 v11, v3, 2, 5
	v_clz_i32_u32_e32 v8, v5
	s_delay_alu instid0(VALU_DEP_2) | instskip(NEXT) | instid1(VALU_DEP_2)
	v_cmp_eq_u32_e32 vcc_lo, 0, v11
	v_min_u32_e32 v8, 32, v8
	s_delay_alu instid0(VALU_DEP_1) | instskip(NEXT) | instid1(VALU_DEP_1)
	v_subrev_nc_u32_e32 v9, 29, v8
	v_dual_lshlrev_b32 v3, v9, v3 :: v_dual_sub_nc_u32 v8, 30, v8
	s_delay_alu instid0(VALU_DEP_1) | instskip(NEXT) | instid1(VALU_DEP_1)
	v_dual_lshlrev_b32 v1, 24, v1 :: v_dual_bitop2_b32 v3, 3, v3 bitop3:0x40
	v_dual_cndmask_b32 v8, v11, v8 :: v_dual_cndmask_b32 v3, v5, v3
	s_delay_alu instid0(VALU_DEP_2) | instskip(NEXT) | instid1(VALU_DEP_2)
	v_and_b32_e32 v1, 0x80000000, v1
	v_lshl_add_u32 v5, v8, 23, 0x37800000
	s_delay_alu instid0(VALU_DEP_3) | instskip(NEXT) | instid1(VALU_DEP_1)
	v_lshlrev_b32_e32 v3, 21, v3
	v_or3_b32 v1, v1, v5, v3
	s_delay_alu instid0(VALU_DEP_1)
	v_cvt_i32_f32_e32 v8, v1
.LBB38_1704:
	s_or_b32 exec_lo, exec_lo, s17
	s_mov_b32 s17, 0
	s_branch .LBB38_1710
.LBB38_1705:
	s_mov_b32 s17, -1
                                        ; implicit-def: $vgpr8
	s_branch .LBB38_1716
.LBB38_1706:
	s_and_not1_saveexec_b32 s18, s18
	s_cbranch_execz .LBB38_1692
.LBB38_1707:
	v_cmp_ne_u16_e32 vcc_lo, 0, v1
	s_and_not1_b32 s19, s19, exec_lo
	s_and_b32 s20, vcc_lo, exec_lo
	s_delay_alu instid0(SALU_CYCLE_1)
	s_or_b32 s19, s19, s20
	s_or_b32 exec_lo, exec_lo, s18
	v_mov_b32_e32 v8, 0
	s_and_saveexec_b32 s18, s19
	s_cbranch_execnz .LBB38_1693
	s_branch .LBB38_1694
.LBB38_1708:
	s_mov_b32 s17, -1
                                        ; implicit-def: $vgpr8
	s_branch .LBB38_1713
.LBB38_1709:
	s_mov_b32 s17, -1
                                        ; implicit-def: $vgpr8
.LBB38_1710:
	s_delay_alu instid0(SALU_CYCLE_1)
	s_and_b32 vcc_lo, exec_lo, s17
	s_cbranch_vccz .LBB38_1712
; %bb.1711:
	global_load_u8 v1, v[6:7], off
	s_wait_loadcnt 0x0
	v_lshlrev_b32_e32 v1, 24, v1
	s_delay_alu instid0(VALU_DEP_1) | instskip(NEXT) | instid1(VALU_DEP_1)
	v_and_b32_e32 v3, 0x7f000000, v1
	v_clz_i32_u32_e32 v5, v3
	v_add_nc_u32_e32 v9, 0x1000000, v3
	v_cmp_ne_u32_e32 vcc_lo, 0, v3
	s_delay_alu instid0(VALU_DEP_3) | instskip(NEXT) | instid1(VALU_DEP_1)
	v_min_u32_e32 v5, 32, v5
	v_sub_nc_u32_e64 v5, v5, 4 clamp
	s_delay_alu instid0(VALU_DEP_1) | instskip(NEXT) | instid1(VALU_DEP_1)
	v_dual_lshlrev_b32 v8, v5, v3 :: v_dual_lshlrev_b32 v5, 23, v5
	v_lshrrev_b32_e32 v8, 4, v8
	s_delay_alu instid0(VALU_DEP_1) | instskip(SKIP_1) | instid1(VALU_DEP_2)
	v_sub_nc_u32_e32 v5, v8, v5
	v_ashrrev_i32_e32 v8, 8, v9
	v_add_nc_u32_e32 v5, 0x3c000000, v5
	s_delay_alu instid0(VALU_DEP_1) | instskip(NEXT) | instid1(VALU_DEP_1)
	v_and_or_b32 v5, 0x7f800000, v8, v5
	v_cndmask_b32_e32 v3, 0, v5, vcc_lo
	s_delay_alu instid0(VALU_DEP_1) | instskip(NEXT) | instid1(VALU_DEP_1)
	v_and_or_b32 v1, 0x80000000, v1, v3
	v_cvt_i32_f32_e32 v8, v1
.LBB38_1712:
	s_mov_b32 s17, 0
.LBB38_1713:
	s_delay_alu instid0(SALU_CYCLE_1)
	s_and_not1_b32 vcc_lo, exec_lo, s17
	s_cbranch_vccnz .LBB38_1715
; %bb.1714:
	global_load_u8 v1, v[6:7], off
	s_wait_loadcnt 0x0
	v_lshlrev_b32_e32 v3, 25, v1
	v_lshlrev_b16 v1, 8, v1
	s_delay_alu instid0(VALU_DEP_1) | instskip(SKIP_1) | instid1(VALU_DEP_2)
	v_and_or_b32 v8, 0x7f00, v1, 0.5
	v_bfe_i32 v1, v1, 0, 16
	v_dual_add_f32 v8, -0.5, v8 :: v_dual_lshrrev_b32 v5, 4, v3
	v_cmp_gt_u32_e32 vcc_lo, 0x8000000, v3
	s_delay_alu instid0(VALU_DEP_2) | instskip(NEXT) | instid1(VALU_DEP_1)
	v_or_b32_e32 v5, 0x70000000, v5
	v_mul_f32_e32 v5, 0x7800000, v5
	s_delay_alu instid0(VALU_DEP_1) | instskip(NEXT) | instid1(VALU_DEP_1)
	v_cndmask_b32_e32 v3, v5, v8, vcc_lo
	v_and_or_b32 v1, 0x80000000, v1, v3
	s_delay_alu instid0(VALU_DEP_1)
	v_cvt_i32_f32_e32 v8, v1
.LBB38_1715:
	s_mov_b32 s17, 0
	s_mov_b32 s18, -1
.LBB38_1716:
	s_and_not1_b32 vcc_lo, exec_lo, s17
	s_mov_b32 s17, 0
	s_cbranch_vccnz .LBB38_1727
; %bb.1717:
	s_cmp_gt_i32 s13, 14
	s_cbranch_scc0 .LBB38_1720
; %bb.1718:
	s_cmp_eq_u32 s13, 15
	s_cbranch_scc0 .LBB38_1723
; %bb.1719:
	global_load_u16 v1, v[6:7], off
	s_mov_b32 s16, 0
	s_mov_b32 s18, -1
	s_wait_loadcnt 0x0
	v_lshlrev_b32_e32 v1, 16, v1
	s_delay_alu instid0(VALU_DEP_1)
	v_cvt_i32_f32_e32 v8, v1
	s_branch .LBB38_1725
.LBB38_1720:
	s_mov_b32 s17, -1
	s_branch .LBB38_1724
.LBB38_1721:
	s_and_not1_saveexec_b32 s17, s17
	s_cbranch_execz .LBB38_1702
.LBB38_1722:
	v_cmp_ne_u16_e32 vcc_lo, 0, v1
	s_and_not1_b32 s18, s18, exec_lo
	s_and_b32 s19, vcc_lo, exec_lo
	s_delay_alu instid0(SALU_CYCLE_1)
	s_or_b32 s18, s18, s19
	s_or_b32 exec_lo, exec_lo, s17
	v_mov_b32_e32 v8, 0
	s_and_saveexec_b32 s17, s18
	s_cbranch_execnz .LBB38_1703
	s_branch .LBB38_1704
.LBB38_1723:
	s_mov_b32 s16, -1
.LBB38_1724:
                                        ; implicit-def: $vgpr8
.LBB38_1725:
	s_and_b32 vcc_lo, exec_lo, s17
	s_mov_b32 s17, 0
	s_cbranch_vccz .LBB38_1727
; %bb.1726:
	s_cmp_lg_u32 s13, 11
	s_mov_b32 s17, -1
	s_cselect_b32 s16, -1, 0
.LBB38_1727:
	s_delay_alu instid0(SALU_CYCLE_1)
	s_and_b32 vcc_lo, exec_lo, s16
	s_cbranch_vccnz .LBB38_1794
; %bb.1728:
	s_and_not1_b32 vcc_lo, exec_lo, s17
	s_cbranch_vccnz .LBB38_1730
.LBB38_1729:
	global_load_u8 v1, v[6:7], off
	s_mov_b32 s18, -1
	s_wait_loadcnt 0x0
	v_cmp_ne_u16_e32 vcc_lo, 0, v1
	v_cndmask_b32_e64 v8, 0, 1, vcc_lo
.LBB38_1730:
	s_branch .LBB38_1660
.LBB38_1731:
	s_and_b32 s13, 0xffff, s1
	s_delay_alu instid0(SALU_CYCLE_1)
	s_cmp_lt_i32 s13, 5
	s_cbranch_scc1 .LBB38_1736
; %bb.1732:
	s_cmp_lt_i32 s13, 8
	s_cbranch_scc1 .LBB38_1737
; %bb.1733:
	;; [unrolled: 3-line block ×3, first 2 shown]
	s_cmp_gt_i32 s13, 9
	s_cbranch_scc0 .LBB38_1739
; %bb.1735:
	s_wait_loadcnt 0x0
	global_load_b64 v[8:9], v[6:7], off
	s_mov_b32 s16, 0
	s_wait_loadcnt 0x0
	v_cvt_i32_f64_e32 v8, v[8:9]
	s_branch .LBB38_1740
.LBB38_1736:
                                        ; implicit-def: $vgpr8
	s_branch .LBB38_1758
.LBB38_1737:
	s_mov_b32 s16, -1
                                        ; implicit-def: $vgpr8
	s_branch .LBB38_1746
.LBB38_1738:
	s_mov_b32 s16, -1
                                        ; implicit-def: $vgpr8
	s_branch .LBB38_1743
.LBB38_1739:
	s_mov_b32 s16, -1
                                        ; implicit-def: $vgpr8
.LBB38_1740:
	s_delay_alu instid0(SALU_CYCLE_1)
	s_and_not1_b32 vcc_lo, exec_lo, s16
	s_cbranch_vccnz .LBB38_1742
; %bb.1741:
	global_load_b32 v1, v[6:7], off
	s_wait_loadcnt 0x0
	v_cvt_i32_f32_e32 v8, v1
.LBB38_1742:
	s_mov_b32 s16, 0
.LBB38_1743:
	s_delay_alu instid0(SALU_CYCLE_1)
	s_and_not1_b32 vcc_lo, exec_lo, s16
	s_cbranch_vccnz .LBB38_1745
; %bb.1744:
	global_load_b32 v1, v[6:7], off
	s_wait_loadcnt 0x0
	v_cvt_i16_f16_e32 v8, v1
.LBB38_1745:
	s_mov_b32 s16, 0
.LBB38_1746:
	s_delay_alu instid0(SALU_CYCLE_1)
	s_and_not1_b32 vcc_lo, exec_lo, s16
	s_cbranch_vccnz .LBB38_1757
; %bb.1747:
	s_cmp_lt_i32 s13, 6
	s_cbranch_scc1 .LBB38_1750
; %bb.1748:
	s_cmp_gt_i32 s13, 6
	s_cbranch_scc0 .LBB38_1751
; %bb.1749:
	s_wait_loadcnt 0x0
	global_load_b64 v[8:9], v[6:7], off
	s_mov_b32 s16, 0
	s_wait_loadcnt 0x0
	v_cvt_i32_f64_e32 v8, v[8:9]
	s_branch .LBB38_1752
.LBB38_1750:
	s_mov_b32 s16, -1
                                        ; implicit-def: $vgpr8
	s_branch .LBB38_1755
.LBB38_1751:
	s_mov_b32 s16, -1
                                        ; implicit-def: $vgpr8
.LBB38_1752:
	s_delay_alu instid0(SALU_CYCLE_1)
	s_and_not1_b32 vcc_lo, exec_lo, s16
	s_cbranch_vccnz .LBB38_1754
; %bb.1753:
	global_load_b32 v1, v[6:7], off
	s_wait_loadcnt 0x0
	v_cvt_i32_f32_e32 v8, v1
.LBB38_1754:
	s_mov_b32 s16, 0
.LBB38_1755:
	s_delay_alu instid0(SALU_CYCLE_1)
	s_and_not1_b32 vcc_lo, exec_lo, s16
	s_cbranch_vccnz .LBB38_1757
; %bb.1756:
	global_load_u16 v1, v[6:7], off
	s_wait_loadcnt 0x0
	v_cvt_i16_f16_e32 v8, v1
.LBB38_1757:
	s_cbranch_execnz .LBB38_1777
.LBB38_1758:
	s_cmp_lt_i32 s13, 2
	s_cbranch_scc1 .LBB38_1762
; %bb.1759:
	s_cmp_lt_i32 s13, 3
	s_cbranch_scc1 .LBB38_1763
; %bb.1760:
	s_cmp_gt_i32 s13, 3
	s_cbranch_scc0 .LBB38_1764
; %bb.1761:
	s_wait_loadcnt 0x0
	global_load_b64 v[8:9], v[6:7], off
	s_mov_b32 s16, 0
	s_branch .LBB38_1765
.LBB38_1762:
	s_mov_b32 s16, -1
                                        ; implicit-def: $vgpr8
	s_branch .LBB38_1771
.LBB38_1763:
	s_mov_b32 s16, -1
                                        ; implicit-def: $vgpr8
	s_branch .LBB38_1768
.LBB38_1764:
	s_mov_b32 s16, -1
                                        ; implicit-def: $vgpr8
.LBB38_1765:
	s_delay_alu instid0(SALU_CYCLE_1)
	s_and_not1_b32 vcc_lo, exec_lo, s16
	s_cbranch_vccnz .LBB38_1767
; %bb.1766:
	s_wait_loadcnt 0x0
	global_load_b32 v8, v[6:7], off
.LBB38_1767:
	s_mov_b32 s16, 0
.LBB38_1768:
	s_delay_alu instid0(SALU_CYCLE_1)
	s_and_not1_b32 vcc_lo, exec_lo, s16
	s_cbranch_vccnz .LBB38_1770
; %bb.1769:
	s_wait_loadcnt 0x0
	global_load_u16 v8, v[6:7], off
.LBB38_1770:
	s_mov_b32 s16, 0
.LBB38_1771:
	s_delay_alu instid0(SALU_CYCLE_1)
	s_and_not1_b32 vcc_lo, exec_lo, s16
	s_cbranch_vccnz .LBB38_1777
; %bb.1772:
	s_cmp_gt_i32 s13, 0
	s_mov_b32 s13, 0
	s_cbranch_scc0 .LBB38_1774
; %bb.1773:
	s_wait_loadcnt 0x0
	global_load_i8 v8, v[6:7], off
	s_branch .LBB38_1775
.LBB38_1774:
	s_mov_b32 s13, -1
                                        ; implicit-def: $vgpr8
.LBB38_1775:
	s_delay_alu instid0(SALU_CYCLE_1)
	s_and_not1_b32 vcc_lo, exec_lo, s13
	s_cbranch_vccnz .LBB38_1777
; %bb.1776:
	s_wait_loadcnt 0x0
	global_load_u8 v8, v[6:7], off
.LBB38_1777:
.LBB38_1778:
	s_wait_loadcnt 0x0
	s_delay_alu instid0(VALU_DEP_1) | instskip(SKIP_2) | instid1(VALU_DEP_1)
	v_sub_nc_u16 v1, 0, v8
	s_mov_b32 s16, 0
	s_mov_b32 s13, exec_lo
	v_max_i16 v11, v8, v1
	s_wait_xcnt 0x0
	v_cmpx_ne_u16_e32 0, v4
	s_cbranch_execz .LBB38_1782
; %bb.1779:
	v_sub_nc_u16 v1, 0, v4
	s_delay_alu instid0(VALU_DEP_1) | instskip(SKIP_1) | instid1(VALU_DEP_2)
	v_max_i16 v3, v4, v1
	v_and_b32_e32 v1, 0xffff, v11
	v_and_b32_e32 v3, 0xffff, v3
.LBB38_1780:                            ; =>This Inner Loop Header: Depth=1
	s_delay_alu instid0(VALU_DEP_1) | instskip(NEXT) | instid1(VALU_DEP_2)
	v_bfe_i32 v5, v1, 0, 16
	v_mov_b32_e32 v11, v3
	s_delay_alu instid0(VALU_DEP_2) | instskip(NEXT) | instid1(VALU_DEP_2)
	v_cvt_f32_i32_e32 v7, v5
	v_bfe_i32 v3, v11, 0, 16
	s_delay_alu instid0(VALU_DEP_1) | instskip(SKIP_1) | instid1(VALU_DEP_2)
	v_cvt_f32_i32_e32 v4, v3
	v_xor_b32_e32 v3, v5, v3
	v_rcp_iflag_f32_e32 v6, v4
	v_nop
	s_delay_alu instid0(TRANS32_DEP_1) | instskip(NEXT) | instid1(VALU_DEP_1)
	v_dual_ashrrev_i32 v3, 30, v3 :: v_dual_mul_f32 v5, v7, v6
	v_trunc_f32_e32 v5, v5
	s_delay_alu instid0(VALU_DEP_1) | instskip(SKIP_1) | instid1(VALU_DEP_2)
	v_dual_fma_f32 v6, -v5, v4, v7 :: v_dual_bitop2_b32 v3, 1, v3 bitop3:0x54
	v_cvt_i32_f32_e32 v5, v5
	v_cmp_ge_f32_e64 vcc_lo, |v6|, |v4|
	s_delay_alu instid0(VALU_DEP_3) | instskip(NEXT) | instid1(VALU_DEP_1)
	v_cndmask_b32_e32 v3, 0, v3, vcc_lo
	v_add_nc_u32_e32 v3, v5, v3
	s_delay_alu instid0(VALU_DEP_1) | instskip(NEXT) | instid1(VALU_DEP_1)
	v_mul_lo_u32 v3, v3, v11
	v_sub_nc_u32_e32 v3, v1, v3
	s_delay_alu instid0(VALU_DEP_1) | instskip(SKIP_1) | instid1(VALU_DEP_2)
	v_and_b32_e32 v1, 0xffff, v3
	v_bfe_i32 v3, v3, 0, 16
	v_cmp_eq_u32_e32 vcc_lo, 0, v1
	v_mov_b32_e32 v1, v11
	s_or_b32 s16, vcc_lo, s16
	s_delay_alu instid0(SALU_CYCLE_1)
	s_and_not1_b32 exec_lo, exec_lo, s16
	s_cbranch_execnz .LBB38_1780
; %bb.1781:
	s_or_b32 exec_lo, exec_lo, s16
.LBB38_1782:
	s_delay_alu instid0(SALU_CYCLE_1) | instskip(SKIP_3) | instid1(VALU_DEP_1)
	s_or_b32 exec_lo, exec_lo, s13
	s_lshl_b32 s9, s9, 7
	s_cmp_lt_i32 s0, 11
	v_add_nc_u32_e32 v0, s9, v0
	v_ashrrev_i32_e32 v1, 31, v0
	s_delay_alu instid0(VALU_DEP_1)
	v_add_nc_u64_e32 v[6:7], s[6:7], v[0:1]
	s_cbranch_scc1 .LBB38_1789
; %bb.1783:
	s_and_b32 s13, 0xffff, s0
	s_mov_b32 s17, 0
	s_cmp_gt_i32 s13, 25
	s_cbranch_scc0 .LBB38_1791
; %bb.1784:
	s_cmp_gt_i32 s13, 28
	s_cbranch_scc0 .LBB38_1792
; %bb.1785:
	;; [unrolled: 3-line block ×4, first 2 shown]
	s_cmp_eq_u32 s13, 46
	s_mov_b32 s19, 0
	s_cbranch_scc0 .LBB38_1796
; %bb.1788:
	global_load_b32 v1, v[6:7], off
	s_mov_b32 s16, 0
	s_mov_b32 s18, -1
	s_wait_loadcnt 0x0
	v_lshlrev_b32_e32 v1, 16, v1
	s_delay_alu instid0(VALU_DEP_1)
	v_cvt_i32_f32_e32 v4, v1
	s_branch .LBB38_1798
.LBB38_1789:
	s_mov_b32 s18, 0
                                        ; implicit-def: $vgpr4
	s_cbranch_execnz .LBB38_1860
.LBB38_1790:
	s_and_not1_b32 vcc_lo, exec_lo, s18
	s_cbranch_vccnz .LBB38_2635
	s_branch .LBB38_1908
.LBB38_1791:
	s_mov_b32 s19, -1
	s_mov_b32 s18, 0
	s_mov_b32 s16, 0
                                        ; implicit-def: $vgpr4
	s_branch .LBB38_1825
.LBB38_1792:
	s_mov_b32 s19, -1
	s_mov_b32 s18, 0
	s_mov_b32 s16, 0
                                        ; implicit-def: $vgpr4
	s_branch .LBB38_1808
.LBB38_1793:
	s_mov_b32 s19, -1
	s_mov_b32 s18, 0
	s_mov_b32 s16, 0
                                        ; implicit-def: $vgpr4
	s_branch .LBB38_1803
.LBB38_1794:
	s_or_b32 s12, s12, exec_lo
	s_trap 2
	s_cbranch_execz .LBB38_1729
	s_branch .LBB38_1730
.LBB38_1795:
	s_mov_b32 s19, -1
	s_mov_b32 s18, 0
	s_mov_b32 s16, 0
	s_branch .LBB38_1797
.LBB38_1796:
	s_mov_b32 s16, -1
	s_mov_b32 s18, 0
.LBB38_1797:
                                        ; implicit-def: $vgpr4
.LBB38_1798:
	s_and_b32 vcc_lo, exec_lo, s19
	s_cbranch_vccz .LBB38_1802
; %bb.1799:
	s_cmp_eq_u32 s13, 44
	s_cbranch_scc0 .LBB38_1801
; %bb.1800:
	global_load_u8 v1, v[6:7], off
	s_mov_b32 s16, 0
	s_mov_b32 s18, -1
	s_wait_loadcnt 0x0
	v_lshlrev_b32_e32 v3, 23, v1
	v_cmp_ne_u32_e32 vcc_lo, 0, v1
	s_delay_alu instid0(VALU_DEP_2) | instskip(NEXT) | instid1(VALU_DEP_1)
	v_cvt_i32_f32_e32 v3, v3
	v_cndmask_b32_e32 v4, 0, v3, vcc_lo
	s_branch .LBB38_1802
.LBB38_1801:
	s_mov_b32 s16, -1
                                        ; implicit-def: $vgpr4
.LBB38_1802:
	s_mov_b32 s19, 0
.LBB38_1803:
	s_delay_alu instid0(SALU_CYCLE_1)
	s_and_b32 vcc_lo, exec_lo, s19
	s_cbranch_vccz .LBB38_1807
; %bb.1804:
	s_cmp_eq_u32 s13, 29
	s_cbranch_scc0 .LBB38_1806
; %bb.1805:
	global_load_b64 v[4:5], v[6:7], off
	s_mov_b32 s16, 0
	s_mov_b32 s18, -1
	s_branch .LBB38_1807
.LBB38_1806:
	s_mov_b32 s16, -1
                                        ; implicit-def: $vgpr4
.LBB38_1807:
	s_mov_b32 s19, 0
.LBB38_1808:
	s_delay_alu instid0(SALU_CYCLE_1)
	s_and_b32 vcc_lo, exec_lo, s19
	s_cbranch_vccz .LBB38_1824
; %bb.1809:
	s_cmp_lt_i32 s13, 27
	s_cbranch_scc1 .LBB38_1812
; %bb.1810:
	s_cmp_gt_i32 s13, 27
	s_cbranch_scc0 .LBB38_1813
; %bb.1811:
	s_wait_loadcnt 0x0
	global_load_b32 v4, v[6:7], off
	s_mov_b32 s18, 0
	s_branch .LBB38_1814
.LBB38_1812:
	s_mov_b32 s18, -1
                                        ; implicit-def: $vgpr4
	s_branch .LBB38_1817
.LBB38_1813:
	s_mov_b32 s18, -1
                                        ; implicit-def: $vgpr4
.LBB38_1814:
	s_delay_alu instid0(SALU_CYCLE_1)
	s_and_not1_b32 vcc_lo, exec_lo, s18
	s_cbranch_vccnz .LBB38_1816
; %bb.1815:
	s_wait_loadcnt 0x0
	global_load_u16 v4, v[6:7], off
.LBB38_1816:
	s_mov_b32 s18, 0
.LBB38_1817:
	s_delay_alu instid0(SALU_CYCLE_1)
	s_and_not1_b32 vcc_lo, exec_lo, s18
	s_cbranch_vccnz .LBB38_1823
; %bb.1818:
	global_load_u8 v1, v[6:7], off
	s_mov_b32 s19, 0
	s_mov_b32 s18, exec_lo
	s_wait_loadcnt 0x0
	v_cmpx_lt_i16_e32 0x7f, v1
	s_xor_b32 s18, exec_lo, s18
	s_cbranch_execz .LBB38_1835
; %bb.1819:
	v_cmp_ne_u16_e32 vcc_lo, 0x80, v1
	s_and_b32 s19, vcc_lo, exec_lo
	s_and_not1_saveexec_b32 s18, s18
	s_cbranch_execnz .LBB38_1836
.LBB38_1820:
	s_or_b32 exec_lo, exec_lo, s18
	v_mov_b32_e32 v4, 0
	s_and_saveexec_b32 s18, s19
	s_cbranch_execz .LBB38_1822
.LBB38_1821:
	v_and_b32_e32 v3, 0xffff, v1
	s_delay_alu instid0(VALU_DEP_1) | instskip(SKIP_1) | instid1(VALU_DEP_2)
	v_and_b32_e32 v4, 7, v3
	v_bfe_u32 v9, v3, 3, 4
	v_clz_i32_u32_e32 v5, v4
	s_delay_alu instid0(VALU_DEP_2) | instskip(NEXT) | instid1(VALU_DEP_2)
	v_cmp_eq_u32_e32 vcc_lo, 0, v9
	v_min_u32_e32 v5, 32, v5
	s_delay_alu instid0(VALU_DEP_1) | instskip(NEXT) | instid1(VALU_DEP_1)
	v_subrev_nc_u32_e32 v8, 28, v5
	v_dual_lshlrev_b32 v3, v8, v3 :: v_dual_sub_nc_u32 v5, 29, v5
	s_delay_alu instid0(VALU_DEP_1) | instskip(NEXT) | instid1(VALU_DEP_1)
	v_dual_lshlrev_b32 v1, 24, v1 :: v_dual_bitop2_b32 v3, 7, v3 bitop3:0x40
	v_dual_cndmask_b32 v3, v4, v3, vcc_lo :: v_dual_cndmask_b32 v5, v9, v5, vcc_lo
	s_delay_alu instid0(VALU_DEP_2) | instskip(NEXT) | instid1(VALU_DEP_2)
	v_and_b32_e32 v1, 0x80000000, v1
	v_lshlrev_b32_e32 v3, 20, v3
	s_delay_alu instid0(VALU_DEP_3) | instskip(NEXT) | instid1(VALU_DEP_1)
	v_lshl_add_u32 v4, v5, 23, 0x3b800000
	v_or3_b32 v1, v1, v4, v3
	s_delay_alu instid0(VALU_DEP_1)
	v_cvt_i32_f32_e32 v4, v1
.LBB38_1822:
	s_or_b32 exec_lo, exec_lo, s18
.LBB38_1823:
	s_mov_b32 s18, -1
.LBB38_1824:
	s_mov_b32 s19, 0
.LBB38_1825:
	s_delay_alu instid0(SALU_CYCLE_1)
	s_and_b32 vcc_lo, exec_lo, s19
	s_cbranch_vccz .LBB38_1856
; %bb.1826:
	s_cmp_gt_i32 s13, 22
	s_cbranch_scc0 .LBB38_1834
; %bb.1827:
	s_cmp_lt_i32 s13, 24
	s_cbranch_scc1 .LBB38_1837
; %bb.1828:
	s_cmp_gt_i32 s13, 24
	s_cbranch_scc0 .LBB38_1838
; %bb.1829:
	global_load_u8 v1, v[6:7], off
	s_mov_b32 s18, 0
	s_mov_b32 s17, exec_lo
	s_wait_loadcnt 0x0
	v_cmpx_lt_i16_e32 0x7f, v1
	s_xor_b32 s17, exec_lo, s17
	s_cbranch_execz .LBB38_1850
; %bb.1830:
	v_cmp_ne_u16_e32 vcc_lo, 0x80, v1
	s_and_b32 s18, vcc_lo, exec_lo
	s_and_not1_saveexec_b32 s17, s17
	s_cbranch_execnz .LBB38_1851
.LBB38_1831:
	s_or_b32 exec_lo, exec_lo, s17
	v_mov_b32_e32 v4, 0
	s_and_saveexec_b32 s17, s18
	s_cbranch_execz .LBB38_1833
.LBB38_1832:
	v_and_b32_e32 v3, 0xffff, v1
	s_delay_alu instid0(VALU_DEP_1) | instskip(SKIP_1) | instid1(VALU_DEP_2)
	v_and_b32_e32 v4, 3, v3
	v_bfe_u32 v9, v3, 2, 5
	v_clz_i32_u32_e32 v5, v4
	s_delay_alu instid0(VALU_DEP_2) | instskip(NEXT) | instid1(VALU_DEP_2)
	v_cmp_eq_u32_e32 vcc_lo, 0, v9
	v_min_u32_e32 v5, 32, v5
	s_delay_alu instid0(VALU_DEP_1) | instskip(NEXT) | instid1(VALU_DEP_1)
	v_subrev_nc_u32_e32 v8, 29, v5
	v_dual_lshlrev_b32 v3, v8, v3 :: v_dual_sub_nc_u32 v5, 30, v5
	s_delay_alu instid0(VALU_DEP_1) | instskip(NEXT) | instid1(VALU_DEP_1)
	v_dual_lshlrev_b32 v1, 24, v1 :: v_dual_bitop2_b32 v3, 3, v3 bitop3:0x40
	v_dual_cndmask_b32 v3, v4, v3, vcc_lo :: v_dual_cndmask_b32 v5, v9, v5, vcc_lo
	s_delay_alu instid0(VALU_DEP_2) | instskip(NEXT) | instid1(VALU_DEP_2)
	v_and_b32_e32 v1, 0x80000000, v1
	v_lshlrev_b32_e32 v3, 21, v3
	s_delay_alu instid0(VALU_DEP_3) | instskip(NEXT) | instid1(VALU_DEP_1)
	v_lshl_add_u32 v4, v5, 23, 0x37800000
	v_or3_b32 v1, v1, v4, v3
	s_delay_alu instid0(VALU_DEP_1)
	v_cvt_i32_f32_e32 v4, v1
.LBB38_1833:
	s_or_b32 exec_lo, exec_lo, s17
	s_mov_b32 s17, 0
	s_branch .LBB38_1839
.LBB38_1834:
	s_mov_b32 s17, -1
                                        ; implicit-def: $vgpr4
	s_branch .LBB38_1845
.LBB38_1835:
	s_and_not1_saveexec_b32 s18, s18
	s_cbranch_execz .LBB38_1820
.LBB38_1836:
	v_cmp_ne_u16_e32 vcc_lo, 0, v1
	s_and_not1_b32 s19, s19, exec_lo
	s_and_b32 s20, vcc_lo, exec_lo
	s_delay_alu instid0(SALU_CYCLE_1)
	s_or_b32 s19, s19, s20
	s_or_b32 exec_lo, exec_lo, s18
	v_mov_b32_e32 v4, 0
	s_and_saveexec_b32 s18, s19
	s_cbranch_execnz .LBB38_1821
	s_branch .LBB38_1822
.LBB38_1837:
	s_mov_b32 s17, -1
                                        ; implicit-def: $vgpr4
	s_branch .LBB38_1842
.LBB38_1838:
	s_mov_b32 s17, -1
                                        ; implicit-def: $vgpr4
.LBB38_1839:
	s_delay_alu instid0(SALU_CYCLE_1)
	s_and_b32 vcc_lo, exec_lo, s17
	s_cbranch_vccz .LBB38_1841
; %bb.1840:
	global_load_u8 v1, v[6:7], off
	s_wait_loadcnt 0x0
	v_lshlrev_b32_e32 v1, 24, v1
	s_delay_alu instid0(VALU_DEP_1) | instskip(NEXT) | instid1(VALU_DEP_1)
	v_and_b32_e32 v3, 0x7f000000, v1
	v_clz_i32_u32_e32 v4, v3
	v_cmp_ne_u32_e32 vcc_lo, 0, v3
	v_add_nc_u32_e32 v8, 0x1000000, v3
	s_delay_alu instid0(VALU_DEP_3) | instskip(NEXT) | instid1(VALU_DEP_1)
	v_min_u32_e32 v4, 32, v4
	v_sub_nc_u32_e64 v4, v4, 4 clamp
	s_delay_alu instid0(VALU_DEP_1) | instskip(NEXT) | instid1(VALU_DEP_1)
	v_dual_lshlrev_b32 v5, v4, v3 :: v_dual_lshlrev_b32 v4, 23, v4
	v_lshrrev_b32_e32 v5, 4, v5
	s_delay_alu instid0(VALU_DEP_1) | instskip(SKIP_1) | instid1(VALU_DEP_2)
	v_sub_nc_u32_e32 v4, v5, v4
	v_ashrrev_i32_e32 v5, 8, v8
	v_add_nc_u32_e32 v4, 0x3c000000, v4
	s_delay_alu instid0(VALU_DEP_1) | instskip(NEXT) | instid1(VALU_DEP_1)
	v_and_or_b32 v4, 0x7f800000, v5, v4
	v_cndmask_b32_e32 v3, 0, v4, vcc_lo
	s_delay_alu instid0(VALU_DEP_1) | instskip(NEXT) | instid1(VALU_DEP_1)
	v_and_or_b32 v1, 0x80000000, v1, v3
	v_cvt_i32_f32_e32 v4, v1
.LBB38_1841:
	s_mov_b32 s17, 0
.LBB38_1842:
	s_delay_alu instid0(SALU_CYCLE_1)
	s_and_not1_b32 vcc_lo, exec_lo, s17
	s_cbranch_vccnz .LBB38_1844
; %bb.1843:
	global_load_u8 v1, v[6:7], off
	s_wait_loadcnt 0x0
	v_lshlrev_b32_e32 v3, 25, v1
	v_lshlrev_b16 v1, 8, v1
	s_delay_alu instid0(VALU_DEP_1) | instskip(NEXT) | instid1(VALU_DEP_3)
	v_and_or_b32 v5, 0x7f00, v1, 0.5
	v_lshrrev_b32_e32 v4, 4, v3
	v_bfe_i32 v1, v1, 0, 16
	s_delay_alu instid0(VALU_DEP_3) | instskip(NEXT) | instid1(VALU_DEP_3)
	v_add_f32_e32 v5, -0.5, v5
	v_or_b32_e32 v4, 0x70000000, v4
	s_delay_alu instid0(VALU_DEP_1) | instskip(SKIP_1) | instid1(VALU_DEP_2)
	v_mul_f32_e32 v4, 0x7800000, v4
	v_cmp_gt_u32_e32 vcc_lo, 0x8000000, v3
	v_cndmask_b32_e32 v3, v4, v5, vcc_lo
	s_delay_alu instid0(VALU_DEP_1) | instskip(NEXT) | instid1(VALU_DEP_1)
	v_and_or_b32 v1, 0x80000000, v1, v3
	v_cvt_i32_f32_e32 v4, v1
.LBB38_1844:
	s_mov_b32 s17, 0
	s_mov_b32 s18, -1
.LBB38_1845:
	s_and_not1_b32 vcc_lo, exec_lo, s17
	s_mov_b32 s17, 0
	s_cbranch_vccnz .LBB38_1856
; %bb.1846:
	s_cmp_gt_i32 s13, 14
	s_cbranch_scc0 .LBB38_1849
; %bb.1847:
	s_cmp_eq_u32 s13, 15
	s_cbranch_scc0 .LBB38_1852
; %bb.1848:
	global_load_u16 v1, v[6:7], off
	s_mov_b32 s16, 0
	s_mov_b32 s18, -1
	s_wait_loadcnt 0x0
	v_lshlrev_b32_e32 v1, 16, v1
	s_delay_alu instid0(VALU_DEP_1)
	v_cvt_i32_f32_e32 v4, v1
	s_branch .LBB38_1854
.LBB38_1849:
	s_mov_b32 s17, -1
	s_branch .LBB38_1853
.LBB38_1850:
	s_and_not1_saveexec_b32 s17, s17
	s_cbranch_execz .LBB38_1831
.LBB38_1851:
	v_cmp_ne_u16_e32 vcc_lo, 0, v1
	s_and_not1_b32 s18, s18, exec_lo
	s_and_b32 s19, vcc_lo, exec_lo
	s_delay_alu instid0(SALU_CYCLE_1)
	s_or_b32 s18, s18, s19
	s_or_b32 exec_lo, exec_lo, s17
	v_mov_b32_e32 v4, 0
	s_and_saveexec_b32 s17, s18
	s_cbranch_execnz .LBB38_1832
	s_branch .LBB38_1833
.LBB38_1852:
	s_mov_b32 s16, -1
.LBB38_1853:
                                        ; implicit-def: $vgpr4
.LBB38_1854:
	s_and_b32 vcc_lo, exec_lo, s17
	s_mov_b32 s17, 0
	s_cbranch_vccz .LBB38_1856
; %bb.1855:
	s_cmp_lg_u32 s13, 11
	s_mov_b32 s17, -1
	s_cselect_b32 s16, -1, 0
.LBB38_1856:
	s_delay_alu instid0(SALU_CYCLE_1)
	s_and_b32 vcc_lo, exec_lo, s16
	s_cbranch_vccnz .LBB38_1919
; %bb.1857:
	s_and_not1_b32 vcc_lo, exec_lo, s17
	s_cbranch_vccnz .LBB38_1859
.LBB38_1858:
	global_load_u8 v1, v[6:7], off
	s_mov_b32 s18, -1
	s_wait_loadcnt 0x0
	v_cmp_ne_u16_e32 vcc_lo, 0, v1
	v_cndmask_b32_e64 v4, 0, 1, vcc_lo
.LBB38_1859:
	s_branch .LBB38_1790
.LBB38_1860:
	s_and_b32 s13, 0xffff, s0
	s_delay_alu instid0(SALU_CYCLE_1)
	s_cmp_lt_i32 s13, 5
	s_cbranch_scc1 .LBB38_1865
; %bb.1861:
	s_cmp_lt_i32 s13, 8
	s_cbranch_scc1 .LBB38_1866
; %bb.1862:
	;; [unrolled: 3-line block ×3, first 2 shown]
	s_cmp_gt_i32 s13, 9
	s_cbranch_scc0 .LBB38_1868
; %bb.1864:
	s_wait_loadcnt 0x0
	global_load_b64 v[4:5], v[6:7], off
	s_mov_b32 s16, 0
	s_wait_loadcnt 0x0
	v_cvt_i32_f64_e32 v4, v[4:5]
	s_branch .LBB38_1869
.LBB38_1865:
	s_mov_b32 s16, -1
                                        ; implicit-def: $vgpr4
	s_branch .LBB38_1887
.LBB38_1866:
	s_mov_b32 s16, -1
                                        ; implicit-def: $vgpr4
	s_branch .LBB38_1875
.LBB38_1867:
	s_mov_b32 s16, -1
                                        ; implicit-def: $vgpr4
	s_branch .LBB38_1872
.LBB38_1868:
	s_mov_b32 s16, -1
                                        ; implicit-def: $vgpr4
.LBB38_1869:
	s_delay_alu instid0(SALU_CYCLE_1)
	s_and_not1_b32 vcc_lo, exec_lo, s16
	s_cbranch_vccnz .LBB38_1871
; %bb.1870:
	global_load_b32 v1, v[6:7], off
	s_wait_loadcnt 0x0
	v_cvt_i32_f32_e32 v4, v1
.LBB38_1871:
	s_mov_b32 s16, 0
.LBB38_1872:
	s_delay_alu instid0(SALU_CYCLE_1)
	s_and_not1_b32 vcc_lo, exec_lo, s16
	s_cbranch_vccnz .LBB38_1874
; %bb.1873:
	global_load_b32 v1, v[6:7], off
	s_wait_loadcnt 0x0
	v_cvt_i16_f16_e32 v4, v1
.LBB38_1874:
	s_mov_b32 s16, 0
.LBB38_1875:
	s_delay_alu instid0(SALU_CYCLE_1)
	s_and_not1_b32 vcc_lo, exec_lo, s16
	s_cbranch_vccnz .LBB38_1886
; %bb.1876:
	s_cmp_lt_i32 s13, 6
	s_cbranch_scc1 .LBB38_1879
; %bb.1877:
	s_cmp_gt_i32 s13, 6
	s_cbranch_scc0 .LBB38_1880
; %bb.1878:
	s_wait_loadcnt 0x0
	global_load_b64 v[4:5], v[6:7], off
	s_mov_b32 s16, 0
	s_wait_loadcnt 0x0
	v_cvt_i32_f64_e32 v4, v[4:5]
	s_branch .LBB38_1881
.LBB38_1879:
	s_mov_b32 s16, -1
                                        ; implicit-def: $vgpr4
	s_branch .LBB38_1884
.LBB38_1880:
	s_mov_b32 s16, -1
                                        ; implicit-def: $vgpr4
.LBB38_1881:
	s_delay_alu instid0(SALU_CYCLE_1)
	s_and_not1_b32 vcc_lo, exec_lo, s16
	s_cbranch_vccnz .LBB38_1883
; %bb.1882:
	global_load_b32 v1, v[6:7], off
	s_wait_loadcnt 0x0
	v_cvt_i32_f32_e32 v4, v1
.LBB38_1883:
	s_mov_b32 s16, 0
.LBB38_1884:
	s_delay_alu instid0(SALU_CYCLE_1)
	s_and_not1_b32 vcc_lo, exec_lo, s16
	s_cbranch_vccnz .LBB38_1886
; %bb.1885:
	global_load_u16 v1, v[6:7], off
	s_wait_loadcnt 0x0
	v_cvt_i16_f16_e32 v4, v1
.LBB38_1886:
	s_mov_b32 s16, 0
.LBB38_1887:
	s_delay_alu instid0(SALU_CYCLE_1)
	s_and_not1_b32 vcc_lo, exec_lo, s16
	s_cbranch_vccnz .LBB38_1907
; %bb.1888:
	s_cmp_lt_i32 s13, 2
	s_cbranch_scc1 .LBB38_1892
; %bb.1889:
	s_cmp_lt_i32 s13, 3
	s_cbranch_scc1 .LBB38_1893
; %bb.1890:
	s_cmp_gt_i32 s13, 3
	s_cbranch_scc0 .LBB38_1894
; %bb.1891:
	s_wait_loadcnt 0x0
	global_load_b64 v[4:5], v[6:7], off
	s_mov_b32 s16, 0
	s_branch .LBB38_1895
.LBB38_1892:
	s_mov_b32 s16, -1
                                        ; implicit-def: $vgpr4
	s_branch .LBB38_1901
.LBB38_1893:
	s_mov_b32 s16, -1
                                        ; implicit-def: $vgpr4
	s_branch .LBB38_1898
.LBB38_1894:
	s_mov_b32 s16, -1
                                        ; implicit-def: $vgpr4
.LBB38_1895:
	s_delay_alu instid0(SALU_CYCLE_1)
	s_and_not1_b32 vcc_lo, exec_lo, s16
	s_cbranch_vccnz .LBB38_1897
; %bb.1896:
	s_wait_loadcnt 0x0
	global_load_b32 v4, v[6:7], off
.LBB38_1897:
	s_mov_b32 s16, 0
.LBB38_1898:
	s_delay_alu instid0(SALU_CYCLE_1)
	s_and_not1_b32 vcc_lo, exec_lo, s16
	s_cbranch_vccnz .LBB38_1900
; %bb.1899:
	s_wait_loadcnt 0x0
	global_load_u16 v4, v[6:7], off
.LBB38_1900:
	s_mov_b32 s16, 0
.LBB38_1901:
	s_delay_alu instid0(SALU_CYCLE_1)
	s_and_not1_b32 vcc_lo, exec_lo, s16
	s_cbranch_vccnz .LBB38_1907
; %bb.1902:
	s_cmp_gt_i32 s13, 0
	s_mov_b32 s13, 0
	s_cbranch_scc0 .LBB38_1904
; %bb.1903:
	s_wait_loadcnt 0x0
	global_load_i8 v4, v[6:7], off
	s_branch .LBB38_1905
.LBB38_1904:
	s_mov_b32 s13, -1
                                        ; implicit-def: $vgpr4
.LBB38_1905:
	s_delay_alu instid0(SALU_CYCLE_1)
	s_and_not1_b32 vcc_lo, exec_lo, s13
	s_cbranch_vccnz .LBB38_1907
; %bb.1906:
	s_wait_loadcnt 0x0
	global_load_u8 v4, v[6:7], off
.LBB38_1907:
.LBB38_1908:
	s_lshl_b32 s10, s10, 7
	s_cmp_lt_i32 s1, 11
	v_add_nc_u32_e32 v2, s10, v2
	s_delay_alu instid0(VALU_DEP_1) | instskip(SKIP_1) | instid1(VALU_DEP_1)
	v_ashrrev_i32_e32 v3, 31, v2
	s_wait_xcnt 0x0
	v_add_nc_u64_e32 v[6:7], s[2:3], v[2:3]
	s_cbranch_scc1 .LBB38_1915
; %bb.1909:
	s_and_b32 s13, 0xffff, s1
	s_mov_b32 s17, 0
	s_cmp_gt_i32 s13, 25
	s_cbranch_scc0 .LBB38_1916
; %bb.1910:
	s_cmp_gt_i32 s13, 28
	s_cbranch_scc0 .LBB38_1917
; %bb.1911:
	s_cmp_gt_i32 s13, 43
	s_cbranch_scc0 .LBB38_1918
; %bb.1912:
	s_cmp_gt_i32 s13, 45
	s_cbranch_scc0 .LBB38_1920
; %bb.1913:
	s_cmp_eq_u32 s13, 46
	s_mov_b32 s19, 0
	s_cbranch_scc0 .LBB38_1921
; %bb.1914:
	global_load_b32 v1, v[6:7], off
	s_mov_b32 s16, 0
	s_mov_b32 s18, -1
	s_wait_loadcnt 0x0
	v_lshlrev_b32_e32 v1, 16, v1
	s_delay_alu instid0(VALU_DEP_1)
	v_cvt_i32_f32_e32 v8, v1
	s_branch .LBB38_1923
.LBB38_1915:
	s_mov_b32 s13, -1
	s_mov_b32 s18, 0
                                        ; implicit-def: $vgpr8
	s_branch .LBB38_1985
.LBB38_1916:
	s_mov_b32 s19, -1
	s_mov_b32 s18, 0
	s_mov_b32 s16, 0
                                        ; implicit-def: $vgpr8
	s_branch .LBB38_1950
.LBB38_1917:
	s_mov_b32 s19, -1
	s_mov_b32 s18, 0
	s_mov_b32 s16, 0
                                        ; implicit-def: $vgpr8
	s_branch .LBB38_1933
.LBB38_1918:
	s_mov_b32 s19, -1
	s_mov_b32 s18, 0
	s_mov_b32 s16, 0
                                        ; implicit-def: $vgpr8
	s_branch .LBB38_1928
.LBB38_1919:
	s_or_b32 s12, s12, exec_lo
	s_trap 2
	s_cbranch_execz .LBB38_1858
	s_branch .LBB38_1859
.LBB38_1920:
	s_mov_b32 s19, -1
	s_mov_b32 s18, 0
	s_mov_b32 s16, 0
	s_branch .LBB38_1922
.LBB38_1921:
	s_mov_b32 s16, -1
	s_mov_b32 s18, 0
.LBB38_1922:
                                        ; implicit-def: $vgpr8
.LBB38_1923:
	s_and_b32 vcc_lo, exec_lo, s19
	s_cbranch_vccz .LBB38_1927
; %bb.1924:
	s_cmp_eq_u32 s13, 44
	s_cbranch_scc0 .LBB38_1926
; %bb.1925:
	global_load_u8 v1, v[6:7], off
	s_mov_b32 s16, 0
	s_mov_b32 s18, -1
	s_wait_loadcnt 0x0
	v_lshlrev_b32_e32 v3, 23, v1
	v_cmp_ne_u32_e32 vcc_lo, 0, v1
	s_delay_alu instid0(VALU_DEP_2) | instskip(NEXT) | instid1(VALU_DEP_1)
	v_cvt_i32_f32_e32 v3, v3
	v_cndmask_b32_e32 v8, 0, v3, vcc_lo
	s_branch .LBB38_1927
.LBB38_1926:
	s_mov_b32 s16, -1
                                        ; implicit-def: $vgpr8
.LBB38_1927:
	s_mov_b32 s19, 0
.LBB38_1928:
	s_delay_alu instid0(SALU_CYCLE_1)
	s_and_b32 vcc_lo, exec_lo, s19
	s_cbranch_vccz .LBB38_1932
; %bb.1929:
	s_cmp_eq_u32 s13, 29
	s_cbranch_scc0 .LBB38_1931
; %bb.1930:
	global_load_b64 v[8:9], v[6:7], off
	s_mov_b32 s16, 0
	s_mov_b32 s18, -1
	s_branch .LBB38_1932
.LBB38_1931:
	s_mov_b32 s16, -1
                                        ; implicit-def: $vgpr8
.LBB38_1932:
	s_mov_b32 s19, 0
.LBB38_1933:
	s_delay_alu instid0(SALU_CYCLE_1)
	s_and_b32 vcc_lo, exec_lo, s19
	s_cbranch_vccz .LBB38_1949
; %bb.1934:
	s_cmp_lt_i32 s13, 27
	s_cbranch_scc1 .LBB38_1937
; %bb.1935:
	s_cmp_gt_i32 s13, 27
	s_cbranch_scc0 .LBB38_1938
; %bb.1936:
	s_wait_loadcnt 0x0
	global_load_b32 v8, v[6:7], off
	s_mov_b32 s18, 0
	s_branch .LBB38_1939
.LBB38_1937:
	s_mov_b32 s18, -1
                                        ; implicit-def: $vgpr8
	s_branch .LBB38_1942
.LBB38_1938:
	s_mov_b32 s18, -1
                                        ; implicit-def: $vgpr8
.LBB38_1939:
	s_delay_alu instid0(SALU_CYCLE_1)
	s_and_not1_b32 vcc_lo, exec_lo, s18
	s_cbranch_vccnz .LBB38_1941
; %bb.1940:
	s_wait_loadcnt 0x0
	global_load_u16 v8, v[6:7], off
.LBB38_1941:
	s_mov_b32 s18, 0
.LBB38_1942:
	s_delay_alu instid0(SALU_CYCLE_1)
	s_and_not1_b32 vcc_lo, exec_lo, s18
	s_cbranch_vccnz .LBB38_1948
; %bb.1943:
	global_load_u8 v1, v[6:7], off
	s_mov_b32 s19, 0
	s_mov_b32 s18, exec_lo
	s_wait_loadcnt 0x0
	v_cmpx_lt_i16_e32 0x7f, v1
	s_xor_b32 s18, exec_lo, s18
	s_cbranch_execz .LBB38_1960
; %bb.1944:
	v_cmp_ne_u16_e32 vcc_lo, 0x80, v1
	s_and_b32 s19, vcc_lo, exec_lo
	s_and_not1_saveexec_b32 s18, s18
	s_cbranch_execnz .LBB38_1961
.LBB38_1945:
	s_or_b32 exec_lo, exec_lo, s18
	v_mov_b32_e32 v8, 0
	s_and_saveexec_b32 s18, s19
	s_cbranch_execz .LBB38_1947
.LBB38_1946:
	v_and_b32_e32 v3, 0xffff, v1
	s_delay_alu instid0(VALU_DEP_1) | instskip(SKIP_1) | instid1(VALU_DEP_2)
	v_and_b32_e32 v5, 7, v3
	v_bfe_u32 v12, v3, 3, 4
	v_clz_i32_u32_e32 v8, v5
	s_delay_alu instid0(VALU_DEP_2) | instskip(NEXT) | instid1(VALU_DEP_2)
	v_cmp_eq_u32_e32 vcc_lo, 0, v12
	v_min_u32_e32 v8, 32, v8
	s_delay_alu instid0(VALU_DEP_1) | instskip(NEXT) | instid1(VALU_DEP_1)
	v_subrev_nc_u32_e32 v9, 28, v8
	v_dual_lshlrev_b32 v3, v9, v3 :: v_dual_sub_nc_u32 v8, 29, v8
	s_delay_alu instid0(VALU_DEP_1) | instskip(NEXT) | instid1(VALU_DEP_1)
	v_dual_lshlrev_b32 v1, 24, v1 :: v_dual_bitop2_b32 v3, 7, v3 bitop3:0x40
	v_dual_cndmask_b32 v8, v12, v8 :: v_dual_cndmask_b32 v3, v5, v3
	s_delay_alu instid0(VALU_DEP_2) | instskip(NEXT) | instid1(VALU_DEP_2)
	v_and_b32_e32 v1, 0x80000000, v1
	v_lshl_add_u32 v5, v8, 23, 0x3b800000
	s_delay_alu instid0(VALU_DEP_3) | instskip(NEXT) | instid1(VALU_DEP_1)
	v_lshlrev_b32_e32 v3, 20, v3
	v_or3_b32 v1, v1, v5, v3
	s_delay_alu instid0(VALU_DEP_1)
	v_cvt_i32_f32_e32 v8, v1
.LBB38_1947:
	s_or_b32 exec_lo, exec_lo, s18
.LBB38_1948:
	s_mov_b32 s18, -1
.LBB38_1949:
	s_mov_b32 s19, 0
.LBB38_1950:
	s_delay_alu instid0(SALU_CYCLE_1)
	s_and_b32 vcc_lo, exec_lo, s19
	s_cbranch_vccz .LBB38_1981
; %bb.1951:
	s_cmp_gt_i32 s13, 22
	s_cbranch_scc0 .LBB38_1959
; %bb.1952:
	s_cmp_lt_i32 s13, 24
	s_cbranch_scc1 .LBB38_1962
; %bb.1953:
	s_cmp_gt_i32 s13, 24
	s_cbranch_scc0 .LBB38_1963
; %bb.1954:
	global_load_u8 v1, v[6:7], off
	s_mov_b32 s18, 0
	s_mov_b32 s17, exec_lo
	s_wait_loadcnt 0x0
	v_cmpx_lt_i16_e32 0x7f, v1
	s_xor_b32 s17, exec_lo, s17
	s_cbranch_execz .LBB38_1975
; %bb.1955:
	v_cmp_ne_u16_e32 vcc_lo, 0x80, v1
	s_and_b32 s18, vcc_lo, exec_lo
	s_and_not1_saveexec_b32 s17, s17
	s_cbranch_execnz .LBB38_1976
.LBB38_1956:
	s_or_b32 exec_lo, exec_lo, s17
	v_mov_b32_e32 v8, 0
	s_and_saveexec_b32 s17, s18
	s_cbranch_execz .LBB38_1958
.LBB38_1957:
	v_and_b32_e32 v3, 0xffff, v1
	s_delay_alu instid0(VALU_DEP_1) | instskip(SKIP_1) | instid1(VALU_DEP_2)
	v_and_b32_e32 v5, 3, v3
	v_bfe_u32 v12, v3, 2, 5
	v_clz_i32_u32_e32 v8, v5
	s_delay_alu instid0(VALU_DEP_2) | instskip(NEXT) | instid1(VALU_DEP_2)
	v_cmp_eq_u32_e32 vcc_lo, 0, v12
	v_min_u32_e32 v8, 32, v8
	s_delay_alu instid0(VALU_DEP_1) | instskip(NEXT) | instid1(VALU_DEP_1)
	v_subrev_nc_u32_e32 v9, 29, v8
	v_dual_lshlrev_b32 v3, v9, v3 :: v_dual_sub_nc_u32 v8, 30, v8
	s_delay_alu instid0(VALU_DEP_1) | instskip(NEXT) | instid1(VALU_DEP_1)
	v_dual_lshlrev_b32 v1, 24, v1 :: v_dual_bitop2_b32 v3, 3, v3 bitop3:0x40
	v_dual_cndmask_b32 v8, v12, v8 :: v_dual_cndmask_b32 v3, v5, v3
	s_delay_alu instid0(VALU_DEP_2) | instskip(NEXT) | instid1(VALU_DEP_2)
	v_and_b32_e32 v1, 0x80000000, v1
	v_lshl_add_u32 v5, v8, 23, 0x37800000
	s_delay_alu instid0(VALU_DEP_3) | instskip(NEXT) | instid1(VALU_DEP_1)
	v_lshlrev_b32_e32 v3, 21, v3
	v_or3_b32 v1, v1, v5, v3
	s_delay_alu instid0(VALU_DEP_1)
	v_cvt_i32_f32_e32 v8, v1
.LBB38_1958:
	s_or_b32 exec_lo, exec_lo, s17
	s_mov_b32 s17, 0
	s_branch .LBB38_1964
.LBB38_1959:
	s_mov_b32 s17, -1
                                        ; implicit-def: $vgpr8
	s_branch .LBB38_1970
.LBB38_1960:
	s_and_not1_saveexec_b32 s18, s18
	s_cbranch_execz .LBB38_1945
.LBB38_1961:
	v_cmp_ne_u16_e32 vcc_lo, 0, v1
	s_and_not1_b32 s19, s19, exec_lo
	s_and_b32 s20, vcc_lo, exec_lo
	s_delay_alu instid0(SALU_CYCLE_1)
	s_or_b32 s19, s19, s20
	s_or_b32 exec_lo, exec_lo, s18
	v_mov_b32_e32 v8, 0
	s_and_saveexec_b32 s18, s19
	s_cbranch_execnz .LBB38_1946
	s_branch .LBB38_1947
.LBB38_1962:
	s_mov_b32 s17, -1
                                        ; implicit-def: $vgpr8
	s_branch .LBB38_1967
.LBB38_1963:
	s_mov_b32 s17, -1
                                        ; implicit-def: $vgpr8
.LBB38_1964:
	s_delay_alu instid0(SALU_CYCLE_1)
	s_and_b32 vcc_lo, exec_lo, s17
	s_cbranch_vccz .LBB38_1966
; %bb.1965:
	global_load_u8 v1, v[6:7], off
	s_wait_loadcnt 0x0
	v_lshlrev_b32_e32 v1, 24, v1
	s_delay_alu instid0(VALU_DEP_1) | instskip(NEXT) | instid1(VALU_DEP_1)
	v_and_b32_e32 v3, 0x7f000000, v1
	v_clz_i32_u32_e32 v5, v3
	v_add_nc_u32_e32 v9, 0x1000000, v3
	v_cmp_ne_u32_e32 vcc_lo, 0, v3
	s_delay_alu instid0(VALU_DEP_3) | instskip(NEXT) | instid1(VALU_DEP_1)
	v_min_u32_e32 v5, 32, v5
	v_sub_nc_u32_e64 v5, v5, 4 clamp
	s_delay_alu instid0(VALU_DEP_1) | instskip(NEXT) | instid1(VALU_DEP_1)
	v_dual_lshlrev_b32 v8, v5, v3 :: v_dual_lshlrev_b32 v5, 23, v5
	v_lshrrev_b32_e32 v8, 4, v8
	s_delay_alu instid0(VALU_DEP_1) | instskip(SKIP_1) | instid1(VALU_DEP_2)
	v_sub_nc_u32_e32 v5, v8, v5
	v_ashrrev_i32_e32 v8, 8, v9
	v_add_nc_u32_e32 v5, 0x3c000000, v5
	s_delay_alu instid0(VALU_DEP_1) | instskip(NEXT) | instid1(VALU_DEP_1)
	v_and_or_b32 v5, 0x7f800000, v8, v5
	v_cndmask_b32_e32 v3, 0, v5, vcc_lo
	s_delay_alu instid0(VALU_DEP_1) | instskip(NEXT) | instid1(VALU_DEP_1)
	v_and_or_b32 v1, 0x80000000, v1, v3
	v_cvt_i32_f32_e32 v8, v1
.LBB38_1966:
	s_mov_b32 s17, 0
.LBB38_1967:
	s_delay_alu instid0(SALU_CYCLE_1)
	s_and_not1_b32 vcc_lo, exec_lo, s17
	s_cbranch_vccnz .LBB38_1969
; %bb.1968:
	global_load_u8 v1, v[6:7], off
	s_wait_loadcnt 0x0
	v_lshlrev_b32_e32 v3, 25, v1
	v_lshlrev_b16 v1, 8, v1
	s_delay_alu instid0(VALU_DEP_1) | instskip(SKIP_1) | instid1(VALU_DEP_2)
	v_and_or_b32 v8, 0x7f00, v1, 0.5
	v_bfe_i32 v1, v1, 0, 16
	v_dual_add_f32 v8, -0.5, v8 :: v_dual_lshrrev_b32 v5, 4, v3
	v_cmp_gt_u32_e32 vcc_lo, 0x8000000, v3
	s_delay_alu instid0(VALU_DEP_2) | instskip(NEXT) | instid1(VALU_DEP_1)
	v_or_b32_e32 v5, 0x70000000, v5
	v_mul_f32_e32 v5, 0x7800000, v5
	s_delay_alu instid0(VALU_DEP_1) | instskip(NEXT) | instid1(VALU_DEP_1)
	v_cndmask_b32_e32 v3, v5, v8, vcc_lo
	v_and_or_b32 v1, 0x80000000, v1, v3
	s_delay_alu instid0(VALU_DEP_1)
	v_cvt_i32_f32_e32 v8, v1
.LBB38_1969:
	s_mov_b32 s17, 0
	s_mov_b32 s18, -1
.LBB38_1970:
	s_and_not1_b32 vcc_lo, exec_lo, s17
	s_mov_b32 s17, 0
	s_cbranch_vccnz .LBB38_1981
; %bb.1971:
	s_cmp_gt_i32 s13, 14
	s_cbranch_scc0 .LBB38_1974
; %bb.1972:
	s_cmp_eq_u32 s13, 15
	s_cbranch_scc0 .LBB38_1977
; %bb.1973:
	global_load_u16 v1, v[6:7], off
	s_mov_b32 s16, 0
	s_mov_b32 s18, -1
	s_wait_loadcnt 0x0
	v_lshlrev_b32_e32 v1, 16, v1
	s_delay_alu instid0(VALU_DEP_1)
	v_cvt_i32_f32_e32 v8, v1
	s_branch .LBB38_1979
.LBB38_1974:
	s_mov_b32 s17, -1
	s_branch .LBB38_1978
.LBB38_1975:
	s_and_not1_saveexec_b32 s17, s17
	s_cbranch_execz .LBB38_1956
.LBB38_1976:
	v_cmp_ne_u16_e32 vcc_lo, 0, v1
	s_and_not1_b32 s18, s18, exec_lo
	s_and_b32 s19, vcc_lo, exec_lo
	s_delay_alu instid0(SALU_CYCLE_1)
	s_or_b32 s18, s18, s19
	s_or_b32 exec_lo, exec_lo, s17
	v_mov_b32_e32 v8, 0
	s_and_saveexec_b32 s17, s18
	s_cbranch_execnz .LBB38_1957
	s_branch .LBB38_1958
.LBB38_1977:
	s_mov_b32 s16, -1
.LBB38_1978:
                                        ; implicit-def: $vgpr8
.LBB38_1979:
	s_and_b32 vcc_lo, exec_lo, s17
	s_mov_b32 s17, 0
	s_cbranch_vccz .LBB38_1981
; %bb.1980:
	s_cmp_lg_u32 s13, 11
	s_mov_b32 s17, -1
	s_cselect_b32 s16, -1, 0
.LBB38_1981:
	s_delay_alu instid0(SALU_CYCLE_1)
	s_and_b32 vcc_lo, exec_lo, s16
	s_cbranch_vccnz .LBB38_2050
; %bb.1982:
	s_and_not1_b32 vcc_lo, exec_lo, s17
	s_cbranch_vccnz .LBB38_1984
.LBB38_1983:
	global_load_u8 v1, v[6:7], off
	s_mov_b32 s18, -1
	s_wait_loadcnt 0x0
	v_cmp_ne_u16_e32 vcc_lo, 0, v1
	v_cndmask_b32_e64 v8, 0, 1, vcc_lo
.LBB38_1984:
	s_mov_b32 s13, 0
.LBB38_1985:
	s_delay_alu instid0(SALU_CYCLE_1)
	s_and_b32 vcc_lo, exec_lo, s13
	s_cbranch_vccz .LBB38_2034
; %bb.1986:
	s_and_b32 s13, 0xffff, s1
	s_delay_alu instid0(SALU_CYCLE_1)
	s_cmp_lt_i32 s13, 5
	s_cbranch_scc1 .LBB38_1991
; %bb.1987:
	s_cmp_lt_i32 s13, 8
	s_cbranch_scc1 .LBB38_1992
; %bb.1988:
	;; [unrolled: 3-line block ×3, first 2 shown]
	s_cmp_gt_i32 s13, 9
	s_cbranch_scc0 .LBB38_1994
; %bb.1990:
	s_wait_loadcnt 0x0
	global_load_b64 v[8:9], v[6:7], off
	s_mov_b32 s16, 0
	s_wait_loadcnt 0x0
	v_cvt_i32_f64_e32 v8, v[8:9]
	s_branch .LBB38_1995
.LBB38_1991:
	s_mov_b32 s16, -1
                                        ; implicit-def: $vgpr8
	s_branch .LBB38_2013
.LBB38_1992:
	s_mov_b32 s16, -1
                                        ; implicit-def: $vgpr8
	s_branch .LBB38_2001
.LBB38_1993:
	s_mov_b32 s16, -1
                                        ; implicit-def: $vgpr8
	s_branch .LBB38_1998
.LBB38_1994:
	s_mov_b32 s16, -1
                                        ; implicit-def: $vgpr8
.LBB38_1995:
	s_delay_alu instid0(SALU_CYCLE_1)
	s_and_not1_b32 vcc_lo, exec_lo, s16
	s_cbranch_vccnz .LBB38_1997
; %bb.1996:
	global_load_b32 v1, v[6:7], off
	s_wait_loadcnt 0x0
	v_cvt_i32_f32_e32 v8, v1
.LBB38_1997:
	s_mov_b32 s16, 0
.LBB38_1998:
	s_delay_alu instid0(SALU_CYCLE_1)
	s_and_not1_b32 vcc_lo, exec_lo, s16
	s_cbranch_vccnz .LBB38_2000
; %bb.1999:
	global_load_b32 v1, v[6:7], off
	s_wait_loadcnt 0x0
	v_cvt_i16_f16_e32 v8, v1
.LBB38_2000:
	s_mov_b32 s16, 0
.LBB38_2001:
	s_delay_alu instid0(SALU_CYCLE_1)
	s_and_not1_b32 vcc_lo, exec_lo, s16
	s_cbranch_vccnz .LBB38_2012
; %bb.2002:
	s_cmp_lt_i32 s13, 6
	s_cbranch_scc1 .LBB38_2005
; %bb.2003:
	s_cmp_gt_i32 s13, 6
	s_cbranch_scc0 .LBB38_2006
; %bb.2004:
	s_wait_loadcnt 0x0
	global_load_b64 v[8:9], v[6:7], off
	s_mov_b32 s16, 0
	s_wait_loadcnt 0x0
	v_cvt_i32_f64_e32 v8, v[8:9]
	s_branch .LBB38_2007
.LBB38_2005:
	s_mov_b32 s16, -1
                                        ; implicit-def: $vgpr8
	s_branch .LBB38_2010
.LBB38_2006:
	s_mov_b32 s16, -1
                                        ; implicit-def: $vgpr8
.LBB38_2007:
	s_delay_alu instid0(SALU_CYCLE_1)
	s_and_not1_b32 vcc_lo, exec_lo, s16
	s_cbranch_vccnz .LBB38_2009
; %bb.2008:
	global_load_b32 v1, v[6:7], off
	s_wait_loadcnt 0x0
	v_cvt_i32_f32_e32 v8, v1
.LBB38_2009:
	s_mov_b32 s16, 0
.LBB38_2010:
	s_delay_alu instid0(SALU_CYCLE_1)
	s_and_not1_b32 vcc_lo, exec_lo, s16
	s_cbranch_vccnz .LBB38_2012
; %bb.2011:
	global_load_u16 v1, v[6:7], off
	s_wait_loadcnt 0x0
	v_cvt_i16_f16_e32 v8, v1
.LBB38_2012:
	s_mov_b32 s16, 0
.LBB38_2013:
	s_delay_alu instid0(SALU_CYCLE_1)
	s_and_not1_b32 vcc_lo, exec_lo, s16
	s_cbranch_vccnz .LBB38_2033
; %bb.2014:
	s_cmp_lt_i32 s13, 2
	s_cbranch_scc1 .LBB38_2018
; %bb.2015:
	s_cmp_lt_i32 s13, 3
	s_cbranch_scc1 .LBB38_2019
; %bb.2016:
	s_cmp_gt_i32 s13, 3
	s_cbranch_scc0 .LBB38_2020
; %bb.2017:
	s_wait_loadcnt 0x0
	global_load_b64 v[8:9], v[6:7], off
	s_mov_b32 s16, 0
	s_branch .LBB38_2021
.LBB38_2018:
	s_mov_b32 s16, -1
                                        ; implicit-def: $vgpr8
	s_branch .LBB38_2027
.LBB38_2019:
	s_mov_b32 s16, -1
                                        ; implicit-def: $vgpr8
	s_branch .LBB38_2024
.LBB38_2020:
	s_mov_b32 s16, -1
                                        ; implicit-def: $vgpr8
.LBB38_2021:
	s_delay_alu instid0(SALU_CYCLE_1)
	s_and_not1_b32 vcc_lo, exec_lo, s16
	s_cbranch_vccnz .LBB38_2023
; %bb.2022:
	s_wait_loadcnt 0x0
	global_load_b32 v8, v[6:7], off
.LBB38_2023:
	s_mov_b32 s16, 0
.LBB38_2024:
	s_delay_alu instid0(SALU_CYCLE_1)
	s_and_not1_b32 vcc_lo, exec_lo, s16
	s_cbranch_vccnz .LBB38_2026
; %bb.2025:
	s_wait_loadcnt 0x0
	global_load_u16 v8, v[6:7], off
.LBB38_2026:
	s_mov_b32 s16, 0
.LBB38_2027:
	s_delay_alu instid0(SALU_CYCLE_1)
	s_and_not1_b32 vcc_lo, exec_lo, s16
	s_cbranch_vccnz .LBB38_2033
; %bb.2028:
	s_cmp_gt_i32 s13, 0
	s_mov_b32 s13, 0
	s_cbranch_scc0 .LBB38_2030
; %bb.2029:
	s_wait_loadcnt 0x0
	global_load_i8 v8, v[6:7], off
	s_branch .LBB38_2031
.LBB38_2030:
	s_mov_b32 s13, -1
                                        ; implicit-def: $vgpr8
.LBB38_2031:
	s_delay_alu instid0(SALU_CYCLE_1)
	s_and_not1_b32 vcc_lo, exec_lo, s13
	s_cbranch_vccnz .LBB38_2033
; %bb.2032:
	s_wait_loadcnt 0x0
	global_load_u8 v8, v[6:7], off
.LBB38_2033:
	s_mov_b32 s18, -1
.LBB38_2034:
	s_delay_alu instid0(SALU_CYCLE_1)
	s_and_not1_b32 vcc_lo, exec_lo, s18
	s_cbranch_vccnz .LBB38_2635
; %bb.2035:
	s_wait_loadcnt 0x0
	s_delay_alu instid0(VALU_DEP_1) | instskip(SKIP_2) | instid1(VALU_DEP_1)
	v_sub_nc_u16 v1, 0, v8
	s_mov_b32 s16, 0
	s_mov_b32 s13, exec_lo
	v_max_i16 v12, v8, v1
	s_wait_xcnt 0x0
	v_cmpx_ne_u16_e32 0, v4
	s_cbranch_execz .LBB38_2039
; %bb.2036:
	v_sub_nc_u16 v1, 0, v4
	s_delay_alu instid0(VALU_DEP_1) | instskip(SKIP_1) | instid1(VALU_DEP_2)
	v_max_i16 v3, v4, v1
	v_and_b32_e32 v1, 0xffff, v12
	v_and_b32_e32 v3, 0xffff, v3
.LBB38_2037:                            ; =>This Inner Loop Header: Depth=1
	s_delay_alu instid0(VALU_DEP_1) | instskip(NEXT) | instid1(VALU_DEP_2)
	v_bfe_i32 v5, v1, 0, 16
	v_mov_b32_e32 v12, v3
	s_delay_alu instid0(VALU_DEP_2) | instskip(NEXT) | instid1(VALU_DEP_2)
	v_cvt_f32_i32_e32 v7, v5
	v_bfe_i32 v3, v12, 0, 16
	s_delay_alu instid0(VALU_DEP_1) | instskip(SKIP_1) | instid1(VALU_DEP_2)
	v_cvt_f32_i32_e32 v4, v3
	v_xor_b32_e32 v3, v5, v3
	v_rcp_iflag_f32_e32 v6, v4
	v_nop
	s_delay_alu instid0(TRANS32_DEP_1) | instskip(NEXT) | instid1(VALU_DEP_1)
	v_dual_ashrrev_i32 v3, 30, v3 :: v_dual_mul_f32 v5, v7, v6
	v_trunc_f32_e32 v5, v5
	s_delay_alu instid0(VALU_DEP_1) | instskip(SKIP_1) | instid1(VALU_DEP_2)
	v_dual_fma_f32 v6, -v5, v4, v7 :: v_dual_bitop2_b32 v3, 1, v3 bitop3:0x54
	v_cvt_i32_f32_e32 v5, v5
	v_cmp_ge_f32_e64 vcc_lo, |v6|, |v4|
	s_delay_alu instid0(VALU_DEP_3) | instskip(NEXT) | instid1(VALU_DEP_1)
	v_cndmask_b32_e32 v3, 0, v3, vcc_lo
	v_add_nc_u32_e32 v3, v5, v3
	s_delay_alu instid0(VALU_DEP_1) | instskip(NEXT) | instid1(VALU_DEP_1)
	v_mul_lo_u32 v3, v3, v12
	v_sub_nc_u32_e32 v3, v1, v3
	s_delay_alu instid0(VALU_DEP_1) | instskip(SKIP_1) | instid1(VALU_DEP_2)
	v_and_b32_e32 v1, 0xffff, v3
	v_bfe_i32 v3, v3, 0, 16
	v_cmp_eq_u32_e32 vcc_lo, 0, v1
	v_mov_b32_e32 v1, v12
	s_or_b32 s16, vcc_lo, s16
	s_delay_alu instid0(SALU_CYCLE_1)
	s_and_not1_b32 exec_lo, exec_lo, s16
	s_cbranch_execnz .LBB38_2037
; %bb.2038:
	s_or_b32 exec_lo, exec_lo, s16
.LBB38_2039:
	s_delay_alu instid0(SALU_CYCLE_1) | instskip(SKIP_2) | instid1(VALU_DEP_1)
	s_or_b32 exec_lo, exec_lo, s13
	v_add_nc_u32_e32 v0, s9, v0
	s_cmp_lt_i32 s0, 11
	v_ashrrev_i32_e32 v1, 31, v0
	s_delay_alu instid0(VALU_DEP_1)
	v_add_nc_u64_e32 v[6:7], s[6:7], v[0:1]
	s_cbranch_scc1 .LBB38_2046
; %bb.2040:
	s_and_b32 s13, 0xffff, s0
	s_mov_b32 s17, 0
	s_cmp_gt_i32 s13, 25
	s_cbranch_scc0 .LBB38_2047
; %bb.2041:
	s_cmp_gt_i32 s13, 28
	s_cbranch_scc0 .LBB38_2048
; %bb.2042:
	;; [unrolled: 3-line block ×4, first 2 shown]
	s_cmp_eq_u32 s13, 46
	s_mov_b32 s19, 0
	s_cbranch_scc0 .LBB38_2052
; %bb.2045:
	global_load_b32 v1, v[6:7], off
	s_mov_b32 s16, 0
	s_mov_b32 s18, -1
	s_wait_loadcnt 0x0
	v_lshlrev_b32_e32 v1, 16, v1
	s_delay_alu instid0(VALU_DEP_1)
	v_cvt_i32_f32_e32 v4, v1
	s_branch .LBB38_2054
.LBB38_2046:
	s_mov_b32 s13, -1
	s_mov_b32 s18, 0
                                        ; implicit-def: $vgpr4
	s_branch .LBB38_2116
.LBB38_2047:
	s_mov_b32 s19, -1
	s_mov_b32 s18, 0
	s_mov_b32 s16, 0
                                        ; implicit-def: $vgpr4
	s_branch .LBB38_2081
.LBB38_2048:
	s_mov_b32 s19, -1
	s_mov_b32 s18, 0
	s_mov_b32 s16, 0
                                        ; implicit-def: $vgpr4
	s_branch .LBB38_2064
.LBB38_2049:
	s_mov_b32 s19, -1
	s_mov_b32 s18, 0
	s_mov_b32 s16, 0
                                        ; implicit-def: $vgpr4
	s_branch .LBB38_2059
.LBB38_2050:
	s_or_b32 s12, s12, exec_lo
	s_trap 2
	s_cbranch_execz .LBB38_1983
	s_branch .LBB38_1984
.LBB38_2051:
	s_mov_b32 s19, -1
	s_mov_b32 s18, 0
	s_mov_b32 s16, 0
	s_branch .LBB38_2053
.LBB38_2052:
	s_mov_b32 s16, -1
	s_mov_b32 s18, 0
.LBB38_2053:
                                        ; implicit-def: $vgpr4
.LBB38_2054:
	s_and_b32 vcc_lo, exec_lo, s19
	s_cbranch_vccz .LBB38_2058
; %bb.2055:
	s_cmp_eq_u32 s13, 44
	s_cbranch_scc0 .LBB38_2057
; %bb.2056:
	global_load_u8 v1, v[6:7], off
	s_mov_b32 s16, 0
	s_mov_b32 s18, -1
	s_wait_loadcnt 0x0
	v_lshlrev_b32_e32 v3, 23, v1
	v_cmp_ne_u32_e32 vcc_lo, 0, v1
	s_delay_alu instid0(VALU_DEP_2) | instskip(NEXT) | instid1(VALU_DEP_1)
	v_cvt_i32_f32_e32 v3, v3
	v_cndmask_b32_e32 v4, 0, v3, vcc_lo
	s_branch .LBB38_2058
.LBB38_2057:
	s_mov_b32 s16, -1
                                        ; implicit-def: $vgpr4
.LBB38_2058:
	s_mov_b32 s19, 0
.LBB38_2059:
	s_delay_alu instid0(SALU_CYCLE_1)
	s_and_b32 vcc_lo, exec_lo, s19
	s_cbranch_vccz .LBB38_2063
; %bb.2060:
	s_cmp_eq_u32 s13, 29
	s_cbranch_scc0 .LBB38_2062
; %bb.2061:
	global_load_b64 v[4:5], v[6:7], off
	s_mov_b32 s16, 0
	s_mov_b32 s18, -1
	s_branch .LBB38_2063
.LBB38_2062:
	s_mov_b32 s16, -1
                                        ; implicit-def: $vgpr4
.LBB38_2063:
	s_mov_b32 s19, 0
.LBB38_2064:
	s_delay_alu instid0(SALU_CYCLE_1)
	s_and_b32 vcc_lo, exec_lo, s19
	s_cbranch_vccz .LBB38_2080
; %bb.2065:
	s_cmp_lt_i32 s13, 27
	s_cbranch_scc1 .LBB38_2068
; %bb.2066:
	s_cmp_gt_i32 s13, 27
	s_cbranch_scc0 .LBB38_2069
; %bb.2067:
	s_wait_loadcnt 0x0
	global_load_b32 v4, v[6:7], off
	s_mov_b32 s18, 0
	s_branch .LBB38_2070
.LBB38_2068:
	s_mov_b32 s18, -1
                                        ; implicit-def: $vgpr4
	s_branch .LBB38_2073
.LBB38_2069:
	s_mov_b32 s18, -1
                                        ; implicit-def: $vgpr4
.LBB38_2070:
	s_delay_alu instid0(SALU_CYCLE_1)
	s_and_not1_b32 vcc_lo, exec_lo, s18
	s_cbranch_vccnz .LBB38_2072
; %bb.2071:
	s_wait_loadcnt 0x0
	global_load_u16 v4, v[6:7], off
.LBB38_2072:
	s_mov_b32 s18, 0
.LBB38_2073:
	s_delay_alu instid0(SALU_CYCLE_1)
	s_and_not1_b32 vcc_lo, exec_lo, s18
	s_cbranch_vccnz .LBB38_2079
; %bb.2074:
	global_load_u8 v1, v[6:7], off
	s_mov_b32 s19, 0
	s_mov_b32 s18, exec_lo
	s_wait_loadcnt 0x0
	v_cmpx_lt_i16_e32 0x7f, v1
	s_xor_b32 s18, exec_lo, s18
	s_cbranch_execz .LBB38_2091
; %bb.2075:
	v_cmp_ne_u16_e32 vcc_lo, 0x80, v1
	s_and_b32 s19, vcc_lo, exec_lo
	s_and_not1_saveexec_b32 s18, s18
	s_cbranch_execnz .LBB38_2092
.LBB38_2076:
	s_or_b32 exec_lo, exec_lo, s18
	v_mov_b32_e32 v4, 0
	s_and_saveexec_b32 s18, s19
	s_cbranch_execz .LBB38_2078
.LBB38_2077:
	v_and_b32_e32 v3, 0xffff, v1
	s_delay_alu instid0(VALU_DEP_1) | instskip(SKIP_1) | instid1(VALU_DEP_2)
	v_and_b32_e32 v4, 7, v3
	v_bfe_u32 v9, v3, 3, 4
	v_clz_i32_u32_e32 v5, v4
	s_delay_alu instid0(VALU_DEP_2) | instskip(NEXT) | instid1(VALU_DEP_2)
	v_cmp_eq_u32_e32 vcc_lo, 0, v9
	v_min_u32_e32 v5, 32, v5
	s_delay_alu instid0(VALU_DEP_1) | instskip(NEXT) | instid1(VALU_DEP_1)
	v_subrev_nc_u32_e32 v8, 28, v5
	v_dual_lshlrev_b32 v3, v8, v3 :: v_dual_sub_nc_u32 v5, 29, v5
	s_delay_alu instid0(VALU_DEP_1) | instskip(NEXT) | instid1(VALU_DEP_1)
	v_dual_lshlrev_b32 v1, 24, v1 :: v_dual_bitop2_b32 v3, 7, v3 bitop3:0x40
	v_dual_cndmask_b32 v3, v4, v3, vcc_lo :: v_dual_cndmask_b32 v5, v9, v5, vcc_lo
	s_delay_alu instid0(VALU_DEP_2) | instskip(NEXT) | instid1(VALU_DEP_2)
	v_and_b32_e32 v1, 0x80000000, v1
	v_lshlrev_b32_e32 v3, 20, v3
	s_delay_alu instid0(VALU_DEP_3) | instskip(NEXT) | instid1(VALU_DEP_1)
	v_lshl_add_u32 v4, v5, 23, 0x3b800000
	v_or3_b32 v1, v1, v4, v3
	s_delay_alu instid0(VALU_DEP_1)
	v_cvt_i32_f32_e32 v4, v1
.LBB38_2078:
	s_or_b32 exec_lo, exec_lo, s18
.LBB38_2079:
	s_mov_b32 s18, -1
.LBB38_2080:
	s_mov_b32 s19, 0
.LBB38_2081:
	s_delay_alu instid0(SALU_CYCLE_1)
	s_and_b32 vcc_lo, exec_lo, s19
	s_cbranch_vccz .LBB38_2112
; %bb.2082:
	s_cmp_gt_i32 s13, 22
	s_cbranch_scc0 .LBB38_2090
; %bb.2083:
	s_cmp_lt_i32 s13, 24
	s_cbranch_scc1 .LBB38_2093
; %bb.2084:
	s_cmp_gt_i32 s13, 24
	s_cbranch_scc0 .LBB38_2094
; %bb.2085:
	global_load_u8 v1, v[6:7], off
	s_mov_b32 s18, 0
	s_mov_b32 s17, exec_lo
	s_wait_loadcnt 0x0
	v_cmpx_lt_i16_e32 0x7f, v1
	s_xor_b32 s17, exec_lo, s17
	s_cbranch_execz .LBB38_2106
; %bb.2086:
	v_cmp_ne_u16_e32 vcc_lo, 0x80, v1
	s_and_b32 s18, vcc_lo, exec_lo
	s_and_not1_saveexec_b32 s17, s17
	s_cbranch_execnz .LBB38_2107
.LBB38_2087:
	s_or_b32 exec_lo, exec_lo, s17
	v_mov_b32_e32 v4, 0
	s_and_saveexec_b32 s17, s18
	s_cbranch_execz .LBB38_2089
.LBB38_2088:
	v_and_b32_e32 v3, 0xffff, v1
	s_delay_alu instid0(VALU_DEP_1) | instskip(SKIP_1) | instid1(VALU_DEP_2)
	v_and_b32_e32 v4, 3, v3
	v_bfe_u32 v9, v3, 2, 5
	v_clz_i32_u32_e32 v5, v4
	s_delay_alu instid0(VALU_DEP_2) | instskip(NEXT) | instid1(VALU_DEP_2)
	v_cmp_eq_u32_e32 vcc_lo, 0, v9
	v_min_u32_e32 v5, 32, v5
	s_delay_alu instid0(VALU_DEP_1) | instskip(NEXT) | instid1(VALU_DEP_1)
	v_subrev_nc_u32_e32 v8, 29, v5
	v_dual_lshlrev_b32 v3, v8, v3 :: v_dual_sub_nc_u32 v5, 30, v5
	s_delay_alu instid0(VALU_DEP_1) | instskip(NEXT) | instid1(VALU_DEP_1)
	v_dual_lshlrev_b32 v1, 24, v1 :: v_dual_bitop2_b32 v3, 3, v3 bitop3:0x40
	v_dual_cndmask_b32 v3, v4, v3, vcc_lo :: v_dual_cndmask_b32 v5, v9, v5, vcc_lo
	s_delay_alu instid0(VALU_DEP_2) | instskip(NEXT) | instid1(VALU_DEP_2)
	v_and_b32_e32 v1, 0x80000000, v1
	v_lshlrev_b32_e32 v3, 21, v3
	s_delay_alu instid0(VALU_DEP_3) | instskip(NEXT) | instid1(VALU_DEP_1)
	v_lshl_add_u32 v4, v5, 23, 0x37800000
	v_or3_b32 v1, v1, v4, v3
	s_delay_alu instid0(VALU_DEP_1)
	v_cvt_i32_f32_e32 v4, v1
.LBB38_2089:
	s_or_b32 exec_lo, exec_lo, s17
	s_mov_b32 s17, 0
	s_branch .LBB38_2095
.LBB38_2090:
	s_mov_b32 s17, -1
                                        ; implicit-def: $vgpr4
	s_branch .LBB38_2101
.LBB38_2091:
	s_and_not1_saveexec_b32 s18, s18
	s_cbranch_execz .LBB38_2076
.LBB38_2092:
	v_cmp_ne_u16_e32 vcc_lo, 0, v1
	s_and_not1_b32 s19, s19, exec_lo
	s_and_b32 s20, vcc_lo, exec_lo
	s_delay_alu instid0(SALU_CYCLE_1)
	s_or_b32 s19, s19, s20
	s_or_b32 exec_lo, exec_lo, s18
	v_mov_b32_e32 v4, 0
	s_and_saveexec_b32 s18, s19
	s_cbranch_execnz .LBB38_2077
	s_branch .LBB38_2078
.LBB38_2093:
	s_mov_b32 s17, -1
                                        ; implicit-def: $vgpr4
	s_branch .LBB38_2098
.LBB38_2094:
	s_mov_b32 s17, -1
                                        ; implicit-def: $vgpr4
.LBB38_2095:
	s_delay_alu instid0(SALU_CYCLE_1)
	s_and_b32 vcc_lo, exec_lo, s17
	s_cbranch_vccz .LBB38_2097
; %bb.2096:
	global_load_u8 v1, v[6:7], off
	s_wait_loadcnt 0x0
	v_lshlrev_b32_e32 v1, 24, v1
	s_delay_alu instid0(VALU_DEP_1) | instskip(NEXT) | instid1(VALU_DEP_1)
	v_and_b32_e32 v3, 0x7f000000, v1
	v_clz_i32_u32_e32 v4, v3
	v_cmp_ne_u32_e32 vcc_lo, 0, v3
	v_add_nc_u32_e32 v8, 0x1000000, v3
	s_delay_alu instid0(VALU_DEP_3) | instskip(NEXT) | instid1(VALU_DEP_1)
	v_min_u32_e32 v4, 32, v4
	v_sub_nc_u32_e64 v4, v4, 4 clamp
	s_delay_alu instid0(VALU_DEP_1) | instskip(NEXT) | instid1(VALU_DEP_1)
	v_dual_lshlrev_b32 v5, v4, v3 :: v_dual_lshlrev_b32 v4, 23, v4
	v_lshrrev_b32_e32 v5, 4, v5
	s_delay_alu instid0(VALU_DEP_1) | instskip(SKIP_1) | instid1(VALU_DEP_2)
	v_sub_nc_u32_e32 v4, v5, v4
	v_ashrrev_i32_e32 v5, 8, v8
	v_add_nc_u32_e32 v4, 0x3c000000, v4
	s_delay_alu instid0(VALU_DEP_1) | instskip(NEXT) | instid1(VALU_DEP_1)
	v_and_or_b32 v4, 0x7f800000, v5, v4
	v_cndmask_b32_e32 v3, 0, v4, vcc_lo
	s_delay_alu instid0(VALU_DEP_1) | instskip(NEXT) | instid1(VALU_DEP_1)
	v_and_or_b32 v1, 0x80000000, v1, v3
	v_cvt_i32_f32_e32 v4, v1
.LBB38_2097:
	s_mov_b32 s17, 0
.LBB38_2098:
	s_delay_alu instid0(SALU_CYCLE_1)
	s_and_not1_b32 vcc_lo, exec_lo, s17
	s_cbranch_vccnz .LBB38_2100
; %bb.2099:
	global_load_u8 v1, v[6:7], off
	s_wait_loadcnt 0x0
	v_lshlrev_b32_e32 v3, 25, v1
	v_lshlrev_b16 v1, 8, v1
	s_delay_alu instid0(VALU_DEP_1) | instskip(NEXT) | instid1(VALU_DEP_3)
	v_and_or_b32 v5, 0x7f00, v1, 0.5
	v_lshrrev_b32_e32 v4, 4, v3
	v_bfe_i32 v1, v1, 0, 16
	s_delay_alu instid0(VALU_DEP_3) | instskip(NEXT) | instid1(VALU_DEP_3)
	v_add_f32_e32 v5, -0.5, v5
	v_or_b32_e32 v4, 0x70000000, v4
	s_delay_alu instid0(VALU_DEP_1) | instskip(SKIP_1) | instid1(VALU_DEP_2)
	v_mul_f32_e32 v4, 0x7800000, v4
	v_cmp_gt_u32_e32 vcc_lo, 0x8000000, v3
	v_cndmask_b32_e32 v3, v4, v5, vcc_lo
	s_delay_alu instid0(VALU_DEP_1) | instskip(NEXT) | instid1(VALU_DEP_1)
	v_and_or_b32 v1, 0x80000000, v1, v3
	v_cvt_i32_f32_e32 v4, v1
.LBB38_2100:
	s_mov_b32 s17, 0
	s_mov_b32 s18, -1
.LBB38_2101:
	s_and_not1_b32 vcc_lo, exec_lo, s17
	s_mov_b32 s17, 0
	s_cbranch_vccnz .LBB38_2112
; %bb.2102:
	s_cmp_gt_i32 s13, 14
	s_cbranch_scc0 .LBB38_2105
; %bb.2103:
	s_cmp_eq_u32 s13, 15
	s_cbranch_scc0 .LBB38_2108
; %bb.2104:
	global_load_u16 v1, v[6:7], off
	s_mov_b32 s16, 0
	s_mov_b32 s18, -1
	s_wait_loadcnt 0x0
	v_lshlrev_b32_e32 v1, 16, v1
	s_delay_alu instid0(VALU_DEP_1)
	v_cvt_i32_f32_e32 v4, v1
	s_branch .LBB38_2110
.LBB38_2105:
	s_mov_b32 s17, -1
	s_branch .LBB38_2109
.LBB38_2106:
	s_and_not1_saveexec_b32 s17, s17
	s_cbranch_execz .LBB38_2087
.LBB38_2107:
	v_cmp_ne_u16_e32 vcc_lo, 0, v1
	s_and_not1_b32 s18, s18, exec_lo
	s_and_b32 s19, vcc_lo, exec_lo
	s_delay_alu instid0(SALU_CYCLE_1)
	s_or_b32 s18, s18, s19
	s_or_b32 exec_lo, exec_lo, s17
	v_mov_b32_e32 v4, 0
	s_and_saveexec_b32 s17, s18
	s_cbranch_execnz .LBB38_2088
	s_branch .LBB38_2089
.LBB38_2108:
	s_mov_b32 s16, -1
.LBB38_2109:
                                        ; implicit-def: $vgpr4
.LBB38_2110:
	s_and_b32 vcc_lo, exec_lo, s17
	s_mov_b32 s17, 0
	s_cbranch_vccz .LBB38_2112
; %bb.2111:
	s_cmp_lg_u32 s13, 11
	s_mov_b32 s17, -1
	s_cselect_b32 s16, -1, 0
.LBB38_2112:
	s_delay_alu instid0(SALU_CYCLE_1)
	s_and_b32 vcc_lo, exec_lo, s16
	s_cbranch_vccnz .LBB38_2177
; %bb.2113:
	s_and_not1_b32 vcc_lo, exec_lo, s17
	s_cbranch_vccnz .LBB38_2115
.LBB38_2114:
	global_load_u8 v1, v[6:7], off
	s_mov_b32 s18, -1
	s_wait_loadcnt 0x0
	v_cmp_ne_u16_e32 vcc_lo, 0, v1
	v_cndmask_b32_e64 v4, 0, 1, vcc_lo
.LBB38_2115:
	s_mov_b32 s13, 0
.LBB38_2116:
	s_delay_alu instid0(SALU_CYCLE_1)
	s_and_b32 vcc_lo, exec_lo, s13
	s_cbranch_vccz .LBB38_2165
; %bb.2117:
	s_and_b32 s13, 0xffff, s0
	s_delay_alu instid0(SALU_CYCLE_1)
	s_cmp_lt_i32 s13, 5
	s_cbranch_scc1 .LBB38_2122
; %bb.2118:
	s_cmp_lt_i32 s13, 8
	s_cbranch_scc1 .LBB38_2123
; %bb.2119:
	;; [unrolled: 3-line block ×3, first 2 shown]
	s_cmp_gt_i32 s13, 9
	s_cbranch_scc0 .LBB38_2125
; %bb.2121:
	s_wait_loadcnt 0x0
	global_load_b64 v[4:5], v[6:7], off
	s_mov_b32 s16, 0
	s_wait_loadcnt 0x0
	v_cvt_i32_f64_e32 v4, v[4:5]
	s_branch .LBB38_2126
.LBB38_2122:
	s_mov_b32 s16, -1
                                        ; implicit-def: $vgpr4
	s_branch .LBB38_2144
.LBB38_2123:
	s_mov_b32 s16, -1
                                        ; implicit-def: $vgpr4
	s_branch .LBB38_2132
.LBB38_2124:
	s_mov_b32 s16, -1
                                        ; implicit-def: $vgpr4
	s_branch .LBB38_2129
.LBB38_2125:
	s_mov_b32 s16, -1
                                        ; implicit-def: $vgpr4
.LBB38_2126:
	s_delay_alu instid0(SALU_CYCLE_1)
	s_and_not1_b32 vcc_lo, exec_lo, s16
	s_cbranch_vccnz .LBB38_2128
; %bb.2127:
	global_load_b32 v1, v[6:7], off
	s_wait_loadcnt 0x0
	v_cvt_i32_f32_e32 v4, v1
.LBB38_2128:
	s_mov_b32 s16, 0
.LBB38_2129:
	s_delay_alu instid0(SALU_CYCLE_1)
	s_and_not1_b32 vcc_lo, exec_lo, s16
	s_cbranch_vccnz .LBB38_2131
; %bb.2130:
	global_load_b32 v1, v[6:7], off
	s_wait_loadcnt 0x0
	v_cvt_i16_f16_e32 v4, v1
.LBB38_2131:
	s_mov_b32 s16, 0
.LBB38_2132:
	s_delay_alu instid0(SALU_CYCLE_1)
	s_and_not1_b32 vcc_lo, exec_lo, s16
	s_cbranch_vccnz .LBB38_2143
; %bb.2133:
	s_cmp_lt_i32 s13, 6
	s_cbranch_scc1 .LBB38_2136
; %bb.2134:
	s_cmp_gt_i32 s13, 6
	s_cbranch_scc0 .LBB38_2137
; %bb.2135:
	s_wait_loadcnt 0x0
	global_load_b64 v[4:5], v[6:7], off
	s_mov_b32 s16, 0
	s_wait_loadcnt 0x0
	v_cvt_i32_f64_e32 v4, v[4:5]
	s_branch .LBB38_2138
.LBB38_2136:
	s_mov_b32 s16, -1
                                        ; implicit-def: $vgpr4
	s_branch .LBB38_2141
.LBB38_2137:
	s_mov_b32 s16, -1
                                        ; implicit-def: $vgpr4
.LBB38_2138:
	s_delay_alu instid0(SALU_CYCLE_1)
	s_and_not1_b32 vcc_lo, exec_lo, s16
	s_cbranch_vccnz .LBB38_2140
; %bb.2139:
	global_load_b32 v1, v[6:7], off
	s_wait_loadcnt 0x0
	v_cvt_i32_f32_e32 v4, v1
.LBB38_2140:
	s_mov_b32 s16, 0
.LBB38_2141:
	s_delay_alu instid0(SALU_CYCLE_1)
	s_and_not1_b32 vcc_lo, exec_lo, s16
	s_cbranch_vccnz .LBB38_2143
; %bb.2142:
	global_load_u16 v1, v[6:7], off
	s_wait_loadcnt 0x0
	v_cvt_i16_f16_e32 v4, v1
.LBB38_2143:
	s_mov_b32 s16, 0
.LBB38_2144:
	s_delay_alu instid0(SALU_CYCLE_1)
	s_and_not1_b32 vcc_lo, exec_lo, s16
	s_cbranch_vccnz .LBB38_2164
; %bb.2145:
	s_cmp_lt_i32 s13, 2
	s_cbranch_scc1 .LBB38_2149
; %bb.2146:
	s_cmp_lt_i32 s13, 3
	s_cbranch_scc1 .LBB38_2150
; %bb.2147:
	s_cmp_gt_i32 s13, 3
	s_cbranch_scc0 .LBB38_2151
; %bb.2148:
	s_wait_loadcnt 0x0
	global_load_b64 v[4:5], v[6:7], off
	s_mov_b32 s16, 0
	s_branch .LBB38_2152
.LBB38_2149:
	s_mov_b32 s16, -1
                                        ; implicit-def: $vgpr4
	s_branch .LBB38_2158
.LBB38_2150:
	s_mov_b32 s16, -1
                                        ; implicit-def: $vgpr4
	s_branch .LBB38_2155
.LBB38_2151:
	s_mov_b32 s16, -1
                                        ; implicit-def: $vgpr4
.LBB38_2152:
	s_delay_alu instid0(SALU_CYCLE_1)
	s_and_not1_b32 vcc_lo, exec_lo, s16
	s_cbranch_vccnz .LBB38_2154
; %bb.2153:
	s_wait_loadcnt 0x0
	global_load_b32 v4, v[6:7], off
.LBB38_2154:
	s_mov_b32 s16, 0
.LBB38_2155:
	s_delay_alu instid0(SALU_CYCLE_1)
	s_and_not1_b32 vcc_lo, exec_lo, s16
	s_cbranch_vccnz .LBB38_2157
; %bb.2156:
	s_wait_loadcnt 0x0
	global_load_u16 v4, v[6:7], off
.LBB38_2157:
	s_mov_b32 s16, 0
.LBB38_2158:
	s_delay_alu instid0(SALU_CYCLE_1)
	s_and_not1_b32 vcc_lo, exec_lo, s16
	s_cbranch_vccnz .LBB38_2164
; %bb.2159:
	s_cmp_gt_i32 s13, 0
	s_mov_b32 s13, 0
	s_cbranch_scc0 .LBB38_2161
; %bb.2160:
	s_wait_loadcnt 0x0
	global_load_i8 v4, v[6:7], off
	s_branch .LBB38_2162
.LBB38_2161:
	s_mov_b32 s13, -1
                                        ; implicit-def: $vgpr4
.LBB38_2162:
	s_delay_alu instid0(SALU_CYCLE_1)
	s_and_not1_b32 vcc_lo, exec_lo, s13
	s_cbranch_vccnz .LBB38_2164
; %bb.2163:
	s_wait_loadcnt 0x0
	global_load_u8 v4, v[6:7], off
.LBB38_2164:
	s_mov_b32 s18, -1
.LBB38_2165:
	s_delay_alu instid0(SALU_CYCLE_1)
	s_and_not1_b32 vcc_lo, exec_lo, s18
	s_cbranch_vccnz .LBB38_2635
; %bb.2166:
	v_add_nc_u32_e32 v2, s10, v2
	s_cmp_lt_i32 s1, 11
	s_delay_alu instid0(VALU_DEP_1) | instskip(SKIP_1) | instid1(VALU_DEP_1)
	v_ashrrev_i32_e32 v3, 31, v2
	s_wait_xcnt 0x0
	v_add_nc_u64_e32 v[6:7], s[2:3], v[2:3]
	s_cbranch_scc1 .LBB38_2173
; %bb.2167:
	s_and_b32 s13, 0xffff, s1
	s_mov_b32 s17, 0
	s_cmp_gt_i32 s13, 25
	s_cbranch_scc0 .LBB38_2174
; %bb.2168:
	s_cmp_gt_i32 s13, 28
	s_cbranch_scc0 .LBB38_2175
; %bb.2169:
	;; [unrolled: 3-line block ×4, first 2 shown]
	s_cmp_eq_u32 s13, 46
	s_mov_b32 s19, 0
	s_cbranch_scc0 .LBB38_2181
; %bb.2172:
	global_load_b32 v1, v[6:7], off
	s_mov_b32 s16, 0
	s_mov_b32 s18, -1
	s_wait_loadcnt 0x0
	v_lshlrev_b32_e32 v1, 16, v1
	s_delay_alu instid0(VALU_DEP_1)
	v_cvt_i32_f32_e32 v8, v1
	s_branch .LBB38_2183
.LBB38_2173:
	s_mov_b32 s13, -1
	s_mov_b32 s18, 0
                                        ; implicit-def: $vgpr8
	s_branch .LBB38_2245
.LBB38_2174:
	s_mov_b32 s19, -1
	s_mov_b32 s18, 0
	s_mov_b32 s16, 0
                                        ; implicit-def: $vgpr8
	s_branch .LBB38_2210
.LBB38_2175:
	s_mov_b32 s19, -1
	s_mov_b32 s18, 0
	s_mov_b32 s16, 0
                                        ; implicit-def: $vgpr8
	s_branch .LBB38_2193
.LBB38_2176:
	s_mov_b32 s19, -1
	s_mov_b32 s18, 0
	s_mov_b32 s16, 0
                                        ; implicit-def: $vgpr8
	s_branch .LBB38_2188
.LBB38_2177:
	s_or_b32 s12, s12, exec_lo
	s_trap 2
	s_cbranch_execz .LBB38_2114
	s_branch .LBB38_2115
.LBB38_2178:
	s_mov_b32 s19, -1
	s_mov_b32 s18, 0
	s_mov_b32 s16, 0
	s_branch .LBB38_2182
.LBB38_2179:
	s_and_not1_saveexec_b32 s31, s31
	s_cbranch_execz .LBB38_1075
.LBB38_2180:
	v_add_f32_e64 v3, 0x42800000, |v2|
	s_and_not1_b32 s30, s30, exec_lo
	s_delay_alu instid0(VALU_DEP_1) | instskip(NEXT) | instid1(VALU_DEP_1)
	v_and_b32_e32 v3, 0xff, v3
	v_cmp_ne_u32_e32 vcc_lo, 0, v3
	s_and_b32 s33, vcc_lo, exec_lo
	s_delay_alu instid0(SALU_CYCLE_1)
	s_or_b32 s30, s30, s33
	s_or_b32 exec_lo, exec_lo, s31
	v_mov_b32_e32 v5, 0
	s_and_saveexec_b32 s31, s30
	s_cbranch_execnz .LBB38_1076
	s_branch .LBB38_1077
.LBB38_2181:
	s_mov_b32 s16, -1
	s_mov_b32 s18, 0
.LBB38_2182:
                                        ; implicit-def: $vgpr8
.LBB38_2183:
	s_and_b32 vcc_lo, exec_lo, s19
	s_cbranch_vccz .LBB38_2187
; %bb.2184:
	s_cmp_eq_u32 s13, 44
	s_cbranch_scc0 .LBB38_2186
; %bb.2185:
	global_load_u8 v1, v[6:7], off
	s_mov_b32 s16, 0
	s_mov_b32 s18, -1
	s_wait_loadcnt 0x0
	v_lshlrev_b32_e32 v3, 23, v1
	v_cmp_ne_u32_e32 vcc_lo, 0, v1
	s_delay_alu instid0(VALU_DEP_2) | instskip(NEXT) | instid1(VALU_DEP_1)
	v_cvt_i32_f32_e32 v3, v3
	v_cndmask_b32_e32 v8, 0, v3, vcc_lo
	s_branch .LBB38_2187
.LBB38_2186:
	s_mov_b32 s16, -1
                                        ; implicit-def: $vgpr8
.LBB38_2187:
	s_mov_b32 s19, 0
.LBB38_2188:
	s_delay_alu instid0(SALU_CYCLE_1)
	s_and_b32 vcc_lo, exec_lo, s19
	s_cbranch_vccz .LBB38_2192
; %bb.2189:
	s_cmp_eq_u32 s13, 29
	s_cbranch_scc0 .LBB38_2191
; %bb.2190:
	global_load_b64 v[8:9], v[6:7], off
	s_mov_b32 s16, 0
	s_mov_b32 s18, -1
	s_branch .LBB38_2192
.LBB38_2191:
	s_mov_b32 s16, -1
                                        ; implicit-def: $vgpr8
.LBB38_2192:
	s_mov_b32 s19, 0
.LBB38_2193:
	s_delay_alu instid0(SALU_CYCLE_1)
	s_and_b32 vcc_lo, exec_lo, s19
	s_cbranch_vccz .LBB38_2209
; %bb.2194:
	s_cmp_lt_i32 s13, 27
	s_cbranch_scc1 .LBB38_2197
; %bb.2195:
	s_cmp_gt_i32 s13, 27
	s_cbranch_scc0 .LBB38_2198
; %bb.2196:
	s_wait_loadcnt 0x0
	global_load_b32 v8, v[6:7], off
	s_mov_b32 s18, 0
	s_branch .LBB38_2199
.LBB38_2197:
	s_mov_b32 s18, -1
                                        ; implicit-def: $vgpr8
	s_branch .LBB38_2202
.LBB38_2198:
	s_mov_b32 s18, -1
                                        ; implicit-def: $vgpr8
.LBB38_2199:
	s_delay_alu instid0(SALU_CYCLE_1)
	s_and_not1_b32 vcc_lo, exec_lo, s18
	s_cbranch_vccnz .LBB38_2201
; %bb.2200:
	s_wait_loadcnt 0x0
	global_load_u16 v8, v[6:7], off
.LBB38_2201:
	s_mov_b32 s18, 0
.LBB38_2202:
	s_delay_alu instid0(SALU_CYCLE_1)
	s_and_not1_b32 vcc_lo, exec_lo, s18
	s_cbranch_vccnz .LBB38_2208
; %bb.2203:
	global_load_u8 v1, v[6:7], off
	s_mov_b32 s19, 0
	s_mov_b32 s18, exec_lo
	s_wait_loadcnt 0x0
	v_cmpx_lt_i16_e32 0x7f, v1
	s_xor_b32 s18, exec_lo, s18
	s_cbranch_execz .LBB38_2220
; %bb.2204:
	v_cmp_ne_u16_e32 vcc_lo, 0x80, v1
	s_and_b32 s19, vcc_lo, exec_lo
	s_and_not1_saveexec_b32 s18, s18
	s_cbranch_execnz .LBB38_2221
.LBB38_2205:
	s_or_b32 exec_lo, exec_lo, s18
	v_mov_b32_e32 v8, 0
	s_and_saveexec_b32 s18, s19
	s_cbranch_execz .LBB38_2207
.LBB38_2206:
	v_and_b32_e32 v3, 0xffff, v1
	s_delay_alu instid0(VALU_DEP_1) | instskip(SKIP_1) | instid1(VALU_DEP_2)
	v_and_b32_e32 v5, 7, v3
	v_bfe_u32 v13, v3, 3, 4
	v_clz_i32_u32_e32 v8, v5
	s_delay_alu instid0(VALU_DEP_2) | instskip(NEXT) | instid1(VALU_DEP_2)
	v_cmp_eq_u32_e32 vcc_lo, 0, v13
	v_min_u32_e32 v8, 32, v8
	s_delay_alu instid0(VALU_DEP_1) | instskip(NEXT) | instid1(VALU_DEP_1)
	v_subrev_nc_u32_e32 v9, 28, v8
	v_dual_lshlrev_b32 v3, v9, v3 :: v_dual_sub_nc_u32 v8, 29, v8
	s_delay_alu instid0(VALU_DEP_1) | instskip(NEXT) | instid1(VALU_DEP_2)
	v_dual_lshlrev_b32 v1, 24, v1 :: v_dual_bitop2_b32 v3, 7, v3 bitop3:0x40
	v_cndmask_b32_e32 v8, v13, v8, vcc_lo
	s_delay_alu instid0(VALU_DEP_2) | instskip(NEXT) | instid1(VALU_DEP_3)
	v_cndmask_b32_e32 v3, v5, v3, vcc_lo
	v_and_b32_e32 v1, 0x80000000, v1
	s_delay_alu instid0(VALU_DEP_3) | instskip(NEXT) | instid1(VALU_DEP_3)
	v_lshl_add_u32 v5, v8, 23, 0x3b800000
	v_lshlrev_b32_e32 v3, 20, v3
	s_delay_alu instid0(VALU_DEP_1) | instskip(NEXT) | instid1(VALU_DEP_1)
	v_or3_b32 v1, v1, v5, v3
	v_cvt_i32_f32_e32 v8, v1
.LBB38_2207:
	s_or_b32 exec_lo, exec_lo, s18
.LBB38_2208:
	s_mov_b32 s18, -1
.LBB38_2209:
	s_mov_b32 s19, 0
.LBB38_2210:
	s_delay_alu instid0(SALU_CYCLE_1)
	s_and_b32 vcc_lo, exec_lo, s19
	s_cbranch_vccz .LBB38_2241
; %bb.2211:
	s_cmp_gt_i32 s13, 22
	s_cbranch_scc0 .LBB38_2219
; %bb.2212:
	s_cmp_lt_i32 s13, 24
	s_cbranch_scc1 .LBB38_2222
; %bb.2213:
	s_cmp_gt_i32 s13, 24
	s_cbranch_scc0 .LBB38_2223
; %bb.2214:
	global_load_u8 v1, v[6:7], off
	s_mov_b32 s18, 0
	s_mov_b32 s17, exec_lo
	s_wait_loadcnt 0x0
	v_cmpx_lt_i16_e32 0x7f, v1
	s_xor_b32 s17, exec_lo, s17
	s_cbranch_execz .LBB38_2235
; %bb.2215:
	v_cmp_ne_u16_e32 vcc_lo, 0x80, v1
	s_and_b32 s18, vcc_lo, exec_lo
	s_and_not1_saveexec_b32 s17, s17
	s_cbranch_execnz .LBB38_2236
.LBB38_2216:
	s_or_b32 exec_lo, exec_lo, s17
	v_mov_b32_e32 v8, 0
	s_and_saveexec_b32 s17, s18
	s_cbranch_execz .LBB38_2218
.LBB38_2217:
	v_and_b32_e32 v3, 0xffff, v1
	s_delay_alu instid0(VALU_DEP_1) | instskip(SKIP_1) | instid1(VALU_DEP_2)
	v_and_b32_e32 v5, 3, v3
	v_bfe_u32 v13, v3, 2, 5
	v_clz_i32_u32_e32 v8, v5
	s_delay_alu instid0(VALU_DEP_2) | instskip(NEXT) | instid1(VALU_DEP_2)
	v_cmp_eq_u32_e32 vcc_lo, 0, v13
	v_min_u32_e32 v8, 32, v8
	s_delay_alu instid0(VALU_DEP_1) | instskip(NEXT) | instid1(VALU_DEP_1)
	v_subrev_nc_u32_e32 v9, 29, v8
	v_dual_lshlrev_b32 v3, v9, v3 :: v_dual_sub_nc_u32 v8, 30, v8
	s_delay_alu instid0(VALU_DEP_1) | instskip(NEXT) | instid1(VALU_DEP_2)
	v_dual_lshlrev_b32 v1, 24, v1 :: v_dual_bitop2_b32 v3, 3, v3 bitop3:0x40
	v_cndmask_b32_e32 v8, v13, v8, vcc_lo
	s_delay_alu instid0(VALU_DEP_2) | instskip(NEXT) | instid1(VALU_DEP_3)
	v_cndmask_b32_e32 v3, v5, v3, vcc_lo
	v_and_b32_e32 v1, 0x80000000, v1
	s_delay_alu instid0(VALU_DEP_3) | instskip(NEXT) | instid1(VALU_DEP_3)
	v_lshl_add_u32 v5, v8, 23, 0x37800000
	v_lshlrev_b32_e32 v3, 21, v3
	s_delay_alu instid0(VALU_DEP_1) | instskip(NEXT) | instid1(VALU_DEP_1)
	v_or3_b32 v1, v1, v5, v3
	v_cvt_i32_f32_e32 v8, v1
.LBB38_2218:
	s_or_b32 exec_lo, exec_lo, s17
	s_mov_b32 s17, 0
	s_branch .LBB38_2224
.LBB38_2219:
	s_mov_b32 s17, -1
                                        ; implicit-def: $vgpr8
	s_branch .LBB38_2230
.LBB38_2220:
	s_and_not1_saveexec_b32 s18, s18
	s_cbranch_execz .LBB38_2205
.LBB38_2221:
	v_cmp_ne_u16_e32 vcc_lo, 0, v1
	s_and_not1_b32 s19, s19, exec_lo
	s_and_b32 s20, vcc_lo, exec_lo
	s_delay_alu instid0(SALU_CYCLE_1)
	s_or_b32 s19, s19, s20
	s_or_b32 exec_lo, exec_lo, s18
	v_mov_b32_e32 v8, 0
	s_and_saveexec_b32 s18, s19
	s_cbranch_execnz .LBB38_2206
	s_branch .LBB38_2207
.LBB38_2222:
	s_mov_b32 s17, -1
                                        ; implicit-def: $vgpr8
	s_branch .LBB38_2227
.LBB38_2223:
	s_mov_b32 s17, -1
                                        ; implicit-def: $vgpr8
.LBB38_2224:
	s_delay_alu instid0(SALU_CYCLE_1)
	s_and_b32 vcc_lo, exec_lo, s17
	s_cbranch_vccz .LBB38_2226
; %bb.2225:
	global_load_u8 v1, v[6:7], off
	s_wait_loadcnt 0x0
	v_lshlrev_b32_e32 v1, 24, v1
	s_delay_alu instid0(VALU_DEP_1) | instskip(NEXT) | instid1(VALU_DEP_1)
	v_and_b32_e32 v3, 0x7f000000, v1
	v_clz_i32_u32_e32 v5, v3
	v_add_nc_u32_e32 v9, 0x1000000, v3
	v_cmp_ne_u32_e32 vcc_lo, 0, v3
	s_delay_alu instid0(VALU_DEP_3) | instskip(NEXT) | instid1(VALU_DEP_1)
	v_min_u32_e32 v5, 32, v5
	v_sub_nc_u32_e64 v5, v5, 4 clamp
	s_delay_alu instid0(VALU_DEP_1) | instskip(NEXT) | instid1(VALU_DEP_1)
	v_dual_lshlrev_b32 v8, v5, v3 :: v_dual_lshlrev_b32 v5, 23, v5
	v_lshrrev_b32_e32 v8, 4, v8
	s_delay_alu instid0(VALU_DEP_1) | instskip(SKIP_1) | instid1(VALU_DEP_2)
	v_sub_nc_u32_e32 v5, v8, v5
	v_ashrrev_i32_e32 v8, 8, v9
	v_add_nc_u32_e32 v5, 0x3c000000, v5
	s_delay_alu instid0(VALU_DEP_1) | instskip(NEXT) | instid1(VALU_DEP_1)
	v_and_or_b32 v5, 0x7f800000, v8, v5
	v_cndmask_b32_e32 v3, 0, v5, vcc_lo
	s_delay_alu instid0(VALU_DEP_1) | instskip(NEXT) | instid1(VALU_DEP_1)
	v_and_or_b32 v1, 0x80000000, v1, v3
	v_cvt_i32_f32_e32 v8, v1
.LBB38_2226:
	s_mov_b32 s17, 0
.LBB38_2227:
	s_delay_alu instid0(SALU_CYCLE_1)
	s_and_not1_b32 vcc_lo, exec_lo, s17
	s_cbranch_vccnz .LBB38_2229
; %bb.2228:
	global_load_u8 v1, v[6:7], off
	s_wait_loadcnt 0x0
	v_lshlrev_b32_e32 v3, 25, v1
	v_lshlrev_b16 v1, 8, v1
	s_delay_alu instid0(VALU_DEP_1) | instskip(SKIP_1) | instid1(VALU_DEP_2)
	v_and_or_b32 v8, 0x7f00, v1, 0.5
	v_bfe_i32 v1, v1, 0, 16
	v_dual_add_f32 v8, -0.5, v8 :: v_dual_lshrrev_b32 v5, 4, v3
	v_cmp_gt_u32_e32 vcc_lo, 0x8000000, v3
	s_delay_alu instid0(VALU_DEP_2) | instskip(NEXT) | instid1(VALU_DEP_1)
	v_or_b32_e32 v5, 0x70000000, v5
	v_mul_f32_e32 v5, 0x7800000, v5
	s_delay_alu instid0(VALU_DEP_1) | instskip(NEXT) | instid1(VALU_DEP_1)
	v_cndmask_b32_e32 v3, v5, v8, vcc_lo
	v_and_or_b32 v1, 0x80000000, v1, v3
	s_delay_alu instid0(VALU_DEP_1)
	v_cvt_i32_f32_e32 v8, v1
.LBB38_2229:
	s_mov_b32 s17, 0
	s_mov_b32 s18, -1
.LBB38_2230:
	s_and_not1_b32 vcc_lo, exec_lo, s17
	s_mov_b32 s17, 0
	s_cbranch_vccnz .LBB38_2241
; %bb.2231:
	s_cmp_gt_i32 s13, 14
	s_cbranch_scc0 .LBB38_2234
; %bb.2232:
	s_cmp_eq_u32 s13, 15
	s_cbranch_scc0 .LBB38_2237
; %bb.2233:
	global_load_u16 v1, v[6:7], off
	s_mov_b32 s16, 0
	s_mov_b32 s18, -1
	s_wait_loadcnt 0x0
	v_lshlrev_b32_e32 v1, 16, v1
	s_delay_alu instid0(VALU_DEP_1)
	v_cvt_i32_f32_e32 v8, v1
	s_branch .LBB38_2239
.LBB38_2234:
	s_mov_b32 s17, -1
	s_branch .LBB38_2238
.LBB38_2235:
	s_and_not1_saveexec_b32 s17, s17
	s_cbranch_execz .LBB38_2216
.LBB38_2236:
	v_cmp_ne_u16_e32 vcc_lo, 0, v1
	s_and_not1_b32 s18, s18, exec_lo
	s_and_b32 s19, vcc_lo, exec_lo
	s_delay_alu instid0(SALU_CYCLE_1)
	s_or_b32 s18, s18, s19
	s_or_b32 exec_lo, exec_lo, s17
	v_mov_b32_e32 v8, 0
	s_and_saveexec_b32 s17, s18
	s_cbranch_execnz .LBB38_2217
	s_branch .LBB38_2218
.LBB38_2237:
	s_mov_b32 s16, -1
.LBB38_2238:
                                        ; implicit-def: $vgpr8
.LBB38_2239:
	s_and_b32 vcc_lo, exec_lo, s17
	s_mov_b32 s17, 0
	s_cbranch_vccz .LBB38_2241
; %bb.2240:
	s_cmp_lg_u32 s13, 11
	s_mov_b32 s17, -1
	s_cselect_b32 s16, -1, 0
.LBB38_2241:
	s_delay_alu instid0(SALU_CYCLE_1)
	s_and_b32 vcc_lo, exec_lo, s16
	s_cbranch_vccnz .LBB38_2310
; %bb.2242:
	s_and_not1_b32 vcc_lo, exec_lo, s17
	s_cbranch_vccnz .LBB38_2244
.LBB38_2243:
	global_load_u8 v1, v[6:7], off
	s_mov_b32 s18, -1
	s_wait_loadcnt 0x0
	v_cmp_ne_u16_e32 vcc_lo, 0, v1
	v_cndmask_b32_e64 v8, 0, 1, vcc_lo
.LBB38_2244:
	s_mov_b32 s13, 0
.LBB38_2245:
	s_delay_alu instid0(SALU_CYCLE_1)
	s_and_b32 vcc_lo, exec_lo, s13
	s_cbranch_vccz .LBB38_2294
; %bb.2246:
	s_and_b32 s13, 0xffff, s1
	s_delay_alu instid0(SALU_CYCLE_1)
	s_cmp_lt_i32 s13, 5
	s_cbranch_scc1 .LBB38_2251
; %bb.2247:
	s_cmp_lt_i32 s13, 8
	s_cbranch_scc1 .LBB38_2252
; %bb.2248:
	;; [unrolled: 3-line block ×3, first 2 shown]
	s_cmp_gt_i32 s13, 9
	s_cbranch_scc0 .LBB38_2254
; %bb.2250:
	s_wait_loadcnt 0x0
	global_load_b64 v[8:9], v[6:7], off
	s_mov_b32 s16, 0
	s_wait_loadcnt 0x0
	v_cvt_i32_f64_e32 v8, v[8:9]
	s_branch .LBB38_2255
.LBB38_2251:
	s_mov_b32 s16, -1
                                        ; implicit-def: $vgpr8
	s_branch .LBB38_2273
.LBB38_2252:
	s_mov_b32 s16, -1
                                        ; implicit-def: $vgpr8
	s_branch .LBB38_2261
.LBB38_2253:
	s_mov_b32 s16, -1
                                        ; implicit-def: $vgpr8
	s_branch .LBB38_2258
.LBB38_2254:
	s_mov_b32 s16, -1
                                        ; implicit-def: $vgpr8
.LBB38_2255:
	s_delay_alu instid0(SALU_CYCLE_1)
	s_and_not1_b32 vcc_lo, exec_lo, s16
	s_cbranch_vccnz .LBB38_2257
; %bb.2256:
	global_load_b32 v1, v[6:7], off
	s_wait_loadcnt 0x0
	v_cvt_i32_f32_e32 v8, v1
.LBB38_2257:
	s_mov_b32 s16, 0
.LBB38_2258:
	s_delay_alu instid0(SALU_CYCLE_1)
	s_and_not1_b32 vcc_lo, exec_lo, s16
	s_cbranch_vccnz .LBB38_2260
; %bb.2259:
	global_load_b32 v1, v[6:7], off
	s_wait_loadcnt 0x0
	v_cvt_i16_f16_e32 v8, v1
.LBB38_2260:
	s_mov_b32 s16, 0
.LBB38_2261:
	s_delay_alu instid0(SALU_CYCLE_1)
	s_and_not1_b32 vcc_lo, exec_lo, s16
	s_cbranch_vccnz .LBB38_2272
; %bb.2262:
	s_cmp_lt_i32 s13, 6
	s_cbranch_scc1 .LBB38_2265
; %bb.2263:
	s_cmp_gt_i32 s13, 6
	s_cbranch_scc0 .LBB38_2266
; %bb.2264:
	s_wait_loadcnt 0x0
	global_load_b64 v[8:9], v[6:7], off
	s_mov_b32 s16, 0
	s_wait_loadcnt 0x0
	v_cvt_i32_f64_e32 v8, v[8:9]
	s_branch .LBB38_2267
.LBB38_2265:
	s_mov_b32 s16, -1
                                        ; implicit-def: $vgpr8
	s_branch .LBB38_2270
.LBB38_2266:
	s_mov_b32 s16, -1
                                        ; implicit-def: $vgpr8
.LBB38_2267:
	s_delay_alu instid0(SALU_CYCLE_1)
	s_and_not1_b32 vcc_lo, exec_lo, s16
	s_cbranch_vccnz .LBB38_2269
; %bb.2268:
	global_load_b32 v1, v[6:7], off
	s_wait_loadcnt 0x0
	v_cvt_i32_f32_e32 v8, v1
.LBB38_2269:
	s_mov_b32 s16, 0
.LBB38_2270:
	s_delay_alu instid0(SALU_CYCLE_1)
	s_and_not1_b32 vcc_lo, exec_lo, s16
	s_cbranch_vccnz .LBB38_2272
; %bb.2271:
	global_load_u16 v1, v[6:7], off
	s_wait_loadcnt 0x0
	v_cvt_i16_f16_e32 v8, v1
.LBB38_2272:
	s_mov_b32 s16, 0
.LBB38_2273:
	s_delay_alu instid0(SALU_CYCLE_1)
	s_and_not1_b32 vcc_lo, exec_lo, s16
	s_cbranch_vccnz .LBB38_2293
; %bb.2274:
	s_cmp_lt_i32 s13, 2
	s_cbranch_scc1 .LBB38_2278
; %bb.2275:
	s_cmp_lt_i32 s13, 3
	s_cbranch_scc1 .LBB38_2279
; %bb.2276:
	s_cmp_gt_i32 s13, 3
	s_cbranch_scc0 .LBB38_2280
; %bb.2277:
	s_wait_loadcnt 0x0
	global_load_b64 v[8:9], v[6:7], off
	s_mov_b32 s16, 0
	s_branch .LBB38_2281
.LBB38_2278:
	s_mov_b32 s16, -1
                                        ; implicit-def: $vgpr8
	s_branch .LBB38_2287
.LBB38_2279:
	s_mov_b32 s16, -1
                                        ; implicit-def: $vgpr8
	s_branch .LBB38_2284
.LBB38_2280:
	s_mov_b32 s16, -1
                                        ; implicit-def: $vgpr8
.LBB38_2281:
	s_delay_alu instid0(SALU_CYCLE_1)
	s_and_not1_b32 vcc_lo, exec_lo, s16
	s_cbranch_vccnz .LBB38_2283
; %bb.2282:
	s_wait_loadcnt 0x0
	global_load_b32 v8, v[6:7], off
.LBB38_2283:
	s_mov_b32 s16, 0
.LBB38_2284:
	s_delay_alu instid0(SALU_CYCLE_1)
	s_and_not1_b32 vcc_lo, exec_lo, s16
	s_cbranch_vccnz .LBB38_2286
; %bb.2285:
	s_wait_loadcnt 0x0
	global_load_u16 v8, v[6:7], off
.LBB38_2286:
	s_mov_b32 s16, 0
.LBB38_2287:
	s_delay_alu instid0(SALU_CYCLE_1)
	s_and_not1_b32 vcc_lo, exec_lo, s16
	s_cbranch_vccnz .LBB38_2293
; %bb.2288:
	s_cmp_gt_i32 s13, 0
	s_mov_b32 s13, 0
	s_cbranch_scc0 .LBB38_2290
; %bb.2289:
	s_wait_loadcnt 0x0
	global_load_i8 v8, v[6:7], off
	s_branch .LBB38_2291
.LBB38_2290:
	s_mov_b32 s13, -1
                                        ; implicit-def: $vgpr8
.LBB38_2291:
	s_delay_alu instid0(SALU_CYCLE_1)
	s_and_not1_b32 vcc_lo, exec_lo, s13
	s_cbranch_vccnz .LBB38_2293
; %bb.2292:
	s_wait_loadcnt 0x0
	global_load_u8 v8, v[6:7], off
.LBB38_2293:
	s_mov_b32 s18, -1
.LBB38_2294:
	s_delay_alu instid0(SALU_CYCLE_1)
	s_and_not1_b32 vcc_lo, exec_lo, s18
	s_cbranch_vccnz .LBB38_2635
; %bb.2295:
	s_wait_loadcnt 0x0
	s_delay_alu instid0(VALU_DEP_1) | instskip(SKIP_3) | instid1(VALU_DEP_1)
	v_sub_nc_u16 v1, 0, v8
	s_mov_b32 s16, 0
	s_mov_b32 s13, exec_lo
	s_wait_xcnt 0x0
	v_max_i16 v6, v8, v1
	v_cmpx_ne_u16_e32 0, v4
	s_cbranch_execz .LBB38_2299
; %bb.2296:
	v_sub_nc_u16 v1, 0, v4
	s_delay_alu instid0(VALU_DEP_1) | instskip(SKIP_1) | instid1(VALU_DEP_2)
	v_max_i16 v3, v4, v1
	v_and_b32_e32 v1, 0xffff, v6
	v_and_b32_e32 v3, 0xffff, v3
.LBB38_2297:                            ; =>This Inner Loop Header: Depth=1
	s_delay_alu instid0(VALU_DEP_1) | instskip(NEXT) | instid1(VALU_DEP_2)
	v_bfe_i32 v5, v1, 0, 16
	v_mov_b32_e32 v6, v3
	s_delay_alu instid0(VALU_DEP_2) | instskip(NEXT) | instid1(VALU_DEP_2)
	v_cvt_f32_i32_e32 v8, v5
	v_bfe_i32 v3, v6, 0, 16
	s_delay_alu instid0(VALU_DEP_1) | instskip(SKIP_1) | instid1(VALU_DEP_2)
	v_cvt_f32_i32_e32 v4, v3
	v_xor_b32_e32 v3, v5, v3
	v_rcp_iflag_f32_e32 v7, v4
	v_nop
	s_delay_alu instid0(TRANS32_DEP_1) | instskip(NEXT) | instid1(VALU_DEP_1)
	v_mul_f32_e32 v5, v8, v7
	v_trunc_f32_e32 v5, v5
	s_delay_alu instid0(VALU_DEP_1) | instskip(NEXT) | instid1(VALU_DEP_1)
	v_dual_ashrrev_i32 v3, 30, v3 :: v_dual_fma_f32 v7, -v5, v4, v8
	v_or_b32_e32 v3, 1, v3
	v_cvt_i32_f32_e32 v5, v5
	s_delay_alu instid0(VALU_DEP_3) | instskip(NEXT) | instid1(VALU_DEP_3)
	v_cmp_ge_f32_e64 vcc_lo, |v7|, |v4|
	v_cndmask_b32_e32 v3, 0, v3, vcc_lo
	s_delay_alu instid0(VALU_DEP_1) | instskip(NEXT) | instid1(VALU_DEP_1)
	v_add_nc_u32_e32 v3, v5, v3
	v_mul_lo_u32 v3, v3, v6
	s_delay_alu instid0(VALU_DEP_1) | instskip(NEXT) | instid1(VALU_DEP_1)
	v_sub_nc_u32_e32 v3, v1, v3
	v_and_b32_e32 v1, 0xffff, v3
	v_bfe_i32 v3, v3, 0, 16
	s_delay_alu instid0(VALU_DEP_2) | instskip(SKIP_2) | instid1(SALU_CYCLE_1)
	v_cmp_eq_u32_e32 vcc_lo, 0, v1
	v_mov_b32_e32 v1, v6
	s_or_b32 s16, vcc_lo, s16
	s_and_not1_b32 exec_lo, exec_lo, s16
	s_cbranch_execnz .LBB38_2297
; %bb.2298:
	s_or_b32 exec_lo, exec_lo, s16
.LBB38_2299:
	s_delay_alu instid0(SALU_CYCLE_1) | instskip(SKIP_2) | instid1(VALU_DEP_1)
	s_or_b32 exec_lo, exec_lo, s13
	v_add_nc_u32_e32 v0, s9, v0
	s_cmp_lt_i32 s0, 11
	v_ashrrev_i32_e32 v1, 31, v0
	s_delay_alu instid0(VALU_DEP_1)
	v_add_nc_u64_e32 v[4:5], s[6:7], v[0:1]
	s_cbranch_scc1 .LBB38_2306
; %bb.2300:
	s_and_b32 s6, 0xffff, s0
	s_mov_b32 s9, 0
	s_cmp_gt_i32 s6, 25
	s_cbranch_scc0 .LBB38_2307
; %bb.2301:
	s_cmp_gt_i32 s6, 28
	s_cbranch_scc0 .LBB38_2308
; %bb.2302:
	;; [unrolled: 3-line block ×4, first 2 shown]
	s_cmp_eq_u32 s6, 46
	s_mov_b32 s16, 0
	s_cbranch_scc0 .LBB38_2312
; %bb.2305:
	global_load_b32 v0, v[4:5], off
	s_mov_b32 s7, 0
	s_mov_b32 s13, -1
	s_wait_loadcnt 0x0
	v_lshlrev_b32_e32 v0, 16, v0
	s_delay_alu instid0(VALU_DEP_1)
	v_cvt_i32_f32_e32 v0, v0
	s_branch .LBB38_2314
.LBB38_2306:
	s_mov_b32 s6, -1
	s_mov_b32 s13, 0
                                        ; implicit-def: $vgpr0
	s_branch .LBB38_2376
.LBB38_2307:
	s_mov_b32 s16, -1
	s_mov_b32 s13, 0
	s_mov_b32 s7, 0
                                        ; implicit-def: $vgpr0
	s_branch .LBB38_2341
.LBB38_2308:
	s_mov_b32 s16, -1
	s_mov_b32 s13, 0
	s_mov_b32 s7, 0
                                        ; implicit-def: $vgpr0
	s_branch .LBB38_2324
.LBB38_2309:
	s_mov_b32 s16, -1
	s_mov_b32 s13, 0
	s_mov_b32 s7, 0
                                        ; implicit-def: $vgpr0
	s_branch .LBB38_2319
.LBB38_2310:
	s_or_b32 s12, s12, exec_lo
	s_trap 2
	s_cbranch_execz .LBB38_2243
	s_branch .LBB38_2244
.LBB38_2311:
	s_mov_b32 s16, -1
	s_mov_b32 s13, 0
	s_mov_b32 s7, 0
	s_branch .LBB38_2313
.LBB38_2312:
	s_mov_b32 s7, -1
	s_mov_b32 s13, 0
.LBB38_2313:
                                        ; implicit-def: $vgpr0
.LBB38_2314:
	s_and_b32 vcc_lo, exec_lo, s16
	s_cbranch_vccz .LBB38_2318
; %bb.2315:
	s_cmp_eq_u32 s6, 44
	s_cbranch_scc0 .LBB38_2317
; %bb.2316:
	global_load_u8 v0, v[4:5], off
	s_mov_b32 s7, 0
	s_mov_b32 s13, -1
	s_wait_loadcnt 0x0
	v_lshlrev_b32_e32 v1, 23, v0
	v_cmp_ne_u32_e32 vcc_lo, 0, v0
	s_delay_alu instid0(VALU_DEP_2) | instskip(NEXT) | instid1(VALU_DEP_1)
	v_cvt_i32_f32_e32 v1, v1
	v_cndmask_b32_e32 v0, 0, v1, vcc_lo
	s_branch .LBB38_2318
.LBB38_2317:
	s_mov_b32 s7, -1
                                        ; implicit-def: $vgpr0
.LBB38_2318:
	s_mov_b32 s16, 0
.LBB38_2319:
	s_delay_alu instid0(SALU_CYCLE_1)
	s_and_b32 vcc_lo, exec_lo, s16
	s_cbranch_vccz .LBB38_2323
; %bb.2320:
	s_cmp_eq_u32 s6, 29
	s_cbranch_scc0 .LBB38_2322
; %bb.2321:
	global_load_b64 v[0:1], v[4:5], off
	s_mov_b32 s7, 0
	s_mov_b32 s13, -1
	s_branch .LBB38_2323
.LBB38_2322:
	s_mov_b32 s7, -1
                                        ; implicit-def: $vgpr0
.LBB38_2323:
	s_mov_b32 s16, 0
.LBB38_2324:
	s_delay_alu instid0(SALU_CYCLE_1)
	s_and_b32 vcc_lo, exec_lo, s16
	s_cbranch_vccz .LBB38_2340
; %bb.2325:
	s_cmp_lt_i32 s6, 27
	s_cbranch_scc1 .LBB38_2328
; %bb.2326:
	s_cmp_gt_i32 s6, 27
	s_cbranch_scc0 .LBB38_2329
; %bb.2327:
	s_wait_loadcnt 0x0
	global_load_b32 v0, v[4:5], off
	s_mov_b32 s13, 0
	s_branch .LBB38_2330
.LBB38_2328:
	s_mov_b32 s13, -1
                                        ; implicit-def: $vgpr0
	s_branch .LBB38_2333
.LBB38_2329:
	s_mov_b32 s13, -1
                                        ; implicit-def: $vgpr0
.LBB38_2330:
	s_delay_alu instid0(SALU_CYCLE_1)
	s_and_not1_b32 vcc_lo, exec_lo, s13
	s_cbranch_vccnz .LBB38_2332
; %bb.2331:
	s_wait_loadcnt 0x0
	global_load_u16 v0, v[4:5], off
.LBB38_2332:
	s_mov_b32 s13, 0
.LBB38_2333:
	s_delay_alu instid0(SALU_CYCLE_1)
	s_and_not1_b32 vcc_lo, exec_lo, s13
	s_cbranch_vccnz .LBB38_2339
; %bb.2334:
	s_wait_loadcnt 0x0
	global_load_u8 v1, v[4:5], off
	s_mov_b32 s16, 0
	s_mov_b32 s13, exec_lo
	s_wait_loadcnt 0x0
	v_cmpx_lt_i16_e32 0x7f, v1
	s_xor_b32 s13, exec_lo, s13
	s_cbranch_execz .LBB38_2351
; %bb.2335:
	v_cmp_ne_u16_e32 vcc_lo, 0x80, v1
	s_and_b32 s16, vcc_lo, exec_lo
	s_and_not1_saveexec_b32 s13, s13
	s_cbranch_execnz .LBB38_2352
.LBB38_2336:
	s_or_b32 exec_lo, exec_lo, s13
	v_mov_b32_e32 v0, 0
	s_and_saveexec_b32 s13, s16
	s_cbranch_execz .LBB38_2338
.LBB38_2337:
	v_and_b32_e32 v0, 0xffff, v1
	s_delay_alu instid0(VALU_DEP_1) | instskip(SKIP_1) | instid1(VALU_DEP_2)
	v_and_b32_e32 v3, 7, v0
	v_bfe_u32 v9, v0, 3, 4
	v_clz_i32_u32_e32 v7, v3
	s_delay_alu instid0(VALU_DEP_2) | instskip(NEXT) | instid1(VALU_DEP_2)
	v_cmp_eq_u32_e32 vcc_lo, 0, v9
	v_min_u32_e32 v7, 32, v7
	s_delay_alu instid0(VALU_DEP_1) | instskip(NEXT) | instid1(VALU_DEP_1)
	v_subrev_nc_u32_e32 v8, 28, v7
	v_dual_lshlrev_b32 v0, v8, v0 :: v_dual_sub_nc_u32 v7, 29, v7
	s_delay_alu instid0(VALU_DEP_1) | instskip(NEXT) | instid1(VALU_DEP_1)
	v_dual_lshlrev_b32 v1, 24, v1 :: v_dual_bitop2_b32 v0, 7, v0 bitop3:0x40
	v_dual_cndmask_b32 v7, v9, v7 :: v_dual_cndmask_b32 v0, v3, v0
	s_delay_alu instid0(VALU_DEP_2) | instskip(NEXT) | instid1(VALU_DEP_2)
	v_and_b32_e32 v1, 0x80000000, v1
	v_lshl_add_u32 v3, v7, 23, 0x3b800000
	s_delay_alu instid0(VALU_DEP_3) | instskip(NEXT) | instid1(VALU_DEP_1)
	v_lshlrev_b32_e32 v0, 20, v0
	v_or3_b32 v0, v1, v3, v0
	s_delay_alu instid0(VALU_DEP_1)
	v_cvt_i32_f32_e32 v0, v0
.LBB38_2338:
	s_or_b32 exec_lo, exec_lo, s13
.LBB38_2339:
	s_mov_b32 s13, -1
.LBB38_2340:
	s_mov_b32 s16, 0
.LBB38_2341:
	s_delay_alu instid0(SALU_CYCLE_1)
	s_and_b32 vcc_lo, exec_lo, s16
	s_cbranch_vccz .LBB38_2372
; %bb.2342:
	s_cmp_gt_i32 s6, 22
	s_cbranch_scc0 .LBB38_2350
; %bb.2343:
	s_cmp_lt_i32 s6, 24
	s_cbranch_scc1 .LBB38_2353
; %bb.2344:
	s_cmp_gt_i32 s6, 24
	s_cbranch_scc0 .LBB38_2354
; %bb.2345:
	s_wait_loadcnt 0x0
	global_load_u8 v1, v[4:5], off
	s_mov_b32 s13, 0
	s_mov_b32 s9, exec_lo
	s_wait_loadcnt 0x0
	v_cmpx_lt_i16_e32 0x7f, v1
	s_xor_b32 s9, exec_lo, s9
	s_cbranch_execz .LBB38_2366
; %bb.2346:
	v_cmp_ne_u16_e32 vcc_lo, 0x80, v1
	s_and_b32 s13, vcc_lo, exec_lo
	s_and_not1_saveexec_b32 s9, s9
	s_cbranch_execnz .LBB38_2367
.LBB38_2347:
	s_or_b32 exec_lo, exec_lo, s9
	v_mov_b32_e32 v0, 0
	s_and_saveexec_b32 s9, s13
	s_cbranch_execz .LBB38_2349
.LBB38_2348:
	v_and_b32_e32 v0, 0xffff, v1
	s_delay_alu instid0(VALU_DEP_1) | instskip(SKIP_1) | instid1(VALU_DEP_2)
	v_and_b32_e32 v3, 3, v0
	v_bfe_u32 v9, v0, 2, 5
	v_clz_i32_u32_e32 v7, v3
	s_delay_alu instid0(VALU_DEP_2) | instskip(NEXT) | instid1(VALU_DEP_2)
	v_cmp_eq_u32_e32 vcc_lo, 0, v9
	v_min_u32_e32 v7, 32, v7
	s_delay_alu instid0(VALU_DEP_1) | instskip(NEXT) | instid1(VALU_DEP_1)
	v_subrev_nc_u32_e32 v8, 29, v7
	v_dual_lshlrev_b32 v0, v8, v0 :: v_dual_sub_nc_u32 v7, 30, v7
	s_delay_alu instid0(VALU_DEP_1) | instskip(NEXT) | instid1(VALU_DEP_1)
	v_dual_lshlrev_b32 v1, 24, v1 :: v_dual_bitop2_b32 v0, 3, v0 bitop3:0x40
	v_dual_cndmask_b32 v7, v9, v7 :: v_dual_cndmask_b32 v0, v3, v0
	s_delay_alu instid0(VALU_DEP_2) | instskip(NEXT) | instid1(VALU_DEP_2)
	v_and_b32_e32 v1, 0x80000000, v1
	v_lshl_add_u32 v3, v7, 23, 0x37800000
	s_delay_alu instid0(VALU_DEP_3) | instskip(NEXT) | instid1(VALU_DEP_1)
	v_lshlrev_b32_e32 v0, 21, v0
	v_or3_b32 v0, v1, v3, v0
	s_delay_alu instid0(VALU_DEP_1)
	v_cvt_i32_f32_e32 v0, v0
.LBB38_2349:
	s_or_b32 exec_lo, exec_lo, s9
	s_mov_b32 s9, 0
	s_branch .LBB38_2355
.LBB38_2350:
	s_mov_b32 s9, -1
                                        ; implicit-def: $vgpr0
	s_branch .LBB38_2361
.LBB38_2351:
	s_and_not1_saveexec_b32 s13, s13
	s_cbranch_execz .LBB38_2336
.LBB38_2352:
	v_cmp_ne_u16_e32 vcc_lo, 0, v1
	s_and_not1_b32 s16, s16, exec_lo
	s_and_b32 s17, vcc_lo, exec_lo
	s_delay_alu instid0(SALU_CYCLE_1)
	s_or_b32 s16, s16, s17
	s_or_b32 exec_lo, exec_lo, s13
	v_mov_b32_e32 v0, 0
	s_and_saveexec_b32 s13, s16
	s_cbranch_execnz .LBB38_2337
	s_branch .LBB38_2338
.LBB38_2353:
	s_mov_b32 s9, -1
                                        ; implicit-def: $vgpr0
	s_branch .LBB38_2358
.LBB38_2354:
	s_mov_b32 s9, -1
                                        ; implicit-def: $vgpr0
.LBB38_2355:
	s_delay_alu instid0(SALU_CYCLE_1)
	s_and_b32 vcc_lo, exec_lo, s9
	s_cbranch_vccz .LBB38_2357
; %bb.2356:
	s_wait_loadcnt 0x0
	global_load_u8 v0, v[4:5], off
	s_wait_loadcnt 0x0
	v_lshlrev_b32_e32 v0, 24, v0
	s_delay_alu instid0(VALU_DEP_1) | instskip(NEXT) | instid1(VALU_DEP_1)
	v_and_b32_e32 v1, 0x7f000000, v0
	v_clz_i32_u32_e32 v3, v1
	v_cmp_ne_u32_e32 vcc_lo, 0, v1
	v_add_nc_u32_e32 v8, 0x1000000, v1
	s_delay_alu instid0(VALU_DEP_3) | instskip(NEXT) | instid1(VALU_DEP_1)
	v_min_u32_e32 v3, 32, v3
	v_sub_nc_u32_e64 v3, v3, 4 clamp
	s_delay_alu instid0(VALU_DEP_1) | instskip(NEXT) | instid1(VALU_DEP_1)
	v_dual_lshlrev_b32 v7, v3, v1 :: v_dual_lshlrev_b32 v3, 23, v3
	v_lshrrev_b32_e32 v7, 4, v7
	s_delay_alu instid0(VALU_DEP_1) | instskip(NEXT) | instid1(VALU_DEP_1)
	v_dual_sub_nc_u32 v3, v7, v3 :: v_dual_ashrrev_i32 v7, 8, v8
	v_add_nc_u32_e32 v3, 0x3c000000, v3
	s_delay_alu instid0(VALU_DEP_1) | instskip(NEXT) | instid1(VALU_DEP_1)
	v_and_or_b32 v3, 0x7f800000, v7, v3
	v_cndmask_b32_e32 v1, 0, v3, vcc_lo
	s_delay_alu instid0(VALU_DEP_1) | instskip(NEXT) | instid1(VALU_DEP_1)
	v_and_or_b32 v0, 0x80000000, v0, v1
	v_cvt_i32_f32_e32 v0, v0
.LBB38_2357:
	s_mov_b32 s9, 0
.LBB38_2358:
	s_delay_alu instid0(SALU_CYCLE_1)
	s_and_not1_b32 vcc_lo, exec_lo, s9
	s_cbranch_vccnz .LBB38_2360
; %bb.2359:
	s_wait_loadcnt 0x0
	global_load_u8 v0, v[4:5], off
	s_wait_loadcnt 0x0
	v_lshlrev_b32_e32 v1, 25, v0
	v_lshlrev_b16 v0, 8, v0
	s_delay_alu instid0(VALU_DEP_1) | instskip(SKIP_1) | instid1(VALU_DEP_2)
	v_and_or_b32 v7, 0x7f00, v0, 0.5
	v_bfe_i32 v0, v0, 0, 16
	v_dual_add_f32 v7, -0.5, v7 :: v_dual_lshrrev_b32 v3, 4, v1
	v_cmp_gt_u32_e32 vcc_lo, 0x8000000, v1
	s_delay_alu instid0(VALU_DEP_2) | instskip(NEXT) | instid1(VALU_DEP_1)
	v_or_b32_e32 v3, 0x70000000, v3
	v_mul_f32_e32 v3, 0x7800000, v3
	s_delay_alu instid0(VALU_DEP_1) | instskip(NEXT) | instid1(VALU_DEP_1)
	v_cndmask_b32_e32 v1, v3, v7, vcc_lo
	v_and_or_b32 v0, 0x80000000, v0, v1
	s_delay_alu instid0(VALU_DEP_1)
	v_cvt_i32_f32_e32 v0, v0
.LBB38_2360:
	s_mov_b32 s9, 0
	s_mov_b32 s13, -1
.LBB38_2361:
	s_and_not1_b32 vcc_lo, exec_lo, s9
	s_mov_b32 s9, 0
	s_cbranch_vccnz .LBB38_2372
; %bb.2362:
	s_cmp_gt_i32 s6, 14
	s_cbranch_scc0 .LBB38_2365
; %bb.2363:
	s_cmp_eq_u32 s6, 15
	s_cbranch_scc0 .LBB38_2368
; %bb.2364:
	s_wait_loadcnt 0x0
	global_load_u16 v0, v[4:5], off
	s_mov_b32 s7, 0
	s_mov_b32 s13, -1
	s_wait_loadcnt 0x0
	v_lshlrev_b32_e32 v0, 16, v0
	s_delay_alu instid0(VALU_DEP_1)
	v_cvt_i32_f32_e32 v0, v0
	s_branch .LBB38_2370
.LBB38_2365:
	s_mov_b32 s9, -1
	s_branch .LBB38_2369
.LBB38_2366:
	s_and_not1_saveexec_b32 s9, s9
	s_cbranch_execz .LBB38_2347
.LBB38_2367:
	v_cmp_ne_u16_e32 vcc_lo, 0, v1
	s_and_not1_b32 s13, s13, exec_lo
	s_and_b32 s16, vcc_lo, exec_lo
	s_delay_alu instid0(SALU_CYCLE_1)
	s_or_b32 s13, s13, s16
	s_or_b32 exec_lo, exec_lo, s9
	v_mov_b32_e32 v0, 0
	s_and_saveexec_b32 s9, s13
	s_cbranch_execnz .LBB38_2348
	s_branch .LBB38_2349
.LBB38_2368:
	s_mov_b32 s7, -1
.LBB38_2369:
                                        ; implicit-def: $vgpr0
.LBB38_2370:
	s_and_b32 vcc_lo, exec_lo, s9
	s_mov_b32 s9, 0
	s_cbranch_vccz .LBB38_2372
; %bb.2371:
	s_cmp_lg_u32 s6, 11
	s_mov_b32 s9, -1
	s_cselect_b32 s7, -1, 0
.LBB38_2372:
	s_delay_alu instid0(SALU_CYCLE_1)
	s_and_b32 vcc_lo, exec_lo, s7
	s_cbranch_vccnz .LBB38_2437
; %bb.2373:
	s_and_not1_b32 vcc_lo, exec_lo, s9
	s_cbranch_vccnz .LBB38_2375
.LBB38_2374:
	s_wait_loadcnt 0x0
	global_load_u8 v0, v[4:5], off
	s_mov_b32 s13, -1
	s_wait_loadcnt 0x0
	v_cmp_ne_u16_e32 vcc_lo, 0, v0
	v_cndmask_b32_e64 v0, 0, 1, vcc_lo
.LBB38_2375:
	s_mov_b32 s6, 0
.LBB38_2376:
	s_delay_alu instid0(SALU_CYCLE_1)
	s_and_b32 vcc_lo, exec_lo, s6
	s_cbranch_vccz .LBB38_2425
; %bb.2377:
	s_and_b32 s0, 0xffff, s0
	s_delay_alu instid0(SALU_CYCLE_1)
	s_cmp_lt_i32 s0, 5
	s_cbranch_scc1 .LBB38_2382
; %bb.2378:
	s_cmp_lt_i32 s0, 8
	s_cbranch_scc1 .LBB38_2383
; %bb.2379:
	;; [unrolled: 3-line block ×3, first 2 shown]
	s_cmp_gt_i32 s0, 9
	s_cbranch_scc0 .LBB38_2385
; %bb.2381:
	s_wait_loadcnt 0x0
	global_load_b64 v[0:1], v[4:5], off
	s_mov_b32 s6, 0
	s_wait_loadcnt 0x0
	v_cvt_i32_f64_e32 v0, v[0:1]
	s_branch .LBB38_2386
.LBB38_2382:
	s_mov_b32 s6, -1
                                        ; implicit-def: $vgpr0
	s_branch .LBB38_2404
.LBB38_2383:
	s_mov_b32 s6, -1
                                        ; implicit-def: $vgpr0
	s_branch .LBB38_2392
.LBB38_2384:
	s_mov_b32 s6, -1
                                        ; implicit-def: $vgpr0
	s_branch .LBB38_2389
.LBB38_2385:
	s_mov_b32 s6, -1
                                        ; implicit-def: $vgpr0
.LBB38_2386:
	s_delay_alu instid0(SALU_CYCLE_1)
	s_and_not1_b32 vcc_lo, exec_lo, s6
	s_cbranch_vccnz .LBB38_2388
; %bb.2387:
	s_wait_loadcnt 0x0
	global_load_b32 v0, v[4:5], off
	s_wait_loadcnt 0x0
	v_cvt_i32_f32_e32 v0, v0
.LBB38_2388:
	s_mov_b32 s6, 0
.LBB38_2389:
	s_delay_alu instid0(SALU_CYCLE_1)
	s_and_not1_b32 vcc_lo, exec_lo, s6
	s_cbranch_vccnz .LBB38_2391
; %bb.2390:
	s_wait_loadcnt 0x0
	global_load_b32 v0, v[4:5], off
	s_wait_loadcnt 0x0
	v_cvt_i16_f16_e32 v0, v0
.LBB38_2391:
	s_mov_b32 s6, 0
.LBB38_2392:
	s_delay_alu instid0(SALU_CYCLE_1)
	s_and_not1_b32 vcc_lo, exec_lo, s6
	s_cbranch_vccnz .LBB38_2403
; %bb.2393:
	s_cmp_lt_i32 s0, 6
	s_cbranch_scc1 .LBB38_2396
; %bb.2394:
	s_cmp_gt_i32 s0, 6
	s_cbranch_scc0 .LBB38_2397
; %bb.2395:
	s_wait_loadcnt 0x0
	global_load_b64 v[0:1], v[4:5], off
	s_mov_b32 s6, 0
	s_wait_loadcnt 0x0
	v_cvt_i32_f64_e32 v0, v[0:1]
	s_branch .LBB38_2398
.LBB38_2396:
	s_mov_b32 s6, -1
                                        ; implicit-def: $vgpr0
	s_branch .LBB38_2401
.LBB38_2397:
	s_mov_b32 s6, -1
                                        ; implicit-def: $vgpr0
.LBB38_2398:
	s_delay_alu instid0(SALU_CYCLE_1)
	s_and_not1_b32 vcc_lo, exec_lo, s6
	s_cbranch_vccnz .LBB38_2400
; %bb.2399:
	s_wait_loadcnt 0x0
	global_load_b32 v0, v[4:5], off
	s_wait_loadcnt 0x0
	v_cvt_i32_f32_e32 v0, v0
.LBB38_2400:
	s_mov_b32 s6, 0
.LBB38_2401:
	s_delay_alu instid0(SALU_CYCLE_1)
	s_and_not1_b32 vcc_lo, exec_lo, s6
	s_cbranch_vccnz .LBB38_2403
; %bb.2402:
	s_wait_loadcnt 0x0
	global_load_u16 v0, v[4:5], off
	s_wait_loadcnt 0x0
	v_cvt_i16_f16_e32 v0, v0
.LBB38_2403:
	s_mov_b32 s6, 0
.LBB38_2404:
	s_delay_alu instid0(SALU_CYCLE_1)
	s_and_not1_b32 vcc_lo, exec_lo, s6
	s_cbranch_vccnz .LBB38_2424
; %bb.2405:
	s_cmp_lt_i32 s0, 2
	s_cbranch_scc1 .LBB38_2409
; %bb.2406:
	s_cmp_lt_i32 s0, 3
	s_cbranch_scc1 .LBB38_2410
; %bb.2407:
	s_cmp_gt_i32 s0, 3
	s_cbranch_scc0 .LBB38_2411
; %bb.2408:
	s_wait_loadcnt 0x0
	global_load_b64 v[0:1], v[4:5], off
	s_mov_b32 s6, 0
	s_branch .LBB38_2412
.LBB38_2409:
	s_mov_b32 s6, -1
                                        ; implicit-def: $vgpr0
	s_branch .LBB38_2418
.LBB38_2410:
	s_mov_b32 s6, -1
                                        ; implicit-def: $vgpr0
	s_branch .LBB38_2415
.LBB38_2411:
	s_mov_b32 s6, -1
                                        ; implicit-def: $vgpr0
.LBB38_2412:
	s_delay_alu instid0(SALU_CYCLE_1)
	s_and_not1_b32 vcc_lo, exec_lo, s6
	s_cbranch_vccnz .LBB38_2414
; %bb.2413:
	s_wait_loadcnt 0x0
	global_load_b32 v0, v[4:5], off
.LBB38_2414:
	s_mov_b32 s6, 0
.LBB38_2415:
	s_delay_alu instid0(SALU_CYCLE_1)
	s_and_not1_b32 vcc_lo, exec_lo, s6
	s_cbranch_vccnz .LBB38_2417
; %bb.2416:
	s_wait_loadcnt 0x0
	global_load_u16 v0, v[4:5], off
.LBB38_2417:
	s_mov_b32 s6, 0
.LBB38_2418:
	s_delay_alu instid0(SALU_CYCLE_1)
	s_and_not1_b32 vcc_lo, exec_lo, s6
	s_cbranch_vccnz .LBB38_2424
; %bb.2419:
	s_cmp_gt_i32 s0, 0
	s_mov_b32 s0, 0
	s_cbranch_scc0 .LBB38_2421
; %bb.2420:
	s_wait_loadcnt 0x0
	global_load_i8 v0, v[4:5], off
	s_branch .LBB38_2422
.LBB38_2421:
	s_mov_b32 s0, -1
                                        ; implicit-def: $vgpr0
.LBB38_2422:
	s_delay_alu instid0(SALU_CYCLE_1)
	s_and_not1_b32 vcc_lo, exec_lo, s0
	s_cbranch_vccnz .LBB38_2424
; %bb.2423:
	s_wait_loadcnt 0x0
	global_load_u8 v0, v[4:5], off
.LBB38_2424:
	s_mov_b32 s13, -1
.LBB38_2425:
	s_delay_alu instid0(SALU_CYCLE_1)
	s_and_not1_b32 vcc_lo, exec_lo, s13
	s_cbranch_vccnz .LBB38_2635
; %bb.2426:
	v_add_nc_u32_e32 v2, s10, v2
	s_cmp_lt_i32 s1, 11
	s_delay_alu instid0(VALU_DEP_1) | instskip(NEXT) | instid1(VALU_DEP_1)
	v_ashrrev_i32_e32 v3, 31, v2
	v_add_nc_u64_e32 v[2:3], s[2:3], v[2:3]
	s_cbranch_scc1 .LBB38_2433
; %bb.2427:
	s_and_b32 s0, 0xffff, s1
	s_mov_b32 s3, 0
	s_cmp_gt_i32 s0, 25
	s_cbranch_scc0 .LBB38_2434
; %bb.2428:
	s_cmp_gt_i32 s0, 28
	s_cbranch_scc0 .LBB38_2435
; %bb.2429:
	;; [unrolled: 3-line block ×4, first 2 shown]
	s_cmp_eq_u32 s0, 46
	s_mov_b32 s7, 0
	s_cbranch_scc0 .LBB38_2439
; %bb.2432:
	s_wait_loadcnt 0x0
	global_load_b32 v1, v[2:3], off
	s_mov_b32 s2, 0
	s_mov_b32 s6, -1
	s_wait_loadcnt 0x0
	v_lshlrev_b32_e32 v1, 16, v1
	s_wait_xcnt 0x1
	s_delay_alu instid0(VALU_DEP_1)
	v_cvt_i32_f32_e32 v4, v1
	s_branch .LBB38_2441
.LBB38_2433:
	s_mov_b32 s0, -1
	s_mov_b32 s6, 0
                                        ; implicit-def: $vgpr4
	s_branch .LBB38_2503
.LBB38_2434:
	s_mov_b32 s7, -1
	s_mov_b32 s6, 0
	s_mov_b32 s2, 0
                                        ; implicit-def: $vgpr4
	s_branch .LBB38_2468
.LBB38_2435:
	s_mov_b32 s7, -1
	s_mov_b32 s6, 0
	s_mov_b32 s2, 0
                                        ; implicit-def: $vgpr4
	s_branch .LBB38_2451
.LBB38_2436:
	s_mov_b32 s7, -1
	s_mov_b32 s6, 0
	s_mov_b32 s2, 0
                                        ; implicit-def: $vgpr4
	s_branch .LBB38_2446
.LBB38_2437:
	s_or_b32 s12, s12, exec_lo
	s_trap 2
	s_cbranch_execz .LBB38_2374
	s_branch .LBB38_2375
.LBB38_2438:
	s_mov_b32 s7, -1
	s_mov_b32 s6, 0
	s_mov_b32 s2, 0
	s_branch .LBB38_2440
.LBB38_2439:
	s_mov_b32 s2, -1
	s_mov_b32 s6, 0
.LBB38_2440:
                                        ; implicit-def: $vgpr4
.LBB38_2441:
	s_and_b32 vcc_lo, exec_lo, s7
	s_cbranch_vccz .LBB38_2445
; %bb.2442:
	s_cmp_eq_u32 s0, 44
	s_cbranch_scc0 .LBB38_2444
; %bb.2443:
	s_wait_loadcnt 0x0
	global_load_u8 v1, v[2:3], off
	s_mov_b32 s2, 0
	s_mov_b32 s6, -1
	s_wait_loadcnt 0x0
	s_wait_xcnt 0x1
	v_lshlrev_b32_e32 v4, 23, v1
	v_cmp_ne_u32_e32 vcc_lo, 0, v1
	s_delay_alu instid0(VALU_DEP_2) | instskip(NEXT) | instid1(VALU_DEP_1)
	v_cvt_i32_f32_e32 v4, v4
	v_cndmask_b32_e32 v4, 0, v4, vcc_lo
	s_branch .LBB38_2445
.LBB38_2444:
	s_mov_b32 s2, -1
                                        ; implicit-def: $vgpr4
.LBB38_2445:
	s_mov_b32 s7, 0
.LBB38_2446:
	s_delay_alu instid0(SALU_CYCLE_1)
	s_and_b32 vcc_lo, exec_lo, s7
	s_cbranch_vccz .LBB38_2450
; %bb.2447:
	s_cmp_eq_u32 s0, 29
	s_cbranch_scc0 .LBB38_2449
; %bb.2448:
	global_load_b64 v[4:5], v[2:3], off
	s_mov_b32 s2, 0
	s_mov_b32 s6, -1
	s_branch .LBB38_2450
.LBB38_2449:
	s_mov_b32 s2, -1
                                        ; implicit-def: $vgpr4
.LBB38_2450:
	s_mov_b32 s7, 0
.LBB38_2451:
	s_delay_alu instid0(SALU_CYCLE_1)
	s_and_b32 vcc_lo, exec_lo, s7
	s_cbranch_vccz .LBB38_2467
; %bb.2452:
	s_cmp_lt_i32 s0, 27
	s_cbranch_scc1 .LBB38_2455
; %bb.2453:
	s_cmp_gt_i32 s0, 27
	s_cbranch_scc0 .LBB38_2456
; %bb.2454:
	s_wait_loadcnt 0x0
	global_load_b32 v4, v[2:3], off
	s_mov_b32 s6, 0
	s_branch .LBB38_2457
.LBB38_2455:
	s_mov_b32 s6, -1
                                        ; implicit-def: $vgpr4
	s_branch .LBB38_2460
.LBB38_2456:
	s_mov_b32 s6, -1
                                        ; implicit-def: $vgpr4
.LBB38_2457:
	s_delay_alu instid0(SALU_CYCLE_1)
	s_and_not1_b32 vcc_lo, exec_lo, s6
	s_cbranch_vccnz .LBB38_2459
; %bb.2458:
	s_wait_loadcnt 0x0
	global_load_u16 v4, v[2:3], off
.LBB38_2459:
	s_mov_b32 s6, 0
.LBB38_2460:
	s_delay_alu instid0(SALU_CYCLE_1)
	s_and_not1_b32 vcc_lo, exec_lo, s6
	s_cbranch_vccnz .LBB38_2466
; %bb.2461:
	s_wait_loadcnt 0x0
	global_load_u8 v1, v[2:3], off
	s_mov_b32 s7, 0
	s_mov_b32 s6, exec_lo
	s_wait_loadcnt 0x0
	v_cmpx_lt_i16_e32 0x7f, v1
	s_xor_b32 s6, exec_lo, s6
	s_cbranch_execz .LBB38_2478
; %bb.2462:
	v_cmp_ne_u16_e32 vcc_lo, 0x80, v1
	s_and_b32 s7, vcc_lo, exec_lo
	s_and_not1_saveexec_b32 s6, s6
	s_cbranch_execnz .LBB38_2479
.LBB38_2463:
	s_or_b32 exec_lo, exec_lo, s6
	v_mov_b32_e32 v4, 0
	s_and_saveexec_b32 s6, s7
	s_cbranch_execz .LBB38_2465
.LBB38_2464:
	v_and_b32_e32 v4, 0xffff, v1
	s_delay_alu instid0(VALU_DEP_1) | instskip(SKIP_1) | instid1(VALU_DEP_2)
	v_and_b32_e32 v5, 7, v4
	v_bfe_u32 v9, v4, 3, 4
	v_clz_i32_u32_e32 v7, v5
	s_delay_alu instid0(VALU_DEP_2) | instskip(NEXT) | instid1(VALU_DEP_2)
	v_cmp_eq_u32_e32 vcc_lo, 0, v9
	v_min_u32_e32 v7, 32, v7
	s_delay_alu instid0(VALU_DEP_1) | instskip(NEXT) | instid1(VALU_DEP_1)
	v_subrev_nc_u32_e32 v8, 28, v7
	v_dual_lshlrev_b32 v4, v8, v4 :: v_dual_sub_nc_u32 v7, 29, v7
	s_delay_alu instid0(VALU_DEP_1) | instskip(NEXT) | instid1(VALU_DEP_2)
	v_dual_lshlrev_b32 v1, 24, v1 :: v_dual_bitop2_b32 v4, 7, v4 bitop3:0x40
	v_cndmask_b32_e32 v7, v9, v7, vcc_lo
	s_delay_alu instid0(VALU_DEP_2) | instskip(NEXT) | instid1(VALU_DEP_3)
	v_cndmask_b32_e32 v4, v5, v4, vcc_lo
	v_and_b32_e32 v1, 0x80000000, v1
	s_delay_alu instid0(VALU_DEP_3) | instskip(NEXT) | instid1(VALU_DEP_3)
	v_lshl_add_u32 v5, v7, 23, 0x3b800000
	v_lshlrev_b32_e32 v4, 20, v4
	s_delay_alu instid0(VALU_DEP_1) | instskip(NEXT) | instid1(VALU_DEP_1)
	v_or3_b32 v1, v1, v5, v4
	v_cvt_i32_f32_e32 v4, v1
.LBB38_2465:
	s_or_b32 exec_lo, exec_lo, s6
.LBB38_2466:
	s_mov_b32 s6, -1
.LBB38_2467:
	s_mov_b32 s7, 0
.LBB38_2468:
	s_delay_alu instid0(SALU_CYCLE_1)
	s_and_b32 vcc_lo, exec_lo, s7
	s_cbranch_vccz .LBB38_2499
; %bb.2469:
	s_cmp_gt_i32 s0, 22
	s_cbranch_scc0 .LBB38_2477
; %bb.2470:
	s_cmp_lt_i32 s0, 24
	s_cbranch_scc1 .LBB38_2480
; %bb.2471:
	s_cmp_gt_i32 s0, 24
	s_cbranch_scc0 .LBB38_2481
; %bb.2472:
	s_wait_loadcnt 0x0
	global_load_u8 v1, v[2:3], off
	s_mov_b32 s6, 0
	s_mov_b32 s3, exec_lo
	s_wait_loadcnt 0x0
	v_cmpx_lt_i16_e32 0x7f, v1
	s_xor_b32 s3, exec_lo, s3
	s_cbranch_execz .LBB38_2493
; %bb.2473:
	v_cmp_ne_u16_e32 vcc_lo, 0x80, v1
	s_and_b32 s6, vcc_lo, exec_lo
	s_and_not1_saveexec_b32 s3, s3
	s_cbranch_execnz .LBB38_2494
.LBB38_2474:
	s_or_b32 exec_lo, exec_lo, s3
	v_mov_b32_e32 v4, 0
	s_and_saveexec_b32 s3, s6
	s_cbranch_execz .LBB38_2476
.LBB38_2475:
	v_and_b32_e32 v4, 0xffff, v1
	s_delay_alu instid0(VALU_DEP_1) | instskip(SKIP_1) | instid1(VALU_DEP_2)
	v_and_b32_e32 v5, 3, v4
	v_bfe_u32 v9, v4, 2, 5
	v_clz_i32_u32_e32 v7, v5
	s_delay_alu instid0(VALU_DEP_2) | instskip(NEXT) | instid1(VALU_DEP_2)
	v_cmp_eq_u32_e32 vcc_lo, 0, v9
	v_min_u32_e32 v7, 32, v7
	s_delay_alu instid0(VALU_DEP_1) | instskip(NEXT) | instid1(VALU_DEP_1)
	v_subrev_nc_u32_e32 v8, 29, v7
	v_dual_lshlrev_b32 v4, v8, v4 :: v_dual_sub_nc_u32 v7, 30, v7
	s_delay_alu instid0(VALU_DEP_1) | instskip(NEXT) | instid1(VALU_DEP_2)
	v_dual_lshlrev_b32 v1, 24, v1 :: v_dual_bitop2_b32 v4, 3, v4 bitop3:0x40
	v_cndmask_b32_e32 v7, v9, v7, vcc_lo
	s_delay_alu instid0(VALU_DEP_2) | instskip(NEXT) | instid1(VALU_DEP_3)
	v_cndmask_b32_e32 v4, v5, v4, vcc_lo
	v_and_b32_e32 v1, 0x80000000, v1
	s_delay_alu instid0(VALU_DEP_3) | instskip(NEXT) | instid1(VALU_DEP_3)
	v_lshl_add_u32 v5, v7, 23, 0x37800000
	v_lshlrev_b32_e32 v4, 21, v4
	s_delay_alu instid0(VALU_DEP_1) | instskip(NEXT) | instid1(VALU_DEP_1)
	v_or3_b32 v1, v1, v5, v4
	v_cvt_i32_f32_e32 v4, v1
.LBB38_2476:
	s_or_b32 exec_lo, exec_lo, s3
	s_mov_b32 s3, 0
	s_branch .LBB38_2482
.LBB38_2477:
	s_mov_b32 s3, -1
                                        ; implicit-def: $vgpr4
	s_branch .LBB38_2488
.LBB38_2478:
	s_and_not1_saveexec_b32 s6, s6
	s_cbranch_execz .LBB38_2463
.LBB38_2479:
	v_cmp_ne_u16_e32 vcc_lo, 0, v1
	s_and_not1_b32 s7, s7, exec_lo
	s_and_b32 s9, vcc_lo, exec_lo
	s_delay_alu instid0(SALU_CYCLE_1)
	s_or_b32 s7, s7, s9
	s_or_b32 exec_lo, exec_lo, s6
	v_mov_b32_e32 v4, 0
	s_and_saveexec_b32 s6, s7
	s_cbranch_execnz .LBB38_2464
	s_branch .LBB38_2465
.LBB38_2480:
	s_mov_b32 s3, -1
                                        ; implicit-def: $vgpr4
	s_branch .LBB38_2485
.LBB38_2481:
	s_mov_b32 s3, -1
                                        ; implicit-def: $vgpr4
.LBB38_2482:
	s_delay_alu instid0(SALU_CYCLE_1)
	s_and_b32 vcc_lo, exec_lo, s3
	s_cbranch_vccz .LBB38_2484
; %bb.2483:
	s_wait_loadcnt 0x0
	global_load_u8 v1, v[2:3], off
	s_wait_loadcnt 0x0
	v_lshlrev_b32_e32 v1, 24, v1
	s_wait_xcnt 0x1
	s_delay_alu instid0(VALU_DEP_1) | instskip(NEXT) | instid1(VALU_DEP_1)
	v_and_b32_e32 v4, 0x7f000000, v1
	v_clz_i32_u32_e32 v5, v4
	v_add_nc_u32_e32 v8, 0x1000000, v4
	v_cmp_ne_u32_e32 vcc_lo, 0, v4
	s_delay_alu instid0(VALU_DEP_3) | instskip(NEXT) | instid1(VALU_DEP_1)
	v_min_u32_e32 v5, 32, v5
	v_sub_nc_u32_e64 v5, v5, 4 clamp
	s_delay_alu instid0(VALU_DEP_1) | instskip(NEXT) | instid1(VALU_DEP_1)
	v_dual_lshlrev_b32 v7, v5, v4 :: v_dual_lshlrev_b32 v5, 23, v5
	v_lshrrev_b32_e32 v7, 4, v7
	s_delay_alu instid0(VALU_DEP_1) | instskip(NEXT) | instid1(VALU_DEP_1)
	v_dual_sub_nc_u32 v5, v7, v5 :: v_dual_ashrrev_i32 v7, 8, v8
	v_add_nc_u32_e32 v5, 0x3c000000, v5
	s_delay_alu instid0(VALU_DEP_1) | instskip(NEXT) | instid1(VALU_DEP_1)
	v_and_or_b32 v5, 0x7f800000, v7, v5
	v_cndmask_b32_e32 v4, 0, v5, vcc_lo
	s_delay_alu instid0(VALU_DEP_1) | instskip(NEXT) | instid1(VALU_DEP_1)
	v_and_or_b32 v1, 0x80000000, v1, v4
	v_cvt_i32_f32_e32 v4, v1
.LBB38_2484:
	s_mov_b32 s3, 0
.LBB38_2485:
	s_delay_alu instid0(SALU_CYCLE_1)
	s_and_not1_b32 vcc_lo, exec_lo, s3
	s_cbranch_vccnz .LBB38_2487
; %bb.2486:
	s_wait_loadcnt 0x0
	global_load_u8 v1, v[2:3], off
	s_wait_loadcnt 0x0
	s_wait_xcnt 0x1
	v_lshlrev_b32_e32 v4, 25, v1
	v_lshlrev_b16 v1, 8, v1
	s_delay_alu instid0(VALU_DEP_1) | instskip(SKIP_1) | instid1(VALU_DEP_2)
	v_and_or_b32 v7, 0x7f00, v1, 0.5
	v_bfe_i32 v1, v1, 0, 16
	v_dual_add_f32 v7, -0.5, v7 :: v_dual_lshrrev_b32 v5, 4, v4
	v_cmp_gt_u32_e32 vcc_lo, 0x8000000, v4
	s_delay_alu instid0(VALU_DEP_2) | instskip(NEXT) | instid1(VALU_DEP_1)
	v_or_b32_e32 v5, 0x70000000, v5
	v_mul_f32_e32 v5, 0x7800000, v5
	s_delay_alu instid0(VALU_DEP_1) | instskip(NEXT) | instid1(VALU_DEP_1)
	v_cndmask_b32_e32 v4, v5, v7, vcc_lo
	v_and_or_b32 v1, 0x80000000, v1, v4
	s_delay_alu instid0(VALU_DEP_1)
	v_cvt_i32_f32_e32 v4, v1
.LBB38_2487:
	s_mov_b32 s3, 0
	s_mov_b32 s6, -1
.LBB38_2488:
	s_and_not1_b32 vcc_lo, exec_lo, s3
	s_mov_b32 s3, 0
	s_cbranch_vccnz .LBB38_2499
; %bb.2489:
	s_cmp_gt_i32 s0, 14
	s_cbranch_scc0 .LBB38_2492
; %bb.2490:
	s_cmp_eq_u32 s0, 15
	s_cbranch_scc0 .LBB38_2495
; %bb.2491:
	s_wait_loadcnt 0x0
	global_load_u16 v1, v[2:3], off
	s_mov_b32 s2, 0
	s_mov_b32 s6, -1
	s_wait_loadcnt 0x0
	v_lshlrev_b32_e32 v1, 16, v1
	s_wait_xcnt 0x1
	s_delay_alu instid0(VALU_DEP_1)
	v_cvt_i32_f32_e32 v4, v1
	s_branch .LBB38_2497
.LBB38_2492:
	s_mov_b32 s3, -1
	s_branch .LBB38_2496
.LBB38_2493:
	s_and_not1_saveexec_b32 s3, s3
	s_cbranch_execz .LBB38_2474
.LBB38_2494:
	v_cmp_ne_u16_e32 vcc_lo, 0, v1
	s_and_not1_b32 s6, s6, exec_lo
	s_and_b32 s7, vcc_lo, exec_lo
	s_delay_alu instid0(SALU_CYCLE_1)
	s_or_b32 s6, s6, s7
	s_or_b32 exec_lo, exec_lo, s3
	v_mov_b32_e32 v4, 0
	s_and_saveexec_b32 s3, s6
	s_cbranch_execnz .LBB38_2475
	s_branch .LBB38_2476
.LBB38_2495:
	s_mov_b32 s2, -1
.LBB38_2496:
                                        ; implicit-def: $vgpr4
.LBB38_2497:
	s_and_b32 vcc_lo, exec_lo, s3
	s_mov_b32 s3, 0
	s_cbranch_vccz .LBB38_2499
; %bb.2498:
	s_cmp_lg_u32 s0, 11
	s_mov_b32 s3, -1
	s_cselect_b32 s2, -1, 0
.LBB38_2499:
	s_delay_alu instid0(SALU_CYCLE_1)
	s_and_b32 vcc_lo, exec_lo, s2
	s_cbranch_vccnz .LBB38_3037
; %bb.2500:
	s_and_not1_b32 vcc_lo, exec_lo, s3
	s_cbranch_vccnz .LBB38_2502
.LBB38_2501:
	s_wait_loadcnt 0x0
	global_load_u8 v1, v[2:3], off
	s_mov_b32 s6, -1
	s_wait_loadcnt 0x0
	v_cmp_ne_u16_e32 vcc_lo, 0, v1
	s_wait_xcnt 0x1
	v_cndmask_b32_e64 v4, 0, 1, vcc_lo
.LBB38_2502:
	s_mov_b32 s0, 0
.LBB38_2503:
	s_delay_alu instid0(SALU_CYCLE_1)
	s_and_b32 vcc_lo, exec_lo, s0
	s_cbranch_vccz .LBB38_2552
; %bb.2504:
	s_and_b32 s0, 0xffff, s1
	s_delay_alu instid0(SALU_CYCLE_1)
	s_cmp_lt_i32 s0, 5
	s_cbranch_scc1 .LBB38_2509
; %bb.2505:
	s_cmp_lt_i32 s0, 8
	s_cbranch_scc1 .LBB38_2510
; %bb.2506:
	;; [unrolled: 3-line block ×3, first 2 shown]
	s_cmp_gt_i32 s0, 9
	s_cbranch_scc0 .LBB38_2512
; %bb.2508:
	s_wait_loadcnt 0x0
	global_load_b64 v[4:5], v[2:3], off
	s_mov_b32 s1, 0
	s_wait_loadcnt 0x0
	v_cvt_i32_f64_e32 v4, v[4:5]
	s_branch .LBB38_2513
.LBB38_2509:
	s_mov_b32 s1, -1
                                        ; implicit-def: $vgpr4
	s_branch .LBB38_2531
.LBB38_2510:
	s_mov_b32 s1, -1
                                        ; implicit-def: $vgpr4
	s_branch .LBB38_2519
.LBB38_2511:
	s_mov_b32 s1, -1
                                        ; implicit-def: $vgpr4
	s_branch .LBB38_2516
.LBB38_2512:
	s_mov_b32 s1, -1
                                        ; implicit-def: $vgpr4
.LBB38_2513:
	s_delay_alu instid0(SALU_CYCLE_1)
	s_and_not1_b32 vcc_lo, exec_lo, s1
	s_cbranch_vccnz .LBB38_2515
; %bb.2514:
	s_wait_loadcnt 0x0
	global_load_b32 v1, v[2:3], off
	s_wait_loadcnt 0x0
	s_wait_xcnt 0x1
	v_cvt_i32_f32_e32 v4, v1
.LBB38_2515:
	s_mov_b32 s1, 0
.LBB38_2516:
	s_delay_alu instid0(SALU_CYCLE_1)
	s_and_not1_b32 vcc_lo, exec_lo, s1
	s_cbranch_vccnz .LBB38_2518
; %bb.2517:
	s_wait_loadcnt 0x0
	global_load_b32 v1, v[2:3], off
	s_wait_loadcnt 0x0
	s_wait_xcnt 0x1
	v_cvt_i16_f16_e32 v4, v1
.LBB38_2518:
	s_mov_b32 s1, 0
.LBB38_2519:
	s_delay_alu instid0(SALU_CYCLE_1)
	s_and_not1_b32 vcc_lo, exec_lo, s1
	s_cbranch_vccnz .LBB38_2530
; %bb.2520:
	s_cmp_lt_i32 s0, 6
	s_cbranch_scc1 .LBB38_2523
; %bb.2521:
	s_cmp_gt_i32 s0, 6
	s_cbranch_scc0 .LBB38_2524
; %bb.2522:
	s_wait_loadcnt 0x0
	global_load_b64 v[4:5], v[2:3], off
	s_mov_b32 s1, 0
	s_wait_loadcnt 0x0
	v_cvt_i32_f64_e32 v4, v[4:5]
	s_branch .LBB38_2525
.LBB38_2523:
	s_mov_b32 s1, -1
                                        ; implicit-def: $vgpr4
	s_branch .LBB38_2528
.LBB38_2524:
	s_mov_b32 s1, -1
                                        ; implicit-def: $vgpr4
.LBB38_2525:
	s_delay_alu instid0(SALU_CYCLE_1)
	s_and_not1_b32 vcc_lo, exec_lo, s1
	s_cbranch_vccnz .LBB38_2527
; %bb.2526:
	s_wait_loadcnt 0x0
	global_load_b32 v1, v[2:3], off
	s_wait_loadcnt 0x0
	s_wait_xcnt 0x1
	v_cvt_i32_f32_e32 v4, v1
.LBB38_2527:
	s_mov_b32 s1, 0
.LBB38_2528:
	s_delay_alu instid0(SALU_CYCLE_1)
	s_and_not1_b32 vcc_lo, exec_lo, s1
	s_cbranch_vccnz .LBB38_2530
; %bb.2529:
	s_wait_loadcnt 0x0
	global_load_u16 v1, v[2:3], off
	s_wait_loadcnt 0x0
	s_wait_xcnt 0x1
	v_cvt_i16_f16_e32 v4, v1
.LBB38_2530:
	s_mov_b32 s1, 0
.LBB38_2531:
	s_delay_alu instid0(SALU_CYCLE_1)
	s_and_not1_b32 vcc_lo, exec_lo, s1
	s_cbranch_vccnz .LBB38_2551
; %bb.2532:
	s_cmp_lt_i32 s0, 2
	s_cbranch_scc1 .LBB38_2536
; %bb.2533:
	s_cmp_lt_i32 s0, 3
	s_cbranch_scc1 .LBB38_2537
; %bb.2534:
	s_cmp_gt_i32 s0, 3
	s_cbranch_scc0 .LBB38_2538
; %bb.2535:
	s_wait_loadcnt 0x0
	global_load_b64 v[4:5], v[2:3], off
	s_mov_b32 s1, 0
	s_branch .LBB38_2539
.LBB38_2536:
	s_mov_b32 s1, -1
                                        ; implicit-def: $vgpr4
	s_branch .LBB38_2545
.LBB38_2537:
	s_mov_b32 s1, -1
                                        ; implicit-def: $vgpr4
	s_branch .LBB38_2542
.LBB38_2538:
	s_mov_b32 s1, -1
                                        ; implicit-def: $vgpr4
.LBB38_2539:
	s_delay_alu instid0(SALU_CYCLE_1)
	s_and_not1_b32 vcc_lo, exec_lo, s1
	s_cbranch_vccnz .LBB38_2541
; %bb.2540:
	s_wait_loadcnt 0x0
	global_load_b32 v4, v[2:3], off
.LBB38_2541:
	s_mov_b32 s1, 0
.LBB38_2542:
	s_delay_alu instid0(SALU_CYCLE_1)
	s_and_not1_b32 vcc_lo, exec_lo, s1
	s_cbranch_vccnz .LBB38_2544
; %bb.2543:
	s_wait_loadcnt 0x0
	global_load_u16 v4, v[2:3], off
.LBB38_2544:
	s_mov_b32 s1, 0
.LBB38_2545:
	s_delay_alu instid0(SALU_CYCLE_1)
	s_and_not1_b32 vcc_lo, exec_lo, s1
	s_cbranch_vccnz .LBB38_2551
; %bb.2546:
	s_cmp_gt_i32 s0, 0
	s_mov_b32 s0, 0
	s_cbranch_scc0 .LBB38_2548
; %bb.2547:
	s_wait_loadcnt 0x0
	global_load_i8 v4, v[2:3], off
	s_branch .LBB38_2549
.LBB38_2548:
	s_mov_b32 s0, -1
                                        ; implicit-def: $vgpr4
.LBB38_2549:
	s_delay_alu instid0(SALU_CYCLE_1)
	s_and_not1_b32 vcc_lo, exec_lo, s0
	s_cbranch_vccnz .LBB38_2551
; %bb.2550:
	s_wait_loadcnt 0x0
	global_load_u8 v4, v[2:3], off
.LBB38_2551:
	s_mov_b32 s6, -1
.LBB38_2552:
	s_delay_alu instid0(SALU_CYCLE_1)
	s_and_not1_b32 vcc_lo, exec_lo, s6
	s_cbranch_vccnz .LBB38_2635
; %bb.2553:
	s_wait_loadcnt 0x0
	s_delay_alu instid0(VALU_DEP_1) | instskip(SKIP_2) | instid1(VALU_DEP_1)
	v_sub_nc_u16 v1, 0, v4
	s_mov_b32 s1, 0
	s_mov_b32 s0, exec_lo
	v_max_i16 v7, v4, v1
	s_wait_xcnt 0x0
	v_cmpx_ne_u16_e32 0, v0
	s_cbranch_execz .LBB38_2557
; %bb.2554:
	v_sub_nc_u16 v1, 0, v0
	s_delay_alu instid0(VALU_DEP_1) | instskip(SKIP_1) | instid1(VALU_DEP_2)
	v_max_i16 v1, v0, v1
	v_and_b32_e32 v0, 0xffff, v7
	v_and_b32_e32 v1, 0xffff, v1
.LBB38_2555:                            ; =>This Inner Loop Header: Depth=1
	s_delay_alu instid0(VALU_DEP_1) | instskip(NEXT) | instid1(VALU_DEP_2)
	v_bfe_i32 v3, v0, 0, 16
	v_mov_b32_e32 v7, v1
	s_delay_alu instid0(VALU_DEP_2) | instskip(NEXT) | instid1(VALU_DEP_2)
	v_cvt_f32_i32_e32 v5, v3
	v_bfe_i32 v1, v7, 0, 16
	s_delay_alu instid0(VALU_DEP_1) | instskip(SKIP_1) | instid1(VALU_DEP_2)
	v_cvt_f32_i32_e32 v2, v1
	v_xor_b32_e32 v1, v3, v1
	v_rcp_iflag_f32_e32 v4, v2
	v_nop
	s_delay_alu instid0(TRANS32_DEP_1) | instskip(NEXT) | instid1(VALU_DEP_1)
	v_dual_ashrrev_i32 v1, 30, v1 :: v_dual_mul_f32 v3, v5, v4
	v_trunc_f32_e32 v3, v3
	s_delay_alu instid0(VALU_DEP_1) | instskip(SKIP_1) | instid1(VALU_DEP_2)
	v_dual_fma_f32 v4, -v3, v2, v5 :: v_dual_bitop2_b32 v1, 1, v1 bitop3:0x54
	v_cvt_i32_f32_e32 v3, v3
	v_cmp_ge_f32_e64 vcc_lo, |v4|, |v2|
	s_delay_alu instid0(VALU_DEP_3) | instskip(NEXT) | instid1(VALU_DEP_1)
	v_cndmask_b32_e32 v1, 0, v1, vcc_lo
	v_add_nc_u32_e32 v1, v3, v1
	s_delay_alu instid0(VALU_DEP_1) | instskip(NEXT) | instid1(VALU_DEP_1)
	v_mul_lo_u32 v1, v1, v7
	v_sub_nc_u32_e32 v1, v0, v1
	s_delay_alu instid0(VALU_DEP_1) | instskip(SKIP_1) | instid1(VALU_DEP_2)
	v_and_b32_e32 v0, 0xffff, v1
	v_bfe_i32 v1, v1, 0, 16
	v_cmp_eq_u32_e32 vcc_lo, 0, v0
	v_mov_b32_e32 v0, v7
	s_or_b32 s1, vcc_lo, s1
	s_delay_alu instid0(SALU_CYCLE_1)
	s_and_not1_b32 exec_lo, exec_lo, s1
	s_cbranch_execnz .LBB38_2555
; %bb.2556:
	s_or_b32 exec_lo, exec_lo, s1
.LBB38_2557:
	s_delay_alu instid0(SALU_CYCLE_1) | instskip(SKIP_2) | instid1(SALU_CYCLE_1)
	s_or_b32 exec_lo, exec_lo, s0
	v_mul_lo_u32 v0, s8, v10
	s_and_b32 s16, s11, 0xff
	s_cmp_lt_i32 s16, 11
	s_delay_alu instid0(VALU_DEP_1) | instskip(NEXT) | instid1(VALU_DEP_1)
	v_ashrrev_i32_e32 v1, 31, v0
	v_add_nc_u64_e32 v[2:3], s[4:5], v[0:1]
	s_cbranch_scc1 .LBB38_2680
; %bb.2558:
	s_and_b32 s1, 0xffff, s16
	s_mov_b32 s6, -1
	s_mov_b32 s2, 0
	s_cmp_gt_i32 s1, 25
	s_mov_b32 s3, 0
	s_mov_b32 s0, 0
	s_cbranch_scc0 .LBB38_2591
; %bb.2559:
	s_cmp_gt_i32 s1, 28
	s_cbranch_scc0 .LBB38_2574
; %bb.2560:
	s_cmp_gt_i32 s1, 43
	;; [unrolled: 3-line block ×3, first 2 shown]
	s_cbranch_scc0 .LBB38_2564
; %bb.2562:
	s_mov_b32 s0, -1
	s_mov_b32 s6, 0
	s_cmp_eq_u32 s1, 46
	s_cbranch_scc0 .LBB38_2564
; %bb.2563:
	v_bfe_i32 v1, v11, 0, 16
	s_mov_b32 s0, 0
	s_mov_b32 s3, -1
	s_delay_alu instid0(VALU_DEP_1) | instskip(NEXT) | instid1(VALU_DEP_1)
	v_cvt_f32_i32_e32 v1, v1
	v_bfe_u32 v4, v1, 16, 1
	s_delay_alu instid0(VALU_DEP_1) | instskip(NEXT) | instid1(VALU_DEP_1)
	v_add3_u32 v1, v1, v4, 0x7fff
	v_lshrrev_b32_e32 v1, 16, v1
	global_store_b32 v[2:3], v1, off
.LBB38_2564:
	s_and_b32 vcc_lo, exec_lo, s6
	s_cbranch_vccz .LBB38_2569
; %bb.2565:
	s_cmp_eq_u32 s1, 44
	s_mov_b32 s0, -1
	s_cbranch_scc0 .LBB38_2569
; %bb.2566:
	s_wait_xcnt 0x0
	v_bfe_i32 v1, v11, 0, 16
	v_mov_b32_e32 v4, 0xff
	s_mov_b32 s3, exec_lo
	s_delay_alu instid0(VALU_DEP_2) | instskip(NEXT) | instid1(VALU_DEP_1)
	v_cvt_f32_i32_e32 v1, v1
	v_bfe_u32 v5, v1, 23, 8
	s_delay_alu instid0(VALU_DEP_1)
	v_cmpx_ne_u32_e32 0xff, v5
	s_cbranch_execz .LBB38_2568
; %bb.2567:
	v_and_b32_e32 v4, 0x400000, v1
	v_and_or_b32 v5, 0x3fffff, v1, v5
	v_lshrrev_b32_e32 v1, 23, v1
	s_delay_alu instid0(VALU_DEP_3) | instskip(NEXT) | instid1(VALU_DEP_3)
	v_cmp_ne_u32_e32 vcc_lo, 0, v4
	v_cmp_ne_u32_e64 s0, 0, v5
	s_and_b32 s0, vcc_lo, s0
	s_delay_alu instid0(SALU_CYCLE_1) | instskip(NEXT) | instid1(VALU_DEP_1)
	v_cndmask_b32_e64 v4, 0, 1, s0
	v_add_nc_u32_e32 v4, v1, v4
.LBB38_2568:
	s_or_b32 exec_lo, exec_lo, s3
	s_mov_b32 s0, 0
	s_mov_b32 s3, -1
	global_store_b8 v[2:3], v4, off
.LBB38_2569:
	s_mov_b32 s6, 0
.LBB38_2570:
	s_delay_alu instid0(SALU_CYCLE_1)
	s_and_b32 vcc_lo, exec_lo, s6
	s_cbranch_vccz .LBB38_2573
; %bb.2571:
	s_cmp_eq_u32 s1, 29
	s_mov_b32 s0, -1
	s_cbranch_scc0 .LBB38_2573
; %bb.2572:
	s_wait_xcnt 0x0
	v_bfe_i32 v4, v11, 0, 16
	s_mov_b32 s0, 0
	s_mov_b32 s3, -1
	s_delay_alu instid0(VALU_DEP_1)
	v_ashrrev_i32_e32 v5, 31, v4
	global_store_b64 v[2:3], v[4:5], off
.LBB38_2573:
	s_mov_b32 s6, 0
.LBB38_2574:
	s_delay_alu instid0(SALU_CYCLE_1)
	s_and_b32 vcc_lo, exec_lo, s6
	s_cbranch_vccz .LBB38_2590
; %bb.2575:
	s_cmp_lt_i32 s1, 27
	s_mov_b32 s3, -1
	s_cbranch_scc1 .LBB38_2581
; %bb.2576:
	s_cmp_gt_i32 s1, 27
	s_cbranch_scc0 .LBB38_2578
; %bb.2577:
	s_wait_xcnt 0x0
	v_bfe_i32 v1, v11, 0, 16
	s_mov_b32 s3, 0
	global_store_b32 v[2:3], v1, off
.LBB38_2578:
	s_and_not1_b32 vcc_lo, exec_lo, s3
	s_cbranch_vccnz .LBB38_2580
; %bb.2579:
	global_store_b16 v[2:3], v11, off
.LBB38_2580:
	s_mov_b32 s3, 0
.LBB38_2581:
	s_delay_alu instid0(SALU_CYCLE_1)
	s_and_not1_b32 vcc_lo, exec_lo, s3
	s_cbranch_vccnz .LBB38_2589
; %bb.2582:
	s_wait_xcnt 0x0
	v_bfe_i32 v1, v11, 0, 16
	v_mov_b32_e32 v5, 0x80
	s_mov_b32 s3, exec_lo
	s_delay_alu instid0(VALU_DEP_2) | instskip(NEXT) | instid1(VALU_DEP_1)
	v_cvt_f32_i32_e32 v1, v1
	v_and_b32_e32 v4, 0x7fffffff, v1
	s_delay_alu instid0(VALU_DEP_1)
	v_cmpx_gt_u32_e32 0x43800000, v4
	s_cbranch_execz .LBB38_2588
; %bb.2583:
	v_cmp_lt_u32_e32 vcc_lo, 0x3bffffff, v4
	s_mov_b32 s6, 0
                                        ; implicit-def: $vgpr4
	s_and_saveexec_b32 s7, vcc_lo
	s_delay_alu instid0(SALU_CYCLE_1)
	s_xor_b32 s7, exec_lo, s7
	s_cbranch_execz .LBB38_3038
; %bb.2584:
	v_bfe_u32 v4, v1, 20, 1
	s_mov_b32 s6, exec_lo
	s_delay_alu instid0(VALU_DEP_1) | instskip(NEXT) | instid1(VALU_DEP_1)
	v_add3_u32 v4, v1, v4, 0x487ffff
	v_lshrrev_b32_e32 v4, 20, v4
	s_and_not1_saveexec_b32 s7, s7
	s_cbranch_execnz .LBB38_3039
.LBB38_2585:
	s_or_b32 exec_lo, exec_lo, s7
	v_mov_b32_e32 v5, 0
	s_and_saveexec_b32 s7, s6
.LBB38_2586:
	v_lshrrev_b32_e32 v1, 24, v1
	s_delay_alu instid0(VALU_DEP_1)
	v_and_or_b32 v5, 0x80, v1, v4
.LBB38_2587:
	s_or_b32 exec_lo, exec_lo, s7
.LBB38_2588:
	s_delay_alu instid0(SALU_CYCLE_1)
	s_or_b32 exec_lo, exec_lo, s3
	global_store_b8 v[2:3], v5, off
.LBB38_2589:
	s_mov_b32 s3, -1
.LBB38_2590:
	s_mov_b32 s6, 0
.LBB38_2591:
	s_delay_alu instid0(SALU_CYCLE_1)
	s_and_b32 vcc_lo, exec_lo, s6
	s_cbranch_vccz .LBB38_2631
; %bb.2592:
	s_cmp_gt_i32 s1, 22
	s_mov_b32 s2, -1
	s_cbranch_scc0 .LBB38_2624
; %bb.2593:
	s_cmp_lt_i32 s1, 24
	s_cbranch_scc1 .LBB38_2613
; %bb.2594:
	s_cmp_gt_i32 s1, 24
	s_cbranch_scc0 .LBB38_2602
; %bb.2595:
	s_wait_xcnt 0x0
	v_bfe_i32 v1, v11, 0, 16
	v_mov_b32_e32 v5, 0x80
	s_mov_b32 s2, exec_lo
	s_delay_alu instid0(VALU_DEP_2) | instskip(NEXT) | instid1(VALU_DEP_1)
	v_cvt_f32_i32_e32 v1, v1
	v_and_b32_e32 v4, 0x7fffffff, v1
	s_delay_alu instid0(VALU_DEP_1)
	v_cmpx_gt_u32_e32 0x47800000, v4
	s_cbranch_execz .LBB38_2601
; %bb.2596:
	v_cmp_lt_u32_e32 vcc_lo, 0x37ffffff, v4
	s_mov_b32 s3, 0
                                        ; implicit-def: $vgpr4
	s_and_saveexec_b32 s6, vcc_lo
	s_delay_alu instid0(SALU_CYCLE_1)
	s_xor_b32 s6, exec_lo, s6
	s_cbranch_execz .LBB38_3041
; %bb.2597:
	v_bfe_u32 v4, v1, 21, 1
	s_mov_b32 s3, exec_lo
	s_delay_alu instid0(VALU_DEP_1) | instskip(NEXT) | instid1(VALU_DEP_1)
	v_add3_u32 v4, v1, v4, 0x88fffff
	v_lshrrev_b32_e32 v4, 21, v4
	s_and_not1_saveexec_b32 s6, s6
	s_cbranch_execnz .LBB38_3042
.LBB38_2598:
	s_or_b32 exec_lo, exec_lo, s6
	v_mov_b32_e32 v5, 0
	s_and_saveexec_b32 s6, s3
.LBB38_2599:
	v_lshrrev_b32_e32 v1, 24, v1
	s_delay_alu instid0(VALU_DEP_1)
	v_and_or_b32 v5, 0x80, v1, v4
.LBB38_2600:
	s_or_b32 exec_lo, exec_lo, s6
.LBB38_2601:
	s_delay_alu instid0(SALU_CYCLE_1)
	s_or_b32 exec_lo, exec_lo, s2
	s_mov_b32 s2, 0
	global_store_b8 v[2:3], v5, off
.LBB38_2602:
	s_and_b32 vcc_lo, exec_lo, s2
	s_cbranch_vccz .LBB38_2612
; %bb.2603:
	s_wait_xcnt 0x0
	v_bfe_i32 v1, v11, 0, 16
	s_mov_b32 s2, exec_lo
                                        ; implicit-def: $vgpr4
	s_delay_alu instid0(VALU_DEP_1) | instskip(NEXT) | instid1(VALU_DEP_1)
	v_cvt_f32_i32_e32 v1, v1
	v_and_b32_e32 v5, 0x7fffffff, v1
	s_delay_alu instid0(VALU_DEP_1)
	v_cmpx_gt_u32_e32 0x43f00000, v5
	s_xor_b32 s2, exec_lo, s2
	s_cbranch_execz .LBB38_2609
; %bb.2604:
	s_mov_b32 s3, exec_lo
                                        ; implicit-def: $vgpr4
	v_cmpx_lt_u32_e32 0x3c7fffff, v5
	s_xor_b32 s3, exec_lo, s3
; %bb.2605:
	v_bfe_u32 v4, v1, 20, 1
	s_delay_alu instid0(VALU_DEP_1) | instskip(NEXT) | instid1(VALU_DEP_1)
	v_add3_u32 v4, v1, v4, 0x407ffff
	v_and_b32_e32 v5, 0xff00000, v4
	v_lshrrev_b32_e32 v4, 20, v4
	s_delay_alu instid0(VALU_DEP_2) | instskip(NEXT) | instid1(VALU_DEP_2)
	v_cmp_ne_u32_e32 vcc_lo, 0x7f00000, v5
	v_cndmask_b32_e32 v4, 0x7e, v4, vcc_lo
; %bb.2606:
	s_and_not1_saveexec_b32 s3, s3
; %bb.2607:
	v_add_f32_e64 v4, 0x46800000, |v1|
; %bb.2608:
	s_or_b32 exec_lo, exec_lo, s3
                                        ; implicit-def: $vgpr5
.LBB38_2609:
	s_and_not1_saveexec_b32 s2, s2
; %bb.2610:
	v_mov_b32_e32 v4, 0x7f
	v_cmp_lt_u32_e32 vcc_lo, 0x7f800000, v5
	s_delay_alu instid0(VALU_DEP_2)
	v_cndmask_b32_e32 v4, 0x7e, v4, vcc_lo
; %bb.2611:
	s_or_b32 exec_lo, exec_lo, s2
	v_lshrrev_b32_e32 v1, 24, v1
	s_delay_alu instid0(VALU_DEP_1)
	v_and_or_b32 v1, 0x80, v1, v4
	global_store_b8 v[2:3], v1, off
.LBB38_2612:
	s_mov_b32 s2, 0
.LBB38_2613:
	s_delay_alu instid0(SALU_CYCLE_1)
	s_and_not1_b32 vcc_lo, exec_lo, s2
	s_cbranch_vccnz .LBB38_2623
; %bb.2614:
	s_wait_xcnt 0x0
	v_bfe_i32 v1, v11, 0, 16
	s_mov_b32 s2, exec_lo
                                        ; implicit-def: $vgpr4
	s_delay_alu instid0(VALU_DEP_1) | instskip(NEXT) | instid1(VALU_DEP_1)
	v_cvt_f32_i32_e32 v1, v1
	v_and_b32_e32 v5, 0x7fffffff, v1
	s_delay_alu instid0(VALU_DEP_1)
	v_cmpx_gt_u32_e32 0x47800000, v5
	s_xor_b32 s2, exec_lo, s2
	s_cbranch_execz .LBB38_2620
; %bb.2615:
	s_mov_b32 s3, exec_lo
                                        ; implicit-def: $vgpr4
	v_cmpx_lt_u32_e32 0x387fffff, v5
	s_xor_b32 s3, exec_lo, s3
; %bb.2616:
	v_bfe_u32 v4, v1, 21, 1
	s_delay_alu instid0(VALU_DEP_1) | instskip(NEXT) | instid1(VALU_DEP_1)
	v_add3_u32 v4, v1, v4, 0x80fffff
	v_lshrrev_b32_e32 v4, 21, v4
; %bb.2617:
	s_and_not1_saveexec_b32 s3, s3
; %bb.2618:
	v_add_f32_e64 v4, 0x43000000, |v1|
; %bb.2619:
	s_or_b32 exec_lo, exec_lo, s3
                                        ; implicit-def: $vgpr5
.LBB38_2620:
	s_and_not1_saveexec_b32 s2, s2
; %bb.2621:
	v_mov_b32_e32 v4, 0x7f
	v_cmp_lt_u32_e32 vcc_lo, 0x7f800000, v5
	s_delay_alu instid0(VALU_DEP_2)
	v_cndmask_b32_e32 v4, 0x7c, v4, vcc_lo
; %bb.2622:
	s_or_b32 exec_lo, exec_lo, s2
	v_lshrrev_b32_e32 v1, 24, v1
	s_delay_alu instid0(VALU_DEP_1)
	v_and_or_b32 v1, 0x80, v1, v4
	global_store_b8 v[2:3], v1, off
.LBB38_2623:
	s_mov_b32 s2, 0
	s_mov_b32 s3, -1
.LBB38_2624:
	s_and_not1_b32 vcc_lo, exec_lo, s2
	s_mov_b32 s2, 0
	s_cbranch_vccnz .LBB38_2631
; %bb.2625:
	s_cmp_gt_i32 s1, 14
	s_mov_b32 s2, -1
	s_cbranch_scc0 .LBB38_2629
; %bb.2626:
	s_cmp_eq_u32 s1, 15
	s_mov_b32 s0, -1
	s_cbranch_scc0 .LBB38_2628
; %bb.2627:
	s_wait_xcnt 0x0
	v_bfe_i32 v1, v11, 0, 16
	s_mov_b32 s0, 0
	s_mov_b32 s3, -1
	s_delay_alu instid0(VALU_DEP_1) | instskip(NEXT) | instid1(VALU_DEP_1)
	v_cvt_f32_i32_e32 v1, v1
	v_bfe_u32 v4, v1, 16, 1
	s_delay_alu instid0(VALU_DEP_1)
	v_add3_u32 v1, v1, v4, 0x7fff
	global_store_d16_hi_b16 v[2:3], v1, off
.LBB38_2628:
	s_mov_b32 s2, 0
.LBB38_2629:
	s_delay_alu instid0(SALU_CYCLE_1)
	s_and_b32 vcc_lo, exec_lo, s2
	s_mov_b32 s2, 0
	s_cbranch_vccz .LBB38_2631
; %bb.2630:
	s_cmp_lg_u32 s1, 11
	s_mov_b32 s2, -1
	s_cselect_b32 s0, -1, 0
.LBB38_2631:
	s_delay_alu instid0(SALU_CYCLE_1)
	s_and_b32 vcc_lo, exec_lo, s0
	s_cbranch_vccnz .LBB38_3040
; %bb.2632:
	s_and_not1_b32 vcc_lo, exec_lo, s2
	s_cbranch_vccnz .LBB38_2634
.LBB38_2633:
	v_cmp_ne_u16_e32 vcc_lo, 0, v11
	s_mov_b32 s3, -1
	s_wait_xcnt 0x0
	v_cndmask_b32_e64 v1, 0, 1, vcc_lo
	global_store_b8 v[2:3], v1, off
.LBB38_2634:
	s_mov_b32 s0, 0
	s_branch .LBB38_2681
.LBB38_2635:
	s_mov_b32 s0, 0
	s_mov_b32 s2, 0
                                        ; implicit-def: $sgpr16
                                        ; implicit-def: $vgpr0_vgpr1
                                        ; implicit-def: $vgpr7
.LBB38_2636:
	s_and_not1_b32 s1, s15, exec_lo
	s_and_b32 s3, s12, exec_lo
	s_and_b32 s0, s0, exec_lo
	;; [unrolled: 1-line block ×3, first 2 shown]
	s_or_b32 s15, s1, s3
.LBB38_2637:
	s_wait_xcnt 0x0
	s_or_b32 exec_lo, exec_lo, s14
	s_and_saveexec_b32 s1, s15
	s_cbranch_execz .LBB38_2640
; %bb.2638:
	; divergent unreachable
	s_or_b32 exec_lo, exec_lo, s1
	s_and_saveexec_b32 s1, s12
	s_delay_alu instid0(SALU_CYCLE_1)
	s_xor_b32 s1, exec_lo, s1
	s_cbranch_execnz .LBB38_2641
.LBB38_2639:
	s_or_b32 exec_lo, exec_lo, s1
	s_and_saveexec_b32 s1, s0
	s_cbranch_execnz .LBB38_2642
	s_branch .LBB38_2679
.LBB38_2640:
	s_or_b32 exec_lo, exec_lo, s1
	s_and_saveexec_b32 s1, s12
	s_delay_alu instid0(SALU_CYCLE_1)
	s_xor_b32 s1, exec_lo, s1
	s_cbranch_execz .LBB38_2639
.LBB38_2641:
	v_cmp_ne_u16_e32 vcc_lo, 0, v7
	v_cndmask_b32_e64 v2, 0, 1, vcc_lo
	s_wait_loadcnt 0x0
	global_store_b8 v[0:1], v2, off
	s_wait_xcnt 0x0
	s_or_b32 exec_lo, exec_lo, s1
	s_and_saveexec_b32 s1, s0
	s_cbranch_execz .LBB38_2679
.LBB38_2642:
	s_sext_i32_i16 s1, s16
	s_mov_b32 s0, -1
	s_cmp_lt_i32 s1, 5
	s_cbranch_scc1 .LBB38_2663
; %bb.2643:
	s_cmp_lt_i32 s1, 8
	s_cbranch_scc1 .LBB38_2653
; %bb.2644:
	;; [unrolled: 3-line block ×3, first 2 shown]
	v_bfe_i32 v2, v7, 0, 16
	s_cmp_gt_i32 s1, 9
	s_cbranch_scc0 .LBB38_2647
; %bb.2646:
	s_wait_loadcnt 0x0
	s_delay_alu instid0(VALU_DEP_1) | instskip(SKIP_2) | instid1(VALU_DEP_1)
	v_cvt_f64_i32_e32 v[8:9], v2
	v_mov_b32_e32 v10, 0
	s_mov_b32 s0, 0
	v_mov_b32_e32 v11, v10
	global_store_b128 v[0:1], v[8:11], off
.LBB38_2647:
	s_and_not1_b32 vcc_lo, exec_lo, s0
	s_cbranch_vccnz .LBB38_2649
; %bb.2648:
	v_cvt_f32_i32_e32 v2, v2
	v_mov_b32_e32 v3, 0
	s_wait_loadcnt 0x0
	global_store_b64 v[0:1], v[2:3], off
.LBB38_2649:
	s_mov_b32 s0, 0
.LBB38_2650:
	s_delay_alu instid0(SALU_CYCLE_1)
	s_and_not1_b32 vcc_lo, exec_lo, s0
	s_cbranch_vccnz .LBB38_2652
; %bb.2651:
	s_wait_xcnt 0x0
	v_cvt_f16_i16_e32 v2, v7
	s_delay_alu instid0(VALU_DEP_1)
	v_and_b32_e32 v2, 0xffff, v2
	s_wait_loadcnt 0x0
	global_store_b32 v[0:1], v2, off
.LBB38_2652:
	s_mov_b32 s0, 0
.LBB38_2653:
	s_delay_alu instid0(SALU_CYCLE_1)
	s_and_not1_b32 vcc_lo, exec_lo, s0
	s_cbranch_vccnz .LBB38_2662
; %bb.2654:
	s_sext_i32_i16 s1, s16
	s_mov_b32 s0, -1
	s_cmp_lt_i32 s1, 6
	s_cbranch_scc1 .LBB38_2660
; %bb.2655:
	s_wait_xcnt 0x0
	v_bfe_i32 v2, v7, 0, 16
	s_cmp_gt_i32 s1, 6
	s_cbranch_scc0 .LBB38_2657
; %bb.2656:
	s_wait_loadcnt 0x0
	s_delay_alu instid0(VALU_DEP_1)
	v_cvt_f64_i32_e32 v[4:5], v2
	s_mov_b32 s0, 0
	global_store_b64 v[0:1], v[4:5], off
.LBB38_2657:
	s_and_not1_b32 vcc_lo, exec_lo, s0
	s_cbranch_vccnz .LBB38_2659
; %bb.2658:
	v_cvt_f32_i32_e32 v2, v2
	s_wait_loadcnt 0x0
	global_store_b32 v[0:1], v2, off
.LBB38_2659:
	s_mov_b32 s0, 0
.LBB38_2660:
	s_delay_alu instid0(SALU_CYCLE_1)
	s_and_not1_b32 vcc_lo, exec_lo, s0
	s_cbranch_vccnz .LBB38_2662
; %bb.2661:
	s_wait_xcnt 0x0
	v_cvt_f16_i16_e32 v2, v7
	s_wait_loadcnt 0x0
	global_store_b16 v[0:1], v2, off
.LBB38_2662:
	s_mov_b32 s0, 0
.LBB38_2663:
	s_delay_alu instid0(SALU_CYCLE_1)
	s_and_not1_b32 vcc_lo, exec_lo, s0
	s_cbranch_vccnz .LBB38_2679
; %bb.2664:
	s_sext_i32_i16 s1, s16
	s_mov_b32 s0, -1
	s_cmp_lt_i32 s1, 2
	s_cbranch_scc1 .LBB38_2674
; %bb.2665:
	s_cmp_lt_i32 s1, 3
	s_cbranch_scc1 .LBB38_2671
; %bb.2666:
	s_wait_xcnt 0x0
	v_bfe_i32 v2, v7, 0, 16
	s_cmp_gt_i32 s1, 3
	s_cbranch_scc0 .LBB38_2668
; %bb.2667:
	s_delay_alu instid0(VALU_DEP_1)
	v_ashrrev_i32_e32 v3, 31, v2
	s_mov_b32 s0, 0
	s_wait_loadcnt 0x0
	global_store_b64 v[0:1], v[2:3], off
.LBB38_2668:
	s_and_not1_b32 vcc_lo, exec_lo, s0
	s_cbranch_vccnz .LBB38_2670
; %bb.2669:
	s_wait_loadcnt 0x0
	global_store_b32 v[0:1], v2, off
.LBB38_2670:
	s_mov_b32 s0, 0
.LBB38_2671:
	s_delay_alu instid0(SALU_CYCLE_1)
	s_and_not1_b32 vcc_lo, exec_lo, s0
	s_cbranch_vccnz .LBB38_2673
; %bb.2672:
	s_wait_loadcnt 0x0
	global_store_b16 v[0:1], v7, off
.LBB38_2673:
	s_mov_b32 s0, 0
.LBB38_2674:
	s_delay_alu instid0(SALU_CYCLE_1)
	s_and_not1_b32 vcc_lo, exec_lo, s0
	s_cbranch_vccnz .LBB38_2679
; %bb.2675:
	s_sext_i32_i16 s0, s16
	s_delay_alu instid0(SALU_CYCLE_1)
	s_cmp_gt_i32 s0, 0
	s_mov_b32 s0, -1
	s_cbranch_scc0 .LBB38_2677
; %bb.2676:
	s_mov_b32 s0, 0
	s_wait_loadcnt 0x0
	global_store_b8 v[0:1], v7, off
.LBB38_2677:
	s_and_not1_b32 vcc_lo, exec_lo, s0
	s_cbranch_vccnz .LBB38_2679
; %bb.2678:
	s_wait_loadcnt 0x0
	global_store_b8 v[0:1], v7, off
	s_endpgm
.LBB38_2679:
	s_endpgm
.LBB38_2680:
	s_mov_b32 s0, -1
	s_mov_b32 s3, 0
.LBB38_2681:
	s_and_b32 vcc_lo, exec_lo, s0
	s_cbranch_vccz .LBB38_2720
; %bb.2682:
	s_and_b32 s0, 0xffff, s16
	s_mov_b32 s1, -1
	s_cmp_lt_i32 s0, 5
	s_cbranch_scc1 .LBB38_2703
; %bb.2683:
	s_cmp_lt_i32 s0, 8
	s_cbranch_scc1 .LBB38_2693
; %bb.2684:
	s_cmp_lt_i32 s0, 9
	s_cbranch_scc1 .LBB38_2690
; %bb.2685:
	s_cmp_gt_i32 s0, 9
	s_cbranch_scc0 .LBB38_2687
; %bb.2686:
	s_wait_xcnt 0x0
	v_bfe_i32 v1, v11, 0, 16
	v_mov_b32_e32 v16, 0
	s_mov_b32 s1, 0
	s_delay_alu instid0(VALU_DEP_2) | instskip(NEXT) | instid1(VALU_DEP_2)
	v_cvt_f64_i32_e32 v[14:15], v1
	v_mov_b32_e32 v17, v16
	global_store_b128 v[2:3], v[14:17], off
.LBB38_2687:
	s_and_not1_b32 vcc_lo, exec_lo, s1
	s_cbranch_vccnz .LBB38_2689
; %bb.2688:
	s_wait_xcnt 0x0
	v_bfe_i32 v1, v11, 0, 16
	v_mov_b32_e32 v5, 0
	s_delay_alu instid0(VALU_DEP_2)
	v_cvt_f32_i32_e32 v4, v1
	global_store_b64 v[2:3], v[4:5], off
.LBB38_2689:
	s_mov_b32 s1, 0
.LBB38_2690:
	s_delay_alu instid0(SALU_CYCLE_1)
	s_and_not1_b32 vcc_lo, exec_lo, s1
	s_cbranch_vccnz .LBB38_2692
; %bb.2691:
	s_wait_xcnt 0x0
	v_cvt_f16_i16_e32 v1, v11
	s_delay_alu instid0(VALU_DEP_1)
	v_and_b32_e32 v1, 0xffff, v1
	global_store_b32 v[2:3], v1, off
.LBB38_2692:
	s_mov_b32 s1, 0
.LBB38_2693:
	s_delay_alu instid0(SALU_CYCLE_1)
	s_and_not1_b32 vcc_lo, exec_lo, s1
	s_cbranch_vccnz .LBB38_2702
; %bb.2694:
	s_cmp_lt_i32 s0, 6
	s_mov_b32 s1, -1
	s_cbranch_scc1 .LBB38_2700
; %bb.2695:
	s_cmp_gt_i32 s0, 6
	s_cbranch_scc0 .LBB38_2697
; %bb.2696:
	s_wait_xcnt 0x0
	v_bfe_i32 v1, v11, 0, 16
	s_mov_b32 s1, 0
	s_delay_alu instid0(VALU_DEP_1)
	v_cvt_f64_i32_e32 v[4:5], v1
	global_store_b64 v[2:3], v[4:5], off
.LBB38_2697:
	s_and_not1_b32 vcc_lo, exec_lo, s1
	s_cbranch_vccnz .LBB38_2699
; %bb.2698:
	s_wait_xcnt 0x0
	v_bfe_i32 v1, v11, 0, 16
	s_delay_alu instid0(VALU_DEP_1)
	v_cvt_f32_i32_e32 v1, v1
	global_store_b32 v[2:3], v1, off
.LBB38_2699:
	s_mov_b32 s1, 0
.LBB38_2700:
	s_delay_alu instid0(SALU_CYCLE_1)
	s_and_not1_b32 vcc_lo, exec_lo, s1
	s_cbranch_vccnz .LBB38_2702
; %bb.2701:
	s_wait_xcnt 0x0
	v_cvt_f16_i16_e32 v1, v11
	global_store_b16 v[2:3], v1, off
.LBB38_2702:
	s_mov_b32 s1, 0
.LBB38_2703:
	s_delay_alu instid0(SALU_CYCLE_1)
	s_and_not1_b32 vcc_lo, exec_lo, s1
	s_cbranch_vccnz .LBB38_2719
; %bb.2704:
	s_cmp_lt_i32 s0, 2
	s_mov_b32 s1, -1
	s_cbranch_scc1 .LBB38_2714
; %bb.2705:
	s_cmp_lt_i32 s0, 3
	s_cbranch_scc1 .LBB38_2711
; %bb.2706:
	s_wait_xcnt 0x0
	v_bfe_i32 v4, v11, 0, 16
	s_cmp_gt_i32 s0, 3
	s_cbranch_scc0 .LBB38_2708
; %bb.2707:
	s_delay_alu instid0(VALU_DEP_1)
	v_ashrrev_i32_e32 v5, 31, v4
	s_mov_b32 s1, 0
	global_store_b64 v[2:3], v[4:5], off
.LBB38_2708:
	s_and_not1_b32 vcc_lo, exec_lo, s1
	s_cbranch_vccnz .LBB38_2710
; %bb.2709:
	global_store_b32 v[2:3], v4, off
.LBB38_2710:
	s_mov_b32 s1, 0
.LBB38_2711:
	s_delay_alu instid0(SALU_CYCLE_1)
	s_and_not1_b32 vcc_lo, exec_lo, s1
	s_cbranch_vccnz .LBB38_2713
; %bb.2712:
	global_store_b16 v[2:3], v11, off
.LBB38_2713:
	s_mov_b32 s1, 0
.LBB38_2714:
	s_delay_alu instid0(SALU_CYCLE_1)
	s_and_not1_b32 vcc_lo, exec_lo, s1
	s_cbranch_vccnz .LBB38_2719
; %bb.2715:
	s_cmp_gt_i32 s0, 0
	s_mov_b32 s0, -1
	s_cbranch_scc0 .LBB38_2717
; %bb.2716:
	s_mov_b32 s0, 0
	global_store_b8 v[2:3], v11, off
.LBB38_2717:
	s_and_not1_b32 vcc_lo, exec_lo, s0
	s_cbranch_vccnz .LBB38_2719
; %bb.2718:
	global_store_b8 v[2:3], v11, off
.LBB38_2719:
	s_mov_b32 s3, -1
.LBB38_2720:
	s_delay_alu instid0(SALU_CYCLE_1)
	s_and_not1_b32 vcc_lo, exec_lo, s3
	s_cbranch_vccnz .LBB38_3035
; %bb.2721:
	s_lshl_b32 s1, s8, 7
	s_cmp_lt_i32 s16, 11
	v_add_nc_u32_e32 v0, s1, v0
	s_wait_xcnt 0x0
	s_delay_alu instid0(VALU_DEP_1) | instskip(NEXT) | instid1(VALU_DEP_1)
	v_ashrrev_i32_e32 v1, 31, v0
	v_add_nc_u64_e32 v[2:3], s[4:5], v[0:1]
	s_cbranch_scc1 .LBB38_2799
; %bb.2722:
	s_and_b32 s2, 0xffff, s16
	s_mov_b32 s7, -1
	s_mov_b32 s3, 0
	s_cmp_gt_i32 s2, 25
	s_mov_b32 s6, 0
	s_mov_b32 s0, 0
	s_cbranch_scc0 .LBB38_2755
; %bb.2723:
	s_cmp_gt_i32 s2, 28
	s_cbranch_scc0 .LBB38_2738
; %bb.2724:
	s_cmp_gt_i32 s2, 43
	;; [unrolled: 3-line block ×3, first 2 shown]
	s_cbranch_scc0 .LBB38_2728
; %bb.2726:
	s_mov_b32 s0, -1
	s_mov_b32 s7, 0
	s_cmp_eq_u32 s2, 46
	s_cbranch_scc0 .LBB38_2728
; %bb.2727:
	v_bfe_i32 v1, v12, 0, 16
	s_mov_b32 s0, 0
	s_mov_b32 s6, -1
	s_delay_alu instid0(VALU_DEP_1) | instskip(NEXT) | instid1(VALU_DEP_1)
	v_cvt_f32_i32_e32 v1, v1
	v_bfe_u32 v4, v1, 16, 1
	s_delay_alu instid0(VALU_DEP_1) | instskip(NEXT) | instid1(VALU_DEP_1)
	v_add3_u32 v1, v1, v4, 0x7fff
	v_lshrrev_b32_e32 v1, 16, v1
	global_store_b32 v[2:3], v1, off
.LBB38_2728:
	s_and_b32 vcc_lo, exec_lo, s7
	s_cbranch_vccz .LBB38_2733
; %bb.2729:
	s_cmp_eq_u32 s2, 44
	s_mov_b32 s0, -1
	s_cbranch_scc0 .LBB38_2733
; %bb.2730:
	s_wait_xcnt 0x0
	v_bfe_i32 v1, v12, 0, 16
	v_mov_b32_e32 v4, 0xff
	s_mov_b32 s6, exec_lo
	s_delay_alu instid0(VALU_DEP_2) | instskip(NEXT) | instid1(VALU_DEP_1)
	v_cvt_f32_i32_e32 v1, v1
	v_bfe_u32 v5, v1, 23, 8
	s_delay_alu instid0(VALU_DEP_1)
	v_cmpx_ne_u32_e32 0xff, v5
	s_cbranch_execz .LBB38_2732
; %bb.2731:
	v_and_b32_e32 v4, 0x400000, v1
	v_and_or_b32 v5, 0x3fffff, v1, v5
	v_lshrrev_b32_e32 v1, 23, v1
	s_delay_alu instid0(VALU_DEP_3) | instskip(NEXT) | instid1(VALU_DEP_3)
	v_cmp_ne_u32_e32 vcc_lo, 0, v4
	v_cmp_ne_u32_e64 s0, 0, v5
	s_and_b32 s0, vcc_lo, s0
	s_delay_alu instid0(SALU_CYCLE_1) | instskip(NEXT) | instid1(VALU_DEP_1)
	v_cndmask_b32_e64 v4, 0, 1, s0
	v_add_nc_u32_e32 v4, v1, v4
.LBB38_2732:
	s_or_b32 exec_lo, exec_lo, s6
	s_mov_b32 s0, 0
	s_mov_b32 s6, -1
	global_store_b8 v[2:3], v4, off
.LBB38_2733:
	s_mov_b32 s7, 0
.LBB38_2734:
	s_delay_alu instid0(SALU_CYCLE_1)
	s_and_b32 vcc_lo, exec_lo, s7
	s_cbranch_vccz .LBB38_2737
; %bb.2735:
	s_cmp_eq_u32 s2, 29
	s_mov_b32 s0, -1
	s_cbranch_scc0 .LBB38_2737
; %bb.2736:
	s_wait_xcnt 0x0
	v_bfe_i32 v4, v12, 0, 16
	s_mov_b32 s0, 0
	s_mov_b32 s6, -1
	s_delay_alu instid0(VALU_DEP_1)
	v_ashrrev_i32_e32 v5, 31, v4
	global_store_b64 v[2:3], v[4:5], off
.LBB38_2737:
	s_mov_b32 s7, 0
.LBB38_2738:
	s_delay_alu instid0(SALU_CYCLE_1)
	s_and_b32 vcc_lo, exec_lo, s7
	s_cbranch_vccz .LBB38_2754
; %bb.2739:
	s_cmp_lt_i32 s2, 27
	s_mov_b32 s6, -1
	s_cbranch_scc1 .LBB38_2745
; %bb.2740:
	s_cmp_gt_i32 s2, 27
	s_cbranch_scc0 .LBB38_2742
; %bb.2741:
	s_wait_xcnt 0x0
	v_bfe_i32 v1, v12, 0, 16
	s_mov_b32 s6, 0
	global_store_b32 v[2:3], v1, off
.LBB38_2742:
	s_and_not1_b32 vcc_lo, exec_lo, s6
	s_cbranch_vccnz .LBB38_2744
; %bb.2743:
	global_store_b16 v[2:3], v12, off
.LBB38_2744:
	s_mov_b32 s6, 0
.LBB38_2745:
	s_delay_alu instid0(SALU_CYCLE_1)
	s_and_not1_b32 vcc_lo, exec_lo, s6
	s_cbranch_vccnz .LBB38_2753
; %bb.2746:
	s_wait_xcnt 0x0
	v_bfe_i32 v1, v12, 0, 16
	v_mov_b32_e32 v5, 0x80
	s_mov_b32 s6, exec_lo
	s_delay_alu instid0(VALU_DEP_2) | instskip(NEXT) | instid1(VALU_DEP_1)
	v_cvt_f32_i32_e32 v1, v1
	v_and_b32_e32 v4, 0x7fffffff, v1
	s_delay_alu instid0(VALU_DEP_1)
	v_cmpx_gt_u32_e32 0x43800000, v4
	s_cbranch_execz .LBB38_2752
; %bb.2747:
	v_cmp_lt_u32_e32 vcc_lo, 0x3bffffff, v4
	s_mov_b32 s7, 0
                                        ; implicit-def: $vgpr4
	s_and_saveexec_b32 s8, vcc_lo
	s_delay_alu instid0(SALU_CYCLE_1)
	s_xor_b32 s8, exec_lo, s8
	s_cbranch_execz .LBB38_3043
; %bb.2748:
	v_bfe_u32 v4, v1, 20, 1
	s_mov_b32 s7, exec_lo
	s_delay_alu instid0(VALU_DEP_1) | instskip(NEXT) | instid1(VALU_DEP_1)
	v_add3_u32 v4, v1, v4, 0x487ffff
	v_lshrrev_b32_e32 v4, 20, v4
	s_and_not1_saveexec_b32 s8, s8
	s_cbranch_execnz .LBB38_3044
.LBB38_2749:
	s_or_b32 exec_lo, exec_lo, s8
	v_mov_b32_e32 v5, 0
	s_and_saveexec_b32 s8, s7
.LBB38_2750:
	v_lshrrev_b32_e32 v1, 24, v1
	s_delay_alu instid0(VALU_DEP_1)
	v_and_or_b32 v5, 0x80, v1, v4
.LBB38_2751:
	s_or_b32 exec_lo, exec_lo, s8
.LBB38_2752:
	s_delay_alu instid0(SALU_CYCLE_1)
	s_or_b32 exec_lo, exec_lo, s6
	global_store_b8 v[2:3], v5, off
.LBB38_2753:
	s_mov_b32 s6, -1
.LBB38_2754:
	s_mov_b32 s7, 0
.LBB38_2755:
	s_delay_alu instid0(SALU_CYCLE_1)
	s_and_b32 vcc_lo, exec_lo, s7
	s_cbranch_vccz .LBB38_2795
; %bb.2756:
	s_cmp_gt_i32 s2, 22
	s_mov_b32 s3, -1
	s_cbranch_scc0 .LBB38_2788
; %bb.2757:
	s_cmp_lt_i32 s2, 24
	s_cbranch_scc1 .LBB38_2777
; %bb.2758:
	s_cmp_gt_i32 s2, 24
	s_cbranch_scc0 .LBB38_2766
; %bb.2759:
	s_wait_xcnt 0x0
	v_bfe_i32 v1, v12, 0, 16
	v_mov_b32_e32 v5, 0x80
	s_mov_b32 s3, exec_lo
	s_delay_alu instid0(VALU_DEP_2) | instskip(NEXT) | instid1(VALU_DEP_1)
	v_cvt_f32_i32_e32 v1, v1
	v_and_b32_e32 v4, 0x7fffffff, v1
	s_delay_alu instid0(VALU_DEP_1)
	v_cmpx_gt_u32_e32 0x47800000, v4
	s_cbranch_execz .LBB38_2765
; %bb.2760:
	v_cmp_lt_u32_e32 vcc_lo, 0x37ffffff, v4
	s_mov_b32 s6, 0
                                        ; implicit-def: $vgpr4
	s_and_saveexec_b32 s7, vcc_lo
	s_delay_alu instid0(SALU_CYCLE_1)
	s_xor_b32 s7, exec_lo, s7
	s_cbranch_execz .LBB38_3046
; %bb.2761:
	v_bfe_u32 v4, v1, 21, 1
	s_mov_b32 s6, exec_lo
	s_delay_alu instid0(VALU_DEP_1) | instskip(NEXT) | instid1(VALU_DEP_1)
	v_add3_u32 v4, v1, v4, 0x88fffff
	v_lshrrev_b32_e32 v4, 21, v4
	s_and_not1_saveexec_b32 s7, s7
	s_cbranch_execnz .LBB38_3047
.LBB38_2762:
	s_or_b32 exec_lo, exec_lo, s7
	v_mov_b32_e32 v5, 0
	s_and_saveexec_b32 s7, s6
.LBB38_2763:
	v_lshrrev_b32_e32 v1, 24, v1
	s_delay_alu instid0(VALU_DEP_1)
	v_and_or_b32 v5, 0x80, v1, v4
.LBB38_2764:
	s_or_b32 exec_lo, exec_lo, s7
.LBB38_2765:
	s_delay_alu instid0(SALU_CYCLE_1)
	s_or_b32 exec_lo, exec_lo, s3
	s_mov_b32 s3, 0
	global_store_b8 v[2:3], v5, off
.LBB38_2766:
	s_and_b32 vcc_lo, exec_lo, s3
	s_cbranch_vccz .LBB38_2776
; %bb.2767:
	s_wait_xcnt 0x0
	v_bfe_i32 v1, v12, 0, 16
	s_mov_b32 s3, exec_lo
                                        ; implicit-def: $vgpr4
	s_delay_alu instid0(VALU_DEP_1) | instskip(NEXT) | instid1(VALU_DEP_1)
	v_cvt_f32_i32_e32 v1, v1
	v_and_b32_e32 v5, 0x7fffffff, v1
	s_delay_alu instid0(VALU_DEP_1)
	v_cmpx_gt_u32_e32 0x43f00000, v5
	s_xor_b32 s3, exec_lo, s3
	s_cbranch_execz .LBB38_2773
; %bb.2768:
	s_mov_b32 s6, exec_lo
                                        ; implicit-def: $vgpr4
	v_cmpx_lt_u32_e32 0x3c7fffff, v5
	s_xor_b32 s6, exec_lo, s6
; %bb.2769:
	v_bfe_u32 v4, v1, 20, 1
	s_delay_alu instid0(VALU_DEP_1) | instskip(NEXT) | instid1(VALU_DEP_1)
	v_add3_u32 v4, v1, v4, 0x407ffff
	v_and_b32_e32 v5, 0xff00000, v4
	v_lshrrev_b32_e32 v4, 20, v4
	s_delay_alu instid0(VALU_DEP_2) | instskip(NEXT) | instid1(VALU_DEP_2)
	v_cmp_ne_u32_e32 vcc_lo, 0x7f00000, v5
	v_cndmask_b32_e32 v4, 0x7e, v4, vcc_lo
; %bb.2770:
	s_and_not1_saveexec_b32 s6, s6
; %bb.2771:
	v_add_f32_e64 v4, 0x46800000, |v1|
; %bb.2772:
	s_or_b32 exec_lo, exec_lo, s6
                                        ; implicit-def: $vgpr5
.LBB38_2773:
	s_and_not1_saveexec_b32 s3, s3
; %bb.2774:
	v_mov_b32_e32 v4, 0x7f
	v_cmp_lt_u32_e32 vcc_lo, 0x7f800000, v5
	s_delay_alu instid0(VALU_DEP_2)
	v_cndmask_b32_e32 v4, 0x7e, v4, vcc_lo
; %bb.2775:
	s_or_b32 exec_lo, exec_lo, s3
	v_lshrrev_b32_e32 v1, 24, v1
	s_delay_alu instid0(VALU_DEP_1)
	v_and_or_b32 v1, 0x80, v1, v4
	global_store_b8 v[2:3], v1, off
.LBB38_2776:
	s_mov_b32 s3, 0
.LBB38_2777:
	s_delay_alu instid0(SALU_CYCLE_1)
	s_and_not1_b32 vcc_lo, exec_lo, s3
	s_cbranch_vccnz .LBB38_2787
; %bb.2778:
	s_wait_xcnt 0x0
	v_bfe_i32 v1, v12, 0, 16
	s_mov_b32 s3, exec_lo
                                        ; implicit-def: $vgpr4
	s_delay_alu instid0(VALU_DEP_1) | instskip(NEXT) | instid1(VALU_DEP_1)
	v_cvt_f32_i32_e32 v1, v1
	v_and_b32_e32 v5, 0x7fffffff, v1
	s_delay_alu instid0(VALU_DEP_1)
	v_cmpx_gt_u32_e32 0x47800000, v5
	s_xor_b32 s3, exec_lo, s3
	s_cbranch_execz .LBB38_2784
; %bb.2779:
	s_mov_b32 s6, exec_lo
                                        ; implicit-def: $vgpr4
	v_cmpx_lt_u32_e32 0x387fffff, v5
	s_xor_b32 s6, exec_lo, s6
; %bb.2780:
	v_bfe_u32 v4, v1, 21, 1
	s_delay_alu instid0(VALU_DEP_1) | instskip(NEXT) | instid1(VALU_DEP_1)
	v_add3_u32 v4, v1, v4, 0x80fffff
	v_lshrrev_b32_e32 v4, 21, v4
; %bb.2781:
	s_and_not1_saveexec_b32 s6, s6
; %bb.2782:
	v_add_f32_e64 v4, 0x43000000, |v1|
; %bb.2783:
	s_or_b32 exec_lo, exec_lo, s6
                                        ; implicit-def: $vgpr5
.LBB38_2784:
	s_and_not1_saveexec_b32 s3, s3
; %bb.2785:
	v_mov_b32_e32 v4, 0x7f
	v_cmp_lt_u32_e32 vcc_lo, 0x7f800000, v5
	s_delay_alu instid0(VALU_DEP_2)
	v_cndmask_b32_e32 v4, 0x7c, v4, vcc_lo
; %bb.2786:
	s_or_b32 exec_lo, exec_lo, s3
	v_lshrrev_b32_e32 v1, 24, v1
	s_delay_alu instid0(VALU_DEP_1)
	v_and_or_b32 v1, 0x80, v1, v4
	global_store_b8 v[2:3], v1, off
.LBB38_2787:
	s_mov_b32 s3, 0
	s_mov_b32 s6, -1
.LBB38_2788:
	s_and_not1_b32 vcc_lo, exec_lo, s3
	s_mov_b32 s3, 0
	s_cbranch_vccnz .LBB38_2795
; %bb.2789:
	s_cmp_gt_i32 s2, 14
	s_mov_b32 s3, -1
	s_cbranch_scc0 .LBB38_2793
; %bb.2790:
	s_cmp_eq_u32 s2, 15
	s_mov_b32 s0, -1
	s_cbranch_scc0 .LBB38_2792
; %bb.2791:
	s_wait_xcnt 0x0
	v_bfe_i32 v1, v12, 0, 16
	s_mov_b32 s0, 0
	s_mov_b32 s6, -1
	s_delay_alu instid0(VALU_DEP_1) | instskip(NEXT) | instid1(VALU_DEP_1)
	v_cvt_f32_i32_e32 v1, v1
	v_bfe_u32 v4, v1, 16, 1
	s_delay_alu instid0(VALU_DEP_1)
	v_add3_u32 v1, v1, v4, 0x7fff
	global_store_d16_hi_b16 v[2:3], v1, off
.LBB38_2792:
	s_mov_b32 s3, 0
.LBB38_2793:
	s_delay_alu instid0(SALU_CYCLE_1)
	s_and_b32 vcc_lo, exec_lo, s3
	s_mov_b32 s3, 0
	s_cbranch_vccz .LBB38_2795
; %bb.2794:
	s_cmp_lg_u32 s2, 11
	s_mov_b32 s3, -1
	s_cselect_b32 s0, -1, 0
.LBB38_2795:
	s_delay_alu instid0(SALU_CYCLE_1)
	s_and_b32 vcc_lo, exec_lo, s0
	s_cbranch_vccnz .LBB38_3045
; %bb.2796:
	s_and_not1_b32 vcc_lo, exec_lo, s3
	s_cbranch_vccnz .LBB38_2798
.LBB38_2797:
	v_cmp_ne_u16_e32 vcc_lo, 0, v12
	s_mov_b32 s6, -1
	s_wait_xcnt 0x0
	v_cndmask_b32_e64 v1, 0, 1, vcc_lo
	global_store_b8 v[2:3], v1, off
.LBB38_2798:
	s_mov_b32 s0, 0
	s_branch .LBB38_2800
.LBB38_2799:
	s_mov_b32 s0, -1
	s_mov_b32 s6, 0
.LBB38_2800:
	s_and_b32 vcc_lo, exec_lo, s0
	s_cbranch_vccz .LBB38_2839
; %bb.2801:
	s_and_b32 s0, 0xffff, s16
	s_mov_b32 s2, -1
	s_cmp_lt_i32 s0, 5
	s_cbranch_scc1 .LBB38_2822
; %bb.2802:
	s_cmp_lt_i32 s0, 8
	s_cbranch_scc1 .LBB38_2812
; %bb.2803:
	;; [unrolled: 3-line block ×3, first 2 shown]
	s_cmp_gt_i32 s0, 9
	s_cbranch_scc0 .LBB38_2806
; %bb.2805:
	s_wait_xcnt 0x0
	v_bfe_i32 v1, v12, 0, 16
	v_mov_b32_e32 v10, 0
	s_mov_b32 s2, 0
	s_delay_alu instid0(VALU_DEP_2) | instskip(NEXT) | instid1(VALU_DEP_2)
	v_cvt_f64_i32_e32 v[8:9], v1
	v_mov_b32_e32 v11, v10
	global_store_b128 v[2:3], v[8:11], off
.LBB38_2806:
	s_and_not1_b32 vcc_lo, exec_lo, s2
	s_cbranch_vccnz .LBB38_2808
; %bb.2807:
	s_wait_xcnt 0x0
	v_bfe_i32 v1, v12, 0, 16
	v_mov_b32_e32 v5, 0
	s_delay_alu instid0(VALU_DEP_2)
	v_cvt_f32_i32_e32 v4, v1
	global_store_b64 v[2:3], v[4:5], off
.LBB38_2808:
	s_mov_b32 s2, 0
.LBB38_2809:
	s_delay_alu instid0(SALU_CYCLE_1)
	s_and_not1_b32 vcc_lo, exec_lo, s2
	s_cbranch_vccnz .LBB38_2811
; %bb.2810:
	s_wait_xcnt 0x0
	v_cvt_f16_i16_e32 v1, v12
	s_delay_alu instid0(VALU_DEP_1)
	v_and_b32_e32 v1, 0xffff, v1
	global_store_b32 v[2:3], v1, off
.LBB38_2811:
	s_mov_b32 s2, 0
.LBB38_2812:
	s_delay_alu instid0(SALU_CYCLE_1)
	s_and_not1_b32 vcc_lo, exec_lo, s2
	s_cbranch_vccnz .LBB38_2821
; %bb.2813:
	s_cmp_lt_i32 s0, 6
	s_mov_b32 s2, -1
	s_cbranch_scc1 .LBB38_2819
; %bb.2814:
	s_cmp_gt_i32 s0, 6
	s_cbranch_scc0 .LBB38_2816
; %bb.2815:
	s_wait_xcnt 0x0
	v_bfe_i32 v1, v12, 0, 16
	s_mov_b32 s2, 0
	s_delay_alu instid0(VALU_DEP_1)
	v_cvt_f64_i32_e32 v[4:5], v1
	global_store_b64 v[2:3], v[4:5], off
.LBB38_2816:
	s_and_not1_b32 vcc_lo, exec_lo, s2
	s_cbranch_vccnz .LBB38_2818
; %bb.2817:
	s_wait_xcnt 0x0
	v_bfe_i32 v1, v12, 0, 16
	s_delay_alu instid0(VALU_DEP_1)
	v_cvt_f32_i32_e32 v1, v1
	global_store_b32 v[2:3], v1, off
.LBB38_2818:
	s_mov_b32 s2, 0
.LBB38_2819:
	s_delay_alu instid0(SALU_CYCLE_1)
	s_and_not1_b32 vcc_lo, exec_lo, s2
	s_cbranch_vccnz .LBB38_2821
; %bb.2820:
	s_wait_xcnt 0x0
	v_cvt_f16_i16_e32 v1, v12
	global_store_b16 v[2:3], v1, off
.LBB38_2821:
	s_mov_b32 s2, 0
.LBB38_2822:
	s_delay_alu instid0(SALU_CYCLE_1)
	s_and_not1_b32 vcc_lo, exec_lo, s2
	s_cbranch_vccnz .LBB38_2838
; %bb.2823:
	s_cmp_lt_i32 s0, 2
	s_mov_b32 s2, -1
	s_cbranch_scc1 .LBB38_2833
; %bb.2824:
	s_cmp_lt_i32 s0, 3
	s_cbranch_scc1 .LBB38_2830
; %bb.2825:
	s_wait_xcnt 0x0
	v_bfe_i32 v4, v12, 0, 16
	s_cmp_gt_i32 s0, 3
	s_cbranch_scc0 .LBB38_2827
; %bb.2826:
	s_delay_alu instid0(VALU_DEP_1)
	v_ashrrev_i32_e32 v5, 31, v4
	s_mov_b32 s2, 0
	global_store_b64 v[2:3], v[4:5], off
.LBB38_2827:
	s_and_not1_b32 vcc_lo, exec_lo, s2
	s_cbranch_vccnz .LBB38_2829
; %bb.2828:
	global_store_b32 v[2:3], v4, off
.LBB38_2829:
	s_mov_b32 s2, 0
.LBB38_2830:
	s_delay_alu instid0(SALU_CYCLE_1)
	s_and_not1_b32 vcc_lo, exec_lo, s2
	s_cbranch_vccnz .LBB38_2832
; %bb.2831:
	global_store_b16 v[2:3], v12, off
.LBB38_2832:
	s_mov_b32 s2, 0
.LBB38_2833:
	s_delay_alu instid0(SALU_CYCLE_1)
	s_and_not1_b32 vcc_lo, exec_lo, s2
	s_cbranch_vccnz .LBB38_2838
; %bb.2834:
	s_cmp_gt_i32 s0, 0
	s_mov_b32 s0, -1
	s_cbranch_scc0 .LBB38_2836
; %bb.2835:
	s_mov_b32 s0, 0
	global_store_b8 v[2:3], v12, off
.LBB38_2836:
	s_and_not1_b32 vcc_lo, exec_lo, s0
	s_cbranch_vccnz .LBB38_2838
; %bb.2837:
	global_store_b8 v[2:3], v12, off
.LBB38_2838:
	s_mov_b32 s6, -1
.LBB38_2839:
	s_delay_alu instid0(SALU_CYCLE_1)
	s_and_not1_b32 vcc_lo, exec_lo, s6
	s_cbranch_vccnz .LBB38_3035
; %bb.2840:
	v_add_nc_u32_e32 v0, s1, v0
	s_cmp_lt_i32 s16, 11
	s_wait_xcnt 0x0
	s_delay_alu instid0(VALU_DEP_1) | instskip(NEXT) | instid1(VALU_DEP_1)
	v_ashrrev_i32_e32 v1, 31, v0
	v_add_nc_u64_e32 v[2:3], s[4:5], v[0:1]
	s_cbranch_scc1 .LBB38_2918
; %bb.2841:
	s_and_b32 s2, 0xffff, s16
	s_mov_b32 s7, -1
	s_mov_b32 s3, 0
	s_cmp_gt_i32 s2, 25
	s_mov_b32 s6, 0
	s_mov_b32 s0, 0
	s_cbranch_scc0 .LBB38_2874
; %bb.2842:
	s_cmp_gt_i32 s2, 28
	s_cbranch_scc0 .LBB38_2857
; %bb.2843:
	s_cmp_gt_i32 s2, 43
	s_cbranch_scc0 .LBB38_2853
; %bb.2844:
	s_cmp_gt_i32 s2, 45
	s_cbranch_scc0 .LBB38_2847
; %bb.2845:
	s_mov_b32 s0, -1
	s_mov_b32 s7, 0
	s_cmp_eq_u32 s2, 46
	s_cbranch_scc0 .LBB38_2847
; %bb.2846:
	v_bfe_i32 v1, v6, 0, 16
	s_mov_b32 s0, 0
	s_mov_b32 s6, -1
	s_delay_alu instid0(VALU_DEP_1) | instskip(NEXT) | instid1(VALU_DEP_1)
	v_cvt_f32_i32_e32 v1, v1
	v_bfe_u32 v4, v1, 16, 1
	s_delay_alu instid0(VALU_DEP_1) | instskip(NEXT) | instid1(VALU_DEP_1)
	v_add3_u32 v1, v1, v4, 0x7fff
	v_lshrrev_b32_e32 v1, 16, v1
	global_store_b32 v[2:3], v1, off
.LBB38_2847:
	s_and_b32 vcc_lo, exec_lo, s7
	s_cbranch_vccz .LBB38_2852
; %bb.2848:
	s_cmp_eq_u32 s2, 44
	s_mov_b32 s0, -1
	s_cbranch_scc0 .LBB38_2852
; %bb.2849:
	s_wait_xcnt 0x0
	v_bfe_i32 v1, v6, 0, 16
	v_mov_b32_e32 v4, 0xff
	s_mov_b32 s6, exec_lo
	s_delay_alu instid0(VALU_DEP_2) | instskip(NEXT) | instid1(VALU_DEP_1)
	v_cvt_f32_i32_e32 v1, v1
	v_bfe_u32 v5, v1, 23, 8
	s_delay_alu instid0(VALU_DEP_1)
	v_cmpx_ne_u32_e32 0xff, v5
	s_cbranch_execz .LBB38_2851
; %bb.2850:
	v_and_b32_e32 v4, 0x400000, v1
	v_and_or_b32 v5, 0x3fffff, v1, v5
	v_lshrrev_b32_e32 v1, 23, v1
	s_delay_alu instid0(VALU_DEP_3) | instskip(NEXT) | instid1(VALU_DEP_3)
	v_cmp_ne_u32_e32 vcc_lo, 0, v4
	v_cmp_ne_u32_e64 s0, 0, v5
	s_and_b32 s0, vcc_lo, s0
	s_delay_alu instid0(SALU_CYCLE_1) | instskip(NEXT) | instid1(VALU_DEP_1)
	v_cndmask_b32_e64 v4, 0, 1, s0
	v_add_nc_u32_e32 v4, v1, v4
.LBB38_2851:
	s_or_b32 exec_lo, exec_lo, s6
	s_mov_b32 s0, 0
	s_mov_b32 s6, -1
	global_store_b8 v[2:3], v4, off
.LBB38_2852:
	s_mov_b32 s7, 0
.LBB38_2853:
	s_delay_alu instid0(SALU_CYCLE_1)
	s_and_b32 vcc_lo, exec_lo, s7
	s_cbranch_vccz .LBB38_2856
; %bb.2854:
	s_cmp_eq_u32 s2, 29
	s_mov_b32 s0, -1
	s_cbranch_scc0 .LBB38_2856
; %bb.2855:
	s_wait_xcnt 0x0
	v_bfe_i32 v4, v6, 0, 16
	s_mov_b32 s0, 0
	s_mov_b32 s6, -1
	s_delay_alu instid0(VALU_DEP_1)
	v_ashrrev_i32_e32 v5, 31, v4
	global_store_b64 v[2:3], v[4:5], off
.LBB38_2856:
	s_mov_b32 s7, 0
.LBB38_2857:
	s_delay_alu instid0(SALU_CYCLE_1)
	s_and_b32 vcc_lo, exec_lo, s7
	s_cbranch_vccz .LBB38_2873
; %bb.2858:
	s_cmp_lt_i32 s2, 27
	s_mov_b32 s6, -1
	s_cbranch_scc1 .LBB38_2864
; %bb.2859:
	s_cmp_gt_i32 s2, 27
	s_cbranch_scc0 .LBB38_2861
; %bb.2860:
	s_wait_xcnt 0x0
	v_bfe_i32 v1, v6, 0, 16
	s_mov_b32 s6, 0
	global_store_b32 v[2:3], v1, off
.LBB38_2861:
	s_and_not1_b32 vcc_lo, exec_lo, s6
	s_cbranch_vccnz .LBB38_2863
; %bb.2862:
	global_store_b16 v[2:3], v6, off
.LBB38_2863:
	s_mov_b32 s6, 0
.LBB38_2864:
	s_delay_alu instid0(SALU_CYCLE_1)
	s_and_not1_b32 vcc_lo, exec_lo, s6
	s_cbranch_vccnz .LBB38_2872
; %bb.2865:
	s_wait_xcnt 0x0
	v_bfe_i32 v1, v6, 0, 16
	v_mov_b32_e32 v5, 0x80
	s_mov_b32 s6, exec_lo
	s_delay_alu instid0(VALU_DEP_2) | instskip(NEXT) | instid1(VALU_DEP_1)
	v_cvt_f32_i32_e32 v1, v1
	v_and_b32_e32 v4, 0x7fffffff, v1
	s_delay_alu instid0(VALU_DEP_1)
	v_cmpx_gt_u32_e32 0x43800000, v4
	s_cbranch_execz .LBB38_2871
; %bb.2866:
	v_cmp_lt_u32_e32 vcc_lo, 0x3bffffff, v4
	s_mov_b32 s7, 0
                                        ; implicit-def: $vgpr4
	s_and_saveexec_b32 s8, vcc_lo
	s_delay_alu instid0(SALU_CYCLE_1)
	s_xor_b32 s8, exec_lo, s8
	s_cbranch_execz .LBB38_3048
; %bb.2867:
	v_bfe_u32 v4, v1, 20, 1
	s_mov_b32 s7, exec_lo
	s_delay_alu instid0(VALU_DEP_1) | instskip(NEXT) | instid1(VALU_DEP_1)
	v_add3_u32 v4, v1, v4, 0x487ffff
	v_lshrrev_b32_e32 v4, 20, v4
	s_and_not1_saveexec_b32 s8, s8
	s_cbranch_execnz .LBB38_3049
.LBB38_2868:
	s_or_b32 exec_lo, exec_lo, s8
	v_mov_b32_e32 v5, 0
	s_and_saveexec_b32 s8, s7
.LBB38_2869:
	v_lshrrev_b32_e32 v1, 24, v1
	s_delay_alu instid0(VALU_DEP_1)
	v_and_or_b32 v5, 0x80, v1, v4
.LBB38_2870:
	s_or_b32 exec_lo, exec_lo, s8
.LBB38_2871:
	s_delay_alu instid0(SALU_CYCLE_1)
	s_or_b32 exec_lo, exec_lo, s6
	global_store_b8 v[2:3], v5, off
.LBB38_2872:
	s_mov_b32 s6, -1
.LBB38_2873:
	s_mov_b32 s7, 0
.LBB38_2874:
	s_delay_alu instid0(SALU_CYCLE_1)
	s_and_b32 vcc_lo, exec_lo, s7
	s_cbranch_vccz .LBB38_2914
; %bb.2875:
	s_cmp_gt_i32 s2, 22
	s_mov_b32 s3, -1
	s_cbranch_scc0 .LBB38_2907
; %bb.2876:
	s_cmp_lt_i32 s2, 24
	s_cbranch_scc1 .LBB38_2896
; %bb.2877:
	s_cmp_gt_i32 s2, 24
	s_cbranch_scc0 .LBB38_2885
; %bb.2878:
	s_wait_xcnt 0x0
	v_bfe_i32 v1, v6, 0, 16
	v_mov_b32_e32 v5, 0x80
	s_mov_b32 s3, exec_lo
	s_delay_alu instid0(VALU_DEP_2) | instskip(NEXT) | instid1(VALU_DEP_1)
	v_cvt_f32_i32_e32 v1, v1
	v_and_b32_e32 v4, 0x7fffffff, v1
	s_delay_alu instid0(VALU_DEP_1)
	v_cmpx_gt_u32_e32 0x47800000, v4
	s_cbranch_execz .LBB38_2884
; %bb.2879:
	v_cmp_lt_u32_e32 vcc_lo, 0x37ffffff, v4
	s_mov_b32 s6, 0
                                        ; implicit-def: $vgpr4
	s_and_saveexec_b32 s7, vcc_lo
	s_delay_alu instid0(SALU_CYCLE_1)
	s_xor_b32 s7, exec_lo, s7
	s_cbranch_execz .LBB38_3051
; %bb.2880:
	v_bfe_u32 v4, v1, 21, 1
	s_mov_b32 s6, exec_lo
	s_delay_alu instid0(VALU_DEP_1) | instskip(NEXT) | instid1(VALU_DEP_1)
	v_add3_u32 v4, v1, v4, 0x88fffff
	v_lshrrev_b32_e32 v4, 21, v4
	s_and_not1_saveexec_b32 s7, s7
	s_cbranch_execnz .LBB38_3052
.LBB38_2881:
	s_or_b32 exec_lo, exec_lo, s7
	v_mov_b32_e32 v5, 0
	s_and_saveexec_b32 s7, s6
.LBB38_2882:
	v_lshrrev_b32_e32 v1, 24, v1
	s_delay_alu instid0(VALU_DEP_1)
	v_and_or_b32 v5, 0x80, v1, v4
.LBB38_2883:
	s_or_b32 exec_lo, exec_lo, s7
.LBB38_2884:
	s_delay_alu instid0(SALU_CYCLE_1)
	s_or_b32 exec_lo, exec_lo, s3
	s_mov_b32 s3, 0
	global_store_b8 v[2:3], v5, off
.LBB38_2885:
	s_and_b32 vcc_lo, exec_lo, s3
	s_cbranch_vccz .LBB38_2895
; %bb.2886:
	s_wait_xcnt 0x0
	v_bfe_i32 v1, v6, 0, 16
	s_mov_b32 s3, exec_lo
                                        ; implicit-def: $vgpr4
	s_delay_alu instid0(VALU_DEP_1) | instskip(NEXT) | instid1(VALU_DEP_1)
	v_cvt_f32_i32_e32 v1, v1
	v_and_b32_e32 v5, 0x7fffffff, v1
	s_delay_alu instid0(VALU_DEP_1)
	v_cmpx_gt_u32_e32 0x43f00000, v5
	s_xor_b32 s3, exec_lo, s3
	s_cbranch_execz .LBB38_2892
; %bb.2887:
	s_mov_b32 s6, exec_lo
                                        ; implicit-def: $vgpr4
	v_cmpx_lt_u32_e32 0x3c7fffff, v5
	s_xor_b32 s6, exec_lo, s6
; %bb.2888:
	v_bfe_u32 v4, v1, 20, 1
	s_delay_alu instid0(VALU_DEP_1) | instskip(NEXT) | instid1(VALU_DEP_1)
	v_add3_u32 v4, v1, v4, 0x407ffff
	v_and_b32_e32 v5, 0xff00000, v4
	v_lshrrev_b32_e32 v4, 20, v4
	s_delay_alu instid0(VALU_DEP_2) | instskip(NEXT) | instid1(VALU_DEP_2)
	v_cmp_ne_u32_e32 vcc_lo, 0x7f00000, v5
	v_cndmask_b32_e32 v4, 0x7e, v4, vcc_lo
; %bb.2889:
	s_and_not1_saveexec_b32 s6, s6
; %bb.2890:
	v_add_f32_e64 v4, 0x46800000, |v1|
; %bb.2891:
	s_or_b32 exec_lo, exec_lo, s6
                                        ; implicit-def: $vgpr5
.LBB38_2892:
	s_and_not1_saveexec_b32 s3, s3
; %bb.2893:
	v_mov_b32_e32 v4, 0x7f
	v_cmp_lt_u32_e32 vcc_lo, 0x7f800000, v5
	s_delay_alu instid0(VALU_DEP_2)
	v_cndmask_b32_e32 v4, 0x7e, v4, vcc_lo
; %bb.2894:
	s_or_b32 exec_lo, exec_lo, s3
	v_lshrrev_b32_e32 v1, 24, v1
	s_delay_alu instid0(VALU_DEP_1)
	v_and_or_b32 v1, 0x80, v1, v4
	global_store_b8 v[2:3], v1, off
.LBB38_2895:
	s_mov_b32 s3, 0
.LBB38_2896:
	s_delay_alu instid0(SALU_CYCLE_1)
	s_and_not1_b32 vcc_lo, exec_lo, s3
	s_cbranch_vccnz .LBB38_2906
; %bb.2897:
	s_wait_xcnt 0x0
	v_bfe_i32 v1, v6, 0, 16
	s_mov_b32 s3, exec_lo
                                        ; implicit-def: $vgpr4
	s_delay_alu instid0(VALU_DEP_1) | instskip(NEXT) | instid1(VALU_DEP_1)
	v_cvt_f32_i32_e32 v1, v1
	v_and_b32_e32 v5, 0x7fffffff, v1
	s_delay_alu instid0(VALU_DEP_1)
	v_cmpx_gt_u32_e32 0x47800000, v5
	s_xor_b32 s3, exec_lo, s3
	s_cbranch_execz .LBB38_2903
; %bb.2898:
	s_mov_b32 s6, exec_lo
                                        ; implicit-def: $vgpr4
	v_cmpx_lt_u32_e32 0x387fffff, v5
	s_xor_b32 s6, exec_lo, s6
; %bb.2899:
	v_bfe_u32 v4, v1, 21, 1
	s_delay_alu instid0(VALU_DEP_1) | instskip(NEXT) | instid1(VALU_DEP_1)
	v_add3_u32 v4, v1, v4, 0x80fffff
	v_lshrrev_b32_e32 v4, 21, v4
; %bb.2900:
	s_and_not1_saveexec_b32 s6, s6
; %bb.2901:
	v_add_f32_e64 v4, 0x43000000, |v1|
; %bb.2902:
	s_or_b32 exec_lo, exec_lo, s6
                                        ; implicit-def: $vgpr5
.LBB38_2903:
	s_and_not1_saveexec_b32 s3, s3
; %bb.2904:
	v_mov_b32_e32 v4, 0x7f
	v_cmp_lt_u32_e32 vcc_lo, 0x7f800000, v5
	s_delay_alu instid0(VALU_DEP_2)
	v_cndmask_b32_e32 v4, 0x7c, v4, vcc_lo
; %bb.2905:
	s_or_b32 exec_lo, exec_lo, s3
	v_lshrrev_b32_e32 v1, 24, v1
	s_delay_alu instid0(VALU_DEP_1)
	v_and_or_b32 v1, 0x80, v1, v4
	global_store_b8 v[2:3], v1, off
.LBB38_2906:
	s_mov_b32 s3, 0
	s_mov_b32 s6, -1
.LBB38_2907:
	s_and_not1_b32 vcc_lo, exec_lo, s3
	s_mov_b32 s3, 0
	s_cbranch_vccnz .LBB38_2914
; %bb.2908:
	s_cmp_gt_i32 s2, 14
	s_mov_b32 s3, -1
	s_cbranch_scc0 .LBB38_2912
; %bb.2909:
	s_cmp_eq_u32 s2, 15
	s_mov_b32 s0, -1
	s_cbranch_scc0 .LBB38_2911
; %bb.2910:
	s_wait_xcnt 0x0
	v_bfe_i32 v1, v6, 0, 16
	s_mov_b32 s0, 0
	s_mov_b32 s6, -1
	s_delay_alu instid0(VALU_DEP_1) | instskip(NEXT) | instid1(VALU_DEP_1)
	v_cvt_f32_i32_e32 v1, v1
	v_bfe_u32 v4, v1, 16, 1
	s_delay_alu instid0(VALU_DEP_1)
	v_add3_u32 v1, v1, v4, 0x7fff
	global_store_d16_hi_b16 v[2:3], v1, off
.LBB38_2911:
	s_mov_b32 s3, 0
.LBB38_2912:
	s_delay_alu instid0(SALU_CYCLE_1)
	s_and_b32 vcc_lo, exec_lo, s3
	s_mov_b32 s3, 0
	s_cbranch_vccz .LBB38_2914
; %bb.2913:
	s_cmp_lg_u32 s2, 11
	s_mov_b32 s3, -1
	s_cselect_b32 s0, -1, 0
.LBB38_2914:
	s_delay_alu instid0(SALU_CYCLE_1)
	s_and_b32 vcc_lo, exec_lo, s0
	s_cbranch_vccnz .LBB38_3050
; %bb.2915:
	s_and_not1_b32 vcc_lo, exec_lo, s3
	s_cbranch_vccnz .LBB38_2917
.LBB38_2916:
	v_cmp_ne_u16_e32 vcc_lo, 0, v6
	s_mov_b32 s6, -1
	s_wait_xcnt 0x0
	v_cndmask_b32_e64 v1, 0, 1, vcc_lo
	global_store_b8 v[2:3], v1, off
.LBB38_2917:
	s_mov_b32 s0, 0
	s_branch .LBB38_2919
.LBB38_2918:
	s_mov_b32 s0, -1
	s_mov_b32 s6, 0
.LBB38_2919:
	s_and_b32 vcc_lo, exec_lo, s0
	s_cbranch_vccz .LBB38_2958
; %bb.2920:
	s_and_b32 s0, 0xffff, s16
	s_mov_b32 s2, -1
	s_cmp_lt_i32 s0, 5
	s_cbranch_scc1 .LBB38_2941
; %bb.2921:
	s_cmp_lt_i32 s0, 8
	s_cbranch_scc1 .LBB38_2931
; %bb.2922:
	;; [unrolled: 3-line block ×3, first 2 shown]
	s_cmp_gt_i32 s0, 9
	s_cbranch_scc0 .LBB38_2925
; %bb.2924:
	s_wait_xcnt 0x0
	v_bfe_i32 v1, v6, 0, 16
	v_mov_b32_e32 v10, 0
	s_mov_b32 s2, 0
	s_delay_alu instid0(VALU_DEP_2) | instskip(NEXT) | instid1(VALU_DEP_2)
	v_cvt_f64_i32_e32 v[8:9], v1
	v_mov_b32_e32 v11, v10
	global_store_b128 v[2:3], v[8:11], off
.LBB38_2925:
	s_and_not1_b32 vcc_lo, exec_lo, s2
	s_cbranch_vccnz .LBB38_2927
; %bb.2926:
	s_wait_xcnt 0x0
	v_bfe_i32 v1, v6, 0, 16
	v_mov_b32_e32 v5, 0
	s_delay_alu instid0(VALU_DEP_2)
	v_cvt_f32_i32_e32 v4, v1
	global_store_b64 v[2:3], v[4:5], off
.LBB38_2927:
	s_mov_b32 s2, 0
.LBB38_2928:
	s_delay_alu instid0(SALU_CYCLE_1)
	s_and_not1_b32 vcc_lo, exec_lo, s2
	s_cbranch_vccnz .LBB38_2930
; %bb.2929:
	s_wait_xcnt 0x0
	v_cvt_f16_i16_e32 v1, v6
	s_delay_alu instid0(VALU_DEP_1)
	v_and_b32_e32 v1, 0xffff, v1
	global_store_b32 v[2:3], v1, off
.LBB38_2930:
	s_mov_b32 s2, 0
.LBB38_2931:
	s_delay_alu instid0(SALU_CYCLE_1)
	s_and_not1_b32 vcc_lo, exec_lo, s2
	s_cbranch_vccnz .LBB38_2940
; %bb.2932:
	s_cmp_lt_i32 s0, 6
	s_mov_b32 s2, -1
	s_cbranch_scc1 .LBB38_2938
; %bb.2933:
	s_cmp_gt_i32 s0, 6
	s_cbranch_scc0 .LBB38_2935
; %bb.2934:
	s_wait_xcnt 0x0
	v_bfe_i32 v1, v6, 0, 16
	s_mov_b32 s2, 0
	s_delay_alu instid0(VALU_DEP_1)
	v_cvt_f64_i32_e32 v[4:5], v1
	global_store_b64 v[2:3], v[4:5], off
.LBB38_2935:
	s_and_not1_b32 vcc_lo, exec_lo, s2
	s_cbranch_vccnz .LBB38_2937
; %bb.2936:
	s_wait_xcnt 0x0
	v_bfe_i32 v1, v6, 0, 16
	s_delay_alu instid0(VALU_DEP_1)
	v_cvt_f32_i32_e32 v1, v1
	global_store_b32 v[2:3], v1, off
.LBB38_2937:
	s_mov_b32 s2, 0
.LBB38_2938:
	s_delay_alu instid0(SALU_CYCLE_1)
	s_and_not1_b32 vcc_lo, exec_lo, s2
	s_cbranch_vccnz .LBB38_2940
; %bb.2939:
	s_wait_xcnt 0x0
	v_cvt_f16_i16_e32 v1, v6
	global_store_b16 v[2:3], v1, off
.LBB38_2940:
	s_mov_b32 s2, 0
.LBB38_2941:
	s_delay_alu instid0(SALU_CYCLE_1)
	s_and_not1_b32 vcc_lo, exec_lo, s2
	s_cbranch_vccnz .LBB38_2957
; %bb.2942:
	s_cmp_lt_i32 s0, 2
	s_mov_b32 s2, -1
	s_cbranch_scc1 .LBB38_2952
; %bb.2943:
	s_cmp_lt_i32 s0, 3
	s_cbranch_scc1 .LBB38_2949
; %bb.2944:
	s_wait_xcnt 0x0
	v_bfe_i32 v4, v6, 0, 16
	s_cmp_gt_i32 s0, 3
	s_cbranch_scc0 .LBB38_2946
; %bb.2945:
	s_delay_alu instid0(VALU_DEP_1)
	v_ashrrev_i32_e32 v5, 31, v4
	s_mov_b32 s2, 0
	global_store_b64 v[2:3], v[4:5], off
.LBB38_2946:
	s_and_not1_b32 vcc_lo, exec_lo, s2
	s_cbranch_vccnz .LBB38_2948
; %bb.2947:
	global_store_b32 v[2:3], v4, off
.LBB38_2948:
	s_mov_b32 s2, 0
.LBB38_2949:
	s_delay_alu instid0(SALU_CYCLE_1)
	s_and_not1_b32 vcc_lo, exec_lo, s2
	s_cbranch_vccnz .LBB38_2951
; %bb.2950:
	global_store_b16 v[2:3], v6, off
.LBB38_2951:
	s_mov_b32 s2, 0
.LBB38_2952:
	s_delay_alu instid0(SALU_CYCLE_1)
	s_and_not1_b32 vcc_lo, exec_lo, s2
	s_cbranch_vccnz .LBB38_2957
; %bb.2953:
	s_cmp_gt_i32 s0, 0
	s_mov_b32 s0, -1
	s_cbranch_scc0 .LBB38_2955
; %bb.2954:
	s_mov_b32 s0, 0
	global_store_b8 v[2:3], v6, off
.LBB38_2955:
	s_and_not1_b32 vcc_lo, exec_lo, s0
	s_cbranch_vccnz .LBB38_2957
; %bb.2956:
	global_store_b8 v[2:3], v6, off
.LBB38_2957:
	s_mov_b32 s6, -1
.LBB38_2958:
	s_delay_alu instid0(SALU_CYCLE_1)
	s_and_not1_b32 vcc_lo, exec_lo, s6
	s_cbranch_vccnz .LBB38_3035
; %bb.2959:
	v_add_nc_u32_e32 v0, s1, v0
	s_cmp_lt_i32 s16, 11
	s_wait_xcnt 0x0
	s_delay_alu instid0(VALU_DEP_1) | instskip(NEXT) | instid1(VALU_DEP_1)
	v_ashrrev_i32_e32 v1, 31, v0
	v_add_nc_u64_e32 v[0:1], s[4:5], v[0:1]
	s_cbranch_scc1 .LBB38_3036
; %bb.2960:
	s_and_b32 s1, 0xffff, s16
	s_mov_b32 s3, -1
	s_mov_b32 s2, 0
	s_cmp_gt_i32 s1, 25
	s_mov_b32 s0, 0
	s_cbranch_scc0 .LBB38_2993
; %bb.2961:
	s_cmp_gt_i32 s1, 28
	s_cbranch_scc0 .LBB38_2977
; %bb.2962:
	s_cmp_gt_i32 s1, 43
	s_cbranch_scc0 .LBB38_2973
; %bb.2963:
	s_cmp_gt_i32 s1, 45
	s_cbranch_scc0 .LBB38_2967
; %bb.2964:
	s_cmp_eq_u32 s1, 46
	s_mov_b32 s0, -1
	s_cbranch_scc0 .LBB38_2966
; %bb.2965:
	v_bfe_i32 v2, v7, 0, 16
	s_mov_b32 s0, 0
	s_delay_alu instid0(VALU_DEP_1) | instskip(NEXT) | instid1(VALU_DEP_1)
	v_cvt_f32_i32_e32 v2, v2
	v_bfe_u32 v3, v2, 16, 1
	s_delay_alu instid0(VALU_DEP_1) | instskip(NEXT) | instid1(VALU_DEP_1)
	v_add3_u32 v2, v2, v3, 0x7fff
	v_lshrrev_b32_e32 v2, 16, v2
	global_store_b32 v[0:1], v2, off
.LBB38_2966:
	s_mov_b32 s3, 0
.LBB38_2967:
	s_delay_alu instid0(SALU_CYCLE_1)
	s_and_b32 vcc_lo, exec_lo, s3
	s_cbranch_vccz .LBB38_2972
; %bb.2968:
	s_cmp_eq_u32 s1, 44
	s_mov_b32 s0, -1
	s_cbranch_scc0 .LBB38_2972
; %bb.2969:
	s_wait_xcnt 0x0
	v_bfe_i32 v2, v7, 0, 16
	v_mov_b32_e32 v3, 0xff
	s_mov_b32 s3, exec_lo
	s_delay_alu instid0(VALU_DEP_2) | instskip(NEXT) | instid1(VALU_DEP_1)
	v_cvt_f32_i32_e32 v2, v2
	v_bfe_u32 v4, v2, 23, 8
	s_delay_alu instid0(VALU_DEP_1)
	v_cmpx_ne_u32_e32 0xff, v4
	s_cbranch_execz .LBB38_2971
; %bb.2970:
	v_and_b32_e32 v3, 0x400000, v2
	v_and_or_b32 v4, 0x3fffff, v2, v4
	v_lshrrev_b32_e32 v2, 23, v2
	s_delay_alu instid0(VALU_DEP_3) | instskip(NEXT) | instid1(VALU_DEP_3)
	v_cmp_ne_u32_e32 vcc_lo, 0, v3
	v_cmp_ne_u32_e64 s0, 0, v4
	s_and_b32 s0, vcc_lo, s0
	s_delay_alu instid0(SALU_CYCLE_1) | instskip(NEXT) | instid1(VALU_DEP_1)
	v_cndmask_b32_e64 v3, 0, 1, s0
	v_add_nc_u32_e32 v3, v2, v3
.LBB38_2971:
	s_or_b32 exec_lo, exec_lo, s3
	s_mov_b32 s0, 0
	global_store_b8 v[0:1], v3, off
.LBB38_2972:
	s_mov_b32 s3, 0
.LBB38_2973:
	s_delay_alu instid0(SALU_CYCLE_1)
	s_and_b32 vcc_lo, exec_lo, s3
	s_cbranch_vccz .LBB38_2976
; %bb.2974:
	s_cmp_eq_u32 s1, 29
	s_mov_b32 s0, -1
	s_cbranch_scc0 .LBB38_2976
; %bb.2975:
	s_wait_xcnt 0x0
	v_bfe_i32 v2, v7, 0, 16
	s_mov_b32 s0, 0
	s_delay_alu instid0(VALU_DEP_1)
	v_ashrrev_i32_e32 v3, 31, v2
	global_store_b64 v[0:1], v[2:3], off
.LBB38_2976:
	s_mov_b32 s3, 0
.LBB38_2977:
	s_delay_alu instid0(SALU_CYCLE_1)
	s_and_b32 vcc_lo, exec_lo, s3
	s_cbranch_vccz .LBB38_2992
; %bb.2978:
	s_cmp_lt_i32 s1, 27
	s_mov_b32 s3, -1
	s_cbranch_scc1 .LBB38_2984
; %bb.2979:
	s_cmp_gt_i32 s1, 27
	s_cbranch_scc0 .LBB38_2981
; %bb.2980:
	s_wait_xcnt 0x0
	v_bfe_i32 v2, v7, 0, 16
	s_mov_b32 s3, 0
	global_store_b32 v[0:1], v2, off
.LBB38_2981:
	s_and_not1_b32 vcc_lo, exec_lo, s3
	s_cbranch_vccnz .LBB38_2983
; %bb.2982:
	global_store_b16 v[0:1], v7, off
.LBB38_2983:
	s_mov_b32 s3, 0
.LBB38_2984:
	s_delay_alu instid0(SALU_CYCLE_1)
	s_and_not1_b32 vcc_lo, exec_lo, s3
	s_cbranch_vccnz .LBB38_2992
; %bb.2985:
	s_wait_xcnt 0x0
	v_bfe_i32 v2, v7, 0, 16
	v_mov_b32_e32 v4, 0x80
	s_mov_b32 s3, exec_lo
	s_delay_alu instid0(VALU_DEP_2) | instskip(NEXT) | instid1(VALU_DEP_1)
	v_cvt_f32_i32_e32 v2, v2
	v_and_b32_e32 v3, 0x7fffffff, v2
	s_delay_alu instid0(VALU_DEP_1)
	v_cmpx_gt_u32_e32 0x43800000, v3
	s_cbranch_execz .LBB38_2991
; %bb.2986:
	v_cmp_lt_u32_e32 vcc_lo, 0x3bffffff, v3
	s_mov_b32 s4, 0
                                        ; implicit-def: $vgpr3
	s_and_saveexec_b32 s5, vcc_lo
	s_delay_alu instid0(SALU_CYCLE_1)
	s_xor_b32 s5, exec_lo, s5
	s_cbranch_execz .LBB38_3053
; %bb.2987:
	v_bfe_u32 v3, v2, 20, 1
	s_mov_b32 s4, exec_lo
	s_delay_alu instid0(VALU_DEP_1) | instskip(NEXT) | instid1(VALU_DEP_1)
	v_add3_u32 v3, v2, v3, 0x487ffff
	v_lshrrev_b32_e32 v3, 20, v3
	s_and_not1_saveexec_b32 s5, s5
	s_cbranch_execnz .LBB38_3054
.LBB38_2988:
	s_or_b32 exec_lo, exec_lo, s5
	v_mov_b32_e32 v4, 0
	s_and_saveexec_b32 s5, s4
.LBB38_2989:
	v_lshrrev_b32_e32 v2, 24, v2
	s_delay_alu instid0(VALU_DEP_1)
	v_and_or_b32 v4, 0x80, v2, v3
.LBB38_2990:
	s_or_b32 exec_lo, exec_lo, s5
.LBB38_2991:
	s_delay_alu instid0(SALU_CYCLE_1)
	s_or_b32 exec_lo, exec_lo, s3
	global_store_b8 v[0:1], v4, off
.LBB38_2992:
	s_mov_b32 s3, 0
.LBB38_2993:
	s_delay_alu instid0(SALU_CYCLE_1)
	s_and_b32 vcc_lo, exec_lo, s3
	s_cbranch_vccz .LBB38_3033
; %bb.2994:
	s_cmp_gt_i32 s1, 22
	s_mov_b32 s2, -1
	s_cbranch_scc0 .LBB38_3026
; %bb.2995:
	s_cmp_lt_i32 s1, 24
	s_cbranch_scc1 .LBB38_3015
; %bb.2996:
	s_cmp_gt_i32 s1, 24
	s_cbranch_scc0 .LBB38_3004
; %bb.2997:
	s_wait_xcnt 0x0
	v_bfe_i32 v2, v7, 0, 16
	v_mov_b32_e32 v4, 0x80
	s_mov_b32 s2, exec_lo
	s_delay_alu instid0(VALU_DEP_2) | instskip(NEXT) | instid1(VALU_DEP_1)
	v_cvt_f32_i32_e32 v2, v2
	v_and_b32_e32 v3, 0x7fffffff, v2
	s_delay_alu instid0(VALU_DEP_1)
	v_cmpx_gt_u32_e32 0x47800000, v3
	s_cbranch_execz .LBB38_3003
; %bb.2998:
	v_cmp_lt_u32_e32 vcc_lo, 0x37ffffff, v3
	s_mov_b32 s3, 0
                                        ; implicit-def: $vgpr3
	s_and_saveexec_b32 s4, vcc_lo
	s_delay_alu instid0(SALU_CYCLE_1)
	s_xor_b32 s4, exec_lo, s4
	s_cbranch_execz .LBB38_3056
; %bb.2999:
	v_bfe_u32 v3, v2, 21, 1
	s_mov_b32 s3, exec_lo
	s_delay_alu instid0(VALU_DEP_1) | instskip(NEXT) | instid1(VALU_DEP_1)
	v_add3_u32 v3, v2, v3, 0x88fffff
	v_lshrrev_b32_e32 v3, 21, v3
	s_and_not1_saveexec_b32 s4, s4
	s_cbranch_execnz .LBB38_3057
.LBB38_3000:
	s_or_b32 exec_lo, exec_lo, s4
	v_mov_b32_e32 v4, 0
	s_and_saveexec_b32 s4, s3
.LBB38_3001:
	v_lshrrev_b32_e32 v2, 24, v2
	s_delay_alu instid0(VALU_DEP_1)
	v_and_or_b32 v4, 0x80, v2, v3
.LBB38_3002:
	s_or_b32 exec_lo, exec_lo, s4
.LBB38_3003:
	s_delay_alu instid0(SALU_CYCLE_1)
	s_or_b32 exec_lo, exec_lo, s2
	s_mov_b32 s2, 0
	global_store_b8 v[0:1], v4, off
.LBB38_3004:
	s_and_b32 vcc_lo, exec_lo, s2
	s_cbranch_vccz .LBB38_3014
; %bb.3005:
	s_wait_xcnt 0x0
	v_bfe_i32 v2, v7, 0, 16
	s_mov_b32 s2, exec_lo
                                        ; implicit-def: $vgpr3
	s_delay_alu instid0(VALU_DEP_1) | instskip(NEXT) | instid1(VALU_DEP_1)
	v_cvt_f32_i32_e32 v2, v2
	v_and_b32_e32 v4, 0x7fffffff, v2
	s_delay_alu instid0(VALU_DEP_1)
	v_cmpx_gt_u32_e32 0x43f00000, v4
	s_xor_b32 s2, exec_lo, s2
	s_cbranch_execz .LBB38_3011
; %bb.3006:
	s_mov_b32 s3, exec_lo
                                        ; implicit-def: $vgpr3
	v_cmpx_lt_u32_e32 0x3c7fffff, v4
	s_xor_b32 s3, exec_lo, s3
; %bb.3007:
	v_bfe_u32 v3, v2, 20, 1
	s_delay_alu instid0(VALU_DEP_1) | instskip(NEXT) | instid1(VALU_DEP_1)
	v_add3_u32 v3, v2, v3, 0x407ffff
	v_and_b32_e32 v4, 0xff00000, v3
	v_lshrrev_b32_e32 v3, 20, v3
	s_delay_alu instid0(VALU_DEP_2) | instskip(NEXT) | instid1(VALU_DEP_2)
	v_cmp_ne_u32_e32 vcc_lo, 0x7f00000, v4
	v_cndmask_b32_e32 v3, 0x7e, v3, vcc_lo
; %bb.3008:
	s_and_not1_saveexec_b32 s3, s3
; %bb.3009:
	v_add_f32_e64 v3, 0x46800000, |v2|
; %bb.3010:
	s_or_b32 exec_lo, exec_lo, s3
                                        ; implicit-def: $vgpr4
.LBB38_3011:
	s_and_not1_saveexec_b32 s2, s2
; %bb.3012:
	v_mov_b32_e32 v3, 0x7f
	v_cmp_lt_u32_e32 vcc_lo, 0x7f800000, v4
	s_delay_alu instid0(VALU_DEP_2)
	v_cndmask_b32_e32 v3, 0x7e, v3, vcc_lo
; %bb.3013:
	s_or_b32 exec_lo, exec_lo, s2
	v_lshrrev_b32_e32 v2, 24, v2
	s_delay_alu instid0(VALU_DEP_1)
	v_and_or_b32 v2, 0x80, v2, v3
	global_store_b8 v[0:1], v2, off
.LBB38_3014:
	s_mov_b32 s2, 0
.LBB38_3015:
	s_delay_alu instid0(SALU_CYCLE_1)
	s_and_not1_b32 vcc_lo, exec_lo, s2
	s_cbranch_vccnz .LBB38_3025
; %bb.3016:
	s_wait_xcnt 0x0
	v_bfe_i32 v2, v7, 0, 16
	s_mov_b32 s2, exec_lo
                                        ; implicit-def: $vgpr3
	s_delay_alu instid0(VALU_DEP_1) | instskip(NEXT) | instid1(VALU_DEP_1)
	v_cvt_f32_i32_e32 v2, v2
	v_and_b32_e32 v4, 0x7fffffff, v2
	s_delay_alu instid0(VALU_DEP_1)
	v_cmpx_gt_u32_e32 0x47800000, v4
	s_xor_b32 s2, exec_lo, s2
	s_cbranch_execz .LBB38_3022
; %bb.3017:
	s_mov_b32 s3, exec_lo
                                        ; implicit-def: $vgpr3
	v_cmpx_lt_u32_e32 0x387fffff, v4
	s_xor_b32 s3, exec_lo, s3
; %bb.3018:
	v_bfe_u32 v3, v2, 21, 1
	s_delay_alu instid0(VALU_DEP_1) | instskip(NEXT) | instid1(VALU_DEP_1)
	v_add3_u32 v3, v2, v3, 0x80fffff
	v_lshrrev_b32_e32 v3, 21, v3
; %bb.3019:
	s_and_not1_saveexec_b32 s3, s3
; %bb.3020:
	v_add_f32_e64 v3, 0x43000000, |v2|
; %bb.3021:
	s_or_b32 exec_lo, exec_lo, s3
                                        ; implicit-def: $vgpr4
.LBB38_3022:
	s_and_not1_saveexec_b32 s2, s2
; %bb.3023:
	v_mov_b32_e32 v3, 0x7f
	v_cmp_lt_u32_e32 vcc_lo, 0x7f800000, v4
	s_delay_alu instid0(VALU_DEP_2)
	v_cndmask_b32_e32 v3, 0x7c, v3, vcc_lo
; %bb.3024:
	s_or_b32 exec_lo, exec_lo, s2
	v_lshrrev_b32_e32 v2, 24, v2
	s_delay_alu instid0(VALU_DEP_1)
	v_and_or_b32 v2, 0x80, v2, v3
	global_store_b8 v[0:1], v2, off
.LBB38_3025:
	s_mov_b32 s2, 0
.LBB38_3026:
	s_delay_alu instid0(SALU_CYCLE_1)
	s_and_not1_b32 vcc_lo, exec_lo, s2
	s_mov_b32 s2, 0
	s_cbranch_vccnz .LBB38_3033
; %bb.3027:
	s_cmp_gt_i32 s1, 14
	s_mov_b32 s2, -1
	s_cbranch_scc0 .LBB38_3031
; %bb.3028:
	s_cmp_eq_u32 s1, 15
	s_mov_b32 s0, -1
	s_cbranch_scc0 .LBB38_3030
; %bb.3029:
	s_wait_xcnt 0x0
	v_bfe_i32 v2, v7, 0, 16
	s_mov_b32 s0, 0
	s_delay_alu instid0(VALU_DEP_1) | instskip(NEXT) | instid1(VALU_DEP_1)
	v_cvt_f32_i32_e32 v2, v2
	v_bfe_u32 v3, v2, 16, 1
	s_delay_alu instid0(VALU_DEP_1)
	v_add3_u32 v2, v2, v3, 0x7fff
	global_store_d16_hi_b16 v[0:1], v2, off
.LBB38_3030:
	s_mov_b32 s2, 0
.LBB38_3031:
	s_delay_alu instid0(SALU_CYCLE_1)
	s_and_b32 vcc_lo, exec_lo, s2
	s_mov_b32 s2, 0
	s_cbranch_vccz .LBB38_3033
; %bb.3032:
	s_cmp_lg_u32 s1, 11
	s_mov_b32 s2, -1
	s_cselect_b32 s0, -1, 0
.LBB38_3033:
	s_delay_alu instid0(SALU_CYCLE_1)
	s_and_b32 vcc_lo, exec_lo, s0
	s_cbranch_vccnz .LBB38_3055
.LBB38_3034:
	s_mov_b32 s0, 0
	s_branch .LBB38_2636
.LBB38_3035:
	s_mov_b32 s0, 0
	s_mov_b32 s2, 0
                                        ; implicit-def: $sgpr16
                                        ; implicit-def: $vgpr0_vgpr1
	s_branch .LBB38_2636
.LBB38_3036:
	s_mov_b32 s2, 0
	s_mov_b32 s0, -1
	s_branch .LBB38_2636
.LBB38_3037:
	s_or_b32 s12, s12, exec_lo
	s_trap 2
	s_cbranch_execz .LBB38_2501
	s_branch .LBB38_2502
.LBB38_3038:
	s_and_not1_saveexec_b32 s7, s7
	s_cbranch_execz .LBB38_2585
.LBB38_3039:
	v_add_f32_e64 v4, 0x46000000, |v1|
	s_and_not1_b32 s6, s6, exec_lo
	s_delay_alu instid0(VALU_DEP_1) | instskip(NEXT) | instid1(VALU_DEP_1)
	v_and_b32_e32 v4, 0xff, v4
	v_cmp_ne_u32_e32 vcc_lo, 0, v4
	s_and_b32 s9, vcc_lo, exec_lo
	s_delay_alu instid0(SALU_CYCLE_1)
	s_or_b32 s6, s6, s9
	s_or_b32 exec_lo, exec_lo, s7
	v_mov_b32_e32 v5, 0
	s_and_saveexec_b32 s7, s6
	s_cbranch_execnz .LBB38_2586
	s_branch .LBB38_2587
.LBB38_3040:
	s_or_b32 s12, s12, exec_lo
	s_trap 2
	s_cbranch_execz .LBB38_2633
	s_branch .LBB38_2634
.LBB38_3041:
	s_and_not1_saveexec_b32 s6, s6
	s_cbranch_execz .LBB38_2598
.LBB38_3042:
	v_add_f32_e64 v4, 0x42800000, |v1|
	s_and_not1_b32 s3, s3, exec_lo
	s_delay_alu instid0(VALU_DEP_1) | instskip(NEXT) | instid1(VALU_DEP_1)
	v_and_b32_e32 v4, 0xff, v4
	v_cmp_ne_u32_e32 vcc_lo, 0, v4
	s_and_b32 s7, vcc_lo, exec_lo
	s_delay_alu instid0(SALU_CYCLE_1)
	s_or_b32 s3, s3, s7
	s_or_b32 exec_lo, exec_lo, s6
	v_mov_b32_e32 v5, 0
	s_and_saveexec_b32 s6, s3
	s_cbranch_execnz .LBB38_2599
	s_branch .LBB38_2600
.LBB38_3043:
	s_and_not1_saveexec_b32 s8, s8
	s_cbranch_execz .LBB38_2749
.LBB38_3044:
	v_add_f32_e64 v4, 0x46000000, |v1|
	s_and_not1_b32 s7, s7, exec_lo
	s_delay_alu instid0(VALU_DEP_1) | instskip(NEXT) | instid1(VALU_DEP_1)
	v_and_b32_e32 v4, 0xff, v4
	v_cmp_ne_u32_e32 vcc_lo, 0, v4
	s_and_b32 s9, vcc_lo, exec_lo
	s_delay_alu instid0(SALU_CYCLE_1)
	s_or_b32 s7, s7, s9
	s_or_b32 exec_lo, exec_lo, s8
	v_mov_b32_e32 v5, 0
	s_and_saveexec_b32 s8, s7
	s_cbranch_execnz .LBB38_2750
	s_branch .LBB38_2751
.LBB38_3045:
	s_or_b32 s12, s12, exec_lo
	s_trap 2
	s_cbranch_execz .LBB38_2797
	s_branch .LBB38_2798
.LBB38_3046:
	s_and_not1_saveexec_b32 s7, s7
	s_cbranch_execz .LBB38_2762
.LBB38_3047:
	v_add_f32_e64 v4, 0x42800000, |v1|
	s_and_not1_b32 s6, s6, exec_lo
	s_delay_alu instid0(VALU_DEP_1) | instskip(NEXT) | instid1(VALU_DEP_1)
	v_and_b32_e32 v4, 0xff, v4
	v_cmp_ne_u32_e32 vcc_lo, 0, v4
	s_and_b32 s8, vcc_lo, exec_lo
	s_delay_alu instid0(SALU_CYCLE_1)
	s_or_b32 s6, s6, s8
	s_or_b32 exec_lo, exec_lo, s7
	v_mov_b32_e32 v5, 0
	s_and_saveexec_b32 s7, s6
	s_cbranch_execnz .LBB38_2763
	s_branch .LBB38_2764
.LBB38_3048:
	s_and_not1_saveexec_b32 s8, s8
	s_cbranch_execz .LBB38_2868
.LBB38_3049:
	v_add_f32_e64 v4, 0x46000000, |v1|
	s_and_not1_b32 s7, s7, exec_lo
	s_delay_alu instid0(VALU_DEP_1) | instskip(NEXT) | instid1(VALU_DEP_1)
	v_and_b32_e32 v4, 0xff, v4
	v_cmp_ne_u32_e32 vcc_lo, 0, v4
	s_and_b32 s9, vcc_lo, exec_lo
	s_delay_alu instid0(SALU_CYCLE_1)
	s_or_b32 s7, s7, s9
	s_or_b32 exec_lo, exec_lo, s8
	v_mov_b32_e32 v5, 0
	s_and_saveexec_b32 s8, s7
	s_cbranch_execnz .LBB38_2869
	s_branch .LBB38_2870
.LBB38_3050:
	s_or_b32 s12, s12, exec_lo
	s_trap 2
	s_cbranch_execz .LBB38_2916
	s_branch .LBB38_2917
.LBB38_3051:
	s_and_not1_saveexec_b32 s7, s7
	s_cbranch_execz .LBB38_2881
.LBB38_3052:
	v_add_f32_e64 v4, 0x42800000, |v1|
	s_and_not1_b32 s6, s6, exec_lo
	s_delay_alu instid0(VALU_DEP_1) | instskip(NEXT) | instid1(VALU_DEP_1)
	v_and_b32_e32 v4, 0xff, v4
	v_cmp_ne_u32_e32 vcc_lo, 0, v4
	s_and_b32 s8, vcc_lo, exec_lo
	s_delay_alu instid0(SALU_CYCLE_1)
	s_or_b32 s6, s6, s8
	s_or_b32 exec_lo, exec_lo, s7
	v_mov_b32_e32 v5, 0
	s_and_saveexec_b32 s7, s6
	s_cbranch_execnz .LBB38_2882
	s_branch .LBB38_2883
.LBB38_3053:
	s_and_not1_saveexec_b32 s5, s5
	s_cbranch_execz .LBB38_2988
.LBB38_3054:
	v_add_f32_e64 v3, 0x46000000, |v2|
	s_and_not1_b32 s4, s4, exec_lo
	s_delay_alu instid0(VALU_DEP_1) | instskip(NEXT) | instid1(VALU_DEP_1)
	v_and_b32_e32 v3, 0xff, v3
	v_cmp_ne_u32_e32 vcc_lo, 0, v3
	s_and_b32 s6, vcc_lo, exec_lo
	s_delay_alu instid0(SALU_CYCLE_1)
	s_or_b32 s4, s4, s6
	s_or_b32 exec_lo, exec_lo, s5
	v_mov_b32_e32 v4, 0
	s_and_saveexec_b32 s5, s4
	s_cbranch_execnz .LBB38_2989
	s_branch .LBB38_2990
.LBB38_3055:
	s_mov_b32 s2, 0
	s_or_b32 s12, s12, exec_lo
	s_trap 2
	s_branch .LBB38_3034
.LBB38_3056:
	s_and_not1_saveexec_b32 s4, s4
	s_cbranch_execz .LBB38_3000
.LBB38_3057:
	v_add_f32_e64 v3, 0x42800000, |v2|
	s_and_not1_b32 s3, s3, exec_lo
	s_delay_alu instid0(VALU_DEP_1) | instskip(NEXT) | instid1(VALU_DEP_1)
	v_and_b32_e32 v3, 0xff, v3
	v_cmp_ne_u32_e32 vcc_lo, 0, v3
	s_and_b32 s5, vcc_lo, exec_lo
	s_delay_alu instid0(SALU_CYCLE_1)
	s_or_b32 s3, s3, s5
	s_or_b32 exec_lo, exec_lo, s4
	v_mov_b32_e32 v4, 0
	s_and_saveexec_b32 s4, s3
	s_cbranch_execnz .LBB38_3001
	s_branch .LBB38_3002
	.section	.rodata,"a",@progbits
	.p2align	6, 0x0
	.amdhsa_kernel _ZN2at6native32elementwise_kernel_manual_unrollILi128ELi4EZNS0_15gpu_kernel_implIZZZNS0_15gcd_kernel_cudaERNS_18TensorIteratorBaseEENKUlvE_clEvENKUlvE3_clEvEUlssE_EEvS4_RKT_EUlibE_EEviT1_
		.amdhsa_group_segment_fixed_size 0
		.amdhsa_private_segment_fixed_size 0
		.amdhsa_kernarg_size 48
		.amdhsa_user_sgpr_count 2
		.amdhsa_user_sgpr_dispatch_ptr 0
		.amdhsa_user_sgpr_queue_ptr 0
		.amdhsa_user_sgpr_kernarg_segment_ptr 1
		.amdhsa_user_sgpr_dispatch_id 0
		.amdhsa_user_sgpr_kernarg_preload_length 0
		.amdhsa_user_sgpr_kernarg_preload_offset 0
		.amdhsa_user_sgpr_private_segment_size 0
		.amdhsa_wavefront_size32 1
		.amdhsa_uses_dynamic_stack 0
		.amdhsa_enable_private_segment 0
		.amdhsa_system_sgpr_workgroup_id_x 1
		.amdhsa_system_sgpr_workgroup_id_y 0
		.amdhsa_system_sgpr_workgroup_id_z 0
		.amdhsa_system_sgpr_workgroup_info 0
		.amdhsa_system_vgpr_workitem_id 0
		.amdhsa_next_free_vgpr 18
		.amdhsa_next_free_sgpr 35
		.amdhsa_named_barrier_count 0
		.amdhsa_reserve_vcc 1
		.amdhsa_float_round_mode_32 0
		.amdhsa_float_round_mode_16_64 0
		.amdhsa_float_denorm_mode_32 3
		.amdhsa_float_denorm_mode_16_64 3
		.amdhsa_fp16_overflow 0
		.amdhsa_memory_ordered 1
		.amdhsa_forward_progress 1
		.amdhsa_inst_pref_size 255
		.amdhsa_round_robin_scheduling 0
		.amdhsa_exception_fp_ieee_invalid_op 0
		.amdhsa_exception_fp_denorm_src 0
		.amdhsa_exception_fp_ieee_div_zero 0
		.amdhsa_exception_fp_ieee_overflow 0
		.amdhsa_exception_fp_ieee_underflow 0
		.amdhsa_exception_fp_ieee_inexact 0
		.amdhsa_exception_int_div_zero 0
	.end_amdhsa_kernel
	.section	.text._ZN2at6native32elementwise_kernel_manual_unrollILi128ELi4EZNS0_15gpu_kernel_implIZZZNS0_15gcd_kernel_cudaERNS_18TensorIteratorBaseEENKUlvE_clEvENKUlvE3_clEvEUlssE_EEvS4_RKT_EUlibE_EEviT1_,"axG",@progbits,_ZN2at6native32elementwise_kernel_manual_unrollILi128ELi4EZNS0_15gpu_kernel_implIZZZNS0_15gcd_kernel_cudaERNS_18TensorIteratorBaseEENKUlvE_clEvENKUlvE3_clEvEUlssE_EEvS4_RKT_EUlibE_EEviT1_,comdat
.Lfunc_end38:
	.size	_ZN2at6native32elementwise_kernel_manual_unrollILi128ELi4EZNS0_15gpu_kernel_implIZZZNS0_15gcd_kernel_cudaERNS_18TensorIteratorBaseEENKUlvE_clEvENKUlvE3_clEvEUlssE_EEvS4_RKT_EUlibE_EEviT1_, .Lfunc_end38-_ZN2at6native32elementwise_kernel_manual_unrollILi128ELi4EZNS0_15gpu_kernel_implIZZZNS0_15gcd_kernel_cudaERNS_18TensorIteratorBaseEENKUlvE_clEvENKUlvE3_clEvEUlssE_EEvS4_RKT_EUlibE_EEviT1_
                                        ; -- End function
	.set _ZN2at6native32elementwise_kernel_manual_unrollILi128ELi4EZNS0_15gpu_kernel_implIZZZNS0_15gcd_kernel_cudaERNS_18TensorIteratorBaseEENKUlvE_clEvENKUlvE3_clEvEUlssE_EEvS4_RKT_EUlibE_EEviT1_.num_vgpr, 18
	.set _ZN2at6native32elementwise_kernel_manual_unrollILi128ELi4EZNS0_15gpu_kernel_implIZZZNS0_15gcd_kernel_cudaERNS_18TensorIteratorBaseEENKUlvE_clEvENKUlvE3_clEvEUlssE_EEvS4_RKT_EUlibE_EEviT1_.num_agpr, 0
	.set _ZN2at6native32elementwise_kernel_manual_unrollILi128ELi4EZNS0_15gpu_kernel_implIZZZNS0_15gcd_kernel_cudaERNS_18TensorIteratorBaseEENKUlvE_clEvENKUlvE3_clEvEUlssE_EEvS4_RKT_EUlibE_EEviT1_.numbered_sgpr, 35
	.set _ZN2at6native32elementwise_kernel_manual_unrollILi128ELi4EZNS0_15gpu_kernel_implIZZZNS0_15gcd_kernel_cudaERNS_18TensorIteratorBaseEENKUlvE_clEvENKUlvE3_clEvEUlssE_EEvS4_RKT_EUlibE_EEviT1_.num_named_barrier, 0
	.set _ZN2at6native32elementwise_kernel_manual_unrollILi128ELi4EZNS0_15gpu_kernel_implIZZZNS0_15gcd_kernel_cudaERNS_18TensorIteratorBaseEENKUlvE_clEvENKUlvE3_clEvEUlssE_EEvS4_RKT_EUlibE_EEviT1_.private_seg_size, 0
	.set _ZN2at6native32elementwise_kernel_manual_unrollILi128ELi4EZNS0_15gpu_kernel_implIZZZNS0_15gcd_kernel_cudaERNS_18TensorIteratorBaseEENKUlvE_clEvENKUlvE3_clEvEUlssE_EEvS4_RKT_EUlibE_EEviT1_.uses_vcc, 1
	.set _ZN2at6native32elementwise_kernel_manual_unrollILi128ELi4EZNS0_15gpu_kernel_implIZZZNS0_15gcd_kernel_cudaERNS_18TensorIteratorBaseEENKUlvE_clEvENKUlvE3_clEvEUlssE_EEvS4_RKT_EUlibE_EEviT1_.uses_flat_scratch, 0
	.set _ZN2at6native32elementwise_kernel_manual_unrollILi128ELi4EZNS0_15gpu_kernel_implIZZZNS0_15gcd_kernel_cudaERNS_18TensorIteratorBaseEENKUlvE_clEvENKUlvE3_clEvEUlssE_EEvS4_RKT_EUlibE_EEviT1_.has_dyn_sized_stack, 0
	.set _ZN2at6native32elementwise_kernel_manual_unrollILi128ELi4EZNS0_15gpu_kernel_implIZZZNS0_15gcd_kernel_cudaERNS_18TensorIteratorBaseEENKUlvE_clEvENKUlvE3_clEvEUlssE_EEvS4_RKT_EUlibE_EEviT1_.has_recursion, 0
	.set _ZN2at6native32elementwise_kernel_manual_unrollILi128ELi4EZNS0_15gpu_kernel_implIZZZNS0_15gcd_kernel_cudaERNS_18TensorIteratorBaseEENKUlvE_clEvENKUlvE3_clEvEUlssE_EEvS4_RKT_EUlibE_EEviT1_.has_indirect_call, 0
	.section	.AMDGPU.csdata,"",@progbits
; Kernel info:
; codeLenInByte = 54688
; TotalNumSgprs: 37
; NumVgprs: 18
; ScratchSize: 0
; MemoryBound: 1
; FloatMode: 240
; IeeeMode: 1
; LDSByteSize: 0 bytes/workgroup (compile time only)
; SGPRBlocks: 0
; VGPRBlocks: 1
; NumSGPRsForWavesPerEU: 37
; NumVGPRsForWavesPerEU: 18
; NamedBarCnt: 0
; Occupancy: 16
; WaveLimiterHint : 0
; COMPUTE_PGM_RSRC2:SCRATCH_EN: 0
; COMPUTE_PGM_RSRC2:USER_SGPR: 2
; COMPUTE_PGM_RSRC2:TRAP_HANDLER: 0
; COMPUTE_PGM_RSRC2:TGID_X_EN: 1
; COMPUTE_PGM_RSRC2:TGID_Y_EN: 0
; COMPUTE_PGM_RSRC2:TGID_Z_EN: 0
; COMPUTE_PGM_RSRC2:TIDIG_COMP_CNT: 0
	.section	.text._ZN2at6native32elementwise_kernel_manual_unrollILi128ELi4EZNS0_15gpu_kernel_implIZZZNS0_15gcd_kernel_cudaERNS_18TensorIteratorBaseEENKUlvE_clEvENKUlvE3_clEvEUlssE_EEvS4_RKT_EUlibE0_EEviT1_,"axG",@progbits,_ZN2at6native32elementwise_kernel_manual_unrollILi128ELi4EZNS0_15gpu_kernel_implIZZZNS0_15gcd_kernel_cudaERNS_18TensorIteratorBaseEENKUlvE_clEvENKUlvE3_clEvEUlssE_EEvS4_RKT_EUlibE0_EEviT1_,comdat
	.globl	_ZN2at6native32elementwise_kernel_manual_unrollILi128ELi4EZNS0_15gpu_kernel_implIZZZNS0_15gcd_kernel_cudaERNS_18TensorIteratorBaseEENKUlvE_clEvENKUlvE3_clEvEUlssE_EEvS4_RKT_EUlibE0_EEviT1_ ; -- Begin function _ZN2at6native32elementwise_kernel_manual_unrollILi128ELi4EZNS0_15gpu_kernel_implIZZZNS0_15gcd_kernel_cudaERNS_18TensorIteratorBaseEENKUlvE_clEvENKUlvE3_clEvEUlssE_EEvS4_RKT_EUlibE0_EEviT1_
	.p2align	8
	.type	_ZN2at6native32elementwise_kernel_manual_unrollILi128ELi4EZNS0_15gpu_kernel_implIZZZNS0_15gcd_kernel_cudaERNS_18TensorIteratorBaseEENKUlvE_clEvENKUlvE3_clEvEUlssE_EEvS4_RKT_EUlibE0_EEviT1_,@function
_ZN2at6native32elementwise_kernel_manual_unrollILi128ELi4EZNS0_15gpu_kernel_implIZZZNS0_15gcd_kernel_cudaERNS_18TensorIteratorBaseEENKUlvE_clEvENKUlvE3_clEvEUlssE_EEvS4_RKT_EUlibE0_EEviT1_: ; @_ZN2at6native32elementwise_kernel_manual_unrollILi128ELi4EZNS0_15gpu_kernel_implIZZZNS0_15gcd_kernel_cudaERNS_18TensorIteratorBaseEENKUlvE_clEvENKUlvE3_clEvEUlssE_EEvS4_RKT_EUlibE0_EEviT1_
; %bb.0:
	s_clause 0x1
	s_load_b32 s26, s[0:1], 0x8
	s_load_b32 s36, s[0:1], 0x0
	s_bfe_u32 s2, ttmp6, 0x4000c
	s_and_b32 s3, ttmp6, 15
	s_add_co_i32 s2, s2, 1
	s_getreg_b32 s4, hwreg(HW_REG_IB_STS2, 6, 4)
	s_mul_i32 s2, ttmp9, s2
	s_mov_b32 s28, 0
	s_add_co_i32 s3, s3, s2
	s_cmp_eq_u32 s4, 0
	s_mov_b32 s25, -1
	s_cselect_b32 s2, ttmp9, s3
	s_mov_b32 s8, 0
	v_lshl_or_b32 v0, s2, 9, v0
	s_add_nc_u64 s[2:3], s[0:1], 8
	s_wait_xcnt 0x0
	s_mov_b32 s0, exec_lo
	s_delay_alu instid0(VALU_DEP_1) | instskip(SKIP_2) | instid1(SALU_CYCLE_1)
	v_or_b32_e32 v1, 0x180, v0
	s_wait_kmcnt 0x0
	s_add_co_i32 s27, s26, -1
	s_cmp_gt_u32 s27, 1
	s_cselect_b32 s29, -1, 0
	v_cmpx_le_i32_e64 s36, v1
	s_xor_b32 s30, exec_lo, s0
	s_cbranch_execz .LBB39_1577
; %bb.1:
	v_mov_b32_e32 v1, 0
	s_cmp_lg_u32 s26, 0
	s_mov_b32 s19, 0
	s_cselect_b32 s37, -1, 0
	s_min_u32 s35, s27, 15
	s_clause 0x1
	global_load_u16 v2, v1, s[2:3] offset:417
	global_load_i8 v3, v1, s[2:3] offset:419
	s_clause 0x5
	s_load_b128 s[8:11], s[2:3], 0x4
	s_load_b64 s[0:1], s[2:3], 0x14
	s_load_b128 s[12:15], s[2:3], 0xc4
	s_load_b64 s[20:21], s[2:3], 0xd4
	s_load_b64 s[16:17], s[2:3], 0x198
	s_load_b128 s[4:7], s[2:3], 0x188
	s_cmp_gt_u32 s26, 1
	s_mov_b32 s23, s19
	s_mov_b32 s40, s19
	s_mov_b32 s39, s19
	s_cselect_b32 s34, -1, 0
	s_mov_b32 s38, s19
	s_mov_b32 s41, exec_lo
	s_wait_kmcnt 0x0
	s_mov_b32 s18, s9
	s_mov_b32 s22, s0
	s_wait_loadcnt 0x1
	v_readfirstlane_b32 s31, v2
	s_wait_loadcnt 0x0
	v_readfirstlane_b32 s9, v3
	s_lshr_b32 s33, s31, 8
	v_cmpx_gt_i32_e64 s36, v0
	s_cbranch_execz .LBB39_389
; %bb.2:
	s_and_not1_b32 vcc_lo, exec_lo, s29
	s_cbranch_vccnz .LBB39_8
; %bb.3:
	s_and_not1_b32 vcc_lo, exec_lo, s37
	s_cbranch_vccnz .LBB39_9
; %bb.4:
	v_dual_mov_b32 v2, 0 :: v_dual_mov_b32 v1, v0
	v_dual_mov_b32 v4, 0 :: v_dual_mov_b32 v6, 0
	s_add_co_i32 s0, s35, 1
	s_mov_b64 s[24:25], 0xffffffffffffffe8
	s_and_b32 s0, s0, 30
	s_add_nc_u64 s[24:25], s[2:3], s[24:25]
.LBB39_5:                               ; =>This Inner Loop Header: Depth=1
	s_clause 0x3
	s_load_b128 s[44:47], s[24:25], 0x1c
	s_load_b64 s[38:39], s[24:25], 0x2c
	s_load_b128 s[48:51], s[24:25], 0xdc
	s_load_b64 s[42:43], s[24:25], 0xec
	s_add_co_i32 s0, s0, -2
	s_wait_xcnt 0x0
	s_add_nc_u64 s[24:25], s[24:25], 24
	s_cmp_lg_u32 s0, 0
	s_wait_kmcnt 0x0
	v_mul_hi_u32 v3, s45, v1
	s_delay_alu instid0(VALU_DEP_1) | instskip(NEXT) | instid1(VALU_DEP_1)
	v_add_nc_u32_e32 v3, v1, v3
	v_lshrrev_b32_e32 v3, s46, v3
	s_delay_alu instid0(VALU_DEP_1) | instskip(SKIP_1) | instid1(VALU_DEP_1)
	v_mul_hi_u32 v5, s38, v3
	v_mul_lo_u32 v7, v3, s44
	v_dual_add_nc_u32 v5, v3, v5 :: v_dual_sub_nc_u32 v7, v1, v7
	s_delay_alu instid0(VALU_DEP_1) | instskip(NEXT) | instid1(VALU_DEP_2)
	v_lshrrev_b32_e32 v1, s39, v5
	v_mad_u32 v2, v7, s48, v2
	v_mad_u32 v6, v7, s50, v6
	;; [unrolled: 1-line block ×3, first 2 shown]
	s_delay_alu instid0(VALU_DEP_4) | instskip(NEXT) | instid1(VALU_DEP_1)
	v_mul_lo_u32 v5, v1, s47
	v_sub_nc_u32_e32 v3, v3, v5
	s_delay_alu instid0(VALU_DEP_1)
	v_mad_u32 v2, v3, s51, v2
	v_mad_u32 v6, v3, s43, v6
	;; [unrolled: 1-line block ×3, first 2 shown]
	s_cbranch_scc1 .LBB39_5
; %bb.6:
	s_bitcmp1_b32 s35, 0
	s_cselect_b32 s0, -1, 0
	s_delay_alu instid0(SALU_CYCLE_1)
	s_and_b32 vcc_lo, exec_lo, s0
	s_cbranch_vccnz .LBB39_10
; %bb.7:
	s_clause 0x1
	s_load_b96 s[44:46], s[24:25], 0x1c
	s_load_b96 s[48:50], s[24:25], 0xdc
	s_wait_kmcnt 0x0
	v_mul_hi_u32 v3, s45, v1
	s_delay_alu instid0(VALU_DEP_1) | instskip(NEXT) | instid1(VALU_DEP_1)
	v_add_nc_u32_e32 v3, v1, v3
	v_lshrrev_b32_e32 v3, s46, v3
	s_delay_alu instid0(VALU_DEP_1) | instskip(NEXT) | instid1(VALU_DEP_1)
	v_mul_lo_u32 v3, v3, s44
	v_sub_nc_u32_e32 v1, v1, v3
	s_delay_alu instid0(VALU_DEP_1)
	v_mad_u32 v2, v1, s48, v2
	v_mad_u32 v4, v1, s49, v4
	;; [unrolled: 1-line block ×3, first 2 shown]
	s_cbranch_execz .LBB39_11
	s_branch .LBB39_13
.LBB39_8:
                                        ; implicit-def: $vgpr6
                                        ; implicit-def: $vgpr4
                                        ; implicit-def: $vgpr2
	s_branch .LBB39_11
.LBB39_9:
	v_dual_mov_b32 v6, 0 :: v_dual_mov_b32 v4, 0
	v_mov_b32_e32 v2, 0
.LBB39_10:
	s_cbranch_execnz .LBB39_13
.LBB39_11:
	v_mov_b32_e32 v1, 0
	s_and_not1_b32 vcc_lo, exec_lo, s34
	s_delay_alu instid0(VALU_DEP_1) | instskip(NEXT) | instid1(VALU_DEP_1)
	v_mul_u64_e32 v[2:3], s[18:19], v[0:1]
	v_add_nc_u32_e32 v2, v0, v3
	s_delay_alu instid0(VALU_DEP_1) | instskip(NEXT) | instid1(VALU_DEP_1)
	v_lshrrev_b32_e32 v8, s10, v2
	v_mul_lo_u32 v2, v8, s8
	s_delay_alu instid0(VALU_DEP_1) | instskip(NEXT) | instid1(VALU_DEP_1)
	v_sub_nc_u32_e32 v3, v0, v2
	v_mul_lo_u32 v2, v3, s12
	v_mul_lo_u32 v6, v3, s14
	;; [unrolled: 1-line block ×3, first 2 shown]
	s_cbranch_vccnz .LBB39_13
; %bb.12:
	v_mov_b32_e32 v9, v1
	s_delay_alu instid0(VALU_DEP_1) | instskip(NEXT) | instid1(VALU_DEP_1)
	v_mul_u64_e32 v[10:11], s[22:23], v[8:9]
	v_add_nc_u32_e32 v1, v8, v11
	s_delay_alu instid0(VALU_DEP_1) | instskip(NEXT) | instid1(VALU_DEP_1)
	v_lshrrev_b32_e32 v1, s1, v1
	v_mul_lo_u32 v1, v1, s11
	s_delay_alu instid0(VALU_DEP_1) | instskip(NEXT) | instid1(VALU_DEP_1)
	v_sub_nc_u32_e32 v1, v8, v1
	v_mad_u32 v2, v1, s15, v2
	v_mad_u32 v4, v1, s20, v4
	;; [unrolled: 1-line block ×3, first 2 shown]
.LBB39_13:
	v_mov_b32_e32 v5, 0
	s_and_b32 s0, s33, 0xff
	s_delay_alu instid0(SALU_CYCLE_1) | instskip(NEXT) | instid1(VALU_DEP_1)
	s_cmp_lt_i32 s0, 11
	v_add_nc_u64_e32 v[8:9], s[6:7], v[4:5]
	s_cbranch_scc1 .LBB39_20
; %bb.14:
	s_and_b32 s25, 0xffff, s0
	s_delay_alu instid0(SALU_CYCLE_1)
	s_cmp_gt_i32 s25, 25
	s_cbranch_scc0 .LBB39_29
; %bb.15:
	s_cmp_gt_i32 s25, 28
	s_cbranch_scc0 .LBB39_43
; %bb.16:
	;; [unrolled: 3-line block ×4, first 2 shown]
	s_cmp_eq_u32 s25, 46
	s_mov_b32 s39, 0
	s_cbranch_scc0 .LBB39_52
; %bb.19:
	global_load_b32 v1, v[8:9], off
	s_mov_b32 s38, -1
	s_mov_b32 s24, 0
	s_wait_loadcnt 0x0
	v_lshlrev_b32_e32 v1, 16, v1
	s_delay_alu instid0(VALU_DEP_1)
	v_cvt_i32_f32_e32 v4, v1
	s_branch .LBB39_54
.LBB39_20:
	s_mov_b32 s24, 0
	s_mov_b32 s38, 0
                                        ; implicit-def: $vgpr4
	s_cbranch_execnz .LBB39_116
.LBB39_21:
	s_and_not1_b32 vcc_lo, exec_lo, s38
	s_cbranch_vccnz .LBB39_163
.LBB39_22:
	v_mov_b32_e32 v7, 0
	s_and_b32 s0, s9, 0xff
	s_delay_alu instid0(SALU_CYCLE_1) | instskip(NEXT) | instid1(VALU_DEP_1)
	s_cmp_lt_i32 s0, 11
	v_add_nc_u64_e32 v[6:7], s[16:17], v[6:7]
	s_cbranch_scc1 .LBB39_30
; %bb.23:
	s_and_b32 s38, 0xffff, s0
	s_delay_alu instid0(SALU_CYCLE_1)
	s_cmp_gt_i32 s38, 25
	s_cbranch_scc0 .LBB39_44
; %bb.24:
	s_cmp_gt_i32 s38, 28
	s_cbranch_scc0 .LBB39_47
; %bb.25:
	;; [unrolled: 3-line block ×4, first 2 shown]
	s_cmp_eq_u32 s38, 46
	s_mov_b32 s40, 0
	s_cbranch_scc0 .LBB39_164
; %bb.28:
	global_load_b32 v1, v[6:7], off
	s_mov_b32 s39, -1
	s_mov_b32 s25, 0
	s_wait_loadcnt 0x0
	v_lshlrev_b32_e32 v1, 16, v1
	s_delay_alu instid0(VALU_DEP_1)
	v_cvt_i32_f32_e32 v8, v1
	s_branch .LBB39_166
.LBB39_29:
	s_mov_b32 s24, 0
	s_mov_b32 s38, 0
                                        ; implicit-def: $vgpr4
	s_cbranch_execnz .LBB39_83
	s_branch .LBB39_115
.LBB39_30:
	s_mov_b32 s25, 0
	s_mov_b32 s39, 0
                                        ; implicit-def: $vgpr8
	s_cbranch_execnz .LBB39_338
.LBB39_31:
	s_and_not1_b32 vcc_lo, exec_lo, s39
	s_cbranch_vccnz .LBB39_386
.LBB39_32:
	s_wait_loadcnt 0x0
	s_delay_alu instid0(VALU_DEP_1) | instskip(SKIP_2) | instid1(VALU_DEP_1)
	v_sub_nc_u16 v1, 0, v8
	s_mov_b32 s38, 0
	s_mov_b32 s0, exec_lo
	v_max_i16 v1, v8, v1
	v_cmpx_ne_u16_e32 0, v4
	s_cbranch_execz .LBB39_36
; %bb.33:
	v_sub_nc_u16 v3, 0, v4
	s_delay_alu instid0(VALU_DEP_1) | instskip(SKIP_1) | instid1(VALU_DEP_2)
	v_max_i16 v4, v4, v3
	v_and_b32_e32 v3, 0xffff, v1
	v_and_b32_e32 v4, 0xffff, v4
.LBB39_34:                              ; =>This Inner Loop Header: Depth=1
	s_delay_alu instid0(VALU_DEP_1) | instskip(NEXT) | instid1(VALU_DEP_2)
	v_bfe_i32 v6, v3, 0, 16
	v_mov_b32_e32 v1, v4
	s_delay_alu instid0(VALU_DEP_2) | instskip(NEXT) | instid1(VALU_DEP_2)
	v_cvt_f32_i32_e32 v8, v6
	v_bfe_i32 v4, v1, 0, 16
	s_delay_alu instid0(VALU_DEP_1) | instskip(SKIP_1) | instid1(VALU_DEP_2)
	v_cvt_f32_i32_e32 v5, v4
	v_xor_b32_e32 v4, v6, v4
	v_rcp_iflag_f32_e32 v7, v5
	v_nop
	s_delay_alu instid0(TRANS32_DEP_1) | instskip(NEXT) | instid1(VALU_DEP_1)
	v_dual_ashrrev_i32 v4, 30, v4 :: v_dual_mul_f32 v6, v8, v7
	v_trunc_f32_e32 v6, v6
	s_delay_alu instid0(VALU_DEP_1) | instskip(SKIP_1) | instid1(VALU_DEP_2)
	v_dual_fma_f32 v7, -v6, v5, v8 :: v_dual_bitop2_b32 v4, 1, v4 bitop3:0x54
	v_cvt_i32_f32_e32 v6, v6
	v_cmp_ge_f32_e64 vcc_lo, |v7|, |v5|
	s_delay_alu instid0(VALU_DEP_3) | instskip(NEXT) | instid1(VALU_DEP_1)
	v_cndmask_b32_e32 v4, 0, v4, vcc_lo
	v_add_nc_u32_e32 v4, v6, v4
	s_delay_alu instid0(VALU_DEP_1) | instskip(NEXT) | instid1(VALU_DEP_1)
	v_mul_lo_u32 v4, v4, v1
	v_sub_nc_u32_e32 v4, v3, v4
	s_delay_alu instid0(VALU_DEP_1) | instskip(SKIP_1) | instid1(VALU_DEP_2)
	v_and_b32_e32 v3, 0xffff, v4
	v_bfe_i32 v4, v4, 0, 16
	v_cmp_eq_u32_e32 vcc_lo, 0, v3
	v_mov_b32_e32 v3, v1
	s_or_b32 s38, vcc_lo, s38
	s_delay_alu instid0(SALU_CYCLE_1)
	s_and_not1_b32 exec_lo, exec_lo, s38
	s_cbranch_execnz .LBB39_34
; %bb.35:
	s_or_b32 exec_lo, exec_lo, s38
.LBB39_36:
	s_delay_alu instid0(SALU_CYCLE_1) | instskip(SKIP_2) | instid1(SALU_CYCLE_1)
	s_or_b32 exec_lo, exec_lo, s0
	v_mov_b32_e32 v3, 0
	s_and_b32 s38, s31, 0xff
	s_cmp_lt_i32 s38, 11
	s_delay_alu instid0(VALU_DEP_1)
	v_add_nc_u64_e32 v[2:3], s[4:5], v[2:3]
	s_cbranch_scc1 .LBB39_45
; %bb.37:
	s_and_b32 s39, 0xffff, s38
	s_delay_alu instid0(SALU_CYCLE_1)
	s_cmp_gt_i32 s39, 25
	s_cbranch_scc0 .LBB39_48
; %bb.38:
	s_cmp_gt_i32 s39, 28
	s_cbranch_scc0 .LBB39_51
; %bb.39:
	;; [unrolled: 3-line block ×4, first 2 shown]
	s_mov_b32 s42, 0
	s_mov_b32 s0, -1
	s_cmp_eq_u32 s39, 46
	s_mov_b32 s40, 0
	s_cbranch_scc0 .LBB39_170
; %bb.42:
	v_bfe_i32 v4, v1, 0, 16
	s_mov_b32 s40, -1
	s_mov_b32 s0, 0
	s_delay_alu instid0(VALU_DEP_1) | instskip(NEXT) | instid1(VALU_DEP_1)
	v_cvt_f32_i32_e32 v4, v4
	v_bfe_u32 v5, v4, 16, 1
	s_delay_alu instid0(VALU_DEP_1) | instskip(NEXT) | instid1(VALU_DEP_1)
	v_add3_u32 v4, v4, v5, 0x7fff
	v_lshrrev_b32_e32 v4, 16, v4
	global_store_b32 v[2:3], v4, off
	s_branch .LBB39_170
.LBB39_43:
	s_mov_b32 s39, -1
	s_mov_b32 s24, 0
	s_mov_b32 s38, 0
                                        ; implicit-def: $vgpr4
	s_branch .LBB39_66
.LBB39_44:
	s_mov_b32 s40, -1
	s_mov_b32 s25, 0
	s_mov_b32 s39, 0
                                        ; implicit-def: $vgpr8
	s_branch .LBB39_304
.LBB39_45:
	s_mov_b32 s39, -1
	s_mov_b32 s0, 0
	s_mov_b32 s40, 0
	s_branch .LBB39_239
.LBB39_46:
	s_mov_b32 s39, -1
	s_mov_b32 s24, 0
	s_mov_b32 s38, 0
                                        ; implicit-def: $vgpr4
	s_branch .LBB39_61
.LBB39_47:
	s_mov_b32 s40, -1
	s_mov_b32 s25, 0
	s_mov_b32 s39, 0
                                        ; implicit-def: $vgpr8
	s_branch .LBB39_287
.LBB39_48:
	s_mov_b32 s42, -1
	s_mov_b32 s0, 0
	s_mov_b32 s40, 0
	s_branch .LBB39_197
.LBB39_49:
	s_mov_b32 s39, -1
	s_mov_b32 s24, 0
	s_branch .LBB39_53
.LBB39_50:
	s_mov_b32 s40, -1
	s_mov_b32 s25, 0
	s_mov_b32 s39, 0
                                        ; implicit-def: $vgpr8
	s_branch .LBB39_282
.LBB39_51:
	s_mov_b32 s42, -1
	s_mov_b32 s0, 0
	s_mov_b32 s40, 0
	s_branch .LBB39_180
.LBB39_52:
	s_mov_b32 s24, -1
.LBB39_53:
	s_mov_b32 s38, 0
                                        ; implicit-def: $vgpr4
.LBB39_54:
	s_and_b32 vcc_lo, exec_lo, s39
	s_cbranch_vccz .LBB39_60
; %bb.55:
	s_cmp_eq_u32 s25, 44
	s_cbranch_scc0 .LBB39_59
; %bb.56:
	global_load_u8 v1, v[8:9], off
	s_mov_b32 s24, 0
	s_mov_b32 s38, -1
	s_wait_loadcnt 0x0
	v_lshlrev_b32_e32 v3, 23, v1
	v_cmp_ne_u32_e32 vcc_lo, 0, v1
	s_delay_alu instid0(VALU_DEP_2) | instskip(NEXT) | instid1(VALU_DEP_1)
	v_cvt_i32_f32_e32 v3, v3
	v_cndmask_b32_e32 v4, 0, v3, vcc_lo
	s_branch .LBB39_60
.LBB39_57:
	s_mov_b32 s40, -1
	s_mov_b32 s25, 0
	s_branch .LBB39_165
.LBB39_58:
	s_mov_b32 s42, -1
	s_mov_b32 s0, 0
	s_mov_b32 s40, 0
	s_branch .LBB39_176
.LBB39_59:
	s_mov_b32 s24, -1
                                        ; implicit-def: $vgpr4
.LBB39_60:
	s_mov_b32 s39, 0
.LBB39_61:
	s_delay_alu instid0(SALU_CYCLE_1)
	s_and_b32 vcc_lo, exec_lo, s39
	s_cbranch_vccz .LBB39_65
; %bb.62:
	s_cmp_eq_u32 s25, 29
	s_cbranch_scc0 .LBB39_64
; %bb.63:
	global_load_b64 v[4:5], v[8:9], off
	s_mov_b32 s38, -1
	s_mov_b32 s24, 0
	s_branch .LBB39_65
.LBB39_64:
	s_mov_b32 s24, -1
                                        ; implicit-def: $vgpr4
.LBB39_65:
	s_mov_b32 s39, 0
.LBB39_66:
	s_delay_alu instid0(SALU_CYCLE_1)
	s_and_b32 vcc_lo, exec_lo, s39
	s_cbranch_vccz .LBB39_82
; %bb.67:
	s_cmp_lt_i32 s25, 27
	s_cbranch_scc1 .LBB39_70
; %bb.68:
	s_cmp_gt_i32 s25, 27
	s_cbranch_scc0 .LBB39_71
; %bb.69:
	s_wait_loadcnt 0x0
	global_load_b32 v4, v[8:9], off
	s_mov_b32 s38, 0
	s_branch .LBB39_72
.LBB39_70:
	s_mov_b32 s38, -1
                                        ; implicit-def: $vgpr4
	s_branch .LBB39_75
.LBB39_71:
	s_mov_b32 s38, -1
                                        ; implicit-def: $vgpr4
.LBB39_72:
	s_delay_alu instid0(SALU_CYCLE_1)
	s_and_not1_b32 vcc_lo, exec_lo, s38
	s_cbranch_vccnz .LBB39_74
; %bb.73:
	s_wait_loadcnt 0x0
	global_load_u16 v4, v[8:9], off
.LBB39_74:
	s_mov_b32 s38, 0
.LBB39_75:
	s_delay_alu instid0(SALU_CYCLE_1)
	s_and_not1_b32 vcc_lo, exec_lo, s38
	s_cbranch_vccnz .LBB39_81
; %bb.76:
	global_load_u8 v1, v[8:9], off
	s_mov_b32 s39, 0
	s_mov_b32 s38, exec_lo
	s_wait_loadcnt 0x0
	v_cmpx_lt_i16_e32 0x7f, v1
	s_xor_b32 s38, exec_lo, s38
	s_cbranch_execz .LBB39_92
; %bb.77:
	v_cmp_ne_u16_e32 vcc_lo, 0x80, v1
	s_and_b32 s39, vcc_lo, exec_lo
	s_and_not1_saveexec_b32 s38, s38
	s_cbranch_execnz .LBB39_93
.LBB39_78:
	s_or_b32 exec_lo, exec_lo, s38
	v_mov_b32_e32 v4, 0
	s_and_saveexec_b32 s38, s39
	s_cbranch_execz .LBB39_80
.LBB39_79:
	v_and_b32_e32 v3, 0xffff, v1
	s_delay_alu instid0(VALU_DEP_1) | instskip(SKIP_1) | instid1(VALU_DEP_2)
	v_and_b32_e32 v4, 7, v3
	v_bfe_u32 v10, v3, 3, 4
	v_clz_i32_u32_e32 v5, v4
	s_delay_alu instid0(VALU_DEP_2) | instskip(NEXT) | instid1(VALU_DEP_2)
	v_cmp_eq_u32_e32 vcc_lo, 0, v10
	v_min_u32_e32 v5, 32, v5
	s_delay_alu instid0(VALU_DEP_1) | instskip(NEXT) | instid1(VALU_DEP_1)
	v_subrev_nc_u32_e32 v7, 28, v5
	v_dual_lshlrev_b32 v3, v7, v3 :: v_dual_sub_nc_u32 v5, 29, v5
	s_delay_alu instid0(VALU_DEP_1) | instskip(NEXT) | instid1(VALU_DEP_1)
	v_dual_lshlrev_b32 v1, 24, v1 :: v_dual_bitop2_b32 v3, 7, v3 bitop3:0x40
	v_dual_cndmask_b32 v3, v4, v3, vcc_lo :: v_dual_cndmask_b32 v5, v10, v5, vcc_lo
	s_delay_alu instid0(VALU_DEP_2) | instskip(NEXT) | instid1(VALU_DEP_2)
	v_and_b32_e32 v1, 0x80000000, v1
	v_lshlrev_b32_e32 v3, 20, v3
	s_delay_alu instid0(VALU_DEP_3) | instskip(NEXT) | instid1(VALU_DEP_1)
	v_lshl_add_u32 v4, v5, 23, 0x3b800000
	v_or3_b32 v1, v1, v4, v3
	s_delay_alu instid0(VALU_DEP_1)
	v_cvt_i32_f32_e32 v4, v1
.LBB39_80:
	s_or_b32 exec_lo, exec_lo, s38
.LBB39_81:
	s_mov_b32 s38, -1
.LBB39_82:
	s_branch .LBB39_115
.LBB39_83:
	s_cmp_gt_i32 s25, 22
	s_cbranch_scc0 .LBB39_91
; %bb.84:
	s_cmp_lt_i32 s25, 24
	s_cbranch_scc1 .LBB39_94
; %bb.85:
	s_cmp_gt_i32 s25, 24
	s_cbranch_scc0 .LBB39_95
; %bb.86:
	global_load_u8 v1, v[8:9], off
	s_mov_b32 s39, 0
	s_mov_b32 s38, exec_lo
	s_wait_loadcnt 0x0
	v_cmpx_lt_i16_e32 0x7f, v1
	s_xor_b32 s38, exec_lo, s38
	s_cbranch_execz .LBB39_107
; %bb.87:
	v_cmp_ne_u16_e32 vcc_lo, 0x80, v1
	s_and_b32 s39, vcc_lo, exec_lo
	s_and_not1_saveexec_b32 s38, s38
	s_cbranch_execnz .LBB39_108
.LBB39_88:
	s_or_b32 exec_lo, exec_lo, s38
	v_mov_b32_e32 v4, 0
	s_and_saveexec_b32 s38, s39
	s_cbranch_execz .LBB39_90
.LBB39_89:
	v_and_b32_e32 v3, 0xffff, v1
	s_delay_alu instid0(VALU_DEP_1) | instskip(SKIP_1) | instid1(VALU_DEP_2)
	v_and_b32_e32 v4, 3, v3
	v_bfe_u32 v10, v3, 2, 5
	v_clz_i32_u32_e32 v5, v4
	s_delay_alu instid0(VALU_DEP_2) | instskip(NEXT) | instid1(VALU_DEP_2)
	v_cmp_eq_u32_e32 vcc_lo, 0, v10
	v_min_u32_e32 v5, 32, v5
	s_delay_alu instid0(VALU_DEP_1) | instskip(NEXT) | instid1(VALU_DEP_1)
	v_subrev_nc_u32_e32 v7, 29, v5
	v_dual_lshlrev_b32 v3, v7, v3 :: v_dual_sub_nc_u32 v5, 30, v5
	s_delay_alu instid0(VALU_DEP_1) | instskip(NEXT) | instid1(VALU_DEP_1)
	v_dual_lshlrev_b32 v1, 24, v1 :: v_dual_bitop2_b32 v3, 3, v3 bitop3:0x40
	v_dual_cndmask_b32 v3, v4, v3, vcc_lo :: v_dual_cndmask_b32 v5, v10, v5, vcc_lo
	s_delay_alu instid0(VALU_DEP_2) | instskip(NEXT) | instid1(VALU_DEP_2)
	v_and_b32_e32 v1, 0x80000000, v1
	v_lshlrev_b32_e32 v3, 21, v3
	s_delay_alu instid0(VALU_DEP_3) | instskip(NEXT) | instid1(VALU_DEP_1)
	v_lshl_add_u32 v4, v5, 23, 0x37800000
	v_or3_b32 v1, v1, v4, v3
	s_delay_alu instid0(VALU_DEP_1)
	v_cvt_i32_f32_e32 v4, v1
.LBB39_90:
	s_or_b32 exec_lo, exec_lo, s38
	s_mov_b32 s38, 0
	s_branch .LBB39_96
.LBB39_91:
	s_mov_b32 s39, -1
                                        ; implicit-def: $vgpr4
	s_branch .LBB39_102
.LBB39_92:
	s_and_not1_saveexec_b32 s38, s38
	s_cbranch_execz .LBB39_78
.LBB39_93:
	v_cmp_ne_u16_e32 vcc_lo, 0, v1
	s_and_not1_b32 s39, s39, exec_lo
	s_and_b32 s40, vcc_lo, exec_lo
	s_delay_alu instid0(SALU_CYCLE_1)
	s_or_b32 s39, s39, s40
	s_or_b32 exec_lo, exec_lo, s38
	v_mov_b32_e32 v4, 0
	s_and_saveexec_b32 s38, s39
	s_cbranch_execnz .LBB39_79
	s_branch .LBB39_80
.LBB39_94:
	s_mov_b32 s38, -1
                                        ; implicit-def: $vgpr4
	s_branch .LBB39_99
.LBB39_95:
	s_mov_b32 s38, -1
                                        ; implicit-def: $vgpr4
.LBB39_96:
	s_delay_alu instid0(SALU_CYCLE_1)
	s_and_b32 vcc_lo, exec_lo, s38
	s_cbranch_vccz .LBB39_98
; %bb.97:
	global_load_u8 v1, v[8:9], off
	s_wait_loadcnt 0x0
	v_lshlrev_b32_e32 v1, 24, v1
	s_delay_alu instid0(VALU_DEP_1) | instskip(NEXT) | instid1(VALU_DEP_1)
	v_and_b32_e32 v3, 0x7f000000, v1
	v_clz_i32_u32_e32 v4, v3
	v_add_nc_u32_e32 v7, 0x1000000, v3
	v_cmp_ne_u32_e32 vcc_lo, 0, v3
	s_delay_alu instid0(VALU_DEP_3) | instskip(NEXT) | instid1(VALU_DEP_1)
	v_min_u32_e32 v4, 32, v4
	v_sub_nc_u32_e64 v4, v4, 4 clamp
	s_delay_alu instid0(VALU_DEP_1) | instskip(NEXT) | instid1(VALU_DEP_1)
	v_dual_lshlrev_b32 v5, v4, v3 :: v_dual_lshlrev_b32 v4, 23, v4
	v_lshrrev_b32_e32 v5, 4, v5
	s_delay_alu instid0(VALU_DEP_1) | instskip(NEXT) | instid1(VALU_DEP_1)
	v_dual_sub_nc_u32 v4, v5, v4 :: v_dual_ashrrev_i32 v5, 8, v7
	v_add_nc_u32_e32 v4, 0x3c000000, v4
	s_delay_alu instid0(VALU_DEP_1) | instskip(NEXT) | instid1(VALU_DEP_1)
	v_and_or_b32 v4, 0x7f800000, v5, v4
	v_cndmask_b32_e32 v3, 0, v4, vcc_lo
	s_delay_alu instid0(VALU_DEP_1) | instskip(NEXT) | instid1(VALU_DEP_1)
	v_and_or_b32 v1, 0x80000000, v1, v3
	v_cvt_i32_f32_e32 v4, v1
.LBB39_98:
	s_mov_b32 s38, 0
.LBB39_99:
	s_delay_alu instid0(SALU_CYCLE_1)
	s_and_not1_b32 vcc_lo, exec_lo, s38
	s_cbranch_vccnz .LBB39_101
; %bb.100:
	global_load_u8 v1, v[8:9], off
	s_wait_loadcnt 0x0
	v_lshlrev_b32_e32 v3, 25, v1
	v_lshlrev_b16 v1, 8, v1
	s_delay_alu instid0(VALU_DEP_1) | instskip(NEXT) | instid1(VALU_DEP_3)
	v_and_or_b32 v5, 0x7f00, v1, 0.5
	v_lshrrev_b32_e32 v4, 4, v3
	v_bfe_i32 v1, v1, 0, 16
	s_delay_alu instid0(VALU_DEP_3) | instskip(NEXT) | instid1(VALU_DEP_3)
	v_add_f32_e32 v5, -0.5, v5
	v_or_b32_e32 v4, 0x70000000, v4
	s_delay_alu instid0(VALU_DEP_1) | instskip(SKIP_1) | instid1(VALU_DEP_2)
	v_mul_f32_e32 v4, 0x7800000, v4
	v_cmp_gt_u32_e32 vcc_lo, 0x8000000, v3
	v_cndmask_b32_e32 v3, v4, v5, vcc_lo
	s_delay_alu instid0(VALU_DEP_1) | instskip(NEXT) | instid1(VALU_DEP_1)
	v_and_or_b32 v1, 0x80000000, v1, v3
	v_cvt_i32_f32_e32 v4, v1
.LBB39_101:
	s_mov_b32 s39, 0
	s_mov_b32 s38, -1
.LBB39_102:
	s_and_not1_b32 vcc_lo, exec_lo, s39
	s_cbranch_vccnz .LBB39_115
; %bb.103:
	s_cmp_gt_i32 s25, 14
	s_cbranch_scc0 .LBB39_106
; %bb.104:
	s_cmp_eq_u32 s25, 15
	s_cbranch_scc0 .LBB39_109
; %bb.105:
	global_load_u16 v1, v[8:9], off
	s_mov_b32 s38, -1
	s_mov_b32 s24, 0
	s_wait_loadcnt 0x0
	v_lshlrev_b32_e32 v1, 16, v1
	s_delay_alu instid0(VALU_DEP_1)
	v_cvt_i32_f32_e32 v4, v1
	s_branch .LBB39_110
.LBB39_106:
	s_mov_b32 s39, -1
                                        ; implicit-def: $vgpr4
	s_branch .LBB39_111
.LBB39_107:
	s_and_not1_saveexec_b32 s38, s38
	s_cbranch_execz .LBB39_88
.LBB39_108:
	v_cmp_ne_u16_e32 vcc_lo, 0, v1
	s_and_not1_b32 s39, s39, exec_lo
	s_and_b32 s40, vcc_lo, exec_lo
	s_delay_alu instid0(SALU_CYCLE_1)
	s_or_b32 s39, s39, s40
	s_or_b32 exec_lo, exec_lo, s38
	v_mov_b32_e32 v4, 0
	s_and_saveexec_b32 s38, s39
	s_cbranch_execnz .LBB39_89
	s_branch .LBB39_90
.LBB39_109:
	s_mov_b32 s24, -1
                                        ; implicit-def: $vgpr4
.LBB39_110:
	s_mov_b32 s39, 0
.LBB39_111:
	s_delay_alu instid0(SALU_CYCLE_1)
	s_and_b32 vcc_lo, exec_lo, s39
	s_cbranch_vccz .LBB39_115
; %bb.112:
	s_cmp_eq_u32 s25, 11
	s_cbranch_scc0 .LBB39_114
; %bb.113:
	global_load_u8 v1, v[8:9], off
	s_mov_b32 s24, 0
	s_mov_b32 s38, -1
	s_wait_loadcnt 0x0
	v_cmp_ne_u16_e32 vcc_lo, 0, v1
	v_cndmask_b32_e64 v4, 0, 1, vcc_lo
	s_branch .LBB39_115
.LBB39_114:
	s_mov_b32 s24, -1
                                        ; implicit-def: $vgpr4
.LBB39_115:
	s_branch .LBB39_21
.LBB39_116:
	s_and_b32 s0, 0xffff, s0
	s_delay_alu instid0(SALU_CYCLE_1)
	s_cmp_lt_i32 s0, 5
	s_cbranch_scc1 .LBB39_121
; %bb.117:
	s_cmp_lt_i32 s0, 8
	s_cbranch_scc1 .LBB39_122
; %bb.118:
	;; [unrolled: 3-line block ×3, first 2 shown]
	s_cmp_gt_i32 s0, 9
	s_cbranch_scc0 .LBB39_124
; %bb.120:
	s_wait_loadcnt 0x0
	global_load_b64 v[4:5], v[8:9], off
	s_mov_b32 s25, 0
	s_wait_loadcnt 0x0
	v_cvt_i32_f64_e32 v4, v[4:5]
	s_branch .LBB39_125
.LBB39_121:
                                        ; implicit-def: $vgpr4
	s_branch .LBB39_143
.LBB39_122:
	s_mov_b32 s25, -1
                                        ; implicit-def: $vgpr4
	s_branch .LBB39_131
.LBB39_123:
	s_mov_b32 s25, -1
                                        ; implicit-def: $vgpr4
	s_branch .LBB39_128
.LBB39_124:
	s_mov_b32 s25, -1
                                        ; implicit-def: $vgpr4
.LBB39_125:
	s_delay_alu instid0(SALU_CYCLE_1)
	s_and_not1_b32 vcc_lo, exec_lo, s25
	s_cbranch_vccnz .LBB39_127
; %bb.126:
	global_load_b32 v1, v[8:9], off
	s_wait_loadcnt 0x0
	v_cvt_i32_f32_e32 v4, v1
.LBB39_127:
	s_mov_b32 s25, 0
.LBB39_128:
	s_delay_alu instid0(SALU_CYCLE_1)
	s_and_not1_b32 vcc_lo, exec_lo, s25
	s_cbranch_vccnz .LBB39_130
; %bb.129:
	global_load_b32 v1, v[8:9], off
	s_wait_loadcnt 0x0
	v_cvt_i16_f16_e32 v4, v1
.LBB39_130:
	s_mov_b32 s25, 0
.LBB39_131:
	s_delay_alu instid0(SALU_CYCLE_1)
	s_and_not1_b32 vcc_lo, exec_lo, s25
	s_cbranch_vccnz .LBB39_142
; %bb.132:
	s_cmp_lt_i32 s0, 6
	s_cbranch_scc1 .LBB39_135
; %bb.133:
	s_cmp_gt_i32 s0, 6
	s_cbranch_scc0 .LBB39_136
; %bb.134:
	s_wait_loadcnt 0x0
	global_load_b64 v[4:5], v[8:9], off
	s_mov_b32 s25, 0
	s_wait_loadcnt 0x0
	v_cvt_i32_f64_e32 v4, v[4:5]
	s_branch .LBB39_137
.LBB39_135:
	s_mov_b32 s25, -1
                                        ; implicit-def: $vgpr4
	s_branch .LBB39_140
.LBB39_136:
	s_mov_b32 s25, -1
                                        ; implicit-def: $vgpr4
.LBB39_137:
	s_delay_alu instid0(SALU_CYCLE_1)
	s_and_not1_b32 vcc_lo, exec_lo, s25
	s_cbranch_vccnz .LBB39_139
; %bb.138:
	global_load_b32 v1, v[8:9], off
	s_wait_loadcnt 0x0
	v_cvt_i32_f32_e32 v4, v1
.LBB39_139:
	s_mov_b32 s25, 0
.LBB39_140:
	s_delay_alu instid0(SALU_CYCLE_1)
	s_and_not1_b32 vcc_lo, exec_lo, s25
	s_cbranch_vccnz .LBB39_142
; %bb.141:
	global_load_u16 v1, v[8:9], off
	s_wait_loadcnt 0x0
	v_cvt_i16_f16_e32 v4, v1
.LBB39_142:
	s_cbranch_execnz .LBB39_162
.LBB39_143:
	s_cmp_lt_i32 s0, 2
	s_cbranch_scc1 .LBB39_147
; %bb.144:
	s_cmp_lt_i32 s0, 3
	s_cbranch_scc1 .LBB39_148
; %bb.145:
	s_cmp_gt_i32 s0, 3
	s_cbranch_scc0 .LBB39_149
; %bb.146:
	s_wait_loadcnt 0x0
	global_load_b64 v[4:5], v[8:9], off
	s_mov_b32 s25, 0
	s_branch .LBB39_150
.LBB39_147:
	s_mov_b32 s25, -1
                                        ; implicit-def: $vgpr4
	s_branch .LBB39_156
.LBB39_148:
	s_mov_b32 s25, -1
                                        ; implicit-def: $vgpr4
	s_branch .LBB39_153
.LBB39_149:
	s_mov_b32 s25, -1
                                        ; implicit-def: $vgpr4
.LBB39_150:
	s_delay_alu instid0(SALU_CYCLE_1)
	s_and_not1_b32 vcc_lo, exec_lo, s25
	s_cbranch_vccnz .LBB39_152
; %bb.151:
	s_wait_loadcnt 0x0
	global_load_b32 v4, v[8:9], off
.LBB39_152:
	s_mov_b32 s25, 0
.LBB39_153:
	s_delay_alu instid0(SALU_CYCLE_1)
	s_and_not1_b32 vcc_lo, exec_lo, s25
	s_cbranch_vccnz .LBB39_155
; %bb.154:
	s_wait_loadcnt 0x0
	global_load_u16 v4, v[8:9], off
.LBB39_155:
	s_mov_b32 s25, 0
.LBB39_156:
	s_delay_alu instid0(SALU_CYCLE_1)
	s_and_not1_b32 vcc_lo, exec_lo, s25
	s_cbranch_vccnz .LBB39_162
; %bb.157:
	s_cmp_gt_i32 s0, 0
	s_mov_b32 s0, 0
	s_cbranch_scc0 .LBB39_159
; %bb.158:
	s_wait_loadcnt 0x0
	global_load_i8 v4, v[8:9], off
	s_branch .LBB39_160
.LBB39_159:
	s_mov_b32 s0, -1
                                        ; implicit-def: $vgpr4
.LBB39_160:
	s_delay_alu instid0(SALU_CYCLE_1)
	s_and_not1_b32 vcc_lo, exec_lo, s0
	s_cbranch_vccnz .LBB39_162
; %bb.161:
	s_wait_loadcnt 0x0
	global_load_u8 v4, v[8:9], off
.LBB39_162:
	s_branch .LBB39_22
.LBB39_163:
	s_mov_b32 s0, 0
	s_mov_b32 s25, 0
	s_branch .LBB39_387
.LBB39_164:
	s_mov_b32 s25, -1
.LBB39_165:
	s_mov_b32 s39, 0
                                        ; implicit-def: $vgpr8
.LBB39_166:
	s_and_b32 vcc_lo, exec_lo, s40
	s_cbranch_vccz .LBB39_281
; %bb.167:
	s_cmp_eq_u32 s38, 44
	s_cbranch_scc0 .LBB39_280
; %bb.168:
	global_load_u8 v1, v[6:7], off
	s_mov_b32 s25, 0
	s_mov_b32 s39, -1
	s_wait_loadcnt 0x0
	v_lshlrev_b32_e32 v3, 23, v1
	v_cmp_ne_u32_e32 vcc_lo, 0, v1
	s_delay_alu instid0(VALU_DEP_2) | instskip(NEXT) | instid1(VALU_DEP_1)
	v_cvt_i32_f32_e32 v3, v3
	v_cndmask_b32_e32 v8, 0, v3, vcc_lo
	s_branch .LBB39_281
.LBB39_169:
	s_mov_b32 s42, -1
	s_mov_b32 s0, 0
	s_mov_b32 s40, 0
.LBB39_170:
	s_and_b32 vcc_lo, exec_lo, s42
	s_cbranch_vccz .LBB39_175
; %bb.171:
	s_cmp_eq_u32 s39, 44
	s_mov_b32 s0, -1
	s_cbranch_scc0 .LBB39_175
; %bb.172:
	s_wait_xcnt 0x0
	v_bfe_i32 v4, v1, 0, 16
	v_mov_b32_e32 v5, 0xff
	s_mov_b32 s40, exec_lo
	s_delay_alu instid0(VALU_DEP_2) | instskip(NEXT) | instid1(VALU_DEP_1)
	v_cvt_f32_i32_e32 v4, v4
	v_bfe_u32 v6, v4, 23, 8
	s_delay_alu instid0(VALU_DEP_1)
	v_cmpx_ne_u32_e32 0xff, v6
	s_cbranch_execz .LBB39_174
; %bb.173:
	v_and_b32_e32 v5, 0x400000, v4
	v_and_or_b32 v6, 0x3fffff, v4, v6
	v_lshrrev_b32_e32 v4, 23, v4
	s_delay_alu instid0(VALU_DEP_3) | instskip(NEXT) | instid1(VALU_DEP_3)
	v_cmp_ne_u32_e32 vcc_lo, 0, v5
	v_cmp_ne_u32_e64 s0, 0, v6
	s_and_b32 s0, vcc_lo, s0
	s_delay_alu instid0(SALU_CYCLE_1) | instskip(NEXT) | instid1(VALU_DEP_1)
	v_cndmask_b32_e64 v5, 0, 1, s0
	v_add_nc_u32_e32 v5, v4, v5
.LBB39_174:
	s_or_b32 exec_lo, exec_lo, s40
	s_mov_b32 s40, -1
	s_mov_b32 s0, 0
	global_store_b8 v[2:3], v5, off
.LBB39_175:
	s_mov_b32 s42, 0
.LBB39_176:
	s_delay_alu instid0(SALU_CYCLE_1)
	s_and_b32 vcc_lo, exec_lo, s42
	s_cbranch_vccz .LBB39_179
; %bb.177:
	s_cmp_eq_u32 s39, 29
	s_mov_b32 s0, -1
	s_cbranch_scc0 .LBB39_179
; %bb.178:
	s_wait_xcnt 0x0
	v_bfe_i32 v4, v1, 0, 16
	s_mov_b32 s0, 0
	s_mov_b32 s40, -1
	s_mov_b32 s42, 0
	s_delay_alu instid0(VALU_DEP_1)
	v_ashrrev_i32_e32 v5, 31, v4
	global_store_b64 v[2:3], v[4:5], off
	s_branch .LBB39_180
.LBB39_179:
	s_mov_b32 s42, 0
.LBB39_180:
	s_delay_alu instid0(SALU_CYCLE_1)
	s_and_b32 vcc_lo, exec_lo, s42
	s_cbranch_vccz .LBB39_196
; %bb.181:
	s_cmp_lt_i32 s39, 27
	s_mov_b32 s40, -1
	s_cbranch_scc1 .LBB39_187
; %bb.182:
	s_cmp_gt_i32 s39, 27
	s_cbranch_scc0 .LBB39_184
; %bb.183:
	s_wait_xcnt 0x0
	v_bfe_i32 v4, v1, 0, 16
	s_mov_b32 s40, 0
	global_store_b32 v[2:3], v4, off
.LBB39_184:
	s_and_not1_b32 vcc_lo, exec_lo, s40
	s_cbranch_vccnz .LBB39_186
; %bb.185:
	global_store_b16 v[2:3], v1, off
.LBB39_186:
	s_mov_b32 s40, 0
.LBB39_187:
	s_delay_alu instid0(SALU_CYCLE_1)
	s_and_not1_b32 vcc_lo, exec_lo, s40
	s_cbranch_vccnz .LBB39_195
; %bb.188:
	s_wait_xcnt 0x0
	v_bfe_i32 v4, v1, 0, 16
	v_mov_b32_e32 v6, 0x80
	s_mov_b32 s40, exec_lo
	s_delay_alu instid0(VALU_DEP_2) | instskip(NEXT) | instid1(VALU_DEP_1)
	v_cvt_f32_i32_e32 v4, v4
	v_and_b32_e32 v5, 0x7fffffff, v4
	s_delay_alu instid0(VALU_DEP_1)
	v_cmpx_gt_u32_e32 0x43800000, v5
	s_cbranch_execz .LBB39_194
; %bb.189:
	v_cmp_lt_u32_e32 vcc_lo, 0x3bffffff, v5
	s_mov_b32 s42, 0
                                        ; implicit-def: $vgpr5
	s_and_saveexec_b32 s43, vcc_lo
	s_delay_alu instid0(SALU_CYCLE_1)
	s_xor_b32 s43, exec_lo, s43
	s_cbranch_execz .LBB39_429
; %bb.190:
	v_bfe_u32 v5, v4, 20, 1
	s_mov_b32 s42, exec_lo
	s_delay_alu instid0(VALU_DEP_1) | instskip(NEXT) | instid1(VALU_DEP_1)
	v_add3_u32 v5, v4, v5, 0x487ffff
	v_lshrrev_b32_e32 v5, 20, v5
	s_and_not1_saveexec_b32 s43, s43
	s_cbranch_execnz .LBB39_430
.LBB39_191:
	s_or_b32 exec_lo, exec_lo, s43
	v_mov_b32_e32 v6, 0
	s_and_saveexec_b32 s43, s42
.LBB39_192:
	v_lshrrev_b32_e32 v4, 24, v4
	s_delay_alu instid0(VALU_DEP_1)
	v_and_or_b32 v6, 0x80, v4, v5
.LBB39_193:
	s_or_b32 exec_lo, exec_lo, s43
.LBB39_194:
	s_delay_alu instid0(SALU_CYCLE_1)
	s_or_b32 exec_lo, exec_lo, s40
	global_store_b8 v[2:3], v6, off
.LBB39_195:
	s_mov_b32 s40, -1
.LBB39_196:
	s_mov_b32 s42, 0
.LBB39_197:
	s_delay_alu instid0(SALU_CYCLE_1)
	s_and_b32 vcc_lo, exec_lo, s42
	s_cbranch_vccz .LBB39_238
; %bb.198:
	s_cmp_gt_i32 s39, 22
	s_mov_b32 s42, -1
	s_cbranch_scc0 .LBB39_230
; %bb.199:
	s_cmp_lt_i32 s39, 24
	s_mov_b32 s40, -1
	s_cbranch_scc1 .LBB39_219
; %bb.200:
	s_cmp_gt_i32 s39, 24
	s_cbranch_scc0 .LBB39_208
; %bb.201:
	s_wait_xcnt 0x0
	v_bfe_i32 v4, v1, 0, 16
	v_mov_b32_e32 v6, 0x80
	s_mov_b32 s40, exec_lo
	s_delay_alu instid0(VALU_DEP_2) | instskip(NEXT) | instid1(VALU_DEP_1)
	v_cvt_f32_i32_e32 v4, v4
	v_and_b32_e32 v5, 0x7fffffff, v4
	s_delay_alu instid0(VALU_DEP_1)
	v_cmpx_gt_u32_e32 0x47800000, v5
	s_cbranch_execz .LBB39_207
; %bb.202:
	v_cmp_lt_u32_e32 vcc_lo, 0x37ffffff, v5
	s_mov_b32 s42, 0
                                        ; implicit-def: $vgpr5
	s_and_saveexec_b32 s43, vcc_lo
	s_delay_alu instid0(SALU_CYCLE_1)
	s_xor_b32 s43, exec_lo, s43
	s_cbranch_execz .LBB39_544
; %bb.203:
	v_bfe_u32 v5, v4, 21, 1
	s_mov_b32 s42, exec_lo
	s_delay_alu instid0(VALU_DEP_1) | instskip(NEXT) | instid1(VALU_DEP_1)
	v_add3_u32 v5, v4, v5, 0x88fffff
	v_lshrrev_b32_e32 v5, 21, v5
	s_and_not1_saveexec_b32 s43, s43
	s_cbranch_execnz .LBB39_545
.LBB39_204:
	s_or_b32 exec_lo, exec_lo, s43
	v_mov_b32_e32 v6, 0
	s_and_saveexec_b32 s43, s42
.LBB39_205:
	v_lshrrev_b32_e32 v4, 24, v4
	s_delay_alu instid0(VALU_DEP_1)
	v_and_or_b32 v6, 0x80, v4, v5
.LBB39_206:
	s_or_b32 exec_lo, exec_lo, s43
.LBB39_207:
	s_delay_alu instid0(SALU_CYCLE_1)
	s_or_b32 exec_lo, exec_lo, s40
	s_mov_b32 s40, 0
	global_store_b8 v[2:3], v6, off
.LBB39_208:
	s_and_b32 vcc_lo, exec_lo, s40
	s_cbranch_vccz .LBB39_218
; %bb.209:
	s_wait_xcnt 0x0
	v_bfe_i32 v4, v1, 0, 16
	s_mov_b32 s40, exec_lo
                                        ; implicit-def: $vgpr5
	s_delay_alu instid0(VALU_DEP_1) | instskip(NEXT) | instid1(VALU_DEP_1)
	v_cvt_f32_i32_e32 v4, v4
	v_and_b32_e32 v6, 0x7fffffff, v4
	s_delay_alu instid0(VALU_DEP_1)
	v_cmpx_gt_u32_e32 0x43f00000, v6
	s_xor_b32 s40, exec_lo, s40
	s_cbranch_execz .LBB39_215
; %bb.210:
	s_mov_b32 s42, exec_lo
                                        ; implicit-def: $vgpr5
	v_cmpx_lt_u32_e32 0x3c7fffff, v6
	s_xor_b32 s42, exec_lo, s42
; %bb.211:
	v_bfe_u32 v5, v4, 20, 1
	s_delay_alu instid0(VALU_DEP_1) | instskip(NEXT) | instid1(VALU_DEP_1)
	v_add3_u32 v5, v4, v5, 0x407ffff
	v_and_b32_e32 v6, 0xff00000, v5
	v_lshrrev_b32_e32 v5, 20, v5
	s_delay_alu instid0(VALU_DEP_2) | instskip(NEXT) | instid1(VALU_DEP_2)
	v_cmp_ne_u32_e32 vcc_lo, 0x7f00000, v6
	v_cndmask_b32_e32 v5, 0x7e, v5, vcc_lo
; %bb.212:
	s_and_not1_saveexec_b32 s42, s42
; %bb.213:
	v_add_f32_e64 v5, 0x46800000, |v4|
; %bb.214:
	s_or_b32 exec_lo, exec_lo, s42
                                        ; implicit-def: $vgpr6
.LBB39_215:
	s_and_not1_saveexec_b32 s40, s40
; %bb.216:
	v_mov_b32_e32 v5, 0x7f
	v_cmp_lt_u32_e32 vcc_lo, 0x7f800000, v6
	s_delay_alu instid0(VALU_DEP_2)
	v_cndmask_b32_e32 v5, 0x7e, v5, vcc_lo
; %bb.217:
	s_or_b32 exec_lo, exec_lo, s40
	v_lshrrev_b32_e32 v4, 24, v4
	s_delay_alu instid0(VALU_DEP_1)
	v_and_or_b32 v4, 0x80, v4, v5
	global_store_b8 v[2:3], v4, off
.LBB39_218:
	s_mov_b32 s40, 0
.LBB39_219:
	s_delay_alu instid0(SALU_CYCLE_1)
	s_and_not1_b32 vcc_lo, exec_lo, s40
	s_cbranch_vccnz .LBB39_229
; %bb.220:
	s_wait_xcnt 0x0
	v_bfe_i32 v4, v1, 0, 16
	s_mov_b32 s40, exec_lo
                                        ; implicit-def: $vgpr5
	s_delay_alu instid0(VALU_DEP_1) | instskip(NEXT) | instid1(VALU_DEP_1)
	v_cvt_f32_i32_e32 v4, v4
	v_and_b32_e32 v6, 0x7fffffff, v4
	s_delay_alu instid0(VALU_DEP_1)
	v_cmpx_gt_u32_e32 0x47800000, v6
	s_xor_b32 s40, exec_lo, s40
	s_cbranch_execz .LBB39_226
; %bb.221:
	s_mov_b32 s42, exec_lo
                                        ; implicit-def: $vgpr5
	v_cmpx_lt_u32_e32 0x387fffff, v6
	s_xor_b32 s42, exec_lo, s42
; %bb.222:
	v_bfe_u32 v5, v4, 21, 1
	s_delay_alu instid0(VALU_DEP_1) | instskip(NEXT) | instid1(VALU_DEP_1)
	v_add3_u32 v5, v4, v5, 0x80fffff
	v_lshrrev_b32_e32 v5, 21, v5
; %bb.223:
	s_and_not1_saveexec_b32 s42, s42
; %bb.224:
	v_add_f32_e64 v5, 0x43000000, |v4|
; %bb.225:
	s_or_b32 exec_lo, exec_lo, s42
                                        ; implicit-def: $vgpr6
.LBB39_226:
	s_and_not1_saveexec_b32 s40, s40
; %bb.227:
	v_mov_b32_e32 v5, 0x7f
	v_cmp_lt_u32_e32 vcc_lo, 0x7f800000, v6
	s_delay_alu instid0(VALU_DEP_2)
	v_cndmask_b32_e32 v5, 0x7c, v5, vcc_lo
; %bb.228:
	s_or_b32 exec_lo, exec_lo, s40
	v_lshrrev_b32_e32 v4, 24, v4
	s_delay_alu instid0(VALU_DEP_1)
	v_and_or_b32 v4, 0x80, v4, v5
	global_store_b8 v[2:3], v4, off
.LBB39_229:
	s_mov_b32 s42, 0
	s_mov_b32 s40, -1
.LBB39_230:
	s_and_not1_b32 vcc_lo, exec_lo, s42
	s_cbranch_vccnz .LBB39_238
; %bb.231:
	s_cmp_gt_i32 s39, 14
	s_mov_b32 s42, -1
	s_cbranch_scc0 .LBB39_235
; %bb.232:
	s_cmp_eq_u32 s39, 15
	s_mov_b32 s0, -1
	s_cbranch_scc0 .LBB39_234
; %bb.233:
	s_wait_xcnt 0x0
	v_bfe_i32 v4, v1, 0, 16
	s_mov_b32 s40, -1
	s_mov_b32 s0, 0
	s_delay_alu instid0(VALU_DEP_1) | instskip(NEXT) | instid1(VALU_DEP_1)
	v_cvt_f32_i32_e32 v4, v4
	v_bfe_u32 v5, v4, 16, 1
	s_delay_alu instid0(VALU_DEP_1)
	v_add3_u32 v4, v4, v5, 0x7fff
	global_store_d16_hi_b16 v[2:3], v4, off
.LBB39_234:
	s_mov_b32 s42, 0
.LBB39_235:
	s_delay_alu instid0(SALU_CYCLE_1)
	s_and_b32 vcc_lo, exec_lo, s42
	s_cbranch_vccz .LBB39_238
; %bb.236:
	s_cmp_eq_u32 s39, 11
	s_mov_b32 s0, -1
	s_cbranch_scc0 .LBB39_238
; %bb.237:
	v_cmp_ne_u16_e32 vcc_lo, 0, v1
	s_mov_b32 s0, 0
	s_mov_b32 s40, -1
	s_wait_xcnt 0x0
	v_cndmask_b32_e64 v4, 0, 1, vcc_lo
	global_store_b8 v[2:3], v4, off
.LBB39_238:
	s_mov_b32 s39, 0
.LBB39_239:
	s_delay_alu instid0(SALU_CYCLE_1)
	s_and_b32 vcc_lo, exec_lo, s39
	s_cbranch_vccz .LBB39_278
; %bb.240:
	s_and_b32 s38, 0xffff, s38
	s_mov_b32 s39, -1
	s_cmp_lt_i32 s38, 5
	s_cbranch_scc1 .LBB39_261
; %bb.241:
	s_cmp_lt_i32 s38, 8
	s_cbranch_scc1 .LBB39_251
; %bb.242:
	;; [unrolled: 3-line block ×3, first 2 shown]
	s_cmp_gt_i32 s38, 9
	s_cbranch_scc0 .LBB39_245
; %bb.244:
	s_wait_xcnt 0x0
	v_bfe_i32 v4, v1, 0, 16
	v_mov_b32_e32 v6, 0
	s_mov_b32 s39, 0
	s_delay_alu instid0(VALU_DEP_2) | instskip(NEXT) | instid1(VALU_DEP_2)
	v_cvt_f64_i32_e32 v[4:5], v4
	v_mov_b32_e32 v7, v6
	global_store_b128 v[2:3], v[4:7], off
.LBB39_245:
	s_and_not1_b32 vcc_lo, exec_lo, s39
	s_cbranch_vccnz .LBB39_247
; %bb.246:
	s_wait_xcnt 0x0
	v_bfe_i32 v4, v1, 0, 16
	v_mov_b32_e32 v5, 0
	s_delay_alu instid0(VALU_DEP_2)
	v_cvt_f32_i32_e32 v4, v4
	global_store_b64 v[2:3], v[4:5], off
.LBB39_247:
	s_mov_b32 s39, 0
.LBB39_248:
	s_delay_alu instid0(SALU_CYCLE_1)
	s_and_not1_b32 vcc_lo, exec_lo, s39
	s_cbranch_vccnz .LBB39_250
; %bb.249:
	s_wait_xcnt 0x0
	v_cvt_f16_i16_e32 v4, v1
	s_delay_alu instid0(VALU_DEP_1)
	v_and_b32_e32 v4, 0xffff, v4
	global_store_b32 v[2:3], v4, off
.LBB39_250:
	s_mov_b32 s39, 0
.LBB39_251:
	s_delay_alu instid0(SALU_CYCLE_1)
	s_and_not1_b32 vcc_lo, exec_lo, s39
	s_cbranch_vccnz .LBB39_260
; %bb.252:
	s_cmp_lt_i32 s38, 6
	s_mov_b32 s39, -1
	s_cbranch_scc1 .LBB39_258
; %bb.253:
	s_cmp_gt_i32 s38, 6
	s_cbranch_scc0 .LBB39_255
; %bb.254:
	s_wait_xcnt 0x0
	v_bfe_i32 v4, v1, 0, 16
	s_mov_b32 s39, 0
	s_delay_alu instid0(VALU_DEP_1)
	v_cvt_f64_i32_e32 v[4:5], v4
	global_store_b64 v[2:3], v[4:5], off
.LBB39_255:
	s_and_not1_b32 vcc_lo, exec_lo, s39
	s_cbranch_vccnz .LBB39_257
; %bb.256:
	s_wait_xcnt 0x0
	v_bfe_i32 v4, v1, 0, 16
	s_delay_alu instid0(VALU_DEP_1)
	v_cvt_f32_i32_e32 v4, v4
	global_store_b32 v[2:3], v4, off
.LBB39_257:
	s_mov_b32 s39, 0
.LBB39_258:
	s_delay_alu instid0(SALU_CYCLE_1)
	s_and_not1_b32 vcc_lo, exec_lo, s39
	s_cbranch_vccnz .LBB39_260
; %bb.259:
	s_wait_xcnt 0x0
	v_cvt_f16_i16_e32 v4, v1
	global_store_b16 v[2:3], v4, off
.LBB39_260:
	s_mov_b32 s39, 0
.LBB39_261:
	s_delay_alu instid0(SALU_CYCLE_1)
	s_and_not1_b32 vcc_lo, exec_lo, s39
	s_cbranch_vccnz .LBB39_277
; %bb.262:
	s_cmp_lt_i32 s38, 2
	s_mov_b32 s39, -1
	s_cbranch_scc1 .LBB39_272
; %bb.263:
	s_cmp_lt_i32 s38, 3
	s_cbranch_scc1 .LBB39_269
; %bb.264:
	s_wait_xcnt 0x0
	v_bfe_i32 v4, v1, 0, 16
	s_cmp_gt_i32 s38, 3
	s_cbranch_scc0 .LBB39_266
; %bb.265:
	s_delay_alu instid0(VALU_DEP_1)
	v_ashrrev_i32_e32 v5, 31, v4
	s_mov_b32 s39, 0
	global_store_b64 v[2:3], v[4:5], off
.LBB39_266:
	s_and_not1_b32 vcc_lo, exec_lo, s39
	s_cbranch_vccnz .LBB39_268
; %bb.267:
	global_store_b32 v[2:3], v4, off
.LBB39_268:
	s_mov_b32 s39, 0
.LBB39_269:
	s_delay_alu instid0(SALU_CYCLE_1)
	s_and_not1_b32 vcc_lo, exec_lo, s39
	s_cbranch_vccnz .LBB39_271
; %bb.270:
	global_store_b16 v[2:3], v1, off
.LBB39_271:
	s_mov_b32 s39, 0
.LBB39_272:
	s_delay_alu instid0(SALU_CYCLE_1)
	s_and_not1_b32 vcc_lo, exec_lo, s39
	s_cbranch_vccnz .LBB39_277
; %bb.273:
	s_cmp_gt_i32 s38, 0
	s_mov_b32 s38, -1
	s_cbranch_scc0 .LBB39_275
; %bb.274:
	s_mov_b32 s38, 0
	global_store_b8 v[2:3], v1, off
.LBB39_275:
	s_and_not1_b32 vcc_lo, exec_lo, s38
	s_cbranch_vccnz .LBB39_277
; %bb.276:
	global_store_b8 v[2:3], v1, off
.LBB39_277:
	s_mov_b32 s40, -1
.LBB39_278:
	s_delay_alu instid0(SALU_CYCLE_1)
	s_and_not1_b32 vcc_lo, exec_lo, s40
	s_cbranch_vccnz .LBB39_387
; %bb.279:
	v_add_nc_u32_e32 v0, 0x80, v0
	s_mov_b32 s42, -1
	s_branch .LBB39_388
.LBB39_280:
	s_mov_b32 s25, -1
                                        ; implicit-def: $vgpr8
.LBB39_281:
	s_mov_b32 s40, 0
.LBB39_282:
	s_delay_alu instid0(SALU_CYCLE_1)
	s_and_b32 vcc_lo, exec_lo, s40
	s_cbranch_vccz .LBB39_286
; %bb.283:
	s_cmp_eq_u32 s38, 29
	s_cbranch_scc0 .LBB39_285
; %bb.284:
	global_load_b64 v[8:9], v[6:7], off
	s_mov_b32 s39, -1
	s_mov_b32 s25, 0
	s_branch .LBB39_286
.LBB39_285:
	s_mov_b32 s25, -1
                                        ; implicit-def: $vgpr8
.LBB39_286:
	s_mov_b32 s40, 0
.LBB39_287:
	s_delay_alu instid0(SALU_CYCLE_1)
	s_and_b32 vcc_lo, exec_lo, s40
	s_cbranch_vccz .LBB39_303
; %bb.288:
	s_cmp_lt_i32 s38, 27
	s_cbranch_scc1 .LBB39_291
; %bb.289:
	s_cmp_gt_i32 s38, 27
	s_cbranch_scc0 .LBB39_292
; %bb.290:
	s_wait_loadcnt 0x0
	global_load_b32 v8, v[6:7], off
	s_mov_b32 s39, 0
	s_branch .LBB39_293
.LBB39_291:
	s_mov_b32 s39, -1
                                        ; implicit-def: $vgpr8
	s_branch .LBB39_296
.LBB39_292:
	s_mov_b32 s39, -1
                                        ; implicit-def: $vgpr8
.LBB39_293:
	s_delay_alu instid0(SALU_CYCLE_1)
	s_and_not1_b32 vcc_lo, exec_lo, s39
	s_cbranch_vccnz .LBB39_295
; %bb.294:
	s_wait_loadcnt 0x0
	global_load_u16 v8, v[6:7], off
.LBB39_295:
	s_mov_b32 s39, 0
.LBB39_296:
	s_delay_alu instid0(SALU_CYCLE_1)
	s_and_not1_b32 vcc_lo, exec_lo, s39
	s_cbranch_vccnz .LBB39_302
; %bb.297:
	global_load_u8 v1, v[6:7], off
	s_mov_b32 s40, 0
	s_mov_b32 s39, exec_lo
	s_wait_loadcnt 0x0
	v_cmpx_lt_i16_e32 0x7f, v1
	s_xor_b32 s39, exec_lo, s39
	s_cbranch_execz .LBB39_314
; %bb.298:
	v_cmp_ne_u16_e32 vcc_lo, 0x80, v1
	s_and_b32 s40, vcc_lo, exec_lo
	s_and_not1_saveexec_b32 s39, s39
	s_cbranch_execnz .LBB39_315
.LBB39_299:
	s_or_b32 exec_lo, exec_lo, s39
	v_mov_b32_e32 v8, 0
	s_and_saveexec_b32 s39, s40
	s_cbranch_execz .LBB39_301
.LBB39_300:
	v_and_b32_e32 v3, 0xffff, v1
	s_delay_alu instid0(VALU_DEP_1) | instskip(SKIP_1) | instid1(VALU_DEP_2)
	v_and_b32_e32 v5, 7, v3
	v_bfe_u32 v10, v3, 3, 4
	v_clz_i32_u32_e32 v8, v5
	s_delay_alu instid0(VALU_DEP_2) | instskip(NEXT) | instid1(VALU_DEP_2)
	v_cmp_eq_u32_e32 vcc_lo, 0, v10
	v_min_u32_e32 v8, 32, v8
	s_delay_alu instid0(VALU_DEP_1) | instskip(NEXT) | instid1(VALU_DEP_1)
	v_subrev_nc_u32_e32 v9, 28, v8
	v_dual_lshlrev_b32 v3, v9, v3 :: v_dual_sub_nc_u32 v8, 29, v8
	s_delay_alu instid0(VALU_DEP_1) | instskip(NEXT) | instid1(VALU_DEP_1)
	v_dual_lshlrev_b32 v1, 24, v1 :: v_dual_bitop2_b32 v3, 7, v3 bitop3:0x40
	v_dual_cndmask_b32 v8, v10, v8 :: v_dual_cndmask_b32 v3, v5, v3
	s_delay_alu instid0(VALU_DEP_2) | instskip(NEXT) | instid1(VALU_DEP_2)
	v_and_b32_e32 v1, 0x80000000, v1
	v_lshl_add_u32 v5, v8, 23, 0x3b800000
	s_delay_alu instid0(VALU_DEP_3) | instskip(NEXT) | instid1(VALU_DEP_1)
	v_lshlrev_b32_e32 v3, 20, v3
	v_or3_b32 v1, v1, v5, v3
	s_delay_alu instid0(VALU_DEP_1)
	v_cvt_i32_f32_e32 v8, v1
.LBB39_301:
	s_or_b32 exec_lo, exec_lo, s39
.LBB39_302:
	s_mov_b32 s39, -1
.LBB39_303:
	s_mov_b32 s40, 0
.LBB39_304:
	s_delay_alu instid0(SALU_CYCLE_1)
	s_and_b32 vcc_lo, exec_lo, s40
	s_cbranch_vccz .LBB39_337
; %bb.305:
	s_cmp_gt_i32 s38, 22
	s_cbranch_scc0 .LBB39_313
; %bb.306:
	s_cmp_lt_i32 s38, 24
	s_cbranch_scc1 .LBB39_316
; %bb.307:
	s_cmp_gt_i32 s38, 24
	s_cbranch_scc0 .LBB39_317
; %bb.308:
	global_load_u8 v1, v[6:7], off
	s_mov_b32 s40, 0
	s_mov_b32 s39, exec_lo
	s_wait_loadcnt 0x0
	v_cmpx_lt_i16_e32 0x7f, v1
	s_xor_b32 s39, exec_lo, s39
	s_cbranch_execz .LBB39_329
; %bb.309:
	v_cmp_ne_u16_e32 vcc_lo, 0x80, v1
	s_and_b32 s40, vcc_lo, exec_lo
	s_and_not1_saveexec_b32 s39, s39
	s_cbranch_execnz .LBB39_330
.LBB39_310:
	s_or_b32 exec_lo, exec_lo, s39
	v_mov_b32_e32 v8, 0
	s_and_saveexec_b32 s39, s40
	s_cbranch_execz .LBB39_312
.LBB39_311:
	v_and_b32_e32 v3, 0xffff, v1
	s_delay_alu instid0(VALU_DEP_1) | instskip(SKIP_1) | instid1(VALU_DEP_2)
	v_and_b32_e32 v5, 3, v3
	v_bfe_u32 v10, v3, 2, 5
	v_clz_i32_u32_e32 v8, v5
	s_delay_alu instid0(VALU_DEP_2) | instskip(NEXT) | instid1(VALU_DEP_2)
	v_cmp_eq_u32_e32 vcc_lo, 0, v10
	v_min_u32_e32 v8, 32, v8
	s_delay_alu instid0(VALU_DEP_1) | instskip(NEXT) | instid1(VALU_DEP_1)
	v_subrev_nc_u32_e32 v9, 29, v8
	v_dual_lshlrev_b32 v3, v9, v3 :: v_dual_sub_nc_u32 v8, 30, v8
	s_delay_alu instid0(VALU_DEP_1) | instskip(NEXT) | instid1(VALU_DEP_1)
	v_dual_lshlrev_b32 v1, 24, v1 :: v_dual_bitop2_b32 v3, 3, v3 bitop3:0x40
	v_dual_cndmask_b32 v8, v10, v8 :: v_dual_cndmask_b32 v3, v5, v3
	s_delay_alu instid0(VALU_DEP_2) | instskip(NEXT) | instid1(VALU_DEP_2)
	v_and_b32_e32 v1, 0x80000000, v1
	v_lshl_add_u32 v5, v8, 23, 0x37800000
	s_delay_alu instid0(VALU_DEP_3) | instskip(NEXT) | instid1(VALU_DEP_1)
	v_lshlrev_b32_e32 v3, 21, v3
	v_or3_b32 v1, v1, v5, v3
	s_delay_alu instid0(VALU_DEP_1)
	v_cvt_i32_f32_e32 v8, v1
.LBB39_312:
	s_or_b32 exec_lo, exec_lo, s39
	s_mov_b32 s39, 0
	s_branch .LBB39_318
.LBB39_313:
	s_mov_b32 s40, -1
                                        ; implicit-def: $vgpr8
	s_branch .LBB39_324
.LBB39_314:
	s_and_not1_saveexec_b32 s39, s39
	s_cbranch_execz .LBB39_299
.LBB39_315:
	v_cmp_ne_u16_e32 vcc_lo, 0, v1
	s_and_not1_b32 s40, s40, exec_lo
	s_and_b32 s42, vcc_lo, exec_lo
	s_delay_alu instid0(SALU_CYCLE_1)
	s_or_b32 s40, s40, s42
	s_or_b32 exec_lo, exec_lo, s39
	v_mov_b32_e32 v8, 0
	s_and_saveexec_b32 s39, s40
	s_cbranch_execnz .LBB39_300
	s_branch .LBB39_301
.LBB39_316:
	s_mov_b32 s39, -1
                                        ; implicit-def: $vgpr8
	s_branch .LBB39_321
.LBB39_317:
	s_mov_b32 s39, -1
                                        ; implicit-def: $vgpr8
.LBB39_318:
	s_delay_alu instid0(SALU_CYCLE_1)
	s_and_b32 vcc_lo, exec_lo, s39
	s_cbranch_vccz .LBB39_320
; %bb.319:
	global_load_u8 v1, v[6:7], off
	s_wait_loadcnt 0x0
	v_lshlrev_b32_e32 v1, 24, v1
	s_delay_alu instid0(VALU_DEP_1) | instskip(NEXT) | instid1(VALU_DEP_1)
	v_and_b32_e32 v3, 0x7f000000, v1
	v_clz_i32_u32_e32 v5, v3
	v_add_nc_u32_e32 v9, 0x1000000, v3
	v_cmp_ne_u32_e32 vcc_lo, 0, v3
	s_delay_alu instid0(VALU_DEP_3) | instskip(NEXT) | instid1(VALU_DEP_1)
	v_min_u32_e32 v5, 32, v5
	v_sub_nc_u32_e64 v5, v5, 4 clamp
	s_delay_alu instid0(VALU_DEP_1) | instskip(NEXT) | instid1(VALU_DEP_1)
	v_dual_lshlrev_b32 v8, v5, v3 :: v_dual_lshlrev_b32 v5, 23, v5
	v_lshrrev_b32_e32 v8, 4, v8
	s_delay_alu instid0(VALU_DEP_1) | instskip(SKIP_1) | instid1(VALU_DEP_2)
	v_sub_nc_u32_e32 v5, v8, v5
	v_ashrrev_i32_e32 v8, 8, v9
	v_add_nc_u32_e32 v5, 0x3c000000, v5
	s_delay_alu instid0(VALU_DEP_1) | instskip(NEXT) | instid1(VALU_DEP_1)
	v_and_or_b32 v5, 0x7f800000, v8, v5
	v_cndmask_b32_e32 v3, 0, v5, vcc_lo
	s_delay_alu instid0(VALU_DEP_1) | instskip(NEXT) | instid1(VALU_DEP_1)
	v_and_or_b32 v1, 0x80000000, v1, v3
	v_cvt_i32_f32_e32 v8, v1
.LBB39_320:
	s_mov_b32 s39, 0
.LBB39_321:
	s_delay_alu instid0(SALU_CYCLE_1)
	s_and_not1_b32 vcc_lo, exec_lo, s39
	s_cbranch_vccnz .LBB39_323
; %bb.322:
	global_load_u8 v1, v[6:7], off
	s_wait_loadcnt 0x0
	v_lshlrev_b32_e32 v3, 25, v1
	v_lshlrev_b16 v1, 8, v1
	s_delay_alu instid0(VALU_DEP_1) | instskip(SKIP_1) | instid1(VALU_DEP_2)
	v_and_or_b32 v8, 0x7f00, v1, 0.5
	v_bfe_i32 v1, v1, 0, 16
	v_dual_add_f32 v8, -0.5, v8 :: v_dual_lshrrev_b32 v5, 4, v3
	v_cmp_gt_u32_e32 vcc_lo, 0x8000000, v3
	s_delay_alu instid0(VALU_DEP_2) | instskip(NEXT) | instid1(VALU_DEP_1)
	v_or_b32_e32 v5, 0x70000000, v5
	v_mul_f32_e32 v5, 0x7800000, v5
	s_delay_alu instid0(VALU_DEP_1) | instskip(NEXT) | instid1(VALU_DEP_1)
	v_cndmask_b32_e32 v3, v5, v8, vcc_lo
	v_and_or_b32 v1, 0x80000000, v1, v3
	s_delay_alu instid0(VALU_DEP_1)
	v_cvt_i32_f32_e32 v8, v1
.LBB39_323:
	s_mov_b32 s40, 0
	s_mov_b32 s39, -1
.LBB39_324:
	s_and_not1_b32 vcc_lo, exec_lo, s40
	s_cbranch_vccnz .LBB39_337
; %bb.325:
	s_cmp_gt_i32 s38, 14
	s_cbranch_scc0 .LBB39_328
; %bb.326:
	s_cmp_eq_u32 s38, 15
	s_cbranch_scc0 .LBB39_331
; %bb.327:
	global_load_u16 v1, v[6:7], off
	s_mov_b32 s39, -1
	s_mov_b32 s25, 0
	s_wait_loadcnt 0x0
	v_lshlrev_b32_e32 v1, 16, v1
	s_delay_alu instid0(VALU_DEP_1)
	v_cvt_i32_f32_e32 v8, v1
	s_branch .LBB39_332
.LBB39_328:
	s_mov_b32 s40, -1
                                        ; implicit-def: $vgpr8
	s_branch .LBB39_333
.LBB39_329:
	s_and_not1_saveexec_b32 s39, s39
	s_cbranch_execz .LBB39_310
.LBB39_330:
	v_cmp_ne_u16_e32 vcc_lo, 0, v1
	s_and_not1_b32 s40, s40, exec_lo
	s_and_b32 s42, vcc_lo, exec_lo
	s_delay_alu instid0(SALU_CYCLE_1)
	s_or_b32 s40, s40, s42
	s_or_b32 exec_lo, exec_lo, s39
	v_mov_b32_e32 v8, 0
	s_and_saveexec_b32 s39, s40
	s_cbranch_execnz .LBB39_311
	s_branch .LBB39_312
.LBB39_331:
	s_mov_b32 s25, -1
                                        ; implicit-def: $vgpr8
.LBB39_332:
	s_mov_b32 s40, 0
.LBB39_333:
	s_delay_alu instid0(SALU_CYCLE_1)
	s_and_b32 vcc_lo, exec_lo, s40
	s_cbranch_vccz .LBB39_337
; %bb.334:
	s_cmp_eq_u32 s38, 11
	s_cbranch_scc0 .LBB39_336
; %bb.335:
	global_load_u8 v1, v[6:7], off
	s_mov_b32 s25, 0
	s_mov_b32 s39, -1
	s_wait_loadcnt 0x0
	v_cmp_ne_u16_e32 vcc_lo, 0, v1
	v_cndmask_b32_e64 v8, 0, 1, vcc_lo
	s_branch .LBB39_337
.LBB39_336:
	s_mov_b32 s25, -1
                                        ; implicit-def: $vgpr8
.LBB39_337:
	s_branch .LBB39_31
.LBB39_338:
	s_and_b32 s0, 0xffff, s0
	s_delay_alu instid0(SALU_CYCLE_1)
	s_cmp_lt_i32 s0, 5
	s_cbranch_scc1 .LBB39_343
; %bb.339:
	s_cmp_lt_i32 s0, 8
	s_cbranch_scc1 .LBB39_344
; %bb.340:
	;; [unrolled: 3-line block ×3, first 2 shown]
	s_cmp_gt_i32 s0, 9
	s_cbranch_scc0 .LBB39_346
; %bb.342:
	s_wait_loadcnt 0x0
	global_load_b64 v[8:9], v[6:7], off
	s_mov_b32 s38, 0
	s_wait_loadcnt 0x0
	v_cvt_i32_f64_e32 v8, v[8:9]
	s_branch .LBB39_347
.LBB39_343:
	s_mov_b32 s38, -1
                                        ; implicit-def: $vgpr8
	s_branch .LBB39_365
.LBB39_344:
	s_mov_b32 s38, -1
                                        ; implicit-def: $vgpr8
	s_branch .LBB39_353
.LBB39_345:
	s_mov_b32 s38, -1
                                        ; implicit-def: $vgpr8
	s_branch .LBB39_350
.LBB39_346:
	s_mov_b32 s38, -1
                                        ; implicit-def: $vgpr8
.LBB39_347:
	s_delay_alu instid0(SALU_CYCLE_1)
	s_and_not1_b32 vcc_lo, exec_lo, s38
	s_cbranch_vccnz .LBB39_349
; %bb.348:
	global_load_b32 v1, v[6:7], off
	s_wait_loadcnt 0x0
	v_cvt_i32_f32_e32 v8, v1
.LBB39_349:
	s_mov_b32 s38, 0
.LBB39_350:
	s_delay_alu instid0(SALU_CYCLE_1)
	s_and_not1_b32 vcc_lo, exec_lo, s38
	s_cbranch_vccnz .LBB39_352
; %bb.351:
	global_load_b32 v1, v[6:7], off
	s_wait_loadcnt 0x0
	v_cvt_i16_f16_e32 v8, v1
.LBB39_352:
	s_mov_b32 s38, 0
.LBB39_353:
	s_delay_alu instid0(SALU_CYCLE_1)
	s_and_not1_b32 vcc_lo, exec_lo, s38
	s_cbranch_vccnz .LBB39_364
; %bb.354:
	s_cmp_lt_i32 s0, 6
	s_cbranch_scc1 .LBB39_357
; %bb.355:
	s_cmp_gt_i32 s0, 6
	s_cbranch_scc0 .LBB39_358
; %bb.356:
	s_wait_loadcnt 0x0
	global_load_b64 v[8:9], v[6:7], off
	s_mov_b32 s38, 0
	s_wait_loadcnt 0x0
	v_cvt_i32_f64_e32 v8, v[8:9]
	s_branch .LBB39_359
.LBB39_357:
	s_mov_b32 s38, -1
                                        ; implicit-def: $vgpr8
	s_branch .LBB39_362
.LBB39_358:
	s_mov_b32 s38, -1
                                        ; implicit-def: $vgpr8
.LBB39_359:
	s_delay_alu instid0(SALU_CYCLE_1)
	s_and_not1_b32 vcc_lo, exec_lo, s38
	s_cbranch_vccnz .LBB39_361
; %bb.360:
	global_load_b32 v1, v[6:7], off
	s_wait_loadcnt 0x0
	v_cvt_i32_f32_e32 v8, v1
.LBB39_361:
	s_mov_b32 s38, 0
.LBB39_362:
	s_delay_alu instid0(SALU_CYCLE_1)
	s_and_not1_b32 vcc_lo, exec_lo, s38
	s_cbranch_vccnz .LBB39_364
; %bb.363:
	global_load_u16 v1, v[6:7], off
	s_wait_loadcnt 0x0
	v_cvt_i16_f16_e32 v8, v1
.LBB39_364:
	s_mov_b32 s38, 0
.LBB39_365:
	s_delay_alu instid0(SALU_CYCLE_1)
	s_and_not1_b32 vcc_lo, exec_lo, s38
	s_cbranch_vccnz .LBB39_385
; %bb.366:
	s_cmp_lt_i32 s0, 2
	s_cbranch_scc1 .LBB39_370
; %bb.367:
	s_cmp_lt_i32 s0, 3
	s_cbranch_scc1 .LBB39_371
; %bb.368:
	s_cmp_gt_i32 s0, 3
	s_cbranch_scc0 .LBB39_372
; %bb.369:
	s_wait_loadcnt 0x0
	global_load_b64 v[8:9], v[6:7], off
	s_mov_b32 s38, 0
	s_branch .LBB39_373
.LBB39_370:
	s_mov_b32 s38, -1
                                        ; implicit-def: $vgpr8
	s_branch .LBB39_379
.LBB39_371:
	s_mov_b32 s38, -1
                                        ; implicit-def: $vgpr8
	s_branch .LBB39_376
.LBB39_372:
	s_mov_b32 s38, -1
                                        ; implicit-def: $vgpr8
.LBB39_373:
	s_delay_alu instid0(SALU_CYCLE_1)
	s_and_not1_b32 vcc_lo, exec_lo, s38
	s_cbranch_vccnz .LBB39_375
; %bb.374:
	s_wait_loadcnt 0x0
	global_load_b32 v8, v[6:7], off
.LBB39_375:
	s_mov_b32 s38, 0
.LBB39_376:
	s_delay_alu instid0(SALU_CYCLE_1)
	s_and_not1_b32 vcc_lo, exec_lo, s38
	s_cbranch_vccnz .LBB39_378
; %bb.377:
	s_wait_loadcnt 0x0
	global_load_u16 v8, v[6:7], off
.LBB39_378:
	s_mov_b32 s38, 0
.LBB39_379:
	s_delay_alu instid0(SALU_CYCLE_1)
	s_and_not1_b32 vcc_lo, exec_lo, s38
	s_cbranch_vccnz .LBB39_385
; %bb.380:
	s_cmp_gt_i32 s0, 0
	s_mov_b32 s0, 0
	s_cbranch_scc0 .LBB39_382
; %bb.381:
	s_wait_loadcnt 0x0
	global_load_i8 v8, v[6:7], off
	s_branch .LBB39_383
.LBB39_382:
	s_mov_b32 s0, -1
                                        ; implicit-def: $vgpr8
.LBB39_383:
	s_delay_alu instid0(SALU_CYCLE_1)
	s_and_not1_b32 vcc_lo, exec_lo, s0
	s_cbranch_vccnz .LBB39_385
; %bb.384:
	s_wait_loadcnt 0x0
	global_load_u8 v8, v[6:7], off
.LBB39_385:
	s_branch .LBB39_32
.LBB39_386:
	s_mov_b32 s0, 0
.LBB39_387:
	s_mov_b32 s42, 0
                                        ; implicit-def: $vgpr0
.LBB39_388:
	s_and_b32 s38, s0, exec_lo
	s_and_b32 s39, s25, exec_lo
	;; [unrolled: 1-line block ×3, first 2 shown]
	s_or_not1_b32 s25, s42, exec_lo
.LBB39_389:
	s_wait_xcnt 0x0
	s_or_b32 exec_lo, exec_lo, s41
	s_mov_b32 s43, 0
	s_mov_b32 s24, 0
                                        ; implicit-def: $sgpr0
                                        ; implicit-def: $vgpr8_vgpr9
                                        ; implicit-def: $vgpr6
                                        ; implicit-def: $vgpr2
                                        ; implicit-def: $vgpr4
	s_and_saveexec_b32 s41, s25
	s_cbranch_execz .LBB39_397
; %bb.390:
	s_mov_b32 s47, -1
	s_mov_b32 s42, s40
	s_mov_b32 s44, s39
	;; [unrolled: 1-line block ×3, first 2 shown]
	s_mov_b32 s45, exec_lo
	v_cmpx_gt_i32_e64 s36, v0
	s_cbranch_execz .LBB39_789
; %bb.391:
	s_and_not1_b32 vcc_lo, exec_lo, s29
	s_cbranch_vccnz .LBB39_400
; %bb.392:
	s_and_not1_b32 vcc_lo, exec_lo, s37
	s_cbranch_vccnz .LBB39_401
; %bb.393:
	v_dual_mov_b32 v2, 0 :: v_dual_mov_b32 v1, v0
	s_wait_loadcnt 0x0
	v_dual_mov_b32 v4, 0 :: v_dual_mov_b32 v6, 0
	s_add_co_i32 s0, s35, 1
	s_mov_b64 s[24:25], 0xffffffffffffffe8
	s_and_b32 s0, s0, 30
	s_add_nc_u64 s[24:25], s[2:3], s[24:25]
.LBB39_394:                             ; =>This Inner Loop Header: Depth=1
	s_clause 0x3
	s_load_b128 s[48:51], s[24:25], 0x1c
	s_load_b64 s[42:43], s[24:25], 0x2c
	s_load_b128 s[52:55], s[24:25], 0xdc
	s_load_b64 s[46:47], s[24:25], 0xec
	s_add_co_i32 s0, s0, -2
	s_wait_xcnt 0x0
	s_add_nc_u64 s[24:25], s[24:25], 24
	s_cmp_eq_u32 s0, 0
	s_wait_kmcnt 0x0
	v_mul_hi_u32 v3, s49, v1
	s_delay_alu instid0(VALU_DEP_1) | instskip(NEXT) | instid1(VALU_DEP_1)
	v_add_nc_u32_e32 v3, v1, v3
	v_lshrrev_b32_e32 v3, s50, v3
	s_delay_alu instid0(VALU_DEP_1) | instskip(SKIP_1) | instid1(VALU_DEP_1)
	v_mul_hi_u32 v5, s42, v3
	v_mul_lo_u32 v7, v3, s48
	v_dual_add_nc_u32 v5, v3, v5 :: v_dual_sub_nc_u32 v7, v1, v7
	s_delay_alu instid0(VALU_DEP_1) | instskip(NEXT) | instid1(VALU_DEP_2)
	v_lshrrev_b32_e32 v1, s43, v5
	v_mad_u32 v2, v7, s52, v2
	v_mad_u32 v6, v7, s54, v6
	;; [unrolled: 1-line block ×3, first 2 shown]
	s_delay_alu instid0(VALU_DEP_4) | instskip(NEXT) | instid1(VALU_DEP_1)
	v_mul_lo_u32 v5, v1, s51
	v_sub_nc_u32_e32 v3, v3, v5
	s_delay_alu instid0(VALU_DEP_1)
	v_mad_u32 v2, v3, s55, v2
	v_mad_u32 v6, v3, s47, v6
	;; [unrolled: 1-line block ×3, first 2 shown]
	s_cbranch_scc0 .LBB39_394
; %bb.395:
	s_bitcmp1_b32 s35, 0
	s_cselect_b32 s0, -1, 0
	s_delay_alu instid0(SALU_CYCLE_1)
	s_and_b32 vcc_lo, exec_lo, s0
	s_cbranch_vccnz .LBB39_402
; %bb.396:
	s_clause 0x1
	s_load_b96 s[48:50], s[24:25], 0x1c
	s_load_b96 s[52:54], s[24:25], 0xdc
	s_wait_kmcnt 0x0
	v_mul_hi_u32 v3, s49, v1
	s_delay_alu instid0(VALU_DEP_1) | instskip(NEXT) | instid1(VALU_DEP_1)
	v_add_nc_u32_e32 v3, v1, v3
	v_lshrrev_b32_e32 v3, s50, v3
	s_delay_alu instid0(VALU_DEP_1) | instskip(NEXT) | instid1(VALU_DEP_1)
	v_mul_lo_u32 v3, v3, s48
	v_sub_nc_u32_e32 v1, v1, v3
	s_delay_alu instid0(VALU_DEP_1)
	v_mad_u32 v2, v1, s52, v2
	v_mad_u32 v4, v1, s53, v4
	;; [unrolled: 1-line block ×3, first 2 shown]
	s_branch .LBB39_402
.LBB39_397:
	s_or_b32 exec_lo, exec_lo, s41
	s_mov_b32 s1, 0
	s_and_saveexec_b32 s6, s40
	s_cbranch_execnz .LBB39_1281
.LBB39_398:
	s_or_b32 exec_lo, exec_lo, s6
	s_and_saveexec_b32 s6, s19
	s_delay_alu instid0(SALU_CYCLE_1)
	s_xor_b32 s6, exec_lo, s6
	s_cbranch_execz .LBB39_1282
.LBB39_399:
	s_wait_loadcnt 0x0
	global_load_u8 v0, v[8:9], off
	s_or_b32 s24, s24, exec_lo
	s_wait_loadcnt 0x0
	v_cmp_ne_u16_e32 vcc_lo, 0, v0
	v_cndmask_b32_e64 v4, 0, 1, vcc_lo
	s_wait_xcnt 0x0
	s_or_b32 exec_lo, exec_lo, s6
	s_and_saveexec_b32 s6, s43
	s_cbranch_execz .LBB39_1328
	s_branch .LBB39_1283
.LBB39_400:
                                        ; implicit-def: $vgpr6
                                        ; implicit-def: $vgpr4
                                        ; implicit-def: $vgpr2
	s_branch .LBB39_403
.LBB39_401:
	s_wait_loadcnt 0x0
	v_dual_mov_b32 v6, 0 :: v_dual_mov_b32 v4, 0
	v_mov_b32_e32 v2, 0
.LBB39_402:
	s_cbranch_execnz .LBB39_405
.LBB39_403:
	v_mov_b32_e32 v1, 0
	s_and_not1_b32 vcc_lo, exec_lo, s34
	s_delay_alu instid0(VALU_DEP_1) | instskip(NEXT) | instid1(VALU_DEP_1)
	v_mul_u64_e32 v[2:3], s[18:19], v[0:1]
	v_add_nc_u32_e32 v2, v0, v3
	s_wait_loadcnt 0x0
	s_delay_alu instid0(VALU_DEP_1) | instskip(NEXT) | instid1(VALU_DEP_1)
	v_lshrrev_b32_e32 v8, s10, v2
	v_mul_lo_u32 v2, v8, s8
	s_delay_alu instid0(VALU_DEP_1) | instskip(NEXT) | instid1(VALU_DEP_1)
	v_sub_nc_u32_e32 v3, v0, v2
	v_mul_lo_u32 v2, v3, s12
	v_mul_lo_u32 v6, v3, s14
	;; [unrolled: 1-line block ×3, first 2 shown]
	s_cbranch_vccnz .LBB39_405
; %bb.404:
	v_mov_b32_e32 v9, v1
	s_delay_alu instid0(VALU_DEP_1) | instskip(NEXT) | instid1(VALU_DEP_1)
	v_mul_u64_e32 v[10:11], s[22:23], v[8:9]
	v_add_nc_u32_e32 v1, v8, v11
	s_delay_alu instid0(VALU_DEP_1) | instskip(NEXT) | instid1(VALU_DEP_1)
	v_lshrrev_b32_e32 v1, s1, v1
	v_mul_lo_u32 v1, v1, s11
	s_delay_alu instid0(VALU_DEP_1) | instskip(NEXT) | instid1(VALU_DEP_1)
	v_sub_nc_u32_e32 v1, v8, v1
	v_mad_u32 v2, v1, s15, v2
	v_mad_u32 v4, v1, s20, v4
	;; [unrolled: 1-line block ×3, first 2 shown]
.LBB39_405:
	s_wait_loadcnt 0x0
	v_mov_b32_e32 v5, 0
	s_and_b32 s0, s33, 0xff
	s_delay_alu instid0(SALU_CYCLE_1) | instskip(NEXT) | instid1(VALU_DEP_1)
	s_cmp_lt_i32 s0, 11
	v_add_nc_u64_e32 v[8:9], s[6:7], v[4:5]
	s_cbranch_scc1 .LBB39_412
; %bb.406:
	s_and_b32 s25, 0xffff, s0
	s_delay_alu instid0(SALU_CYCLE_1)
	s_cmp_gt_i32 s25, 25
	s_cbranch_scc0 .LBB39_421
; %bb.407:
	s_cmp_gt_i32 s25, 28
	s_cbranch_scc0 .LBB39_423
; %bb.408:
	;; [unrolled: 3-line block ×4, first 2 shown]
	s_cmp_eq_u32 s25, 46
	s_mov_b32 s43, 0
	s_cbranch_scc0 .LBB39_431
; %bb.411:
	global_load_b32 v1, v[8:9], off
	s_mov_b32 s42, -1
	s_mov_b32 s24, 0
	s_wait_loadcnt 0x0
	v_lshlrev_b32_e32 v1, 16, v1
	s_delay_alu instid0(VALU_DEP_1)
	v_cvt_i32_f32_e32 v4, v1
	s_branch .LBB39_433
.LBB39_412:
	s_mov_b32 s42, 0
	s_mov_b32 s24, s40
                                        ; implicit-def: $vgpr4
	s_cbranch_execnz .LBB39_495
.LBB39_413:
	s_and_not1_b32 vcc_lo, exec_lo, s42
	s_cbranch_vccnz .LBB39_543
.LBB39_414:
	v_mov_b32_e32 v7, 0
	s_and_b32 s0, s9, 0xff
	s_delay_alu instid0(SALU_CYCLE_1) | instskip(NEXT) | instid1(VALU_DEP_1)
	s_cmp_lt_i32 s0, 11
	v_add_nc_u64_e32 v[6:7], s[16:17], v[6:7]
	s_cbranch_scc1 .LBB39_422
; %bb.415:
	s_and_b32 s42, 0xffff, s0
	s_delay_alu instid0(SALU_CYCLE_1)
	s_cmp_gt_i32 s42, 25
	s_cbranch_scc0 .LBB39_424
; %bb.416:
	s_cmp_gt_i32 s42, 28
	s_cbranch_scc0 .LBB39_426
; %bb.417:
	;; [unrolled: 3-line block ×4, first 2 shown]
	s_cmp_eq_u32 s42, 46
	s_mov_b32 s44, 0
	s_cbranch_scc0 .LBB39_546
; %bb.420:
	global_load_b32 v1, v[6:7], off
	s_mov_b32 s43, -1
	s_mov_b32 s25, 0
	s_wait_loadcnt 0x0
	v_lshlrev_b32_e32 v1, 16, v1
	s_wait_xcnt 0x1
	s_delay_alu instid0(VALU_DEP_1)
	v_cvt_i32_f32_e32 v8, v1
	s_branch .LBB39_548
.LBB39_421:
	s_mov_b32 s43, -1
	s_mov_b32 s42, 0
	s_mov_b32 s24, s40
                                        ; implicit-def: $vgpr4
	s_branch .LBB39_461
.LBB39_422:
	s_mov_b32 s42, -1
	s_mov_b32 s43, 0
	s_mov_b32 s25, s39
                                        ; implicit-def: $vgpr8
	s_branch .LBB39_609
.LBB39_423:
	s_mov_b32 s43, -1
	s_mov_b32 s42, 0
	s_mov_b32 s24, s40
                                        ; implicit-def: $vgpr4
	s_branch .LBB39_444
.LBB39_424:
	s_mov_b32 s44, -1
	s_mov_b32 s43, 0
	s_mov_b32 s25, s39
                                        ; implicit-def: $vgpr8
	s_branch .LBB39_575
.LBB39_425:
	s_mov_b32 s43, -1
	s_mov_b32 s42, 0
	s_mov_b32 s24, s40
                                        ; implicit-def: $vgpr4
	s_branch .LBB39_439
.LBB39_426:
	s_mov_b32 s44, -1
	s_mov_b32 s43, 0
	s_mov_b32 s25, s39
                                        ; implicit-def: $vgpr8
	s_branch .LBB39_558
.LBB39_427:
	s_mov_b32 s43, -1
	s_mov_b32 s42, 0
	s_mov_b32 s24, s40
	s_branch .LBB39_432
.LBB39_428:
	s_mov_b32 s44, -1
	s_mov_b32 s43, 0
	s_mov_b32 s25, s39
                                        ; implicit-def: $vgpr8
	s_branch .LBB39_553
.LBB39_429:
	s_and_not1_saveexec_b32 s43, s43
	s_cbranch_execz .LBB39_191
.LBB39_430:
	v_add_f32_e64 v5, 0x46000000, |v4|
	s_and_not1_b32 s42, s42, exec_lo
	s_delay_alu instid0(VALU_DEP_1) | instskip(NEXT) | instid1(VALU_DEP_1)
	v_and_b32_e32 v5, 0xff, v5
	v_cmp_ne_u32_e32 vcc_lo, 0, v5
	s_and_b32 s44, vcc_lo, exec_lo
	s_delay_alu instid0(SALU_CYCLE_1)
	s_or_b32 s42, s42, s44
	s_or_b32 exec_lo, exec_lo, s43
	v_mov_b32_e32 v6, 0
	s_and_saveexec_b32 s43, s42
	s_cbranch_execnz .LBB39_192
	s_branch .LBB39_193
.LBB39_431:
	s_mov_b32 s24, -1
	s_mov_b32 s42, 0
.LBB39_432:
                                        ; implicit-def: $vgpr4
.LBB39_433:
	s_and_b32 vcc_lo, exec_lo, s43
	s_cbranch_vccz .LBB39_438
; %bb.434:
	s_cmp_eq_u32 s25, 44
	s_cbranch_scc0 .LBB39_437
; %bb.435:
	global_load_u8 v1, v[8:9], off
	s_mov_b32 s24, 0
	s_mov_b32 s42, -1
	s_wait_loadcnt 0x0
	v_lshlrev_b32_e32 v3, 23, v1
	v_cmp_ne_u32_e32 vcc_lo, 0, v1
	s_delay_alu instid0(VALU_DEP_2) | instskip(NEXT) | instid1(VALU_DEP_1)
	v_cvt_i32_f32_e32 v3, v3
	v_cndmask_b32_e32 v4, 0, v3, vcc_lo
	s_branch .LBB39_438
.LBB39_436:
	s_mov_b32 s44, -1
	s_mov_b32 s43, 0
	s_mov_b32 s25, s39
	s_branch .LBB39_547
.LBB39_437:
	s_mov_b32 s24, -1
                                        ; implicit-def: $vgpr4
.LBB39_438:
	s_mov_b32 s43, 0
.LBB39_439:
	s_delay_alu instid0(SALU_CYCLE_1)
	s_and_b32 vcc_lo, exec_lo, s43
	s_cbranch_vccz .LBB39_443
; %bb.440:
	s_cmp_eq_u32 s25, 29
	s_cbranch_scc0 .LBB39_442
; %bb.441:
	global_load_b64 v[4:5], v[8:9], off
	s_mov_b32 s42, -1
	s_mov_b32 s24, 0
	s_branch .LBB39_443
.LBB39_442:
	s_mov_b32 s24, -1
                                        ; implicit-def: $vgpr4
.LBB39_443:
	s_mov_b32 s43, 0
.LBB39_444:
	s_delay_alu instid0(SALU_CYCLE_1)
	s_and_b32 vcc_lo, exec_lo, s43
	s_cbranch_vccz .LBB39_460
; %bb.445:
	s_cmp_lt_i32 s25, 27
	s_cbranch_scc1 .LBB39_448
; %bb.446:
	s_cmp_gt_i32 s25, 27
	s_cbranch_scc0 .LBB39_449
; %bb.447:
	s_wait_loadcnt 0x0
	global_load_b32 v4, v[8:9], off
	s_mov_b32 s42, 0
	s_branch .LBB39_450
.LBB39_448:
	s_mov_b32 s42, -1
                                        ; implicit-def: $vgpr4
	s_branch .LBB39_453
.LBB39_449:
	s_mov_b32 s42, -1
                                        ; implicit-def: $vgpr4
.LBB39_450:
	s_delay_alu instid0(SALU_CYCLE_1)
	s_and_not1_b32 vcc_lo, exec_lo, s42
	s_cbranch_vccnz .LBB39_452
; %bb.451:
	s_wait_loadcnt 0x0
	global_load_u16 v4, v[8:9], off
.LBB39_452:
	s_mov_b32 s42, 0
.LBB39_453:
	s_delay_alu instid0(SALU_CYCLE_1)
	s_and_not1_b32 vcc_lo, exec_lo, s42
	s_cbranch_vccnz .LBB39_459
; %bb.454:
	global_load_u8 v1, v[8:9], off
	s_mov_b32 s43, 0
	s_mov_b32 s42, exec_lo
	s_wait_loadcnt 0x0
	v_cmpx_lt_i16_e32 0x7f, v1
	s_xor_b32 s42, exec_lo, s42
	s_cbranch_execz .LBB39_471
; %bb.455:
	v_cmp_ne_u16_e32 vcc_lo, 0x80, v1
	s_and_b32 s43, vcc_lo, exec_lo
	s_and_not1_saveexec_b32 s42, s42
	s_cbranch_execnz .LBB39_472
.LBB39_456:
	s_or_b32 exec_lo, exec_lo, s42
	v_mov_b32_e32 v4, 0
	s_and_saveexec_b32 s42, s43
	s_cbranch_execz .LBB39_458
.LBB39_457:
	v_and_b32_e32 v3, 0xffff, v1
	s_delay_alu instid0(VALU_DEP_1) | instskip(SKIP_1) | instid1(VALU_DEP_2)
	v_and_b32_e32 v4, 7, v3
	v_bfe_u32 v10, v3, 3, 4
	v_clz_i32_u32_e32 v5, v4
	s_delay_alu instid0(VALU_DEP_2) | instskip(NEXT) | instid1(VALU_DEP_2)
	v_cmp_eq_u32_e32 vcc_lo, 0, v10
	v_min_u32_e32 v5, 32, v5
	s_delay_alu instid0(VALU_DEP_1) | instskip(NEXT) | instid1(VALU_DEP_1)
	v_subrev_nc_u32_e32 v7, 28, v5
	v_dual_lshlrev_b32 v3, v7, v3 :: v_dual_sub_nc_u32 v5, 29, v5
	s_delay_alu instid0(VALU_DEP_1) | instskip(NEXT) | instid1(VALU_DEP_1)
	v_dual_lshlrev_b32 v1, 24, v1 :: v_dual_bitop2_b32 v3, 7, v3 bitop3:0x40
	v_dual_cndmask_b32 v3, v4, v3, vcc_lo :: v_dual_cndmask_b32 v5, v10, v5, vcc_lo
	s_delay_alu instid0(VALU_DEP_2) | instskip(NEXT) | instid1(VALU_DEP_2)
	v_and_b32_e32 v1, 0x80000000, v1
	v_lshlrev_b32_e32 v3, 20, v3
	s_delay_alu instid0(VALU_DEP_3) | instskip(NEXT) | instid1(VALU_DEP_1)
	v_lshl_add_u32 v4, v5, 23, 0x3b800000
	v_or3_b32 v1, v1, v4, v3
	s_delay_alu instid0(VALU_DEP_1)
	v_cvt_i32_f32_e32 v4, v1
.LBB39_458:
	s_or_b32 exec_lo, exec_lo, s42
.LBB39_459:
	s_mov_b32 s42, -1
.LBB39_460:
	s_mov_b32 s43, 0
.LBB39_461:
	s_delay_alu instid0(SALU_CYCLE_1)
	s_and_b32 vcc_lo, exec_lo, s43
	s_cbranch_vccz .LBB39_494
; %bb.462:
	s_cmp_gt_i32 s25, 22
	s_cbranch_scc0 .LBB39_470
; %bb.463:
	s_cmp_lt_i32 s25, 24
	s_cbranch_scc1 .LBB39_473
; %bb.464:
	s_cmp_gt_i32 s25, 24
	s_cbranch_scc0 .LBB39_474
; %bb.465:
	global_load_u8 v1, v[8:9], off
	s_mov_b32 s43, 0
	s_mov_b32 s42, exec_lo
	s_wait_loadcnt 0x0
	v_cmpx_lt_i16_e32 0x7f, v1
	s_xor_b32 s42, exec_lo, s42
	s_cbranch_execz .LBB39_486
; %bb.466:
	v_cmp_ne_u16_e32 vcc_lo, 0x80, v1
	s_and_b32 s43, vcc_lo, exec_lo
	s_and_not1_saveexec_b32 s42, s42
	s_cbranch_execnz .LBB39_487
.LBB39_467:
	s_or_b32 exec_lo, exec_lo, s42
	v_mov_b32_e32 v4, 0
	s_and_saveexec_b32 s42, s43
	s_cbranch_execz .LBB39_469
.LBB39_468:
	v_and_b32_e32 v3, 0xffff, v1
	s_delay_alu instid0(VALU_DEP_1) | instskip(SKIP_1) | instid1(VALU_DEP_2)
	v_and_b32_e32 v4, 3, v3
	v_bfe_u32 v10, v3, 2, 5
	v_clz_i32_u32_e32 v5, v4
	s_delay_alu instid0(VALU_DEP_2) | instskip(NEXT) | instid1(VALU_DEP_2)
	v_cmp_eq_u32_e32 vcc_lo, 0, v10
	v_min_u32_e32 v5, 32, v5
	s_delay_alu instid0(VALU_DEP_1) | instskip(NEXT) | instid1(VALU_DEP_1)
	v_subrev_nc_u32_e32 v7, 29, v5
	v_dual_lshlrev_b32 v3, v7, v3 :: v_dual_sub_nc_u32 v5, 30, v5
	s_delay_alu instid0(VALU_DEP_1) | instskip(NEXT) | instid1(VALU_DEP_1)
	v_dual_lshlrev_b32 v1, 24, v1 :: v_dual_bitop2_b32 v3, 3, v3 bitop3:0x40
	v_dual_cndmask_b32 v3, v4, v3, vcc_lo :: v_dual_cndmask_b32 v5, v10, v5, vcc_lo
	s_delay_alu instid0(VALU_DEP_2) | instskip(NEXT) | instid1(VALU_DEP_2)
	v_and_b32_e32 v1, 0x80000000, v1
	v_lshlrev_b32_e32 v3, 21, v3
	s_delay_alu instid0(VALU_DEP_3) | instskip(NEXT) | instid1(VALU_DEP_1)
	v_lshl_add_u32 v4, v5, 23, 0x37800000
	v_or3_b32 v1, v1, v4, v3
	s_delay_alu instid0(VALU_DEP_1)
	v_cvt_i32_f32_e32 v4, v1
.LBB39_469:
	s_or_b32 exec_lo, exec_lo, s42
	s_mov_b32 s42, 0
	s_branch .LBB39_475
.LBB39_470:
	s_mov_b32 s43, -1
                                        ; implicit-def: $vgpr4
	s_branch .LBB39_481
.LBB39_471:
	s_and_not1_saveexec_b32 s42, s42
	s_cbranch_execz .LBB39_456
.LBB39_472:
	v_cmp_ne_u16_e32 vcc_lo, 0, v1
	s_and_not1_b32 s43, s43, exec_lo
	s_and_b32 s44, vcc_lo, exec_lo
	s_delay_alu instid0(SALU_CYCLE_1)
	s_or_b32 s43, s43, s44
	s_or_b32 exec_lo, exec_lo, s42
	v_mov_b32_e32 v4, 0
	s_and_saveexec_b32 s42, s43
	s_cbranch_execnz .LBB39_457
	s_branch .LBB39_458
.LBB39_473:
	s_mov_b32 s42, -1
                                        ; implicit-def: $vgpr4
	s_branch .LBB39_478
.LBB39_474:
	s_mov_b32 s42, -1
                                        ; implicit-def: $vgpr4
.LBB39_475:
	s_delay_alu instid0(SALU_CYCLE_1)
	s_and_b32 vcc_lo, exec_lo, s42
	s_cbranch_vccz .LBB39_477
; %bb.476:
	global_load_u8 v1, v[8:9], off
	s_wait_loadcnt 0x0
	v_lshlrev_b32_e32 v1, 24, v1
	s_delay_alu instid0(VALU_DEP_1) | instskip(NEXT) | instid1(VALU_DEP_1)
	v_and_b32_e32 v3, 0x7f000000, v1
	v_clz_i32_u32_e32 v4, v3
	v_add_nc_u32_e32 v7, 0x1000000, v3
	v_cmp_ne_u32_e32 vcc_lo, 0, v3
	s_delay_alu instid0(VALU_DEP_3) | instskip(NEXT) | instid1(VALU_DEP_1)
	v_min_u32_e32 v4, 32, v4
	v_sub_nc_u32_e64 v4, v4, 4 clamp
	s_delay_alu instid0(VALU_DEP_1) | instskip(NEXT) | instid1(VALU_DEP_1)
	v_dual_lshlrev_b32 v5, v4, v3 :: v_dual_lshlrev_b32 v4, 23, v4
	v_lshrrev_b32_e32 v5, 4, v5
	s_delay_alu instid0(VALU_DEP_1) | instskip(NEXT) | instid1(VALU_DEP_1)
	v_dual_sub_nc_u32 v4, v5, v4 :: v_dual_ashrrev_i32 v5, 8, v7
	v_add_nc_u32_e32 v4, 0x3c000000, v4
	s_delay_alu instid0(VALU_DEP_1) | instskip(NEXT) | instid1(VALU_DEP_1)
	v_and_or_b32 v4, 0x7f800000, v5, v4
	v_cndmask_b32_e32 v3, 0, v4, vcc_lo
	s_delay_alu instid0(VALU_DEP_1) | instskip(NEXT) | instid1(VALU_DEP_1)
	v_and_or_b32 v1, 0x80000000, v1, v3
	v_cvt_i32_f32_e32 v4, v1
.LBB39_477:
	s_mov_b32 s42, 0
.LBB39_478:
	s_delay_alu instid0(SALU_CYCLE_1)
	s_and_not1_b32 vcc_lo, exec_lo, s42
	s_cbranch_vccnz .LBB39_480
; %bb.479:
	global_load_u8 v1, v[8:9], off
	s_wait_loadcnt 0x0
	v_lshlrev_b32_e32 v3, 25, v1
	v_lshlrev_b16 v1, 8, v1
	s_delay_alu instid0(VALU_DEP_1) | instskip(NEXT) | instid1(VALU_DEP_3)
	v_and_or_b32 v5, 0x7f00, v1, 0.5
	v_lshrrev_b32_e32 v4, 4, v3
	v_bfe_i32 v1, v1, 0, 16
	s_delay_alu instid0(VALU_DEP_3) | instskip(NEXT) | instid1(VALU_DEP_3)
	v_add_f32_e32 v5, -0.5, v5
	v_or_b32_e32 v4, 0x70000000, v4
	s_delay_alu instid0(VALU_DEP_1) | instskip(SKIP_1) | instid1(VALU_DEP_2)
	v_mul_f32_e32 v4, 0x7800000, v4
	v_cmp_gt_u32_e32 vcc_lo, 0x8000000, v3
	v_cndmask_b32_e32 v3, v4, v5, vcc_lo
	s_delay_alu instid0(VALU_DEP_1) | instskip(NEXT) | instid1(VALU_DEP_1)
	v_and_or_b32 v1, 0x80000000, v1, v3
	v_cvt_i32_f32_e32 v4, v1
.LBB39_480:
	s_mov_b32 s43, 0
	s_mov_b32 s42, -1
.LBB39_481:
	s_and_not1_b32 vcc_lo, exec_lo, s43
	s_cbranch_vccnz .LBB39_494
; %bb.482:
	s_cmp_gt_i32 s25, 14
	s_cbranch_scc0 .LBB39_485
; %bb.483:
	s_cmp_eq_u32 s25, 15
	s_cbranch_scc0 .LBB39_488
; %bb.484:
	global_load_u16 v1, v[8:9], off
	s_mov_b32 s42, -1
	s_mov_b32 s24, 0
	s_wait_loadcnt 0x0
	v_lshlrev_b32_e32 v1, 16, v1
	s_delay_alu instid0(VALU_DEP_1)
	v_cvt_i32_f32_e32 v4, v1
	s_branch .LBB39_489
.LBB39_485:
	s_mov_b32 s43, -1
                                        ; implicit-def: $vgpr4
	s_branch .LBB39_490
.LBB39_486:
	s_and_not1_saveexec_b32 s42, s42
	s_cbranch_execz .LBB39_467
.LBB39_487:
	v_cmp_ne_u16_e32 vcc_lo, 0, v1
	s_and_not1_b32 s43, s43, exec_lo
	s_and_b32 s44, vcc_lo, exec_lo
	s_delay_alu instid0(SALU_CYCLE_1)
	s_or_b32 s43, s43, s44
	s_or_b32 exec_lo, exec_lo, s42
	v_mov_b32_e32 v4, 0
	s_and_saveexec_b32 s42, s43
	s_cbranch_execnz .LBB39_468
	s_branch .LBB39_469
.LBB39_488:
	s_mov_b32 s24, -1
                                        ; implicit-def: $vgpr4
.LBB39_489:
	s_mov_b32 s43, 0
.LBB39_490:
	s_delay_alu instid0(SALU_CYCLE_1)
	s_and_b32 vcc_lo, exec_lo, s43
	s_cbranch_vccz .LBB39_494
; %bb.491:
	s_cmp_eq_u32 s25, 11
	s_cbranch_scc0 .LBB39_493
; %bb.492:
	global_load_u8 v1, v[8:9], off
	s_mov_b32 s24, 0
	s_mov_b32 s42, -1
	s_wait_loadcnt 0x0
	v_cmp_ne_u16_e32 vcc_lo, 0, v1
	v_cndmask_b32_e64 v4, 0, 1, vcc_lo
	s_branch .LBB39_494
.LBB39_493:
	s_mov_b32 s24, -1
                                        ; implicit-def: $vgpr4
.LBB39_494:
	s_branch .LBB39_413
.LBB39_495:
	s_and_b32 s0, 0xffff, s0
	s_delay_alu instid0(SALU_CYCLE_1)
	s_cmp_lt_i32 s0, 5
	s_cbranch_scc1 .LBB39_500
; %bb.496:
	s_cmp_lt_i32 s0, 8
	s_cbranch_scc1 .LBB39_501
; %bb.497:
	;; [unrolled: 3-line block ×3, first 2 shown]
	s_cmp_gt_i32 s0, 9
	s_cbranch_scc0 .LBB39_503
; %bb.499:
	s_wait_loadcnt 0x0
	global_load_b64 v[4:5], v[8:9], off
	s_mov_b32 s25, 0
	s_wait_loadcnt 0x0
	v_cvt_i32_f64_e32 v4, v[4:5]
	s_branch .LBB39_504
.LBB39_500:
	s_mov_b32 s25, -1
                                        ; implicit-def: $vgpr4
	s_branch .LBB39_522
.LBB39_501:
	s_mov_b32 s25, -1
                                        ; implicit-def: $vgpr4
	s_branch .LBB39_510
.LBB39_502:
	s_mov_b32 s25, -1
                                        ; implicit-def: $vgpr4
	s_branch .LBB39_507
.LBB39_503:
	s_mov_b32 s25, -1
                                        ; implicit-def: $vgpr4
.LBB39_504:
	s_delay_alu instid0(SALU_CYCLE_1)
	s_and_not1_b32 vcc_lo, exec_lo, s25
	s_cbranch_vccnz .LBB39_506
; %bb.505:
	global_load_b32 v1, v[8:9], off
	s_wait_loadcnt 0x0
	v_cvt_i32_f32_e32 v4, v1
.LBB39_506:
	s_mov_b32 s25, 0
.LBB39_507:
	s_delay_alu instid0(SALU_CYCLE_1)
	s_and_not1_b32 vcc_lo, exec_lo, s25
	s_cbranch_vccnz .LBB39_509
; %bb.508:
	global_load_b32 v1, v[8:9], off
	s_wait_loadcnt 0x0
	v_cvt_i16_f16_e32 v4, v1
.LBB39_509:
	s_mov_b32 s25, 0
.LBB39_510:
	s_delay_alu instid0(SALU_CYCLE_1)
	s_and_not1_b32 vcc_lo, exec_lo, s25
	s_cbranch_vccnz .LBB39_521
; %bb.511:
	s_cmp_lt_i32 s0, 6
	s_cbranch_scc1 .LBB39_514
; %bb.512:
	s_cmp_gt_i32 s0, 6
	s_cbranch_scc0 .LBB39_515
; %bb.513:
	s_wait_loadcnt 0x0
	global_load_b64 v[4:5], v[8:9], off
	s_mov_b32 s25, 0
	s_wait_loadcnt 0x0
	v_cvt_i32_f64_e32 v4, v[4:5]
	s_branch .LBB39_516
.LBB39_514:
	s_mov_b32 s25, -1
                                        ; implicit-def: $vgpr4
	s_branch .LBB39_519
.LBB39_515:
	s_mov_b32 s25, -1
                                        ; implicit-def: $vgpr4
.LBB39_516:
	s_delay_alu instid0(SALU_CYCLE_1)
	s_and_not1_b32 vcc_lo, exec_lo, s25
	s_cbranch_vccnz .LBB39_518
; %bb.517:
	global_load_b32 v1, v[8:9], off
	s_wait_loadcnt 0x0
	v_cvt_i32_f32_e32 v4, v1
.LBB39_518:
	s_mov_b32 s25, 0
.LBB39_519:
	s_delay_alu instid0(SALU_CYCLE_1)
	s_and_not1_b32 vcc_lo, exec_lo, s25
	s_cbranch_vccnz .LBB39_521
; %bb.520:
	global_load_u16 v1, v[8:9], off
	s_wait_loadcnt 0x0
	v_cvt_i16_f16_e32 v4, v1
.LBB39_521:
	s_mov_b32 s25, 0
.LBB39_522:
	s_delay_alu instid0(SALU_CYCLE_1)
	s_and_not1_b32 vcc_lo, exec_lo, s25
	s_cbranch_vccnz .LBB39_542
; %bb.523:
	s_cmp_lt_i32 s0, 2
	s_cbranch_scc1 .LBB39_527
; %bb.524:
	s_cmp_lt_i32 s0, 3
	s_cbranch_scc1 .LBB39_528
; %bb.525:
	s_cmp_gt_i32 s0, 3
	s_cbranch_scc0 .LBB39_529
; %bb.526:
	s_wait_loadcnt 0x0
	global_load_b64 v[4:5], v[8:9], off
	s_mov_b32 s25, 0
	s_branch .LBB39_530
.LBB39_527:
	s_mov_b32 s25, -1
                                        ; implicit-def: $vgpr4
	s_branch .LBB39_536
.LBB39_528:
	s_mov_b32 s25, -1
                                        ; implicit-def: $vgpr4
	s_branch .LBB39_533
.LBB39_529:
	s_mov_b32 s25, -1
                                        ; implicit-def: $vgpr4
.LBB39_530:
	s_delay_alu instid0(SALU_CYCLE_1)
	s_and_not1_b32 vcc_lo, exec_lo, s25
	s_cbranch_vccnz .LBB39_532
; %bb.531:
	s_wait_loadcnt 0x0
	global_load_b32 v4, v[8:9], off
.LBB39_532:
	s_mov_b32 s25, 0
.LBB39_533:
	s_delay_alu instid0(SALU_CYCLE_1)
	s_and_not1_b32 vcc_lo, exec_lo, s25
	s_cbranch_vccnz .LBB39_535
; %bb.534:
	s_wait_loadcnt 0x0
	global_load_u16 v4, v[8:9], off
.LBB39_535:
	s_mov_b32 s25, 0
.LBB39_536:
	s_delay_alu instid0(SALU_CYCLE_1)
	s_and_not1_b32 vcc_lo, exec_lo, s25
	s_cbranch_vccnz .LBB39_542
; %bb.537:
	s_cmp_gt_i32 s0, 0
	s_mov_b32 s0, 0
	s_cbranch_scc0 .LBB39_539
; %bb.538:
	s_wait_loadcnt 0x0
	global_load_i8 v4, v[8:9], off
	s_branch .LBB39_540
.LBB39_539:
	s_mov_b32 s0, -1
                                        ; implicit-def: $vgpr4
.LBB39_540:
	s_delay_alu instid0(SALU_CYCLE_1)
	s_and_not1_b32 vcc_lo, exec_lo, s0
	s_cbranch_vccnz .LBB39_542
; %bb.541:
	s_wait_loadcnt 0x0
	global_load_u8 v4, v[8:9], off
.LBB39_542:
	s_branch .LBB39_414
.LBB39_543:
	s_mov_b32 s46, 0
	s_mov_b32 s0, s38
	;; [unrolled: 1-line block ×3, first 2 shown]
	s_branch .LBB39_787
.LBB39_544:
	s_and_not1_saveexec_b32 s43, s43
	s_cbranch_execz .LBB39_204
.LBB39_545:
	v_add_f32_e64 v5, 0x42800000, |v4|
	s_and_not1_b32 s42, s42, exec_lo
	s_delay_alu instid0(VALU_DEP_1) | instskip(NEXT) | instid1(VALU_DEP_1)
	v_and_b32_e32 v5, 0xff, v5
	v_cmp_ne_u32_e32 vcc_lo, 0, v5
	s_and_b32 s44, vcc_lo, exec_lo
	s_delay_alu instid0(SALU_CYCLE_1)
	s_or_b32 s42, s42, s44
	s_or_b32 exec_lo, exec_lo, s43
	v_mov_b32_e32 v6, 0
	s_and_saveexec_b32 s43, s42
	s_cbranch_execnz .LBB39_205
	s_branch .LBB39_206
.LBB39_546:
	s_mov_b32 s25, -1
	s_mov_b32 s43, 0
.LBB39_547:
                                        ; implicit-def: $vgpr8
.LBB39_548:
	s_and_b32 vcc_lo, exec_lo, s44
	s_cbranch_vccz .LBB39_552
; %bb.549:
	s_cmp_eq_u32 s42, 44
	s_cbranch_scc0 .LBB39_551
; %bb.550:
	global_load_u8 v1, v[6:7], off
	s_mov_b32 s25, 0
	s_mov_b32 s43, -1
	s_wait_loadcnt 0x0
	v_lshlrev_b32_e32 v3, 23, v1
	v_cmp_ne_u32_e32 vcc_lo, 0, v1
	s_delay_alu instid0(VALU_DEP_2) | instskip(SKIP_1) | instid1(VALU_DEP_1)
	v_cvt_i32_f32_e32 v3, v3
	s_wait_xcnt 0x1
	v_cndmask_b32_e32 v8, 0, v3, vcc_lo
	s_branch .LBB39_552
.LBB39_551:
	s_mov_b32 s25, -1
                                        ; implicit-def: $vgpr8
.LBB39_552:
	s_mov_b32 s44, 0
.LBB39_553:
	s_delay_alu instid0(SALU_CYCLE_1)
	s_and_b32 vcc_lo, exec_lo, s44
	s_cbranch_vccz .LBB39_557
; %bb.554:
	s_cmp_eq_u32 s42, 29
	s_cbranch_scc0 .LBB39_556
; %bb.555:
	global_load_b64 v[8:9], v[6:7], off
	s_mov_b32 s43, -1
	s_mov_b32 s25, 0
	s_branch .LBB39_557
.LBB39_556:
	s_mov_b32 s25, -1
                                        ; implicit-def: $vgpr8
.LBB39_557:
	s_mov_b32 s44, 0
.LBB39_558:
	s_delay_alu instid0(SALU_CYCLE_1)
	s_and_b32 vcc_lo, exec_lo, s44
	s_cbranch_vccz .LBB39_574
; %bb.559:
	s_cmp_lt_i32 s42, 27
	s_cbranch_scc1 .LBB39_562
; %bb.560:
	s_cmp_gt_i32 s42, 27
	s_cbranch_scc0 .LBB39_563
; %bb.561:
	s_wait_loadcnt 0x0
	global_load_b32 v8, v[6:7], off
	s_mov_b32 s43, 0
	s_branch .LBB39_564
.LBB39_562:
	s_mov_b32 s43, -1
                                        ; implicit-def: $vgpr8
	s_branch .LBB39_567
.LBB39_563:
	s_mov_b32 s43, -1
                                        ; implicit-def: $vgpr8
.LBB39_564:
	s_delay_alu instid0(SALU_CYCLE_1)
	s_and_not1_b32 vcc_lo, exec_lo, s43
	s_cbranch_vccnz .LBB39_566
; %bb.565:
	s_wait_loadcnt 0x0
	global_load_u16 v8, v[6:7], off
.LBB39_566:
	s_mov_b32 s43, 0
.LBB39_567:
	s_delay_alu instid0(SALU_CYCLE_1)
	s_and_not1_b32 vcc_lo, exec_lo, s43
	s_cbranch_vccnz .LBB39_573
; %bb.568:
	global_load_u8 v1, v[6:7], off
	s_mov_b32 s44, 0
	s_mov_b32 s43, exec_lo
	s_wait_loadcnt 0x0
	v_cmpx_lt_i16_e32 0x7f, v1
	s_xor_b32 s43, exec_lo, s43
	s_cbranch_execz .LBB39_585
; %bb.569:
	v_cmp_ne_u16_e32 vcc_lo, 0x80, v1
	s_and_b32 s44, vcc_lo, exec_lo
	s_and_not1_saveexec_b32 s43, s43
	s_cbranch_execnz .LBB39_586
.LBB39_570:
	s_or_b32 exec_lo, exec_lo, s43
	v_mov_b32_e32 v8, 0
	s_and_saveexec_b32 s43, s44
	s_cbranch_execz .LBB39_572
.LBB39_571:
	v_and_b32_e32 v3, 0xffff, v1
	s_delay_alu instid0(VALU_DEP_1) | instskip(SKIP_1) | instid1(VALU_DEP_2)
	v_and_b32_e32 v5, 7, v3
	v_bfe_u32 v10, v3, 3, 4
	v_clz_i32_u32_e32 v8, v5
	s_delay_alu instid0(VALU_DEP_2) | instskip(NEXT) | instid1(VALU_DEP_2)
	v_cmp_eq_u32_e32 vcc_lo, 0, v10
	v_min_u32_e32 v8, 32, v8
	s_delay_alu instid0(VALU_DEP_1) | instskip(NEXT) | instid1(VALU_DEP_1)
	v_subrev_nc_u32_e32 v9, 28, v8
	v_dual_lshlrev_b32 v3, v9, v3 :: v_dual_sub_nc_u32 v8, 29, v8
	s_delay_alu instid0(VALU_DEP_1) | instskip(NEXT) | instid1(VALU_DEP_1)
	v_dual_lshlrev_b32 v1, 24, v1 :: v_dual_bitop2_b32 v3, 7, v3 bitop3:0x40
	v_dual_cndmask_b32 v8, v10, v8 :: v_dual_cndmask_b32 v3, v5, v3
	s_delay_alu instid0(VALU_DEP_2) | instskip(NEXT) | instid1(VALU_DEP_2)
	v_and_b32_e32 v1, 0x80000000, v1
	v_lshl_add_u32 v5, v8, 23, 0x3b800000
	s_delay_alu instid0(VALU_DEP_3) | instskip(NEXT) | instid1(VALU_DEP_1)
	v_lshlrev_b32_e32 v3, 20, v3
	v_or3_b32 v1, v1, v5, v3
	s_delay_alu instid0(VALU_DEP_1)
	v_cvt_i32_f32_e32 v8, v1
.LBB39_572:
	s_or_b32 exec_lo, exec_lo, s43
.LBB39_573:
	s_mov_b32 s43, -1
.LBB39_574:
	s_mov_b32 s44, 0
.LBB39_575:
	s_delay_alu instid0(SALU_CYCLE_1)
	s_and_b32 vcc_lo, exec_lo, s44
	s_cbranch_vccz .LBB39_608
; %bb.576:
	s_cmp_gt_i32 s42, 22
	s_cbranch_scc0 .LBB39_584
; %bb.577:
	s_cmp_lt_i32 s42, 24
	s_cbranch_scc1 .LBB39_587
; %bb.578:
	s_cmp_gt_i32 s42, 24
	s_cbranch_scc0 .LBB39_588
; %bb.579:
	global_load_u8 v1, v[6:7], off
	s_mov_b32 s44, 0
	s_mov_b32 s43, exec_lo
	s_wait_loadcnt 0x0
	v_cmpx_lt_i16_e32 0x7f, v1
	s_xor_b32 s43, exec_lo, s43
	s_cbranch_execz .LBB39_600
; %bb.580:
	v_cmp_ne_u16_e32 vcc_lo, 0x80, v1
	s_and_b32 s44, vcc_lo, exec_lo
	s_and_not1_saveexec_b32 s43, s43
	s_cbranch_execnz .LBB39_601
.LBB39_581:
	s_or_b32 exec_lo, exec_lo, s43
	v_mov_b32_e32 v8, 0
	s_and_saveexec_b32 s43, s44
	s_cbranch_execz .LBB39_583
.LBB39_582:
	v_and_b32_e32 v3, 0xffff, v1
	s_delay_alu instid0(VALU_DEP_1) | instskip(SKIP_1) | instid1(VALU_DEP_2)
	v_and_b32_e32 v5, 3, v3
	v_bfe_u32 v10, v3, 2, 5
	v_clz_i32_u32_e32 v8, v5
	s_delay_alu instid0(VALU_DEP_2) | instskip(NEXT) | instid1(VALU_DEP_2)
	v_cmp_eq_u32_e32 vcc_lo, 0, v10
	v_min_u32_e32 v8, 32, v8
	s_delay_alu instid0(VALU_DEP_1) | instskip(NEXT) | instid1(VALU_DEP_1)
	v_subrev_nc_u32_e32 v9, 29, v8
	v_dual_lshlrev_b32 v3, v9, v3 :: v_dual_sub_nc_u32 v8, 30, v8
	s_delay_alu instid0(VALU_DEP_1) | instskip(NEXT) | instid1(VALU_DEP_1)
	v_dual_lshlrev_b32 v1, 24, v1 :: v_dual_bitop2_b32 v3, 3, v3 bitop3:0x40
	v_dual_cndmask_b32 v8, v10, v8 :: v_dual_cndmask_b32 v3, v5, v3
	s_delay_alu instid0(VALU_DEP_2) | instskip(NEXT) | instid1(VALU_DEP_2)
	v_and_b32_e32 v1, 0x80000000, v1
	v_lshl_add_u32 v5, v8, 23, 0x37800000
	s_delay_alu instid0(VALU_DEP_3) | instskip(NEXT) | instid1(VALU_DEP_1)
	v_lshlrev_b32_e32 v3, 21, v3
	v_or3_b32 v1, v1, v5, v3
	s_delay_alu instid0(VALU_DEP_1)
	v_cvt_i32_f32_e32 v8, v1
.LBB39_583:
	s_or_b32 exec_lo, exec_lo, s43
	s_mov_b32 s43, 0
	s_branch .LBB39_589
.LBB39_584:
	s_mov_b32 s44, -1
                                        ; implicit-def: $vgpr8
	s_branch .LBB39_595
.LBB39_585:
	s_and_not1_saveexec_b32 s43, s43
	s_cbranch_execz .LBB39_570
.LBB39_586:
	v_cmp_ne_u16_e32 vcc_lo, 0, v1
	s_and_not1_b32 s44, s44, exec_lo
	s_and_b32 s46, vcc_lo, exec_lo
	s_delay_alu instid0(SALU_CYCLE_1)
	s_or_b32 s44, s44, s46
	s_or_b32 exec_lo, exec_lo, s43
	v_mov_b32_e32 v8, 0
	s_and_saveexec_b32 s43, s44
	s_cbranch_execnz .LBB39_571
	s_branch .LBB39_572
.LBB39_587:
	s_mov_b32 s43, -1
                                        ; implicit-def: $vgpr8
	s_branch .LBB39_592
.LBB39_588:
	s_mov_b32 s43, -1
                                        ; implicit-def: $vgpr8
.LBB39_589:
	s_delay_alu instid0(SALU_CYCLE_1)
	s_and_b32 vcc_lo, exec_lo, s43
	s_cbranch_vccz .LBB39_591
; %bb.590:
	global_load_u8 v1, v[6:7], off
	s_wait_loadcnt 0x0
	v_lshlrev_b32_e32 v1, 24, v1
	s_delay_alu instid0(VALU_DEP_1) | instskip(NEXT) | instid1(VALU_DEP_1)
	v_and_b32_e32 v3, 0x7f000000, v1
	v_clz_i32_u32_e32 v5, v3
	s_wait_xcnt 0x1
	v_add_nc_u32_e32 v9, 0x1000000, v3
	v_cmp_ne_u32_e32 vcc_lo, 0, v3
	s_delay_alu instid0(VALU_DEP_3) | instskip(NEXT) | instid1(VALU_DEP_1)
	v_min_u32_e32 v5, 32, v5
	v_sub_nc_u32_e64 v5, v5, 4 clamp
	s_delay_alu instid0(VALU_DEP_1) | instskip(NEXT) | instid1(VALU_DEP_1)
	v_dual_lshlrev_b32 v8, v5, v3 :: v_dual_lshlrev_b32 v5, 23, v5
	v_lshrrev_b32_e32 v8, 4, v8
	s_delay_alu instid0(VALU_DEP_1) | instskip(SKIP_1) | instid1(VALU_DEP_2)
	v_sub_nc_u32_e32 v5, v8, v5
	v_ashrrev_i32_e32 v8, 8, v9
	v_add_nc_u32_e32 v5, 0x3c000000, v5
	s_delay_alu instid0(VALU_DEP_1) | instskip(NEXT) | instid1(VALU_DEP_1)
	v_and_or_b32 v5, 0x7f800000, v8, v5
	v_cndmask_b32_e32 v3, 0, v5, vcc_lo
	s_delay_alu instid0(VALU_DEP_1) | instskip(NEXT) | instid1(VALU_DEP_1)
	v_and_or_b32 v1, 0x80000000, v1, v3
	v_cvt_i32_f32_e32 v8, v1
.LBB39_591:
	s_mov_b32 s43, 0
.LBB39_592:
	s_delay_alu instid0(SALU_CYCLE_1)
	s_and_not1_b32 vcc_lo, exec_lo, s43
	s_cbranch_vccnz .LBB39_594
; %bb.593:
	global_load_u8 v1, v[6:7], off
	s_wait_loadcnt 0x0
	v_lshlrev_b32_e32 v3, 25, v1
	v_lshlrev_b16 v1, 8, v1
	s_wait_xcnt 0x1
	s_delay_alu instid0(VALU_DEP_1) | instskip(SKIP_1) | instid1(VALU_DEP_2)
	v_and_or_b32 v8, 0x7f00, v1, 0.5
	v_bfe_i32 v1, v1, 0, 16
	v_dual_add_f32 v8, -0.5, v8 :: v_dual_lshrrev_b32 v5, 4, v3
	v_cmp_gt_u32_e32 vcc_lo, 0x8000000, v3
	s_delay_alu instid0(VALU_DEP_2) | instskip(NEXT) | instid1(VALU_DEP_1)
	v_or_b32_e32 v5, 0x70000000, v5
	v_mul_f32_e32 v5, 0x7800000, v5
	s_delay_alu instid0(VALU_DEP_1) | instskip(NEXT) | instid1(VALU_DEP_1)
	v_cndmask_b32_e32 v3, v5, v8, vcc_lo
	v_and_or_b32 v1, 0x80000000, v1, v3
	s_delay_alu instid0(VALU_DEP_1)
	v_cvt_i32_f32_e32 v8, v1
.LBB39_594:
	s_mov_b32 s44, 0
	s_mov_b32 s43, -1
.LBB39_595:
	s_and_not1_b32 vcc_lo, exec_lo, s44
	s_cbranch_vccnz .LBB39_608
; %bb.596:
	s_cmp_gt_i32 s42, 14
	s_cbranch_scc0 .LBB39_599
; %bb.597:
	s_cmp_eq_u32 s42, 15
	s_cbranch_scc0 .LBB39_602
; %bb.598:
	global_load_u16 v1, v[6:7], off
	s_mov_b32 s43, -1
	s_mov_b32 s25, 0
	s_wait_loadcnt 0x0
	v_lshlrev_b32_e32 v1, 16, v1
	s_wait_xcnt 0x1
	s_delay_alu instid0(VALU_DEP_1)
	v_cvt_i32_f32_e32 v8, v1
	s_branch .LBB39_603
.LBB39_599:
	s_mov_b32 s44, -1
                                        ; implicit-def: $vgpr8
	s_branch .LBB39_604
.LBB39_600:
	s_and_not1_saveexec_b32 s43, s43
	s_cbranch_execz .LBB39_581
.LBB39_601:
	v_cmp_ne_u16_e32 vcc_lo, 0, v1
	s_and_not1_b32 s44, s44, exec_lo
	s_and_b32 s46, vcc_lo, exec_lo
	s_delay_alu instid0(SALU_CYCLE_1)
	s_or_b32 s44, s44, s46
	s_or_b32 exec_lo, exec_lo, s43
	v_mov_b32_e32 v8, 0
	s_and_saveexec_b32 s43, s44
	s_cbranch_execnz .LBB39_582
	s_branch .LBB39_583
.LBB39_602:
	s_mov_b32 s25, -1
                                        ; implicit-def: $vgpr8
.LBB39_603:
	s_mov_b32 s44, 0
.LBB39_604:
	s_delay_alu instid0(SALU_CYCLE_1)
	s_and_b32 vcc_lo, exec_lo, s44
	s_cbranch_vccz .LBB39_608
; %bb.605:
	s_cmp_eq_u32 s42, 11
	s_cbranch_scc0 .LBB39_607
; %bb.606:
	global_load_u8 v1, v[6:7], off
	s_mov_b32 s25, 0
	s_mov_b32 s43, -1
	s_wait_loadcnt 0x0
	v_cmp_ne_u16_e32 vcc_lo, 0, v1
	s_wait_xcnt 0x1
	v_cndmask_b32_e64 v8, 0, 1, vcc_lo
	s_branch .LBB39_608
.LBB39_607:
	s_mov_b32 s25, -1
                                        ; implicit-def: $vgpr8
.LBB39_608:
	s_mov_b32 s42, 0
.LBB39_609:
	s_delay_alu instid0(SALU_CYCLE_1)
	s_and_b32 vcc_lo, exec_lo, s42
	s_cbranch_vccz .LBB39_658
; %bb.610:
	s_and_b32 s0, 0xffff, s0
	s_delay_alu instid0(SALU_CYCLE_1)
	s_cmp_lt_i32 s0, 5
	s_cbranch_scc1 .LBB39_615
; %bb.611:
	s_cmp_lt_i32 s0, 8
	s_cbranch_scc1 .LBB39_616
; %bb.612:
	;; [unrolled: 3-line block ×3, first 2 shown]
	s_cmp_gt_i32 s0, 9
	s_cbranch_scc0 .LBB39_618
; %bb.614:
	s_wait_loadcnt 0x0
	global_load_b64 v[8:9], v[6:7], off
	s_mov_b32 s42, 0
	s_wait_loadcnt 0x0
	v_cvt_i32_f64_e32 v8, v[8:9]
	s_branch .LBB39_619
.LBB39_615:
	s_mov_b32 s42, -1
                                        ; implicit-def: $vgpr8
	s_branch .LBB39_637
.LBB39_616:
	s_mov_b32 s42, -1
                                        ; implicit-def: $vgpr8
	s_branch .LBB39_625
.LBB39_617:
	s_mov_b32 s42, -1
                                        ; implicit-def: $vgpr8
	s_branch .LBB39_622
.LBB39_618:
	s_mov_b32 s42, -1
                                        ; implicit-def: $vgpr8
.LBB39_619:
	s_delay_alu instid0(SALU_CYCLE_1)
	s_and_not1_b32 vcc_lo, exec_lo, s42
	s_cbranch_vccnz .LBB39_621
; %bb.620:
	global_load_b32 v1, v[6:7], off
	s_wait_loadcnt 0x0
	s_wait_xcnt 0x1
	v_cvt_i32_f32_e32 v8, v1
.LBB39_621:
	s_mov_b32 s42, 0
.LBB39_622:
	s_delay_alu instid0(SALU_CYCLE_1)
	s_and_not1_b32 vcc_lo, exec_lo, s42
	s_cbranch_vccnz .LBB39_624
; %bb.623:
	global_load_b32 v1, v[6:7], off
	s_wait_loadcnt 0x0
	s_wait_xcnt 0x1
	v_cvt_i16_f16_e32 v8, v1
.LBB39_624:
	s_mov_b32 s42, 0
.LBB39_625:
	s_delay_alu instid0(SALU_CYCLE_1)
	s_and_not1_b32 vcc_lo, exec_lo, s42
	s_cbranch_vccnz .LBB39_636
; %bb.626:
	s_cmp_lt_i32 s0, 6
	s_cbranch_scc1 .LBB39_629
; %bb.627:
	s_cmp_gt_i32 s0, 6
	s_cbranch_scc0 .LBB39_630
; %bb.628:
	s_wait_loadcnt 0x0
	global_load_b64 v[8:9], v[6:7], off
	s_mov_b32 s42, 0
	s_wait_loadcnt 0x0
	v_cvt_i32_f64_e32 v8, v[8:9]
	s_branch .LBB39_631
.LBB39_629:
	s_mov_b32 s42, -1
                                        ; implicit-def: $vgpr8
	s_branch .LBB39_634
.LBB39_630:
	s_mov_b32 s42, -1
                                        ; implicit-def: $vgpr8
.LBB39_631:
	s_delay_alu instid0(SALU_CYCLE_1)
	s_and_not1_b32 vcc_lo, exec_lo, s42
	s_cbranch_vccnz .LBB39_633
; %bb.632:
	global_load_b32 v1, v[6:7], off
	s_wait_loadcnt 0x0
	s_wait_xcnt 0x1
	v_cvt_i32_f32_e32 v8, v1
.LBB39_633:
	s_mov_b32 s42, 0
.LBB39_634:
	s_delay_alu instid0(SALU_CYCLE_1)
	s_and_not1_b32 vcc_lo, exec_lo, s42
	s_cbranch_vccnz .LBB39_636
; %bb.635:
	global_load_u16 v1, v[6:7], off
	s_wait_loadcnt 0x0
	s_wait_xcnt 0x1
	v_cvt_i16_f16_e32 v8, v1
.LBB39_636:
	s_mov_b32 s42, 0
.LBB39_637:
	s_delay_alu instid0(SALU_CYCLE_1)
	s_and_not1_b32 vcc_lo, exec_lo, s42
	s_cbranch_vccnz .LBB39_657
; %bb.638:
	s_cmp_lt_i32 s0, 2
	s_cbranch_scc1 .LBB39_642
; %bb.639:
	s_cmp_lt_i32 s0, 3
	s_cbranch_scc1 .LBB39_643
; %bb.640:
	s_cmp_gt_i32 s0, 3
	s_cbranch_scc0 .LBB39_644
; %bb.641:
	s_wait_loadcnt 0x0
	global_load_b64 v[8:9], v[6:7], off
	s_mov_b32 s42, 0
	s_branch .LBB39_645
.LBB39_642:
	s_mov_b32 s42, -1
                                        ; implicit-def: $vgpr8
	s_branch .LBB39_651
.LBB39_643:
	s_mov_b32 s42, -1
                                        ; implicit-def: $vgpr8
	s_branch .LBB39_648
.LBB39_644:
	s_mov_b32 s42, -1
                                        ; implicit-def: $vgpr8
.LBB39_645:
	s_delay_alu instid0(SALU_CYCLE_1)
	s_and_not1_b32 vcc_lo, exec_lo, s42
	s_cbranch_vccnz .LBB39_647
; %bb.646:
	s_wait_loadcnt 0x0
	global_load_b32 v8, v[6:7], off
.LBB39_647:
	s_mov_b32 s42, 0
.LBB39_648:
	s_delay_alu instid0(SALU_CYCLE_1)
	s_and_not1_b32 vcc_lo, exec_lo, s42
	s_cbranch_vccnz .LBB39_650
; %bb.649:
	s_wait_loadcnt 0x0
	global_load_u16 v8, v[6:7], off
.LBB39_650:
	s_mov_b32 s42, 0
.LBB39_651:
	s_delay_alu instid0(SALU_CYCLE_1)
	s_and_not1_b32 vcc_lo, exec_lo, s42
	s_cbranch_vccnz .LBB39_657
; %bb.652:
	s_cmp_gt_i32 s0, 0
	s_mov_b32 s0, 0
	s_cbranch_scc0 .LBB39_654
; %bb.653:
	s_wait_loadcnt 0x0
	global_load_i8 v8, v[6:7], off
	s_branch .LBB39_655
.LBB39_654:
	s_mov_b32 s0, -1
                                        ; implicit-def: $vgpr8
.LBB39_655:
	s_delay_alu instid0(SALU_CYCLE_1)
	s_and_not1_b32 vcc_lo, exec_lo, s0
	s_cbranch_vccnz .LBB39_657
; %bb.656:
	s_wait_loadcnt 0x0
	global_load_u8 v8, v[6:7], off
.LBB39_657:
	s_mov_b32 s43, -1
.LBB39_658:
	s_delay_alu instid0(SALU_CYCLE_1)
	s_and_not1_b32 vcc_lo, exec_lo, s43
	s_cbranch_vccnz .LBB39_670
; %bb.659:
	s_wait_loadcnt 0x0
	s_delay_alu instid0(VALU_DEP_1) | instskip(SKIP_2) | instid1(VALU_DEP_1)
	v_sub_nc_u16 v1, 0, v8
	s_mov_b32 s42, 0
	s_mov_b32 s0, exec_lo
	v_max_i16 v1, v8, v1
	s_wait_xcnt 0x0
	v_cmpx_ne_u16_e32 0, v4
	s_cbranch_execz .LBB39_663
; %bb.660:
	v_sub_nc_u16 v3, 0, v4
	s_delay_alu instid0(VALU_DEP_1) | instskip(SKIP_1) | instid1(VALU_DEP_2)
	v_max_i16 v4, v4, v3
	v_and_b32_e32 v3, 0xffff, v1
	v_and_b32_e32 v4, 0xffff, v4
.LBB39_661:                             ; =>This Inner Loop Header: Depth=1
	s_delay_alu instid0(VALU_DEP_1) | instskip(NEXT) | instid1(VALU_DEP_2)
	v_bfe_i32 v6, v3, 0, 16
	v_mov_b32_e32 v1, v4
	s_delay_alu instid0(VALU_DEP_2) | instskip(NEXT) | instid1(VALU_DEP_2)
	v_cvt_f32_i32_e32 v8, v6
	v_bfe_i32 v4, v1, 0, 16
	s_delay_alu instid0(VALU_DEP_1) | instskip(SKIP_1) | instid1(VALU_DEP_2)
	v_cvt_f32_i32_e32 v5, v4
	v_xor_b32_e32 v4, v6, v4
	v_rcp_iflag_f32_e32 v7, v5
	v_nop
	s_delay_alu instid0(TRANS32_DEP_1) | instskip(NEXT) | instid1(VALU_DEP_1)
	v_dual_ashrrev_i32 v4, 30, v4 :: v_dual_mul_f32 v6, v8, v7
	v_trunc_f32_e32 v6, v6
	s_delay_alu instid0(VALU_DEP_1) | instskip(SKIP_1) | instid1(VALU_DEP_2)
	v_dual_fma_f32 v7, -v6, v5, v8 :: v_dual_bitop2_b32 v4, 1, v4 bitop3:0x54
	v_cvt_i32_f32_e32 v6, v6
	v_cmp_ge_f32_e64 vcc_lo, |v7|, |v5|
	s_delay_alu instid0(VALU_DEP_3) | instskip(NEXT) | instid1(VALU_DEP_1)
	v_cndmask_b32_e32 v4, 0, v4, vcc_lo
	v_add_nc_u32_e32 v4, v6, v4
	s_delay_alu instid0(VALU_DEP_1) | instskip(NEXT) | instid1(VALU_DEP_1)
	v_mul_lo_u32 v4, v4, v1
	v_sub_nc_u32_e32 v4, v3, v4
	s_delay_alu instid0(VALU_DEP_1) | instskip(SKIP_1) | instid1(VALU_DEP_2)
	v_and_b32_e32 v3, 0xffff, v4
	v_bfe_i32 v4, v4, 0, 16
	v_cmp_eq_u32_e32 vcc_lo, 0, v3
	v_mov_b32_e32 v3, v1
	s_or_b32 s42, vcc_lo, s42
	s_delay_alu instid0(SALU_CYCLE_1)
	s_and_not1_b32 exec_lo, exec_lo, s42
	s_cbranch_execnz .LBB39_661
; %bb.662:
	s_or_b32 exec_lo, exec_lo, s42
.LBB39_663:
	s_delay_alu instid0(SALU_CYCLE_1) | instskip(SKIP_2) | instid1(SALU_CYCLE_1)
	s_or_b32 exec_lo, exec_lo, s0
	v_mov_b32_e32 v3, 0
	s_and_b32 s42, s31, 0xff
	s_cmp_lt_i32 s42, 11
	s_delay_alu instid0(VALU_DEP_1)
	v_add_nc_u64_e32 v[2:3], s[4:5], v[2:3]
	s_cbranch_scc1 .LBB39_671
; %bb.664:
	s_and_b32 s43, 0xffff, s42
	s_delay_alu instid0(SALU_CYCLE_1)
	s_cmp_gt_i32 s43, 25
	s_cbranch_scc0 .LBB39_672
; %bb.665:
	s_cmp_gt_i32 s43, 28
	s_cbranch_scc0 .LBB39_673
; %bb.666:
	;; [unrolled: 3-line block ×4, first 2 shown]
	s_mov_b32 s46, 0
	s_mov_b32 s0, -1
	s_cmp_eq_u32 s43, 46
	s_mov_b32 s44, 0
	s_cbranch_scc0 .LBB39_676
; %bb.669:
	v_bfe_i32 v4, v1, 0, 16
	s_mov_b32 s44, -1
	s_mov_b32 s0, 0
	s_delay_alu instid0(VALU_DEP_1) | instskip(NEXT) | instid1(VALU_DEP_1)
	v_cvt_f32_i32_e32 v4, v4
	v_bfe_u32 v5, v4, 16, 1
	s_delay_alu instid0(VALU_DEP_1) | instskip(NEXT) | instid1(VALU_DEP_1)
	v_add3_u32 v4, v4, v5, 0x7fff
	v_lshrrev_b32_e32 v4, 16, v4
	global_store_b32 v[2:3], v4, off
	s_branch .LBB39_676
.LBB39_670:
	s_mov_b32 s46, 0
	s_mov_b32 s0, s38
	s_branch .LBB39_787
.LBB39_671:
	s_mov_b32 s43, -1
	s_mov_b32 s44, 0
	s_mov_b32 s0, s38
	s_branch .LBB39_745
.LBB39_672:
	s_mov_b32 s46, -1
	s_mov_b32 s44, 0
	s_mov_b32 s0, s38
	s_branch .LBB39_703
.LBB39_673:
	s_mov_b32 s46, -1
	s_mov_b32 s44, 0
	s_mov_b32 s0, s38
	s_branch .LBB39_686
.LBB39_674:
	s_mov_b32 s46, -1
	s_mov_b32 s44, 0
	s_mov_b32 s0, s38
	s_branch .LBB39_682
.LBB39_675:
	s_mov_b32 s46, -1
	s_mov_b32 s44, 0
	s_mov_b32 s0, s38
.LBB39_676:
	s_and_b32 vcc_lo, exec_lo, s46
	s_cbranch_vccz .LBB39_681
; %bb.677:
	s_cmp_eq_u32 s43, 44
	s_mov_b32 s0, -1
	s_cbranch_scc0 .LBB39_681
; %bb.678:
	s_wait_xcnt 0x0
	v_bfe_i32 v4, v1, 0, 16
	v_mov_b32_e32 v5, 0xff
	s_mov_b32 s44, exec_lo
	s_delay_alu instid0(VALU_DEP_2) | instskip(NEXT) | instid1(VALU_DEP_1)
	v_cvt_f32_i32_e32 v4, v4
	v_bfe_u32 v6, v4, 23, 8
	s_delay_alu instid0(VALU_DEP_1)
	v_cmpx_ne_u32_e32 0xff, v6
	s_cbranch_execz .LBB39_680
; %bb.679:
	v_and_b32_e32 v5, 0x400000, v4
	v_and_or_b32 v6, 0x3fffff, v4, v6
	v_lshrrev_b32_e32 v4, 23, v4
	s_delay_alu instid0(VALU_DEP_3) | instskip(NEXT) | instid1(VALU_DEP_3)
	v_cmp_ne_u32_e32 vcc_lo, 0, v5
	v_cmp_ne_u32_e64 s0, 0, v6
	s_and_b32 s0, vcc_lo, s0
	s_delay_alu instid0(SALU_CYCLE_1) | instskip(NEXT) | instid1(VALU_DEP_1)
	v_cndmask_b32_e64 v5, 0, 1, s0
	v_add_nc_u32_e32 v5, v4, v5
.LBB39_680:
	s_or_b32 exec_lo, exec_lo, s44
	s_mov_b32 s44, -1
	s_mov_b32 s0, 0
	global_store_b8 v[2:3], v5, off
.LBB39_681:
	s_mov_b32 s46, 0
.LBB39_682:
	s_delay_alu instid0(SALU_CYCLE_1)
	s_and_b32 vcc_lo, exec_lo, s46
	s_cbranch_vccz .LBB39_685
; %bb.683:
	s_cmp_eq_u32 s43, 29
	s_mov_b32 s0, -1
	s_cbranch_scc0 .LBB39_685
; %bb.684:
	s_wait_xcnt 0x0
	v_bfe_i32 v4, v1, 0, 16
	s_mov_b32 s0, 0
	s_mov_b32 s44, -1
	s_mov_b32 s46, 0
	s_delay_alu instid0(VALU_DEP_1)
	v_ashrrev_i32_e32 v5, 31, v4
	global_store_b64 v[2:3], v[4:5], off
	s_branch .LBB39_686
.LBB39_685:
	s_mov_b32 s46, 0
.LBB39_686:
	s_delay_alu instid0(SALU_CYCLE_1)
	s_and_b32 vcc_lo, exec_lo, s46
	s_cbranch_vccz .LBB39_702
; %bb.687:
	s_cmp_lt_i32 s43, 27
	s_mov_b32 s44, -1
	s_cbranch_scc1 .LBB39_693
; %bb.688:
	s_cmp_gt_i32 s43, 27
	s_cbranch_scc0 .LBB39_690
; %bb.689:
	s_wait_xcnt 0x0
	v_bfe_i32 v4, v1, 0, 16
	s_mov_b32 s44, 0
	global_store_b32 v[2:3], v4, off
.LBB39_690:
	s_and_not1_b32 vcc_lo, exec_lo, s44
	s_cbranch_vccnz .LBB39_692
; %bb.691:
	global_store_b16 v[2:3], v1, off
.LBB39_692:
	s_mov_b32 s44, 0
.LBB39_693:
	s_delay_alu instid0(SALU_CYCLE_1)
	s_and_not1_b32 vcc_lo, exec_lo, s44
	s_cbranch_vccnz .LBB39_701
; %bb.694:
	s_wait_xcnt 0x0
	v_bfe_i32 v4, v1, 0, 16
	v_mov_b32_e32 v6, 0x80
	s_mov_b32 s44, exec_lo
	s_delay_alu instid0(VALU_DEP_2) | instskip(NEXT) | instid1(VALU_DEP_1)
	v_cvt_f32_i32_e32 v4, v4
	v_and_b32_e32 v5, 0x7fffffff, v4
	s_delay_alu instid0(VALU_DEP_1)
	v_cmpx_gt_u32_e32 0x43800000, v5
	s_cbranch_execz .LBB39_700
; %bb.695:
	v_cmp_lt_u32_e32 vcc_lo, 0x3bffffff, v5
	s_mov_b32 s46, 0
                                        ; implicit-def: $vgpr5
	s_and_saveexec_b32 s47, vcc_lo
	s_delay_alu instid0(SALU_CYCLE_1)
	s_xor_b32 s47, exec_lo, s47
	s_cbranch_execz .LBB39_815
; %bb.696:
	v_bfe_u32 v5, v4, 20, 1
	s_mov_b32 s46, exec_lo
	s_delay_alu instid0(VALU_DEP_1) | instskip(NEXT) | instid1(VALU_DEP_1)
	v_add3_u32 v5, v4, v5, 0x487ffff
	v_lshrrev_b32_e32 v5, 20, v5
	s_and_not1_saveexec_b32 s47, s47
	s_cbranch_execnz .LBB39_816
.LBB39_697:
	s_or_b32 exec_lo, exec_lo, s47
	v_mov_b32_e32 v6, 0
	s_and_saveexec_b32 s47, s46
.LBB39_698:
	v_lshrrev_b32_e32 v4, 24, v4
	s_delay_alu instid0(VALU_DEP_1)
	v_and_or_b32 v6, 0x80, v4, v5
.LBB39_699:
	s_or_b32 exec_lo, exec_lo, s47
.LBB39_700:
	s_delay_alu instid0(SALU_CYCLE_1)
	s_or_b32 exec_lo, exec_lo, s44
	global_store_b8 v[2:3], v6, off
.LBB39_701:
	s_mov_b32 s44, -1
.LBB39_702:
	s_mov_b32 s46, 0
.LBB39_703:
	s_delay_alu instid0(SALU_CYCLE_1)
	s_and_b32 vcc_lo, exec_lo, s46
	s_cbranch_vccz .LBB39_744
; %bb.704:
	s_cmp_gt_i32 s43, 22
	s_mov_b32 s46, -1
	s_cbranch_scc0 .LBB39_736
; %bb.705:
	s_cmp_lt_i32 s43, 24
	s_mov_b32 s44, -1
	s_cbranch_scc1 .LBB39_725
; %bb.706:
	s_cmp_gt_i32 s43, 24
	s_cbranch_scc0 .LBB39_714
; %bb.707:
	s_wait_xcnt 0x0
	v_bfe_i32 v4, v1, 0, 16
	v_mov_b32_e32 v6, 0x80
	s_mov_b32 s44, exec_lo
	s_delay_alu instid0(VALU_DEP_2) | instskip(NEXT) | instid1(VALU_DEP_1)
	v_cvt_f32_i32_e32 v4, v4
	v_and_b32_e32 v5, 0x7fffffff, v4
	s_delay_alu instid0(VALU_DEP_1)
	v_cmpx_gt_u32_e32 0x47800000, v5
	s_cbranch_execz .LBB39_713
; %bb.708:
	v_cmp_lt_u32_e32 vcc_lo, 0x37ffffff, v5
	s_mov_b32 s46, 0
                                        ; implicit-def: $vgpr5
	s_and_saveexec_b32 s47, vcc_lo
	s_delay_alu instid0(SALU_CYCLE_1)
	s_xor_b32 s47, exec_lo, s47
	s_cbranch_execz .LBB39_943
; %bb.709:
	v_bfe_u32 v5, v4, 21, 1
	s_mov_b32 s46, exec_lo
	s_delay_alu instid0(VALU_DEP_1) | instskip(NEXT) | instid1(VALU_DEP_1)
	v_add3_u32 v5, v4, v5, 0x88fffff
	v_lshrrev_b32_e32 v5, 21, v5
	s_and_not1_saveexec_b32 s47, s47
	s_cbranch_execnz .LBB39_944
.LBB39_710:
	s_or_b32 exec_lo, exec_lo, s47
	v_mov_b32_e32 v6, 0
	s_and_saveexec_b32 s47, s46
.LBB39_711:
	v_lshrrev_b32_e32 v4, 24, v4
	s_delay_alu instid0(VALU_DEP_1)
	v_and_or_b32 v6, 0x80, v4, v5
.LBB39_712:
	s_or_b32 exec_lo, exec_lo, s47
.LBB39_713:
	s_delay_alu instid0(SALU_CYCLE_1)
	s_or_b32 exec_lo, exec_lo, s44
	s_mov_b32 s44, 0
	global_store_b8 v[2:3], v6, off
.LBB39_714:
	s_and_b32 vcc_lo, exec_lo, s44
	s_cbranch_vccz .LBB39_724
; %bb.715:
	s_wait_xcnt 0x0
	v_bfe_i32 v4, v1, 0, 16
	s_mov_b32 s44, exec_lo
                                        ; implicit-def: $vgpr5
	s_delay_alu instid0(VALU_DEP_1) | instskip(NEXT) | instid1(VALU_DEP_1)
	v_cvt_f32_i32_e32 v4, v4
	v_and_b32_e32 v6, 0x7fffffff, v4
	s_delay_alu instid0(VALU_DEP_1)
	v_cmpx_gt_u32_e32 0x43f00000, v6
	s_xor_b32 s44, exec_lo, s44
	s_cbranch_execz .LBB39_721
; %bb.716:
	s_mov_b32 s46, exec_lo
                                        ; implicit-def: $vgpr5
	v_cmpx_lt_u32_e32 0x3c7fffff, v6
	s_xor_b32 s46, exec_lo, s46
; %bb.717:
	v_bfe_u32 v5, v4, 20, 1
	s_delay_alu instid0(VALU_DEP_1) | instskip(NEXT) | instid1(VALU_DEP_1)
	v_add3_u32 v5, v4, v5, 0x407ffff
	v_and_b32_e32 v6, 0xff00000, v5
	v_lshrrev_b32_e32 v5, 20, v5
	s_delay_alu instid0(VALU_DEP_2) | instskip(NEXT) | instid1(VALU_DEP_2)
	v_cmp_ne_u32_e32 vcc_lo, 0x7f00000, v6
	v_cndmask_b32_e32 v5, 0x7e, v5, vcc_lo
; %bb.718:
	s_and_not1_saveexec_b32 s46, s46
; %bb.719:
	v_add_f32_e64 v5, 0x46800000, |v4|
; %bb.720:
	s_or_b32 exec_lo, exec_lo, s46
                                        ; implicit-def: $vgpr6
.LBB39_721:
	s_and_not1_saveexec_b32 s44, s44
; %bb.722:
	v_mov_b32_e32 v5, 0x7f
	v_cmp_lt_u32_e32 vcc_lo, 0x7f800000, v6
	s_delay_alu instid0(VALU_DEP_2)
	v_cndmask_b32_e32 v5, 0x7e, v5, vcc_lo
; %bb.723:
	s_or_b32 exec_lo, exec_lo, s44
	v_lshrrev_b32_e32 v4, 24, v4
	s_delay_alu instid0(VALU_DEP_1)
	v_and_or_b32 v4, 0x80, v4, v5
	global_store_b8 v[2:3], v4, off
.LBB39_724:
	s_mov_b32 s44, 0
.LBB39_725:
	s_delay_alu instid0(SALU_CYCLE_1)
	s_and_not1_b32 vcc_lo, exec_lo, s44
	s_cbranch_vccnz .LBB39_735
; %bb.726:
	s_wait_xcnt 0x0
	v_bfe_i32 v4, v1, 0, 16
	s_mov_b32 s44, exec_lo
                                        ; implicit-def: $vgpr5
	s_delay_alu instid0(VALU_DEP_1) | instskip(NEXT) | instid1(VALU_DEP_1)
	v_cvt_f32_i32_e32 v4, v4
	v_and_b32_e32 v6, 0x7fffffff, v4
	s_delay_alu instid0(VALU_DEP_1)
	v_cmpx_gt_u32_e32 0x47800000, v6
	s_xor_b32 s44, exec_lo, s44
	s_cbranch_execz .LBB39_732
; %bb.727:
	s_mov_b32 s46, exec_lo
                                        ; implicit-def: $vgpr5
	v_cmpx_lt_u32_e32 0x387fffff, v6
	s_xor_b32 s46, exec_lo, s46
; %bb.728:
	v_bfe_u32 v5, v4, 21, 1
	s_delay_alu instid0(VALU_DEP_1) | instskip(NEXT) | instid1(VALU_DEP_1)
	v_add3_u32 v5, v4, v5, 0x80fffff
	v_lshrrev_b32_e32 v5, 21, v5
; %bb.729:
	s_and_not1_saveexec_b32 s46, s46
; %bb.730:
	v_add_f32_e64 v5, 0x43000000, |v4|
; %bb.731:
	s_or_b32 exec_lo, exec_lo, s46
                                        ; implicit-def: $vgpr6
.LBB39_732:
	s_and_not1_saveexec_b32 s44, s44
; %bb.733:
	v_mov_b32_e32 v5, 0x7f
	v_cmp_lt_u32_e32 vcc_lo, 0x7f800000, v6
	s_delay_alu instid0(VALU_DEP_2)
	v_cndmask_b32_e32 v5, 0x7c, v5, vcc_lo
; %bb.734:
	s_or_b32 exec_lo, exec_lo, s44
	v_lshrrev_b32_e32 v4, 24, v4
	s_delay_alu instid0(VALU_DEP_1)
	v_and_or_b32 v4, 0x80, v4, v5
	global_store_b8 v[2:3], v4, off
.LBB39_735:
	s_mov_b32 s46, 0
	s_mov_b32 s44, -1
.LBB39_736:
	s_and_not1_b32 vcc_lo, exec_lo, s46
	s_cbranch_vccnz .LBB39_744
; %bb.737:
	s_cmp_gt_i32 s43, 14
	s_mov_b32 s46, -1
	s_cbranch_scc0 .LBB39_741
; %bb.738:
	s_cmp_eq_u32 s43, 15
	s_mov_b32 s0, -1
	s_cbranch_scc0 .LBB39_740
; %bb.739:
	s_wait_xcnt 0x0
	v_bfe_i32 v4, v1, 0, 16
	s_mov_b32 s44, -1
	s_mov_b32 s0, 0
	s_delay_alu instid0(VALU_DEP_1) | instskip(NEXT) | instid1(VALU_DEP_1)
	v_cvt_f32_i32_e32 v4, v4
	v_bfe_u32 v5, v4, 16, 1
	s_delay_alu instid0(VALU_DEP_1)
	v_add3_u32 v4, v4, v5, 0x7fff
	global_store_d16_hi_b16 v[2:3], v4, off
.LBB39_740:
	s_mov_b32 s46, 0
.LBB39_741:
	s_delay_alu instid0(SALU_CYCLE_1)
	s_and_b32 vcc_lo, exec_lo, s46
	s_cbranch_vccz .LBB39_744
; %bb.742:
	s_cmp_eq_u32 s43, 11
	s_mov_b32 s0, -1
	s_cbranch_scc0 .LBB39_744
; %bb.743:
	v_cmp_ne_u16_e32 vcc_lo, 0, v1
	s_mov_b32 s0, 0
	s_mov_b32 s44, -1
	s_wait_xcnt 0x0
	v_cndmask_b32_e64 v4, 0, 1, vcc_lo
	global_store_b8 v[2:3], v4, off
.LBB39_744:
	s_mov_b32 s43, 0
.LBB39_745:
	s_delay_alu instid0(SALU_CYCLE_1)
	s_and_b32 vcc_lo, exec_lo, s43
	s_cbranch_vccz .LBB39_784
; %bb.746:
	s_and_b32 s42, 0xffff, s42
	s_mov_b32 s43, -1
	s_cmp_lt_i32 s42, 5
	s_cbranch_scc1 .LBB39_767
; %bb.747:
	s_cmp_lt_i32 s42, 8
	s_cbranch_scc1 .LBB39_757
; %bb.748:
	;; [unrolled: 3-line block ×3, first 2 shown]
	s_cmp_gt_i32 s42, 9
	s_cbranch_scc0 .LBB39_751
; %bb.750:
	s_wait_xcnt 0x0
	v_bfe_i32 v4, v1, 0, 16
	v_mov_b32_e32 v6, 0
	s_mov_b32 s43, 0
	s_delay_alu instid0(VALU_DEP_2) | instskip(NEXT) | instid1(VALU_DEP_2)
	v_cvt_f64_i32_e32 v[4:5], v4
	v_mov_b32_e32 v7, v6
	global_store_b128 v[2:3], v[4:7], off
.LBB39_751:
	s_and_not1_b32 vcc_lo, exec_lo, s43
	s_cbranch_vccnz .LBB39_753
; %bb.752:
	s_wait_xcnt 0x0
	v_bfe_i32 v4, v1, 0, 16
	v_mov_b32_e32 v5, 0
	s_delay_alu instid0(VALU_DEP_2)
	v_cvt_f32_i32_e32 v4, v4
	global_store_b64 v[2:3], v[4:5], off
.LBB39_753:
	s_mov_b32 s43, 0
.LBB39_754:
	s_delay_alu instid0(SALU_CYCLE_1)
	s_and_not1_b32 vcc_lo, exec_lo, s43
	s_cbranch_vccnz .LBB39_756
; %bb.755:
	s_wait_xcnt 0x0
	v_cvt_f16_i16_e32 v4, v1
	s_delay_alu instid0(VALU_DEP_1)
	v_and_b32_e32 v4, 0xffff, v4
	global_store_b32 v[2:3], v4, off
.LBB39_756:
	s_mov_b32 s43, 0
.LBB39_757:
	s_delay_alu instid0(SALU_CYCLE_1)
	s_and_not1_b32 vcc_lo, exec_lo, s43
	s_cbranch_vccnz .LBB39_766
; %bb.758:
	s_cmp_lt_i32 s42, 6
	s_mov_b32 s43, -1
	s_cbranch_scc1 .LBB39_764
; %bb.759:
	s_cmp_gt_i32 s42, 6
	s_cbranch_scc0 .LBB39_761
; %bb.760:
	s_wait_xcnt 0x0
	v_bfe_i32 v4, v1, 0, 16
	s_mov_b32 s43, 0
	s_delay_alu instid0(VALU_DEP_1)
	v_cvt_f64_i32_e32 v[4:5], v4
	global_store_b64 v[2:3], v[4:5], off
.LBB39_761:
	s_and_not1_b32 vcc_lo, exec_lo, s43
	s_cbranch_vccnz .LBB39_763
; %bb.762:
	s_wait_xcnt 0x0
	v_bfe_i32 v4, v1, 0, 16
	s_delay_alu instid0(VALU_DEP_1)
	v_cvt_f32_i32_e32 v4, v4
	global_store_b32 v[2:3], v4, off
.LBB39_763:
	s_mov_b32 s43, 0
.LBB39_764:
	s_delay_alu instid0(SALU_CYCLE_1)
	s_and_not1_b32 vcc_lo, exec_lo, s43
	s_cbranch_vccnz .LBB39_766
; %bb.765:
	s_wait_xcnt 0x0
	v_cvt_f16_i16_e32 v4, v1
	global_store_b16 v[2:3], v4, off
.LBB39_766:
	s_mov_b32 s43, 0
.LBB39_767:
	s_delay_alu instid0(SALU_CYCLE_1)
	s_and_not1_b32 vcc_lo, exec_lo, s43
	s_cbranch_vccnz .LBB39_783
; %bb.768:
	s_cmp_lt_i32 s42, 2
	s_mov_b32 s43, -1
	s_cbranch_scc1 .LBB39_778
; %bb.769:
	s_cmp_lt_i32 s42, 3
	s_cbranch_scc1 .LBB39_775
; %bb.770:
	s_wait_xcnt 0x0
	v_bfe_i32 v4, v1, 0, 16
	s_cmp_gt_i32 s42, 3
	s_cbranch_scc0 .LBB39_772
; %bb.771:
	s_delay_alu instid0(VALU_DEP_1)
	v_ashrrev_i32_e32 v5, 31, v4
	s_mov_b32 s43, 0
	global_store_b64 v[2:3], v[4:5], off
.LBB39_772:
	s_and_not1_b32 vcc_lo, exec_lo, s43
	s_cbranch_vccnz .LBB39_774
; %bb.773:
	global_store_b32 v[2:3], v4, off
.LBB39_774:
	s_mov_b32 s43, 0
.LBB39_775:
	s_delay_alu instid0(SALU_CYCLE_1)
	s_and_not1_b32 vcc_lo, exec_lo, s43
	s_cbranch_vccnz .LBB39_777
; %bb.776:
	global_store_b16 v[2:3], v1, off
.LBB39_777:
	s_mov_b32 s43, 0
.LBB39_778:
	s_delay_alu instid0(SALU_CYCLE_1)
	s_and_not1_b32 vcc_lo, exec_lo, s43
	s_cbranch_vccnz .LBB39_783
; %bb.779:
	s_cmp_gt_i32 s42, 0
	s_mov_b32 s42, -1
	s_cbranch_scc0 .LBB39_781
; %bb.780:
	s_mov_b32 s42, 0
	global_store_b8 v[2:3], v1, off
.LBB39_781:
	s_and_not1_b32 vcc_lo, exec_lo, s42
	s_cbranch_vccnz .LBB39_783
; %bb.782:
	global_store_b8 v[2:3], v1, off
.LBB39_783:
	s_mov_b32 s44, -1
.LBB39_784:
	s_delay_alu instid0(SALU_CYCLE_1)
	s_and_not1_b32 vcc_lo, exec_lo, s44
	s_cbranch_vccnz .LBB39_786
; %bb.785:
	v_add_nc_u32_e32 v0, 0x80, v0
	s_mov_b32 s46, -1
	s_branch .LBB39_788
.LBB39_786:
	s_mov_b32 s46, 0
.LBB39_787:
                                        ; implicit-def: $vgpr0
.LBB39_788:
	s_and_not1_b32 s42, s38, exec_lo
	s_and_b32 s0, s0, exec_lo
	s_and_b32 s25, s25, exec_lo
	s_or_b32 s43, s42, s0
	s_and_not1_b32 s0, s39, exec_lo
	s_and_not1_b32 s42, s40, exec_lo
	s_and_b32 s24, s24, exec_lo
	s_or_b32 s44, s0, s25
	s_or_b32 s42, s42, s24
	s_or_not1_b32 s47, s46, exec_lo
.LBB39_789:
	s_wait_xcnt 0x0
	s_or_b32 exec_lo, exec_lo, s45
	s_mov_b32 s25, 0
	s_mov_b32 s46, 0
	;; [unrolled: 1-line block ×3, first 2 shown]
                                        ; implicit-def: $sgpr0
                                        ; implicit-def: $vgpr8_vgpr9
                                        ; implicit-def: $vgpr6
                                        ; implicit-def: $vgpr2
                                        ; implicit-def: $vgpr4
	s_and_saveexec_b32 s45, s47
	s_cbranch_execz .LBB39_1280
; %bb.790:
	s_mov_b32 s51, -1
	s_mov_b32 s47, s42
	s_mov_b32 s49, s44
	;; [unrolled: 1-line block ×3, first 2 shown]
	s_mov_b32 s46, exec_lo
	v_cmpx_gt_i32_e64 s36, v0
	s_cbranch_execz .LBB39_1188
; %bb.791:
	s_and_not1_b32 vcc_lo, exec_lo, s29
	s_cbranch_vccnz .LBB39_797
; %bb.792:
	s_and_not1_b32 vcc_lo, exec_lo, s37
	s_cbranch_vccnz .LBB39_798
; %bb.793:
	v_dual_mov_b32 v2, 0 :: v_dual_mov_b32 v1, v0
	s_wait_loadcnt 0x0
	v_dual_mov_b32 v4, 0 :: v_dual_mov_b32 v6, 0
	s_add_co_i32 s0, s35, 1
	s_mov_b64 s[24:25], 0xffffffffffffffe8
	s_and_b32 s0, s0, 30
	s_add_nc_u64 s[24:25], s[2:3], s[24:25]
.LBB39_794:                             ; =>This Inner Loop Header: Depth=1
	s_clause 0x1
	s_load_b128 s[48:51], s[24:25], 0x1c
	s_load_b64 s[56:57], s[24:25], 0x2c
	s_add_co_i32 s0, s0, -2
	s_delay_alu instid0(SALU_CYCLE_1) | instskip(SKIP_2) | instid1(VALU_DEP_1)
	s_cmp_eq_u32 s0, 0
	s_wait_kmcnt 0x0
	v_mul_hi_u32 v3, s49, v1
	v_add_nc_u32_e32 v3, v1, v3
	s_delay_alu instid0(VALU_DEP_1) | instskip(NEXT) | instid1(VALU_DEP_1)
	v_lshrrev_b32_e32 v3, s50, v3
	v_mul_hi_u32 v5, s56, v3
	v_mul_lo_u32 v7, v3, s48
	s_clause 0x1
	s_load_b128 s[52:55], s[24:25], 0xdc
	s_load_b64 s[48:49], s[24:25], 0xec
	s_wait_xcnt 0x0
	s_add_nc_u64 s[24:25], s[24:25], 24
	s_delay_alu instid0(VALU_DEP_1) | instskip(NEXT) | instid1(VALU_DEP_1)
	v_dual_add_nc_u32 v5, v3, v5 :: v_dual_sub_nc_u32 v7, v1, v7
	v_lshrrev_b32_e32 v1, s57, v5
	s_wait_kmcnt 0x0
	s_delay_alu instid0(VALU_DEP_2) | instskip(NEXT) | instid1(VALU_DEP_2)
	v_mad_u32 v2, v7, s52, v2
	v_mul_lo_u32 v5, v1, s51
	v_mad_u32 v6, v7, s54, v6
	v_mad_u32 v4, v7, s53, v4
	s_delay_alu instid0(VALU_DEP_3) | instskip(NEXT) | instid1(VALU_DEP_1)
	v_sub_nc_u32_e32 v3, v3, v5
	v_mad_u32 v2, v3, s55, v2
	s_delay_alu instid0(VALU_DEP_4) | instskip(NEXT) | instid1(VALU_DEP_4)
	v_mad_u32 v6, v3, s49, v6
	v_mad_u32 v4, v3, s48, v4
	s_cbranch_scc0 .LBB39_794
; %bb.795:
	s_bitcmp1_b32 s35, 0
	s_cselect_b32 s0, -1, 0
	s_delay_alu instid0(SALU_CYCLE_1)
	s_and_b32 vcc_lo, exec_lo, s0
	s_cbranch_vccnz .LBB39_799
; %bb.796:
	s_clause 0x1
	s_load_b96 s[48:50], s[24:25], 0x1c
	s_load_b96 s[52:54], s[24:25], 0xdc
	s_wait_kmcnt 0x0
	v_mul_hi_u32 v3, s49, v1
	s_delay_alu instid0(VALU_DEP_1) | instskip(NEXT) | instid1(VALU_DEP_1)
	v_add_nc_u32_e32 v3, v1, v3
	v_lshrrev_b32_e32 v3, s50, v3
	s_delay_alu instid0(VALU_DEP_1) | instskip(NEXT) | instid1(VALU_DEP_1)
	v_mul_lo_u32 v3, v3, s48
	v_sub_nc_u32_e32 v1, v1, v3
	s_delay_alu instid0(VALU_DEP_1)
	v_mad_u32 v2, v1, s52, v2
	v_mad_u32 v4, v1, s53, v4
	;; [unrolled: 1-line block ×3, first 2 shown]
	s_branch .LBB39_799
.LBB39_797:
	s_mov_b32 s0, -1
                                        ; implicit-def: $vgpr6
                                        ; implicit-def: $vgpr4
                                        ; implicit-def: $vgpr2
	s_branch .LBB39_800
.LBB39_798:
	s_wait_loadcnt 0x0
	v_dual_mov_b32 v6, 0 :: v_dual_mov_b32 v4, 0
	v_mov_b32_e32 v2, 0
.LBB39_799:
	s_mov_b32 s0, 0
.LBB39_800:
	s_delay_alu instid0(SALU_CYCLE_1)
	s_and_not1_b32 vcc_lo, exec_lo, s0
	s_cbranch_vccnz .LBB39_803
; %bb.801:
	v_mov_b32_e32 v1, 0
	s_and_not1_b32 vcc_lo, exec_lo, s34
	s_delay_alu instid0(VALU_DEP_1) | instskip(NEXT) | instid1(VALU_DEP_1)
	v_mul_u64_e32 v[2:3], s[18:19], v[0:1]
	v_add_nc_u32_e32 v2, v0, v3
	s_wait_loadcnt 0x0
	s_delay_alu instid0(VALU_DEP_1) | instskip(NEXT) | instid1(VALU_DEP_1)
	v_lshrrev_b32_e32 v8, s10, v2
	v_mul_lo_u32 v2, v8, s8
	s_delay_alu instid0(VALU_DEP_1) | instskip(NEXT) | instid1(VALU_DEP_1)
	v_sub_nc_u32_e32 v3, v0, v2
	v_mul_lo_u32 v2, v3, s12
	v_mul_lo_u32 v6, v3, s14
	;; [unrolled: 1-line block ×3, first 2 shown]
	s_cbranch_vccnz .LBB39_803
; %bb.802:
	v_mov_b32_e32 v9, v1
	s_delay_alu instid0(VALU_DEP_1) | instskip(NEXT) | instid1(VALU_DEP_1)
	v_mul_u64_e32 v[10:11], s[22:23], v[8:9]
	v_add_nc_u32_e32 v1, v8, v11
	s_delay_alu instid0(VALU_DEP_1) | instskip(NEXT) | instid1(VALU_DEP_1)
	v_lshrrev_b32_e32 v1, s1, v1
	v_mul_lo_u32 v1, v1, s11
	s_delay_alu instid0(VALU_DEP_1) | instskip(NEXT) | instid1(VALU_DEP_1)
	v_sub_nc_u32_e32 v1, v8, v1
	v_mad_u32 v2, v1, s15, v2
	v_mad_u32 v4, v1, s20, v4
	;; [unrolled: 1-line block ×3, first 2 shown]
.LBB39_803:
	s_wait_loadcnt 0x0
	v_mov_b32_e32 v5, 0
	s_and_b32 s0, s33, 0xff
	s_delay_alu instid0(SALU_CYCLE_1) | instskip(NEXT) | instid1(VALU_DEP_1)
	s_cmp_lt_i32 s0, 11
	v_add_nc_u64_e32 v[8:9], s[6:7], v[4:5]
	s_cbranch_scc1 .LBB39_810
; %bb.804:
	s_and_b32 s25, 0xffff, s0
	s_delay_alu instid0(SALU_CYCLE_1)
	s_cmp_gt_i32 s25, 25
	s_cbranch_scc0 .LBB39_811
; %bb.805:
	s_cmp_gt_i32 s25, 28
	s_cbranch_scc0 .LBB39_812
; %bb.806:
	;; [unrolled: 3-line block ×4, first 2 shown]
	s_cmp_eq_u32 s25, 46
	s_mov_b32 s48, 0
	s_cbranch_scc0 .LBB39_817
; %bb.809:
	global_load_b32 v1, v[8:9], off
	s_mov_b32 s47, -1
	s_mov_b32 s24, 0
	s_wait_loadcnt 0x0
	v_lshlrev_b32_e32 v1, 16, v1
	s_delay_alu instid0(VALU_DEP_1)
	v_cvt_i32_f32_e32 v4, v1
	s_branch .LBB39_819
.LBB39_810:
	s_mov_b32 s25, -1
	s_mov_b32 s47, 0
	s_mov_b32 s24, s42
                                        ; implicit-def: $vgpr4
	s_branch .LBB39_880
.LBB39_811:
	s_mov_b32 s48, -1
	s_mov_b32 s47, 0
	s_mov_b32 s24, s42
                                        ; implicit-def: $vgpr4
	s_branch .LBB39_846
.LBB39_812:
	s_mov_b32 s48, -1
	s_mov_b32 s47, 0
	s_mov_b32 s24, s42
                                        ; implicit-def: $vgpr4
	s_branch .LBB39_829
.LBB39_813:
	s_mov_b32 s48, -1
	s_mov_b32 s47, 0
	s_mov_b32 s24, s42
                                        ; implicit-def: $vgpr4
	s_branch .LBB39_824
.LBB39_814:
	s_mov_b32 s48, -1
	s_mov_b32 s47, 0
	s_mov_b32 s24, s42
	s_branch .LBB39_818
.LBB39_815:
	s_and_not1_saveexec_b32 s47, s47
	s_cbranch_execz .LBB39_697
.LBB39_816:
	v_add_f32_e64 v5, 0x46000000, |v4|
	s_and_not1_b32 s46, s46, exec_lo
	s_delay_alu instid0(VALU_DEP_1) | instskip(NEXT) | instid1(VALU_DEP_1)
	v_and_b32_e32 v5, 0xff, v5
	v_cmp_ne_u32_e32 vcc_lo, 0, v5
	s_and_b32 s48, vcc_lo, exec_lo
	s_delay_alu instid0(SALU_CYCLE_1)
	s_or_b32 s46, s46, s48
	s_or_b32 exec_lo, exec_lo, s47
	v_mov_b32_e32 v6, 0
	s_and_saveexec_b32 s47, s46
	s_cbranch_execnz .LBB39_698
	s_branch .LBB39_699
.LBB39_817:
	s_mov_b32 s24, -1
	s_mov_b32 s47, 0
.LBB39_818:
                                        ; implicit-def: $vgpr4
.LBB39_819:
	s_and_b32 vcc_lo, exec_lo, s48
	s_cbranch_vccz .LBB39_823
; %bb.820:
	s_cmp_eq_u32 s25, 44
	s_cbranch_scc0 .LBB39_822
; %bb.821:
	global_load_u8 v1, v[8:9], off
	s_mov_b32 s24, 0
	s_mov_b32 s47, -1
	s_wait_loadcnt 0x0
	v_lshlrev_b32_e32 v3, 23, v1
	v_cmp_ne_u32_e32 vcc_lo, 0, v1
	s_delay_alu instid0(VALU_DEP_2) | instskip(NEXT) | instid1(VALU_DEP_1)
	v_cvt_i32_f32_e32 v3, v3
	v_cndmask_b32_e32 v4, 0, v3, vcc_lo
	s_branch .LBB39_823
.LBB39_822:
	s_mov_b32 s24, -1
                                        ; implicit-def: $vgpr4
.LBB39_823:
	s_mov_b32 s48, 0
.LBB39_824:
	s_delay_alu instid0(SALU_CYCLE_1)
	s_and_b32 vcc_lo, exec_lo, s48
	s_cbranch_vccz .LBB39_828
; %bb.825:
	s_cmp_eq_u32 s25, 29
	s_cbranch_scc0 .LBB39_827
; %bb.826:
	global_load_b64 v[4:5], v[8:9], off
	s_mov_b32 s47, -1
	s_mov_b32 s24, 0
	s_branch .LBB39_828
.LBB39_827:
	s_mov_b32 s24, -1
                                        ; implicit-def: $vgpr4
.LBB39_828:
	s_mov_b32 s48, 0
.LBB39_829:
	s_delay_alu instid0(SALU_CYCLE_1)
	s_and_b32 vcc_lo, exec_lo, s48
	s_cbranch_vccz .LBB39_845
; %bb.830:
	s_cmp_lt_i32 s25, 27
	s_cbranch_scc1 .LBB39_833
; %bb.831:
	s_cmp_gt_i32 s25, 27
	s_cbranch_scc0 .LBB39_834
; %bb.832:
	s_wait_loadcnt 0x0
	global_load_b32 v4, v[8:9], off
	s_mov_b32 s47, 0
	s_branch .LBB39_835
.LBB39_833:
	s_mov_b32 s47, -1
                                        ; implicit-def: $vgpr4
	s_branch .LBB39_838
.LBB39_834:
	s_mov_b32 s47, -1
                                        ; implicit-def: $vgpr4
.LBB39_835:
	s_delay_alu instid0(SALU_CYCLE_1)
	s_and_not1_b32 vcc_lo, exec_lo, s47
	s_cbranch_vccnz .LBB39_837
; %bb.836:
	s_wait_loadcnt 0x0
	global_load_u16 v4, v[8:9], off
.LBB39_837:
	s_mov_b32 s47, 0
.LBB39_838:
	s_delay_alu instid0(SALU_CYCLE_1)
	s_and_not1_b32 vcc_lo, exec_lo, s47
	s_cbranch_vccnz .LBB39_844
; %bb.839:
	global_load_u8 v1, v[8:9], off
	s_mov_b32 s48, 0
	s_mov_b32 s47, exec_lo
	s_wait_loadcnt 0x0
	v_cmpx_lt_i16_e32 0x7f, v1
	s_xor_b32 s47, exec_lo, s47
	s_cbranch_execz .LBB39_856
; %bb.840:
	v_cmp_ne_u16_e32 vcc_lo, 0x80, v1
	s_and_b32 s48, vcc_lo, exec_lo
	s_and_not1_saveexec_b32 s47, s47
	s_cbranch_execnz .LBB39_857
.LBB39_841:
	s_or_b32 exec_lo, exec_lo, s47
	v_mov_b32_e32 v4, 0
	s_and_saveexec_b32 s47, s48
	s_cbranch_execz .LBB39_843
.LBB39_842:
	v_and_b32_e32 v3, 0xffff, v1
	s_delay_alu instid0(VALU_DEP_1) | instskip(SKIP_1) | instid1(VALU_DEP_2)
	v_and_b32_e32 v4, 7, v3
	v_bfe_u32 v10, v3, 3, 4
	v_clz_i32_u32_e32 v5, v4
	s_delay_alu instid0(VALU_DEP_2) | instskip(NEXT) | instid1(VALU_DEP_2)
	v_cmp_eq_u32_e32 vcc_lo, 0, v10
	v_min_u32_e32 v5, 32, v5
	s_delay_alu instid0(VALU_DEP_1) | instskip(NEXT) | instid1(VALU_DEP_1)
	v_subrev_nc_u32_e32 v7, 28, v5
	v_dual_lshlrev_b32 v3, v7, v3 :: v_dual_sub_nc_u32 v5, 29, v5
	s_delay_alu instid0(VALU_DEP_1) | instskip(NEXT) | instid1(VALU_DEP_1)
	v_dual_lshlrev_b32 v1, 24, v1 :: v_dual_bitop2_b32 v3, 7, v3 bitop3:0x40
	v_dual_cndmask_b32 v3, v4, v3, vcc_lo :: v_dual_cndmask_b32 v5, v10, v5, vcc_lo
	s_delay_alu instid0(VALU_DEP_2) | instskip(NEXT) | instid1(VALU_DEP_2)
	v_and_b32_e32 v1, 0x80000000, v1
	v_lshlrev_b32_e32 v3, 20, v3
	s_delay_alu instid0(VALU_DEP_3) | instskip(NEXT) | instid1(VALU_DEP_1)
	v_lshl_add_u32 v4, v5, 23, 0x3b800000
	v_or3_b32 v1, v1, v4, v3
	s_delay_alu instid0(VALU_DEP_1)
	v_cvt_i32_f32_e32 v4, v1
.LBB39_843:
	s_or_b32 exec_lo, exec_lo, s47
.LBB39_844:
	s_mov_b32 s47, -1
.LBB39_845:
	s_mov_b32 s48, 0
.LBB39_846:
	s_delay_alu instid0(SALU_CYCLE_1)
	s_and_b32 vcc_lo, exec_lo, s48
	s_cbranch_vccz .LBB39_879
; %bb.847:
	s_cmp_gt_i32 s25, 22
	s_cbranch_scc0 .LBB39_855
; %bb.848:
	s_cmp_lt_i32 s25, 24
	s_cbranch_scc1 .LBB39_858
; %bb.849:
	s_cmp_gt_i32 s25, 24
	s_cbranch_scc0 .LBB39_859
; %bb.850:
	global_load_u8 v1, v[8:9], off
	s_mov_b32 s48, 0
	s_mov_b32 s47, exec_lo
	s_wait_loadcnt 0x0
	v_cmpx_lt_i16_e32 0x7f, v1
	s_xor_b32 s47, exec_lo, s47
	s_cbranch_execz .LBB39_871
; %bb.851:
	v_cmp_ne_u16_e32 vcc_lo, 0x80, v1
	s_and_b32 s48, vcc_lo, exec_lo
	s_and_not1_saveexec_b32 s47, s47
	s_cbranch_execnz .LBB39_872
.LBB39_852:
	s_or_b32 exec_lo, exec_lo, s47
	v_mov_b32_e32 v4, 0
	s_and_saveexec_b32 s47, s48
	s_cbranch_execz .LBB39_854
.LBB39_853:
	v_and_b32_e32 v3, 0xffff, v1
	s_delay_alu instid0(VALU_DEP_1) | instskip(SKIP_1) | instid1(VALU_DEP_2)
	v_and_b32_e32 v4, 3, v3
	v_bfe_u32 v10, v3, 2, 5
	v_clz_i32_u32_e32 v5, v4
	s_delay_alu instid0(VALU_DEP_2) | instskip(NEXT) | instid1(VALU_DEP_2)
	v_cmp_eq_u32_e32 vcc_lo, 0, v10
	v_min_u32_e32 v5, 32, v5
	s_delay_alu instid0(VALU_DEP_1) | instskip(NEXT) | instid1(VALU_DEP_1)
	v_subrev_nc_u32_e32 v7, 29, v5
	v_dual_lshlrev_b32 v3, v7, v3 :: v_dual_sub_nc_u32 v5, 30, v5
	s_delay_alu instid0(VALU_DEP_1) | instskip(NEXT) | instid1(VALU_DEP_1)
	v_dual_lshlrev_b32 v1, 24, v1 :: v_dual_bitop2_b32 v3, 3, v3 bitop3:0x40
	v_dual_cndmask_b32 v3, v4, v3, vcc_lo :: v_dual_cndmask_b32 v5, v10, v5, vcc_lo
	s_delay_alu instid0(VALU_DEP_2) | instskip(NEXT) | instid1(VALU_DEP_2)
	v_and_b32_e32 v1, 0x80000000, v1
	v_lshlrev_b32_e32 v3, 21, v3
	s_delay_alu instid0(VALU_DEP_3) | instskip(NEXT) | instid1(VALU_DEP_1)
	v_lshl_add_u32 v4, v5, 23, 0x37800000
	v_or3_b32 v1, v1, v4, v3
	s_delay_alu instid0(VALU_DEP_1)
	v_cvt_i32_f32_e32 v4, v1
.LBB39_854:
	s_or_b32 exec_lo, exec_lo, s47
	s_mov_b32 s47, 0
	s_branch .LBB39_860
.LBB39_855:
	s_mov_b32 s48, -1
                                        ; implicit-def: $vgpr4
	s_branch .LBB39_866
.LBB39_856:
	s_and_not1_saveexec_b32 s47, s47
	s_cbranch_execz .LBB39_841
.LBB39_857:
	v_cmp_ne_u16_e32 vcc_lo, 0, v1
	s_and_not1_b32 s48, s48, exec_lo
	s_and_b32 s49, vcc_lo, exec_lo
	s_delay_alu instid0(SALU_CYCLE_1)
	s_or_b32 s48, s48, s49
	s_or_b32 exec_lo, exec_lo, s47
	v_mov_b32_e32 v4, 0
	s_and_saveexec_b32 s47, s48
	s_cbranch_execnz .LBB39_842
	s_branch .LBB39_843
.LBB39_858:
	s_mov_b32 s47, -1
                                        ; implicit-def: $vgpr4
	s_branch .LBB39_863
.LBB39_859:
	s_mov_b32 s47, -1
                                        ; implicit-def: $vgpr4
.LBB39_860:
	s_delay_alu instid0(SALU_CYCLE_1)
	s_and_b32 vcc_lo, exec_lo, s47
	s_cbranch_vccz .LBB39_862
; %bb.861:
	global_load_u8 v1, v[8:9], off
	s_wait_loadcnt 0x0
	v_lshlrev_b32_e32 v1, 24, v1
	s_delay_alu instid0(VALU_DEP_1) | instskip(NEXT) | instid1(VALU_DEP_1)
	v_and_b32_e32 v3, 0x7f000000, v1
	v_clz_i32_u32_e32 v4, v3
	v_add_nc_u32_e32 v7, 0x1000000, v3
	v_cmp_ne_u32_e32 vcc_lo, 0, v3
	s_delay_alu instid0(VALU_DEP_3) | instskip(NEXT) | instid1(VALU_DEP_1)
	v_min_u32_e32 v4, 32, v4
	v_sub_nc_u32_e64 v4, v4, 4 clamp
	s_delay_alu instid0(VALU_DEP_1) | instskip(NEXT) | instid1(VALU_DEP_1)
	v_dual_lshlrev_b32 v5, v4, v3 :: v_dual_lshlrev_b32 v4, 23, v4
	v_lshrrev_b32_e32 v5, 4, v5
	s_delay_alu instid0(VALU_DEP_1) | instskip(NEXT) | instid1(VALU_DEP_1)
	v_dual_sub_nc_u32 v4, v5, v4 :: v_dual_ashrrev_i32 v5, 8, v7
	v_add_nc_u32_e32 v4, 0x3c000000, v4
	s_delay_alu instid0(VALU_DEP_1) | instskip(NEXT) | instid1(VALU_DEP_1)
	v_and_or_b32 v4, 0x7f800000, v5, v4
	v_cndmask_b32_e32 v3, 0, v4, vcc_lo
	s_delay_alu instid0(VALU_DEP_1) | instskip(NEXT) | instid1(VALU_DEP_1)
	v_and_or_b32 v1, 0x80000000, v1, v3
	v_cvt_i32_f32_e32 v4, v1
.LBB39_862:
	s_mov_b32 s47, 0
.LBB39_863:
	s_delay_alu instid0(SALU_CYCLE_1)
	s_and_not1_b32 vcc_lo, exec_lo, s47
	s_cbranch_vccnz .LBB39_865
; %bb.864:
	global_load_u8 v1, v[8:9], off
	s_wait_loadcnt 0x0
	v_lshlrev_b32_e32 v3, 25, v1
	v_lshlrev_b16 v1, 8, v1
	s_delay_alu instid0(VALU_DEP_1) | instskip(NEXT) | instid1(VALU_DEP_3)
	v_and_or_b32 v5, 0x7f00, v1, 0.5
	v_lshrrev_b32_e32 v4, 4, v3
	v_bfe_i32 v1, v1, 0, 16
	s_delay_alu instid0(VALU_DEP_3) | instskip(NEXT) | instid1(VALU_DEP_3)
	v_add_f32_e32 v5, -0.5, v5
	v_or_b32_e32 v4, 0x70000000, v4
	s_delay_alu instid0(VALU_DEP_1) | instskip(SKIP_1) | instid1(VALU_DEP_2)
	v_mul_f32_e32 v4, 0x7800000, v4
	v_cmp_gt_u32_e32 vcc_lo, 0x8000000, v3
	v_cndmask_b32_e32 v3, v4, v5, vcc_lo
	s_delay_alu instid0(VALU_DEP_1) | instskip(NEXT) | instid1(VALU_DEP_1)
	v_and_or_b32 v1, 0x80000000, v1, v3
	v_cvt_i32_f32_e32 v4, v1
.LBB39_865:
	s_mov_b32 s48, 0
	s_mov_b32 s47, -1
.LBB39_866:
	s_and_not1_b32 vcc_lo, exec_lo, s48
	s_cbranch_vccnz .LBB39_879
; %bb.867:
	s_cmp_gt_i32 s25, 14
	s_cbranch_scc0 .LBB39_870
; %bb.868:
	s_cmp_eq_u32 s25, 15
	s_cbranch_scc0 .LBB39_873
; %bb.869:
	global_load_u16 v1, v[8:9], off
	s_mov_b32 s47, -1
	s_mov_b32 s24, 0
	s_wait_loadcnt 0x0
	v_lshlrev_b32_e32 v1, 16, v1
	s_delay_alu instid0(VALU_DEP_1)
	v_cvt_i32_f32_e32 v4, v1
	s_branch .LBB39_874
.LBB39_870:
	s_mov_b32 s48, -1
                                        ; implicit-def: $vgpr4
	s_branch .LBB39_875
.LBB39_871:
	s_and_not1_saveexec_b32 s47, s47
	s_cbranch_execz .LBB39_852
.LBB39_872:
	v_cmp_ne_u16_e32 vcc_lo, 0, v1
	s_and_not1_b32 s48, s48, exec_lo
	s_and_b32 s49, vcc_lo, exec_lo
	s_delay_alu instid0(SALU_CYCLE_1)
	s_or_b32 s48, s48, s49
	s_or_b32 exec_lo, exec_lo, s47
	v_mov_b32_e32 v4, 0
	s_and_saveexec_b32 s47, s48
	s_cbranch_execnz .LBB39_853
	s_branch .LBB39_854
.LBB39_873:
	s_mov_b32 s24, -1
                                        ; implicit-def: $vgpr4
.LBB39_874:
	s_mov_b32 s48, 0
.LBB39_875:
	s_delay_alu instid0(SALU_CYCLE_1)
	s_and_b32 vcc_lo, exec_lo, s48
	s_cbranch_vccz .LBB39_879
; %bb.876:
	s_cmp_eq_u32 s25, 11
	s_cbranch_scc0 .LBB39_878
; %bb.877:
	global_load_u8 v1, v[8:9], off
	s_mov_b32 s24, 0
	s_mov_b32 s47, -1
	s_wait_loadcnt 0x0
	v_cmp_ne_u16_e32 vcc_lo, 0, v1
	v_cndmask_b32_e64 v4, 0, 1, vcc_lo
	s_branch .LBB39_879
.LBB39_878:
	s_mov_b32 s24, -1
                                        ; implicit-def: $vgpr4
.LBB39_879:
	s_mov_b32 s25, 0
.LBB39_880:
	s_delay_alu instid0(SALU_CYCLE_1)
	s_and_b32 vcc_lo, exec_lo, s25
	s_cbranch_vccz .LBB39_929
; %bb.881:
	s_and_b32 s0, 0xffff, s0
	s_delay_alu instid0(SALU_CYCLE_1)
	s_cmp_lt_i32 s0, 5
	s_cbranch_scc1 .LBB39_886
; %bb.882:
	s_cmp_lt_i32 s0, 8
	s_cbranch_scc1 .LBB39_887
; %bb.883:
	;; [unrolled: 3-line block ×3, first 2 shown]
	s_cmp_gt_i32 s0, 9
	s_cbranch_scc0 .LBB39_889
; %bb.885:
	s_wait_loadcnt 0x0
	global_load_b64 v[4:5], v[8:9], off
	s_mov_b32 s25, 0
	s_wait_loadcnt 0x0
	v_cvt_i32_f64_e32 v4, v[4:5]
	s_branch .LBB39_890
.LBB39_886:
	s_mov_b32 s25, -1
                                        ; implicit-def: $vgpr4
	s_branch .LBB39_908
.LBB39_887:
	s_mov_b32 s25, -1
                                        ; implicit-def: $vgpr4
	s_branch .LBB39_896
.LBB39_888:
	s_mov_b32 s25, -1
                                        ; implicit-def: $vgpr4
	s_branch .LBB39_893
.LBB39_889:
	s_mov_b32 s25, -1
                                        ; implicit-def: $vgpr4
.LBB39_890:
	s_delay_alu instid0(SALU_CYCLE_1)
	s_and_not1_b32 vcc_lo, exec_lo, s25
	s_cbranch_vccnz .LBB39_892
; %bb.891:
	global_load_b32 v1, v[8:9], off
	s_wait_loadcnt 0x0
	v_cvt_i32_f32_e32 v4, v1
.LBB39_892:
	s_mov_b32 s25, 0
.LBB39_893:
	s_delay_alu instid0(SALU_CYCLE_1)
	s_and_not1_b32 vcc_lo, exec_lo, s25
	s_cbranch_vccnz .LBB39_895
; %bb.894:
	global_load_b32 v1, v[8:9], off
	s_wait_loadcnt 0x0
	v_cvt_i16_f16_e32 v4, v1
.LBB39_895:
	s_mov_b32 s25, 0
.LBB39_896:
	s_delay_alu instid0(SALU_CYCLE_1)
	s_and_not1_b32 vcc_lo, exec_lo, s25
	s_cbranch_vccnz .LBB39_907
; %bb.897:
	s_cmp_lt_i32 s0, 6
	s_cbranch_scc1 .LBB39_900
; %bb.898:
	s_cmp_gt_i32 s0, 6
	s_cbranch_scc0 .LBB39_901
; %bb.899:
	s_wait_loadcnt 0x0
	global_load_b64 v[4:5], v[8:9], off
	s_mov_b32 s25, 0
	s_wait_loadcnt 0x0
	v_cvt_i32_f64_e32 v4, v[4:5]
	s_branch .LBB39_902
.LBB39_900:
	s_mov_b32 s25, -1
                                        ; implicit-def: $vgpr4
	s_branch .LBB39_905
.LBB39_901:
	s_mov_b32 s25, -1
                                        ; implicit-def: $vgpr4
.LBB39_902:
	s_delay_alu instid0(SALU_CYCLE_1)
	s_and_not1_b32 vcc_lo, exec_lo, s25
	s_cbranch_vccnz .LBB39_904
; %bb.903:
	global_load_b32 v1, v[8:9], off
	s_wait_loadcnt 0x0
	v_cvt_i32_f32_e32 v4, v1
.LBB39_904:
	s_mov_b32 s25, 0
.LBB39_905:
	s_delay_alu instid0(SALU_CYCLE_1)
	s_and_not1_b32 vcc_lo, exec_lo, s25
	s_cbranch_vccnz .LBB39_907
; %bb.906:
	global_load_u16 v1, v[8:9], off
	s_wait_loadcnt 0x0
	v_cvt_i16_f16_e32 v4, v1
.LBB39_907:
	s_mov_b32 s25, 0
.LBB39_908:
	s_delay_alu instid0(SALU_CYCLE_1)
	s_and_not1_b32 vcc_lo, exec_lo, s25
	s_cbranch_vccnz .LBB39_928
; %bb.909:
	s_cmp_lt_i32 s0, 2
	s_cbranch_scc1 .LBB39_913
; %bb.910:
	s_cmp_lt_i32 s0, 3
	s_cbranch_scc1 .LBB39_914
; %bb.911:
	s_cmp_gt_i32 s0, 3
	s_cbranch_scc0 .LBB39_915
; %bb.912:
	s_wait_loadcnt 0x0
	global_load_b64 v[4:5], v[8:9], off
	s_mov_b32 s25, 0
	s_branch .LBB39_916
.LBB39_913:
	s_mov_b32 s25, -1
                                        ; implicit-def: $vgpr4
	s_branch .LBB39_922
.LBB39_914:
	s_mov_b32 s25, -1
                                        ; implicit-def: $vgpr4
	s_branch .LBB39_919
.LBB39_915:
	s_mov_b32 s25, -1
                                        ; implicit-def: $vgpr4
.LBB39_916:
	s_delay_alu instid0(SALU_CYCLE_1)
	s_and_not1_b32 vcc_lo, exec_lo, s25
	s_cbranch_vccnz .LBB39_918
; %bb.917:
	s_wait_loadcnt 0x0
	global_load_b32 v4, v[8:9], off
.LBB39_918:
	s_mov_b32 s25, 0
.LBB39_919:
	s_delay_alu instid0(SALU_CYCLE_1)
	s_and_not1_b32 vcc_lo, exec_lo, s25
	s_cbranch_vccnz .LBB39_921
; %bb.920:
	s_wait_loadcnt 0x0
	global_load_u16 v4, v[8:9], off
.LBB39_921:
	s_mov_b32 s25, 0
.LBB39_922:
	s_delay_alu instid0(SALU_CYCLE_1)
	s_and_not1_b32 vcc_lo, exec_lo, s25
	s_cbranch_vccnz .LBB39_928
; %bb.923:
	s_cmp_gt_i32 s0, 0
	s_mov_b32 s0, 0
	s_cbranch_scc0 .LBB39_925
; %bb.924:
	s_wait_loadcnt 0x0
	global_load_i8 v4, v[8:9], off
	s_branch .LBB39_926
.LBB39_925:
	s_mov_b32 s0, -1
                                        ; implicit-def: $vgpr4
.LBB39_926:
	s_delay_alu instid0(SALU_CYCLE_1)
	s_and_not1_b32 vcc_lo, exec_lo, s0
	s_cbranch_vccnz .LBB39_928
; %bb.927:
	s_wait_loadcnt 0x0
	global_load_u8 v4, v[8:9], off
.LBB39_928:
	s_mov_b32 s47, -1
.LBB39_929:
	s_delay_alu instid0(SALU_CYCLE_1)
	s_and_not1_b32 vcc_lo, exec_lo, s47
	s_cbranch_vccnz .LBB39_937
; %bb.930:
	v_mov_b32_e32 v7, 0
	s_and_b32 s0, s9, 0xff
	s_delay_alu instid0(SALU_CYCLE_1) | instskip(NEXT) | instid1(VALU_DEP_1)
	s_cmp_lt_i32 s0, 11
	v_add_nc_u64_e32 v[6:7], s[16:17], v[6:7]
	s_cbranch_scc1 .LBB39_938
; %bb.931:
	s_and_b32 s47, 0xffff, s0
	s_delay_alu instid0(SALU_CYCLE_1)
	s_cmp_gt_i32 s47, 25
	s_cbranch_scc0 .LBB39_939
; %bb.932:
	s_cmp_gt_i32 s47, 28
	s_cbranch_scc0 .LBB39_940
; %bb.933:
	;; [unrolled: 3-line block ×4, first 2 shown]
	s_cmp_eq_u32 s47, 46
	s_mov_b32 s49, 0
	s_cbranch_scc0 .LBB39_945
; %bb.936:
	global_load_b32 v1, v[6:7], off
	s_mov_b32 s48, -1
	s_mov_b32 s25, 0
	s_wait_loadcnt 0x0
	v_lshlrev_b32_e32 v1, 16, v1
	s_wait_xcnt 0x1
	s_delay_alu instid0(VALU_DEP_1)
	v_cvt_i32_f32_e32 v8, v1
	s_branch .LBB39_947
.LBB39_937:
	s_mov_b32 s50, 0
	s_mov_b32 s0, s43
	;; [unrolled: 1-line block ×3, first 2 shown]
	s_branch .LBB39_1186
.LBB39_938:
	s_mov_b32 s47, -1
	s_mov_b32 s48, 0
	s_mov_b32 s25, s44
                                        ; implicit-def: $vgpr8
	s_branch .LBB39_1008
.LBB39_939:
	s_mov_b32 s49, -1
	s_mov_b32 s48, 0
	s_mov_b32 s25, s44
                                        ; implicit-def: $vgpr8
	s_branch .LBB39_974
.LBB39_940:
	s_mov_b32 s49, -1
	s_mov_b32 s48, 0
	s_mov_b32 s25, s44
                                        ; implicit-def: $vgpr8
	s_branch .LBB39_957
.LBB39_941:
	s_mov_b32 s49, -1
	s_mov_b32 s48, 0
	s_mov_b32 s25, s44
                                        ; implicit-def: $vgpr8
	s_branch .LBB39_952
.LBB39_942:
	s_mov_b32 s49, -1
	s_mov_b32 s48, 0
	s_mov_b32 s25, s44
	s_branch .LBB39_946
.LBB39_943:
	s_and_not1_saveexec_b32 s47, s47
	s_cbranch_execz .LBB39_710
.LBB39_944:
	v_add_f32_e64 v5, 0x42800000, |v4|
	s_and_not1_b32 s46, s46, exec_lo
	s_delay_alu instid0(VALU_DEP_1) | instskip(NEXT) | instid1(VALU_DEP_1)
	v_and_b32_e32 v5, 0xff, v5
	v_cmp_ne_u32_e32 vcc_lo, 0, v5
	s_and_b32 s48, vcc_lo, exec_lo
	s_delay_alu instid0(SALU_CYCLE_1)
	s_or_b32 s46, s46, s48
	s_or_b32 exec_lo, exec_lo, s47
	v_mov_b32_e32 v6, 0
	s_and_saveexec_b32 s47, s46
	s_cbranch_execnz .LBB39_711
	s_branch .LBB39_712
.LBB39_945:
	s_mov_b32 s25, -1
	s_mov_b32 s48, 0
.LBB39_946:
                                        ; implicit-def: $vgpr8
.LBB39_947:
	s_and_b32 vcc_lo, exec_lo, s49
	s_cbranch_vccz .LBB39_951
; %bb.948:
	s_cmp_eq_u32 s47, 44
	s_cbranch_scc0 .LBB39_950
; %bb.949:
	global_load_u8 v1, v[6:7], off
	s_mov_b32 s25, 0
	s_mov_b32 s48, -1
	s_wait_loadcnt 0x0
	v_lshlrev_b32_e32 v3, 23, v1
	v_cmp_ne_u32_e32 vcc_lo, 0, v1
	s_delay_alu instid0(VALU_DEP_2) | instskip(SKIP_1) | instid1(VALU_DEP_1)
	v_cvt_i32_f32_e32 v3, v3
	s_wait_xcnt 0x1
	v_cndmask_b32_e32 v8, 0, v3, vcc_lo
	s_branch .LBB39_951
.LBB39_950:
	s_mov_b32 s25, -1
                                        ; implicit-def: $vgpr8
.LBB39_951:
	s_mov_b32 s49, 0
.LBB39_952:
	s_delay_alu instid0(SALU_CYCLE_1)
	s_and_b32 vcc_lo, exec_lo, s49
	s_cbranch_vccz .LBB39_956
; %bb.953:
	s_cmp_eq_u32 s47, 29
	s_cbranch_scc0 .LBB39_955
; %bb.954:
	global_load_b64 v[8:9], v[6:7], off
	s_mov_b32 s48, -1
	s_mov_b32 s25, 0
	s_branch .LBB39_956
.LBB39_955:
	s_mov_b32 s25, -1
                                        ; implicit-def: $vgpr8
.LBB39_956:
	s_mov_b32 s49, 0
.LBB39_957:
	s_delay_alu instid0(SALU_CYCLE_1)
	s_and_b32 vcc_lo, exec_lo, s49
	s_cbranch_vccz .LBB39_973
; %bb.958:
	s_cmp_lt_i32 s47, 27
	s_cbranch_scc1 .LBB39_961
; %bb.959:
	s_cmp_gt_i32 s47, 27
	s_cbranch_scc0 .LBB39_962
; %bb.960:
	s_wait_loadcnt 0x0
	global_load_b32 v8, v[6:7], off
	s_mov_b32 s48, 0
	s_branch .LBB39_963
.LBB39_961:
	s_mov_b32 s48, -1
                                        ; implicit-def: $vgpr8
	s_branch .LBB39_966
.LBB39_962:
	s_mov_b32 s48, -1
                                        ; implicit-def: $vgpr8
.LBB39_963:
	s_delay_alu instid0(SALU_CYCLE_1)
	s_and_not1_b32 vcc_lo, exec_lo, s48
	s_cbranch_vccnz .LBB39_965
; %bb.964:
	s_wait_loadcnt 0x0
	global_load_u16 v8, v[6:7], off
.LBB39_965:
	s_mov_b32 s48, 0
.LBB39_966:
	s_delay_alu instid0(SALU_CYCLE_1)
	s_and_not1_b32 vcc_lo, exec_lo, s48
	s_cbranch_vccnz .LBB39_972
; %bb.967:
	global_load_u8 v1, v[6:7], off
	s_mov_b32 s49, 0
	s_mov_b32 s48, exec_lo
	s_wait_loadcnt 0x0
	v_cmpx_lt_i16_e32 0x7f, v1
	s_xor_b32 s48, exec_lo, s48
	s_cbranch_execz .LBB39_984
; %bb.968:
	v_cmp_ne_u16_e32 vcc_lo, 0x80, v1
	s_and_b32 s49, vcc_lo, exec_lo
	s_and_not1_saveexec_b32 s48, s48
	s_cbranch_execnz .LBB39_985
.LBB39_969:
	s_or_b32 exec_lo, exec_lo, s48
	v_mov_b32_e32 v8, 0
	s_and_saveexec_b32 s48, s49
	s_cbranch_execz .LBB39_971
.LBB39_970:
	v_and_b32_e32 v3, 0xffff, v1
	s_delay_alu instid0(VALU_DEP_1) | instskip(SKIP_1) | instid1(VALU_DEP_2)
	v_and_b32_e32 v5, 7, v3
	v_bfe_u32 v10, v3, 3, 4
	v_clz_i32_u32_e32 v8, v5
	s_delay_alu instid0(VALU_DEP_2) | instskip(NEXT) | instid1(VALU_DEP_2)
	v_cmp_eq_u32_e32 vcc_lo, 0, v10
	v_min_u32_e32 v8, 32, v8
	s_delay_alu instid0(VALU_DEP_1) | instskip(NEXT) | instid1(VALU_DEP_1)
	v_subrev_nc_u32_e32 v9, 28, v8
	v_dual_lshlrev_b32 v3, v9, v3 :: v_dual_sub_nc_u32 v8, 29, v8
	s_delay_alu instid0(VALU_DEP_1) | instskip(NEXT) | instid1(VALU_DEP_1)
	v_dual_lshlrev_b32 v1, 24, v1 :: v_dual_bitop2_b32 v3, 7, v3 bitop3:0x40
	v_dual_cndmask_b32 v8, v10, v8 :: v_dual_cndmask_b32 v3, v5, v3
	s_delay_alu instid0(VALU_DEP_2) | instskip(NEXT) | instid1(VALU_DEP_2)
	v_and_b32_e32 v1, 0x80000000, v1
	v_lshl_add_u32 v5, v8, 23, 0x3b800000
	s_delay_alu instid0(VALU_DEP_3) | instskip(NEXT) | instid1(VALU_DEP_1)
	v_lshlrev_b32_e32 v3, 20, v3
	v_or3_b32 v1, v1, v5, v3
	s_delay_alu instid0(VALU_DEP_1)
	v_cvt_i32_f32_e32 v8, v1
.LBB39_971:
	s_or_b32 exec_lo, exec_lo, s48
.LBB39_972:
	s_mov_b32 s48, -1
.LBB39_973:
	s_mov_b32 s49, 0
.LBB39_974:
	s_delay_alu instid0(SALU_CYCLE_1)
	s_and_b32 vcc_lo, exec_lo, s49
	s_cbranch_vccz .LBB39_1007
; %bb.975:
	s_cmp_gt_i32 s47, 22
	s_cbranch_scc0 .LBB39_983
; %bb.976:
	s_cmp_lt_i32 s47, 24
	s_cbranch_scc1 .LBB39_986
; %bb.977:
	s_cmp_gt_i32 s47, 24
	s_cbranch_scc0 .LBB39_987
; %bb.978:
	global_load_u8 v1, v[6:7], off
	s_mov_b32 s49, 0
	s_mov_b32 s48, exec_lo
	s_wait_loadcnt 0x0
	v_cmpx_lt_i16_e32 0x7f, v1
	s_xor_b32 s48, exec_lo, s48
	s_cbranch_execz .LBB39_999
; %bb.979:
	v_cmp_ne_u16_e32 vcc_lo, 0x80, v1
	s_and_b32 s49, vcc_lo, exec_lo
	s_and_not1_saveexec_b32 s48, s48
	s_cbranch_execnz .LBB39_1000
.LBB39_980:
	s_or_b32 exec_lo, exec_lo, s48
	v_mov_b32_e32 v8, 0
	s_and_saveexec_b32 s48, s49
	s_cbranch_execz .LBB39_982
.LBB39_981:
	v_and_b32_e32 v3, 0xffff, v1
	s_delay_alu instid0(VALU_DEP_1) | instskip(SKIP_1) | instid1(VALU_DEP_2)
	v_and_b32_e32 v5, 3, v3
	v_bfe_u32 v10, v3, 2, 5
	v_clz_i32_u32_e32 v8, v5
	s_delay_alu instid0(VALU_DEP_2) | instskip(NEXT) | instid1(VALU_DEP_2)
	v_cmp_eq_u32_e32 vcc_lo, 0, v10
	v_min_u32_e32 v8, 32, v8
	s_delay_alu instid0(VALU_DEP_1) | instskip(NEXT) | instid1(VALU_DEP_1)
	v_subrev_nc_u32_e32 v9, 29, v8
	v_dual_lshlrev_b32 v3, v9, v3 :: v_dual_sub_nc_u32 v8, 30, v8
	s_delay_alu instid0(VALU_DEP_1) | instskip(NEXT) | instid1(VALU_DEP_1)
	v_dual_lshlrev_b32 v1, 24, v1 :: v_dual_bitop2_b32 v3, 3, v3 bitop3:0x40
	v_dual_cndmask_b32 v8, v10, v8 :: v_dual_cndmask_b32 v3, v5, v3
	s_delay_alu instid0(VALU_DEP_2) | instskip(NEXT) | instid1(VALU_DEP_2)
	v_and_b32_e32 v1, 0x80000000, v1
	v_lshl_add_u32 v5, v8, 23, 0x37800000
	s_delay_alu instid0(VALU_DEP_3) | instskip(NEXT) | instid1(VALU_DEP_1)
	v_lshlrev_b32_e32 v3, 21, v3
	v_or3_b32 v1, v1, v5, v3
	s_delay_alu instid0(VALU_DEP_1)
	v_cvt_i32_f32_e32 v8, v1
.LBB39_982:
	s_or_b32 exec_lo, exec_lo, s48
	s_mov_b32 s48, 0
	s_branch .LBB39_988
.LBB39_983:
	s_mov_b32 s49, -1
                                        ; implicit-def: $vgpr8
	s_branch .LBB39_994
.LBB39_984:
	s_and_not1_saveexec_b32 s48, s48
	s_cbranch_execz .LBB39_969
.LBB39_985:
	v_cmp_ne_u16_e32 vcc_lo, 0, v1
	s_and_not1_b32 s49, s49, exec_lo
	s_and_b32 s50, vcc_lo, exec_lo
	s_delay_alu instid0(SALU_CYCLE_1)
	s_or_b32 s49, s49, s50
	s_or_b32 exec_lo, exec_lo, s48
	v_mov_b32_e32 v8, 0
	s_and_saveexec_b32 s48, s49
	s_cbranch_execnz .LBB39_970
	s_branch .LBB39_971
.LBB39_986:
	s_mov_b32 s48, -1
                                        ; implicit-def: $vgpr8
	s_branch .LBB39_991
.LBB39_987:
	s_mov_b32 s48, -1
                                        ; implicit-def: $vgpr8
.LBB39_988:
	s_delay_alu instid0(SALU_CYCLE_1)
	s_and_b32 vcc_lo, exec_lo, s48
	s_cbranch_vccz .LBB39_990
; %bb.989:
	global_load_u8 v1, v[6:7], off
	s_wait_loadcnt 0x0
	v_lshlrev_b32_e32 v1, 24, v1
	s_delay_alu instid0(VALU_DEP_1) | instskip(NEXT) | instid1(VALU_DEP_1)
	v_and_b32_e32 v3, 0x7f000000, v1
	v_clz_i32_u32_e32 v5, v3
	s_wait_xcnt 0x1
	v_add_nc_u32_e32 v9, 0x1000000, v3
	v_cmp_ne_u32_e32 vcc_lo, 0, v3
	s_delay_alu instid0(VALU_DEP_3) | instskip(NEXT) | instid1(VALU_DEP_1)
	v_min_u32_e32 v5, 32, v5
	v_sub_nc_u32_e64 v5, v5, 4 clamp
	s_delay_alu instid0(VALU_DEP_1) | instskip(NEXT) | instid1(VALU_DEP_1)
	v_dual_lshlrev_b32 v8, v5, v3 :: v_dual_lshlrev_b32 v5, 23, v5
	v_lshrrev_b32_e32 v8, 4, v8
	s_delay_alu instid0(VALU_DEP_1) | instskip(SKIP_1) | instid1(VALU_DEP_2)
	v_sub_nc_u32_e32 v5, v8, v5
	v_ashrrev_i32_e32 v8, 8, v9
	v_add_nc_u32_e32 v5, 0x3c000000, v5
	s_delay_alu instid0(VALU_DEP_1) | instskip(NEXT) | instid1(VALU_DEP_1)
	v_and_or_b32 v5, 0x7f800000, v8, v5
	v_cndmask_b32_e32 v3, 0, v5, vcc_lo
	s_delay_alu instid0(VALU_DEP_1) | instskip(NEXT) | instid1(VALU_DEP_1)
	v_and_or_b32 v1, 0x80000000, v1, v3
	v_cvt_i32_f32_e32 v8, v1
.LBB39_990:
	s_mov_b32 s48, 0
.LBB39_991:
	s_delay_alu instid0(SALU_CYCLE_1)
	s_and_not1_b32 vcc_lo, exec_lo, s48
	s_cbranch_vccnz .LBB39_993
; %bb.992:
	global_load_u8 v1, v[6:7], off
	s_wait_loadcnt 0x0
	v_lshlrev_b32_e32 v3, 25, v1
	v_lshlrev_b16 v1, 8, v1
	s_wait_xcnt 0x1
	s_delay_alu instid0(VALU_DEP_1) | instskip(SKIP_1) | instid1(VALU_DEP_2)
	v_and_or_b32 v8, 0x7f00, v1, 0.5
	v_bfe_i32 v1, v1, 0, 16
	v_dual_add_f32 v8, -0.5, v8 :: v_dual_lshrrev_b32 v5, 4, v3
	v_cmp_gt_u32_e32 vcc_lo, 0x8000000, v3
	s_delay_alu instid0(VALU_DEP_2) | instskip(NEXT) | instid1(VALU_DEP_1)
	v_or_b32_e32 v5, 0x70000000, v5
	v_mul_f32_e32 v5, 0x7800000, v5
	s_delay_alu instid0(VALU_DEP_1) | instskip(NEXT) | instid1(VALU_DEP_1)
	v_cndmask_b32_e32 v3, v5, v8, vcc_lo
	v_and_or_b32 v1, 0x80000000, v1, v3
	s_delay_alu instid0(VALU_DEP_1)
	v_cvt_i32_f32_e32 v8, v1
.LBB39_993:
	s_mov_b32 s49, 0
	s_mov_b32 s48, -1
.LBB39_994:
	s_and_not1_b32 vcc_lo, exec_lo, s49
	s_cbranch_vccnz .LBB39_1007
; %bb.995:
	s_cmp_gt_i32 s47, 14
	s_cbranch_scc0 .LBB39_998
; %bb.996:
	s_cmp_eq_u32 s47, 15
	s_cbranch_scc0 .LBB39_1001
; %bb.997:
	global_load_u16 v1, v[6:7], off
	s_mov_b32 s48, -1
	s_mov_b32 s25, 0
	s_wait_loadcnt 0x0
	v_lshlrev_b32_e32 v1, 16, v1
	s_wait_xcnt 0x1
	s_delay_alu instid0(VALU_DEP_1)
	v_cvt_i32_f32_e32 v8, v1
	s_branch .LBB39_1002
.LBB39_998:
	s_mov_b32 s49, -1
                                        ; implicit-def: $vgpr8
	s_branch .LBB39_1003
.LBB39_999:
	s_and_not1_saveexec_b32 s48, s48
	s_cbranch_execz .LBB39_980
.LBB39_1000:
	v_cmp_ne_u16_e32 vcc_lo, 0, v1
	s_and_not1_b32 s49, s49, exec_lo
	s_and_b32 s50, vcc_lo, exec_lo
	s_delay_alu instid0(SALU_CYCLE_1)
	s_or_b32 s49, s49, s50
	s_or_b32 exec_lo, exec_lo, s48
	v_mov_b32_e32 v8, 0
	s_and_saveexec_b32 s48, s49
	s_cbranch_execnz .LBB39_981
	s_branch .LBB39_982
.LBB39_1001:
	s_mov_b32 s25, -1
                                        ; implicit-def: $vgpr8
.LBB39_1002:
	s_mov_b32 s49, 0
.LBB39_1003:
	s_delay_alu instid0(SALU_CYCLE_1)
	s_and_b32 vcc_lo, exec_lo, s49
	s_cbranch_vccz .LBB39_1007
; %bb.1004:
	s_cmp_eq_u32 s47, 11
	s_cbranch_scc0 .LBB39_1006
; %bb.1005:
	global_load_u8 v1, v[6:7], off
	s_mov_b32 s25, 0
	s_mov_b32 s48, -1
	s_wait_loadcnt 0x0
	v_cmp_ne_u16_e32 vcc_lo, 0, v1
	s_wait_xcnt 0x1
	v_cndmask_b32_e64 v8, 0, 1, vcc_lo
	s_branch .LBB39_1007
.LBB39_1006:
	s_mov_b32 s25, -1
                                        ; implicit-def: $vgpr8
.LBB39_1007:
	s_mov_b32 s47, 0
.LBB39_1008:
	s_delay_alu instid0(SALU_CYCLE_1)
	s_and_b32 vcc_lo, exec_lo, s47
	s_cbranch_vccz .LBB39_1057
; %bb.1009:
	s_and_b32 s0, 0xffff, s0
	s_delay_alu instid0(SALU_CYCLE_1)
	s_cmp_lt_i32 s0, 5
	s_cbranch_scc1 .LBB39_1014
; %bb.1010:
	s_cmp_lt_i32 s0, 8
	s_cbranch_scc1 .LBB39_1015
; %bb.1011:
	;; [unrolled: 3-line block ×3, first 2 shown]
	s_cmp_gt_i32 s0, 9
	s_cbranch_scc0 .LBB39_1017
; %bb.1013:
	s_wait_loadcnt 0x0
	global_load_b64 v[8:9], v[6:7], off
	s_mov_b32 s47, 0
	s_wait_loadcnt 0x0
	v_cvt_i32_f64_e32 v8, v[8:9]
	s_branch .LBB39_1018
.LBB39_1014:
	s_mov_b32 s47, -1
                                        ; implicit-def: $vgpr8
	s_branch .LBB39_1036
.LBB39_1015:
	s_mov_b32 s47, -1
                                        ; implicit-def: $vgpr8
	s_branch .LBB39_1024
.LBB39_1016:
	s_mov_b32 s47, -1
                                        ; implicit-def: $vgpr8
	s_branch .LBB39_1021
.LBB39_1017:
	s_mov_b32 s47, -1
                                        ; implicit-def: $vgpr8
.LBB39_1018:
	s_delay_alu instid0(SALU_CYCLE_1)
	s_and_not1_b32 vcc_lo, exec_lo, s47
	s_cbranch_vccnz .LBB39_1020
; %bb.1019:
	global_load_b32 v1, v[6:7], off
	s_wait_loadcnt 0x0
	s_wait_xcnt 0x1
	v_cvt_i32_f32_e32 v8, v1
.LBB39_1020:
	s_mov_b32 s47, 0
.LBB39_1021:
	s_delay_alu instid0(SALU_CYCLE_1)
	s_and_not1_b32 vcc_lo, exec_lo, s47
	s_cbranch_vccnz .LBB39_1023
; %bb.1022:
	global_load_b32 v1, v[6:7], off
	s_wait_loadcnt 0x0
	s_wait_xcnt 0x1
	v_cvt_i16_f16_e32 v8, v1
.LBB39_1023:
	s_mov_b32 s47, 0
.LBB39_1024:
	s_delay_alu instid0(SALU_CYCLE_1)
	s_and_not1_b32 vcc_lo, exec_lo, s47
	s_cbranch_vccnz .LBB39_1035
; %bb.1025:
	s_cmp_lt_i32 s0, 6
	s_cbranch_scc1 .LBB39_1028
; %bb.1026:
	s_cmp_gt_i32 s0, 6
	s_cbranch_scc0 .LBB39_1029
; %bb.1027:
	s_wait_loadcnt 0x0
	global_load_b64 v[8:9], v[6:7], off
	s_mov_b32 s47, 0
	s_wait_loadcnt 0x0
	v_cvt_i32_f64_e32 v8, v[8:9]
	s_branch .LBB39_1030
.LBB39_1028:
	s_mov_b32 s47, -1
                                        ; implicit-def: $vgpr8
	s_branch .LBB39_1033
.LBB39_1029:
	s_mov_b32 s47, -1
                                        ; implicit-def: $vgpr8
.LBB39_1030:
	s_delay_alu instid0(SALU_CYCLE_1)
	s_and_not1_b32 vcc_lo, exec_lo, s47
	s_cbranch_vccnz .LBB39_1032
; %bb.1031:
	global_load_b32 v1, v[6:7], off
	s_wait_loadcnt 0x0
	s_wait_xcnt 0x1
	v_cvt_i32_f32_e32 v8, v1
.LBB39_1032:
	s_mov_b32 s47, 0
.LBB39_1033:
	s_delay_alu instid0(SALU_CYCLE_1)
	s_and_not1_b32 vcc_lo, exec_lo, s47
	s_cbranch_vccnz .LBB39_1035
; %bb.1034:
	global_load_u16 v1, v[6:7], off
	s_wait_loadcnt 0x0
	s_wait_xcnt 0x1
	v_cvt_i16_f16_e32 v8, v1
.LBB39_1035:
	s_mov_b32 s47, 0
.LBB39_1036:
	s_delay_alu instid0(SALU_CYCLE_1)
	s_and_not1_b32 vcc_lo, exec_lo, s47
	s_cbranch_vccnz .LBB39_1056
; %bb.1037:
	s_cmp_lt_i32 s0, 2
	s_cbranch_scc1 .LBB39_1041
; %bb.1038:
	s_cmp_lt_i32 s0, 3
	s_cbranch_scc1 .LBB39_1042
; %bb.1039:
	s_cmp_gt_i32 s0, 3
	s_cbranch_scc0 .LBB39_1043
; %bb.1040:
	s_wait_loadcnt 0x0
	global_load_b64 v[8:9], v[6:7], off
	s_mov_b32 s47, 0
	s_branch .LBB39_1044
.LBB39_1041:
	s_mov_b32 s47, -1
                                        ; implicit-def: $vgpr8
	s_branch .LBB39_1050
.LBB39_1042:
	s_mov_b32 s47, -1
                                        ; implicit-def: $vgpr8
	s_branch .LBB39_1047
.LBB39_1043:
	s_mov_b32 s47, -1
                                        ; implicit-def: $vgpr8
.LBB39_1044:
	s_delay_alu instid0(SALU_CYCLE_1)
	s_and_not1_b32 vcc_lo, exec_lo, s47
	s_cbranch_vccnz .LBB39_1046
; %bb.1045:
	s_wait_loadcnt 0x0
	global_load_b32 v8, v[6:7], off
.LBB39_1046:
	s_mov_b32 s47, 0
.LBB39_1047:
	s_delay_alu instid0(SALU_CYCLE_1)
	s_and_not1_b32 vcc_lo, exec_lo, s47
	s_cbranch_vccnz .LBB39_1049
; %bb.1048:
	s_wait_loadcnt 0x0
	global_load_u16 v8, v[6:7], off
.LBB39_1049:
	s_mov_b32 s47, 0
.LBB39_1050:
	s_delay_alu instid0(SALU_CYCLE_1)
	s_and_not1_b32 vcc_lo, exec_lo, s47
	s_cbranch_vccnz .LBB39_1056
; %bb.1051:
	s_cmp_gt_i32 s0, 0
	s_mov_b32 s0, 0
	s_cbranch_scc0 .LBB39_1053
; %bb.1052:
	s_wait_loadcnt 0x0
	global_load_i8 v8, v[6:7], off
	s_branch .LBB39_1054
.LBB39_1053:
	s_mov_b32 s0, -1
                                        ; implicit-def: $vgpr8
.LBB39_1054:
	s_delay_alu instid0(SALU_CYCLE_1)
	s_and_not1_b32 vcc_lo, exec_lo, s0
	s_cbranch_vccnz .LBB39_1056
; %bb.1055:
	s_wait_loadcnt 0x0
	global_load_u8 v8, v[6:7], off
.LBB39_1056:
	s_mov_b32 s48, -1
.LBB39_1057:
	s_delay_alu instid0(SALU_CYCLE_1)
	s_and_not1_b32 vcc_lo, exec_lo, s48
	s_cbranch_vccnz .LBB39_1069
; %bb.1058:
	s_wait_loadcnt 0x0
	s_delay_alu instid0(VALU_DEP_1) | instskip(SKIP_2) | instid1(VALU_DEP_1)
	v_sub_nc_u16 v1, 0, v8
	s_mov_b32 s47, 0
	s_mov_b32 s0, exec_lo
	v_max_i16 v1, v8, v1
	s_wait_xcnt 0x0
	v_cmpx_ne_u16_e32 0, v4
	s_cbranch_execz .LBB39_1062
; %bb.1059:
	v_sub_nc_u16 v3, 0, v4
	s_delay_alu instid0(VALU_DEP_1) | instskip(SKIP_1) | instid1(VALU_DEP_2)
	v_max_i16 v4, v4, v3
	v_and_b32_e32 v3, 0xffff, v1
	v_and_b32_e32 v4, 0xffff, v4
.LBB39_1060:                            ; =>This Inner Loop Header: Depth=1
	s_delay_alu instid0(VALU_DEP_1) | instskip(NEXT) | instid1(VALU_DEP_2)
	v_bfe_i32 v6, v3, 0, 16
	v_mov_b32_e32 v1, v4
	s_delay_alu instid0(VALU_DEP_2) | instskip(NEXT) | instid1(VALU_DEP_2)
	v_cvt_f32_i32_e32 v8, v6
	v_bfe_i32 v4, v1, 0, 16
	s_delay_alu instid0(VALU_DEP_1) | instskip(SKIP_1) | instid1(VALU_DEP_2)
	v_cvt_f32_i32_e32 v5, v4
	v_xor_b32_e32 v4, v6, v4
	v_rcp_iflag_f32_e32 v7, v5
	v_nop
	s_delay_alu instid0(TRANS32_DEP_1) | instskip(NEXT) | instid1(VALU_DEP_1)
	v_dual_ashrrev_i32 v4, 30, v4 :: v_dual_mul_f32 v6, v8, v7
	v_trunc_f32_e32 v6, v6
	s_delay_alu instid0(VALU_DEP_1) | instskip(SKIP_1) | instid1(VALU_DEP_2)
	v_dual_fma_f32 v7, -v6, v5, v8 :: v_dual_bitop2_b32 v4, 1, v4 bitop3:0x54
	v_cvt_i32_f32_e32 v6, v6
	v_cmp_ge_f32_e64 vcc_lo, |v7|, |v5|
	s_delay_alu instid0(VALU_DEP_3) | instskip(NEXT) | instid1(VALU_DEP_1)
	v_cndmask_b32_e32 v4, 0, v4, vcc_lo
	v_add_nc_u32_e32 v4, v6, v4
	s_delay_alu instid0(VALU_DEP_1) | instskip(NEXT) | instid1(VALU_DEP_1)
	v_mul_lo_u32 v4, v4, v1
	v_sub_nc_u32_e32 v4, v3, v4
	s_delay_alu instid0(VALU_DEP_1) | instskip(SKIP_1) | instid1(VALU_DEP_2)
	v_and_b32_e32 v3, 0xffff, v4
	v_bfe_i32 v4, v4, 0, 16
	v_cmp_eq_u32_e32 vcc_lo, 0, v3
	v_mov_b32_e32 v3, v1
	s_or_b32 s47, vcc_lo, s47
	s_delay_alu instid0(SALU_CYCLE_1)
	s_and_not1_b32 exec_lo, exec_lo, s47
	s_cbranch_execnz .LBB39_1060
; %bb.1061:
	s_or_b32 exec_lo, exec_lo, s47
.LBB39_1062:
	s_delay_alu instid0(SALU_CYCLE_1) | instskip(SKIP_2) | instid1(SALU_CYCLE_1)
	s_or_b32 exec_lo, exec_lo, s0
	v_mov_b32_e32 v3, 0
	s_and_b32 s47, s31, 0xff
	s_cmp_lt_i32 s47, 11
	s_delay_alu instid0(VALU_DEP_1)
	v_add_nc_u64_e32 v[2:3], s[4:5], v[2:3]
	s_cbranch_scc1 .LBB39_1070
; %bb.1063:
	s_and_b32 s48, 0xffff, s47
	s_delay_alu instid0(SALU_CYCLE_1)
	s_cmp_gt_i32 s48, 25
	s_cbranch_scc0 .LBB39_1071
; %bb.1064:
	s_cmp_gt_i32 s48, 28
	s_cbranch_scc0 .LBB39_1072
; %bb.1065:
	;; [unrolled: 3-line block ×4, first 2 shown]
	s_mov_b32 s50, 0
	s_mov_b32 s0, -1
	s_cmp_eq_u32 s48, 46
	s_mov_b32 s49, 0
	s_cbranch_scc0 .LBB39_1075
; %bb.1068:
	v_bfe_i32 v4, v1, 0, 16
	s_mov_b32 s49, -1
	s_mov_b32 s0, 0
	s_delay_alu instid0(VALU_DEP_1) | instskip(NEXT) | instid1(VALU_DEP_1)
	v_cvt_f32_i32_e32 v4, v4
	v_bfe_u32 v5, v4, 16, 1
	s_delay_alu instid0(VALU_DEP_1) | instskip(NEXT) | instid1(VALU_DEP_1)
	v_add3_u32 v4, v4, v5, 0x7fff
	v_lshrrev_b32_e32 v4, 16, v4
	global_store_b32 v[2:3], v4, off
	s_branch .LBB39_1075
.LBB39_1069:
	s_mov_b32 s50, 0
	s_mov_b32 s0, s43
	s_branch .LBB39_1186
.LBB39_1070:
	s_mov_b32 s48, -1
	s_mov_b32 s49, 0
	s_mov_b32 s0, s43
	s_branch .LBB39_1144
.LBB39_1071:
	s_mov_b32 s50, -1
	s_mov_b32 s49, 0
	s_mov_b32 s0, s43
	s_branch .LBB39_1102
.LBB39_1072:
	s_mov_b32 s50, -1
	s_mov_b32 s49, 0
	s_mov_b32 s0, s43
	s_branch .LBB39_1085
.LBB39_1073:
	s_mov_b32 s50, -1
	s_mov_b32 s49, 0
	s_mov_b32 s0, s43
	s_branch .LBB39_1081
.LBB39_1074:
	s_mov_b32 s50, -1
	s_mov_b32 s49, 0
	s_mov_b32 s0, s43
.LBB39_1075:
	s_and_b32 vcc_lo, exec_lo, s50
	s_cbranch_vccz .LBB39_1080
; %bb.1076:
	s_cmp_eq_u32 s48, 44
	s_mov_b32 s0, -1
	s_cbranch_scc0 .LBB39_1080
; %bb.1077:
	s_wait_xcnt 0x0
	v_bfe_i32 v4, v1, 0, 16
	v_mov_b32_e32 v5, 0xff
	s_mov_b32 s49, exec_lo
	s_delay_alu instid0(VALU_DEP_2) | instskip(NEXT) | instid1(VALU_DEP_1)
	v_cvt_f32_i32_e32 v4, v4
	v_bfe_u32 v6, v4, 23, 8
	s_delay_alu instid0(VALU_DEP_1)
	v_cmpx_ne_u32_e32 0xff, v6
	s_cbranch_execz .LBB39_1079
; %bb.1078:
	v_and_b32_e32 v5, 0x400000, v4
	v_and_or_b32 v6, 0x3fffff, v4, v6
	v_lshrrev_b32_e32 v4, 23, v4
	s_delay_alu instid0(VALU_DEP_3) | instskip(NEXT) | instid1(VALU_DEP_3)
	v_cmp_ne_u32_e32 vcc_lo, 0, v5
	v_cmp_ne_u32_e64 s0, 0, v6
	s_and_b32 s0, vcc_lo, s0
	s_delay_alu instid0(SALU_CYCLE_1) | instskip(NEXT) | instid1(VALU_DEP_1)
	v_cndmask_b32_e64 v5, 0, 1, s0
	v_add_nc_u32_e32 v5, v4, v5
.LBB39_1079:
	s_or_b32 exec_lo, exec_lo, s49
	s_mov_b32 s49, -1
	s_mov_b32 s0, 0
	global_store_b8 v[2:3], v5, off
.LBB39_1080:
	s_mov_b32 s50, 0
.LBB39_1081:
	s_delay_alu instid0(SALU_CYCLE_1)
	s_and_b32 vcc_lo, exec_lo, s50
	s_cbranch_vccz .LBB39_1084
; %bb.1082:
	s_cmp_eq_u32 s48, 29
	s_mov_b32 s0, -1
	s_cbranch_scc0 .LBB39_1084
; %bb.1083:
	s_wait_xcnt 0x0
	v_bfe_i32 v4, v1, 0, 16
	s_mov_b32 s0, 0
	s_mov_b32 s49, -1
	s_mov_b32 s50, 0
	s_delay_alu instid0(VALU_DEP_1)
	v_ashrrev_i32_e32 v5, 31, v4
	global_store_b64 v[2:3], v[4:5], off
	s_branch .LBB39_1085
.LBB39_1084:
	s_mov_b32 s50, 0
.LBB39_1085:
	s_delay_alu instid0(SALU_CYCLE_1)
	s_and_b32 vcc_lo, exec_lo, s50
	s_cbranch_vccz .LBB39_1101
; %bb.1086:
	s_cmp_lt_i32 s48, 27
	s_mov_b32 s49, -1
	s_cbranch_scc1 .LBB39_1092
; %bb.1087:
	s_cmp_gt_i32 s48, 27
	s_cbranch_scc0 .LBB39_1089
; %bb.1088:
	s_wait_xcnt 0x0
	v_bfe_i32 v4, v1, 0, 16
	s_mov_b32 s49, 0
	global_store_b32 v[2:3], v4, off
.LBB39_1089:
	s_and_not1_b32 vcc_lo, exec_lo, s49
	s_cbranch_vccnz .LBB39_1091
; %bb.1090:
	global_store_b16 v[2:3], v1, off
.LBB39_1091:
	s_mov_b32 s49, 0
.LBB39_1092:
	s_delay_alu instid0(SALU_CYCLE_1)
	s_and_not1_b32 vcc_lo, exec_lo, s49
	s_cbranch_vccnz .LBB39_1100
; %bb.1093:
	s_wait_xcnt 0x0
	v_bfe_i32 v4, v1, 0, 16
	v_mov_b32_e32 v6, 0x80
	s_mov_b32 s49, exec_lo
	s_delay_alu instid0(VALU_DEP_2) | instskip(NEXT) | instid1(VALU_DEP_1)
	v_cvt_f32_i32_e32 v4, v4
	v_and_b32_e32 v5, 0x7fffffff, v4
	s_delay_alu instid0(VALU_DEP_1)
	v_cmpx_gt_u32_e32 0x43800000, v5
	s_cbranch_execz .LBB39_1099
; %bb.1094:
	v_cmp_lt_u32_e32 vcc_lo, 0x3bffffff, v5
	s_mov_b32 s50, 0
                                        ; implicit-def: $vgpr5
	s_and_saveexec_b32 s51, vcc_lo
	s_delay_alu instid0(SALU_CYCLE_1)
	s_xor_b32 s51, exec_lo, s51
	s_cbranch_execz .LBB39_1214
; %bb.1095:
	v_bfe_u32 v5, v4, 20, 1
	s_mov_b32 s50, exec_lo
	s_delay_alu instid0(VALU_DEP_1) | instskip(NEXT) | instid1(VALU_DEP_1)
	v_add3_u32 v5, v4, v5, 0x487ffff
	v_lshrrev_b32_e32 v5, 20, v5
	s_and_not1_saveexec_b32 s51, s51
	s_cbranch_execnz .LBB39_1215
.LBB39_1096:
	s_or_b32 exec_lo, exec_lo, s51
	v_mov_b32_e32 v6, 0
	s_and_saveexec_b32 s51, s50
.LBB39_1097:
	v_lshrrev_b32_e32 v4, 24, v4
	s_delay_alu instid0(VALU_DEP_1)
	v_and_or_b32 v6, 0x80, v4, v5
.LBB39_1098:
	s_or_b32 exec_lo, exec_lo, s51
.LBB39_1099:
	s_delay_alu instid0(SALU_CYCLE_1)
	s_or_b32 exec_lo, exec_lo, s49
	global_store_b8 v[2:3], v6, off
.LBB39_1100:
	s_mov_b32 s49, -1
.LBB39_1101:
	s_mov_b32 s50, 0
.LBB39_1102:
	s_delay_alu instid0(SALU_CYCLE_1)
	s_and_b32 vcc_lo, exec_lo, s50
	s_cbranch_vccz .LBB39_1143
; %bb.1103:
	s_cmp_gt_i32 s48, 22
	s_mov_b32 s50, -1
	s_cbranch_scc0 .LBB39_1135
; %bb.1104:
	s_cmp_lt_i32 s48, 24
	s_mov_b32 s49, -1
	s_cbranch_scc1 .LBB39_1124
; %bb.1105:
	s_cmp_gt_i32 s48, 24
	s_cbranch_scc0 .LBB39_1113
; %bb.1106:
	s_wait_xcnt 0x0
	v_bfe_i32 v4, v1, 0, 16
	v_mov_b32_e32 v6, 0x80
	s_mov_b32 s49, exec_lo
	s_delay_alu instid0(VALU_DEP_2) | instskip(NEXT) | instid1(VALU_DEP_1)
	v_cvt_f32_i32_e32 v4, v4
	v_and_b32_e32 v5, 0x7fffffff, v4
	s_delay_alu instid0(VALU_DEP_1)
	v_cmpx_gt_u32_e32 0x47800000, v5
	s_cbranch_execz .LBB39_1112
; %bb.1107:
	v_cmp_lt_u32_e32 vcc_lo, 0x37ffffff, v5
	s_mov_b32 s50, 0
                                        ; implicit-def: $vgpr5
	s_and_saveexec_b32 s51, vcc_lo
	s_delay_alu instid0(SALU_CYCLE_1)
	s_xor_b32 s51, exec_lo, s51
	s_cbranch_execz .LBB39_2269
; %bb.1108:
	v_bfe_u32 v5, v4, 21, 1
	s_mov_b32 s50, exec_lo
	s_delay_alu instid0(VALU_DEP_1) | instskip(NEXT) | instid1(VALU_DEP_1)
	v_add3_u32 v5, v4, v5, 0x88fffff
	v_lshrrev_b32_e32 v5, 21, v5
	s_and_not1_saveexec_b32 s51, s51
	s_cbranch_execnz .LBB39_2270
.LBB39_1109:
	s_or_b32 exec_lo, exec_lo, s51
	v_mov_b32_e32 v6, 0
	s_and_saveexec_b32 s51, s50
.LBB39_1110:
	v_lshrrev_b32_e32 v4, 24, v4
	s_delay_alu instid0(VALU_DEP_1)
	v_and_or_b32 v6, 0x80, v4, v5
.LBB39_1111:
	s_or_b32 exec_lo, exec_lo, s51
.LBB39_1112:
	s_delay_alu instid0(SALU_CYCLE_1)
	s_or_b32 exec_lo, exec_lo, s49
	s_mov_b32 s49, 0
	global_store_b8 v[2:3], v6, off
.LBB39_1113:
	s_and_b32 vcc_lo, exec_lo, s49
	s_cbranch_vccz .LBB39_1123
; %bb.1114:
	s_wait_xcnt 0x0
	v_bfe_i32 v4, v1, 0, 16
	s_mov_b32 s49, exec_lo
                                        ; implicit-def: $vgpr5
	s_delay_alu instid0(VALU_DEP_1) | instskip(NEXT) | instid1(VALU_DEP_1)
	v_cvt_f32_i32_e32 v4, v4
	v_and_b32_e32 v6, 0x7fffffff, v4
	s_delay_alu instid0(VALU_DEP_1)
	v_cmpx_gt_u32_e32 0x43f00000, v6
	s_xor_b32 s49, exec_lo, s49
	s_cbranch_execz .LBB39_1120
; %bb.1115:
	s_mov_b32 s50, exec_lo
                                        ; implicit-def: $vgpr5
	v_cmpx_lt_u32_e32 0x3c7fffff, v6
	s_xor_b32 s50, exec_lo, s50
; %bb.1116:
	v_bfe_u32 v5, v4, 20, 1
	s_delay_alu instid0(VALU_DEP_1) | instskip(NEXT) | instid1(VALU_DEP_1)
	v_add3_u32 v5, v4, v5, 0x407ffff
	v_and_b32_e32 v6, 0xff00000, v5
	v_lshrrev_b32_e32 v5, 20, v5
	s_delay_alu instid0(VALU_DEP_2) | instskip(NEXT) | instid1(VALU_DEP_2)
	v_cmp_ne_u32_e32 vcc_lo, 0x7f00000, v6
	v_cndmask_b32_e32 v5, 0x7e, v5, vcc_lo
; %bb.1117:
	s_and_not1_saveexec_b32 s50, s50
; %bb.1118:
	v_add_f32_e64 v5, 0x46800000, |v4|
; %bb.1119:
	s_or_b32 exec_lo, exec_lo, s50
                                        ; implicit-def: $vgpr6
.LBB39_1120:
	s_and_not1_saveexec_b32 s49, s49
; %bb.1121:
	v_mov_b32_e32 v5, 0x7f
	v_cmp_lt_u32_e32 vcc_lo, 0x7f800000, v6
	s_delay_alu instid0(VALU_DEP_2)
	v_cndmask_b32_e32 v5, 0x7e, v5, vcc_lo
; %bb.1122:
	s_or_b32 exec_lo, exec_lo, s49
	v_lshrrev_b32_e32 v4, 24, v4
	s_delay_alu instid0(VALU_DEP_1)
	v_and_or_b32 v4, 0x80, v4, v5
	global_store_b8 v[2:3], v4, off
.LBB39_1123:
	s_mov_b32 s49, 0
.LBB39_1124:
	s_delay_alu instid0(SALU_CYCLE_1)
	s_and_not1_b32 vcc_lo, exec_lo, s49
	s_cbranch_vccnz .LBB39_1134
; %bb.1125:
	s_wait_xcnt 0x0
	v_bfe_i32 v4, v1, 0, 16
	s_mov_b32 s49, exec_lo
                                        ; implicit-def: $vgpr5
	s_delay_alu instid0(VALU_DEP_1) | instskip(NEXT) | instid1(VALU_DEP_1)
	v_cvt_f32_i32_e32 v4, v4
	v_and_b32_e32 v6, 0x7fffffff, v4
	s_delay_alu instid0(VALU_DEP_1)
	v_cmpx_gt_u32_e32 0x47800000, v6
	s_xor_b32 s49, exec_lo, s49
	s_cbranch_execz .LBB39_1131
; %bb.1126:
	s_mov_b32 s50, exec_lo
                                        ; implicit-def: $vgpr5
	v_cmpx_lt_u32_e32 0x387fffff, v6
	s_xor_b32 s50, exec_lo, s50
; %bb.1127:
	v_bfe_u32 v5, v4, 21, 1
	s_delay_alu instid0(VALU_DEP_1) | instskip(NEXT) | instid1(VALU_DEP_1)
	v_add3_u32 v5, v4, v5, 0x80fffff
	v_lshrrev_b32_e32 v5, 21, v5
; %bb.1128:
	s_and_not1_saveexec_b32 s50, s50
; %bb.1129:
	v_add_f32_e64 v5, 0x43000000, |v4|
; %bb.1130:
	s_or_b32 exec_lo, exec_lo, s50
                                        ; implicit-def: $vgpr6
.LBB39_1131:
	s_and_not1_saveexec_b32 s49, s49
; %bb.1132:
	v_mov_b32_e32 v5, 0x7f
	v_cmp_lt_u32_e32 vcc_lo, 0x7f800000, v6
	s_delay_alu instid0(VALU_DEP_2)
	v_cndmask_b32_e32 v5, 0x7c, v5, vcc_lo
; %bb.1133:
	s_or_b32 exec_lo, exec_lo, s49
	v_lshrrev_b32_e32 v4, 24, v4
	s_delay_alu instid0(VALU_DEP_1)
	v_and_or_b32 v4, 0x80, v4, v5
	global_store_b8 v[2:3], v4, off
.LBB39_1134:
	s_mov_b32 s50, 0
	s_mov_b32 s49, -1
.LBB39_1135:
	s_and_not1_b32 vcc_lo, exec_lo, s50
	s_cbranch_vccnz .LBB39_1143
; %bb.1136:
	s_cmp_gt_i32 s48, 14
	s_mov_b32 s50, -1
	s_cbranch_scc0 .LBB39_1140
; %bb.1137:
	s_cmp_eq_u32 s48, 15
	s_mov_b32 s0, -1
	s_cbranch_scc0 .LBB39_1139
; %bb.1138:
	s_wait_xcnt 0x0
	v_bfe_i32 v4, v1, 0, 16
	s_mov_b32 s49, -1
	s_mov_b32 s0, 0
	s_delay_alu instid0(VALU_DEP_1) | instskip(NEXT) | instid1(VALU_DEP_1)
	v_cvt_f32_i32_e32 v4, v4
	v_bfe_u32 v5, v4, 16, 1
	s_delay_alu instid0(VALU_DEP_1)
	v_add3_u32 v4, v4, v5, 0x7fff
	global_store_d16_hi_b16 v[2:3], v4, off
.LBB39_1139:
	s_mov_b32 s50, 0
.LBB39_1140:
	s_delay_alu instid0(SALU_CYCLE_1)
	s_and_b32 vcc_lo, exec_lo, s50
	s_cbranch_vccz .LBB39_1143
; %bb.1141:
	s_cmp_eq_u32 s48, 11
	s_mov_b32 s0, -1
	s_cbranch_scc0 .LBB39_1143
; %bb.1142:
	v_cmp_ne_u16_e32 vcc_lo, 0, v1
	s_mov_b32 s0, 0
	s_mov_b32 s49, -1
	s_wait_xcnt 0x0
	v_cndmask_b32_e64 v4, 0, 1, vcc_lo
	global_store_b8 v[2:3], v4, off
.LBB39_1143:
	s_mov_b32 s48, 0
.LBB39_1144:
	s_delay_alu instid0(SALU_CYCLE_1)
	s_and_b32 vcc_lo, exec_lo, s48
	s_cbranch_vccz .LBB39_1183
; %bb.1145:
	s_and_b32 s47, 0xffff, s47
	s_mov_b32 s48, -1
	s_cmp_lt_i32 s47, 5
	s_cbranch_scc1 .LBB39_1166
; %bb.1146:
	s_cmp_lt_i32 s47, 8
	s_cbranch_scc1 .LBB39_1156
; %bb.1147:
	;; [unrolled: 3-line block ×3, first 2 shown]
	s_cmp_gt_i32 s47, 9
	s_cbranch_scc0 .LBB39_1150
; %bb.1149:
	s_wait_xcnt 0x0
	v_bfe_i32 v4, v1, 0, 16
	v_mov_b32_e32 v6, 0
	s_mov_b32 s48, 0
	s_delay_alu instid0(VALU_DEP_2) | instskip(NEXT) | instid1(VALU_DEP_2)
	v_cvt_f64_i32_e32 v[4:5], v4
	v_mov_b32_e32 v7, v6
	global_store_b128 v[2:3], v[4:7], off
.LBB39_1150:
	s_and_not1_b32 vcc_lo, exec_lo, s48
	s_cbranch_vccnz .LBB39_1152
; %bb.1151:
	s_wait_xcnt 0x0
	v_bfe_i32 v4, v1, 0, 16
	v_mov_b32_e32 v5, 0
	s_delay_alu instid0(VALU_DEP_2)
	v_cvt_f32_i32_e32 v4, v4
	global_store_b64 v[2:3], v[4:5], off
.LBB39_1152:
	s_mov_b32 s48, 0
.LBB39_1153:
	s_delay_alu instid0(SALU_CYCLE_1)
	s_and_not1_b32 vcc_lo, exec_lo, s48
	s_cbranch_vccnz .LBB39_1155
; %bb.1154:
	s_wait_xcnt 0x0
	v_cvt_f16_i16_e32 v4, v1
	s_delay_alu instid0(VALU_DEP_1)
	v_and_b32_e32 v4, 0xffff, v4
	global_store_b32 v[2:3], v4, off
.LBB39_1155:
	s_mov_b32 s48, 0
.LBB39_1156:
	s_delay_alu instid0(SALU_CYCLE_1)
	s_and_not1_b32 vcc_lo, exec_lo, s48
	s_cbranch_vccnz .LBB39_1165
; %bb.1157:
	s_cmp_lt_i32 s47, 6
	s_mov_b32 s48, -1
	s_cbranch_scc1 .LBB39_1163
; %bb.1158:
	s_cmp_gt_i32 s47, 6
	s_cbranch_scc0 .LBB39_1160
; %bb.1159:
	s_wait_xcnt 0x0
	v_bfe_i32 v4, v1, 0, 16
	s_mov_b32 s48, 0
	s_delay_alu instid0(VALU_DEP_1)
	v_cvt_f64_i32_e32 v[4:5], v4
	global_store_b64 v[2:3], v[4:5], off
.LBB39_1160:
	s_and_not1_b32 vcc_lo, exec_lo, s48
	s_cbranch_vccnz .LBB39_1162
; %bb.1161:
	s_wait_xcnt 0x0
	v_bfe_i32 v4, v1, 0, 16
	s_delay_alu instid0(VALU_DEP_1)
	v_cvt_f32_i32_e32 v4, v4
	global_store_b32 v[2:3], v4, off
.LBB39_1162:
	s_mov_b32 s48, 0
.LBB39_1163:
	s_delay_alu instid0(SALU_CYCLE_1)
	s_and_not1_b32 vcc_lo, exec_lo, s48
	s_cbranch_vccnz .LBB39_1165
; %bb.1164:
	s_wait_xcnt 0x0
	v_cvt_f16_i16_e32 v4, v1
	global_store_b16 v[2:3], v4, off
.LBB39_1165:
	s_mov_b32 s48, 0
.LBB39_1166:
	s_delay_alu instid0(SALU_CYCLE_1)
	s_and_not1_b32 vcc_lo, exec_lo, s48
	s_cbranch_vccnz .LBB39_1182
; %bb.1167:
	s_cmp_lt_i32 s47, 2
	s_mov_b32 s48, -1
	s_cbranch_scc1 .LBB39_1177
; %bb.1168:
	s_cmp_lt_i32 s47, 3
	s_cbranch_scc1 .LBB39_1174
; %bb.1169:
	s_cmp_gt_i32 s47, 3
	s_cbranch_scc0 .LBB39_1171
; %bb.1170:
	s_wait_xcnt 0x0
	v_bfe_i32 v4, v1, 0, 16
	s_mov_b32 s48, 0
	s_delay_alu instid0(VALU_DEP_1)
	v_ashrrev_i32_e32 v5, 31, v4
	global_store_b64 v[2:3], v[4:5], off
.LBB39_1171:
	s_and_not1_b32 vcc_lo, exec_lo, s48
	s_cbranch_vccnz .LBB39_1173
; %bb.1172:
	s_wait_xcnt 0x0
	v_bfe_i32 v4, v1, 0, 16
	global_store_b32 v[2:3], v4, off
.LBB39_1173:
	s_mov_b32 s48, 0
.LBB39_1174:
	s_delay_alu instid0(SALU_CYCLE_1)
	s_and_not1_b32 vcc_lo, exec_lo, s48
	s_cbranch_vccnz .LBB39_1176
; %bb.1175:
	global_store_b16 v[2:3], v1, off
.LBB39_1176:
	s_mov_b32 s48, 0
.LBB39_1177:
	s_delay_alu instid0(SALU_CYCLE_1)
	s_and_not1_b32 vcc_lo, exec_lo, s48
	s_cbranch_vccnz .LBB39_1182
; %bb.1178:
	s_cmp_gt_i32 s47, 0
	s_mov_b32 s47, -1
	s_cbranch_scc0 .LBB39_1180
; %bb.1179:
	s_mov_b32 s47, 0
	global_store_b8 v[2:3], v1, off
.LBB39_1180:
	s_and_not1_b32 vcc_lo, exec_lo, s47
	s_cbranch_vccnz .LBB39_1182
; %bb.1181:
	global_store_b8 v[2:3], v1, off
.LBB39_1182:
	s_mov_b32 s49, -1
.LBB39_1183:
	s_delay_alu instid0(SALU_CYCLE_1)
	s_and_not1_b32 vcc_lo, exec_lo, s49
	s_cbranch_vccnz .LBB39_1185
; %bb.1184:
	v_add_nc_u32_e32 v0, 0x80, v0
	s_mov_b32 s50, -1
	s_branch .LBB39_1187
.LBB39_1185:
	s_mov_b32 s50, 0
.LBB39_1186:
                                        ; implicit-def: $vgpr0
.LBB39_1187:
	s_and_not1_b32 s47, s43, exec_lo
	s_and_b32 s0, s0, exec_lo
	s_and_b32 s25, s25, exec_lo
	s_or_b32 s48, s47, s0
	s_and_not1_b32 s0, s44, exec_lo
	s_and_not1_b32 s47, s42, exec_lo
	s_and_b32 s24, s24, exec_lo
	s_or_b32 s49, s0, s25
	s_or_b32 s47, s47, s24
	s_or_not1_b32 s51, s50, exec_lo
.LBB39_1188:
	s_wait_xcnt 0x0
	s_or_b32 exec_lo, exec_lo, s46
	s_mov_b32 s25, 0
	s_mov_b32 s50, 0
	;; [unrolled: 1-line block ×3, first 2 shown]
                                        ; implicit-def: $sgpr0
                                        ; implicit-def: $vgpr8_vgpr9
                                        ; implicit-def: $vgpr6
                                        ; implicit-def: $vgpr2
                                        ; implicit-def: $vgpr4
	s_and_saveexec_b32 s46, s51
	s_cbranch_execz .LBB39_1279
; %bb.1189:
	v_cmp_gt_i32_e32 vcc_lo, s36, v0
	s_mov_b32 s51, s47
                                        ; implicit-def: $sgpr0
                                        ; implicit-def: $vgpr8_vgpr9
                                        ; implicit-def: $vgpr6
                                        ; implicit-def: $vgpr2
                                        ; implicit-def: $vgpr4
	s_and_saveexec_b32 s36, vcc_lo
	s_cbranch_execz .LBB39_1278
; %bb.1190:
	s_and_not1_b32 vcc_lo, exec_lo, s29
	s_cbranch_vccnz .LBB39_1196
; %bb.1191:
	s_and_not1_b32 vcc_lo, exec_lo, s37
	s_cbranch_vccnz .LBB39_1197
; %bb.1192:
	v_dual_mov_b32 v2, 0 :: v_dual_mov_b32 v1, v0
	s_wait_loadcnt 0x0
	v_dual_mov_b32 v4, 0 :: v_dual_mov_b32 v6, 0
	s_add_co_i32 s0, s35, 1
	s_mov_b64 s[24:25], 0xffffffffffffffe8
	s_and_b32 s0, s0, 30
	s_add_nc_u64 s[24:25], s[2:3], s[24:25]
.LBB39_1193:                            ; =>This Inner Loop Header: Depth=1
	s_clause 0x1
	s_load_b128 s[52:55], s[24:25], 0x1c
	s_load_b64 s[50:51], s[24:25], 0x2c
	s_add_co_i32 s0, s0, -2
	s_delay_alu instid0(SALU_CYCLE_1) | instskip(SKIP_2) | instid1(VALU_DEP_1)
	s_cmp_eq_u32 s0, 0
	s_wait_kmcnt 0x0
	v_mul_hi_u32 v3, s53, v1
	v_add_nc_u32_e32 v3, v1, v3
	s_delay_alu instid0(VALU_DEP_1) | instskip(NEXT) | instid1(VALU_DEP_1)
	v_lshrrev_b32_e32 v3, s54, v3
	v_mul_hi_u32 v5, s50, v3
	v_mul_lo_u32 v7, v3, s52
	s_clause 0x1
	s_load_b128 s[56:59], s[24:25], 0xdc
	s_load_b64 s[52:53], s[24:25], 0xec
	s_wait_xcnt 0x0
	s_add_nc_u64 s[24:25], s[24:25], 24
	s_delay_alu instid0(VALU_DEP_1) | instskip(NEXT) | instid1(VALU_DEP_1)
	v_dual_add_nc_u32 v5, v3, v5 :: v_dual_sub_nc_u32 v7, v1, v7
	v_lshrrev_b32_e32 v1, s51, v5
	s_wait_kmcnt 0x0
	s_delay_alu instid0(VALU_DEP_2) | instskip(NEXT) | instid1(VALU_DEP_2)
	v_mad_u32 v2, v7, s56, v2
	v_mul_lo_u32 v5, v1, s55
	v_mad_u32 v6, v7, s58, v6
	v_mad_u32 v4, v7, s57, v4
	s_delay_alu instid0(VALU_DEP_3) | instskip(NEXT) | instid1(VALU_DEP_1)
	v_sub_nc_u32_e32 v3, v3, v5
	v_mad_u32 v2, v3, s59, v2
	s_delay_alu instid0(VALU_DEP_4) | instskip(NEXT) | instid1(VALU_DEP_4)
	v_mad_u32 v6, v3, s53, v6
	v_mad_u32 v4, v3, s52, v4
	s_cbranch_scc0 .LBB39_1193
; %bb.1194:
	s_bitcmp1_b32 s35, 0
	s_cselect_b32 s0, -1, 0
	s_delay_alu instid0(SALU_CYCLE_1)
	s_and_b32 vcc_lo, exec_lo, s0
	s_cbranch_vccnz .LBB39_1198
; %bb.1195:
	s_clause 0x1
	s_load_b96 s[52:54], s[24:25], 0x1c
	s_load_b96 s[56:58], s[24:25], 0xdc
	s_wait_kmcnt 0x0
	v_mul_hi_u32 v3, s53, v1
	s_delay_alu instid0(VALU_DEP_1) | instskip(NEXT) | instid1(VALU_DEP_1)
	v_add_nc_u32_e32 v3, v1, v3
	v_lshrrev_b32_e32 v3, s54, v3
	s_delay_alu instid0(VALU_DEP_1) | instskip(NEXT) | instid1(VALU_DEP_1)
	v_mul_lo_u32 v3, v3, s52
	v_sub_nc_u32_e32 v1, v1, v3
	s_delay_alu instid0(VALU_DEP_1)
	v_mad_u32 v2, v1, s56, v2
	v_mad_u32 v4, v1, s57, v4
	;; [unrolled: 1-line block ×3, first 2 shown]
	s_branch .LBB39_1198
.LBB39_1196:
	s_mov_b32 s0, -1
                                        ; implicit-def: $vgpr6
                                        ; implicit-def: $vgpr4
                                        ; implicit-def: $vgpr2
	s_branch .LBB39_1199
.LBB39_1197:
	s_wait_loadcnt 0x0
	v_dual_mov_b32 v6, 0 :: v_dual_mov_b32 v4, 0
	v_mov_b32_e32 v2, 0
.LBB39_1198:
	s_mov_b32 s0, 0
.LBB39_1199:
	s_delay_alu instid0(SALU_CYCLE_1)
	s_and_not1_b32 vcc_lo, exec_lo, s0
	s_cbranch_vccnz .LBB39_1202
; %bb.1200:
	v_mov_b32_e32 v1, 0
	s_and_not1_b32 vcc_lo, exec_lo, s34
	s_delay_alu instid0(VALU_DEP_1) | instskip(NEXT) | instid1(VALU_DEP_1)
	v_mul_u64_e32 v[2:3], s[18:19], v[0:1]
	v_add_nc_u32_e32 v2, v0, v3
	s_wait_loadcnt 0x0
	s_delay_alu instid0(VALU_DEP_1) | instskip(NEXT) | instid1(VALU_DEP_1)
	v_lshrrev_b32_e32 v8, s10, v2
	v_mul_lo_u32 v2, v8, s8
	s_delay_alu instid0(VALU_DEP_1) | instskip(NEXT) | instid1(VALU_DEP_1)
	v_sub_nc_u32_e32 v0, v0, v2
	v_mul_lo_u32 v2, v0, s12
	v_mul_lo_u32 v6, v0, s14
	;; [unrolled: 1-line block ×3, first 2 shown]
	s_cbranch_vccnz .LBB39_1202
; %bb.1201:
	v_mov_b32_e32 v9, v1
	s_delay_alu instid0(VALU_DEP_1) | instskip(NEXT) | instid1(VALU_DEP_1)
	v_mul_u64_e32 v[0:1], s[22:23], v[8:9]
	v_add_nc_u32_e32 v0, v8, v1
	s_delay_alu instid0(VALU_DEP_1) | instskip(NEXT) | instid1(VALU_DEP_1)
	v_lshrrev_b32_e32 v0, s1, v0
	v_mul_lo_u32 v0, v0, s11
	s_delay_alu instid0(VALU_DEP_1) | instskip(NEXT) | instid1(VALU_DEP_1)
	v_sub_nc_u32_e32 v0, v8, v0
	v_mad_u32 v2, v0, s15, v2
	v_mad_u32 v4, v0, s20, v4
	;; [unrolled: 1-line block ×3, first 2 shown]
.LBB39_1202:
	s_wait_loadcnt 0x0
	v_mov_b32_e32 v5, 0
	s_and_b32 s0, s33, 0xff
	s_delay_alu instid0(SALU_CYCLE_1) | instskip(NEXT) | instid1(VALU_DEP_1)
	s_cmp_lt_i32 s0, 11
	v_add_nc_u64_e32 v[8:9], s[6:7], v[4:5]
	s_cbranch_scc1 .LBB39_1209
; %bb.1203:
	s_and_b32 s1, 0xffff, s0
	s_mov_b32 s7, 0
	s_cmp_gt_i32 s1, 25
	s_cbranch_scc0 .LBB39_1210
; %bb.1204:
	s_cmp_gt_i32 s1, 28
	s_cbranch_scc0 .LBB39_1211
; %bb.1205:
	s_cmp_gt_i32 s1, 43
	s_cbranch_scc0 .LBB39_1212
; %bb.1206:
	s_cmp_gt_i32 s1, 45
	s_cbranch_scc0 .LBB39_1213
; %bb.1207:
	s_cmp_eq_u32 s1, 46
	s_mov_b32 s10, 0
	s_cbranch_scc0 .LBB39_1216
; %bb.1208:
	global_load_b32 v0, v[8:9], off
	s_mov_b32 s6, 0
	s_mov_b32 s8, -1
	s_wait_loadcnt 0x0
	v_lshlrev_b32_e32 v0, 16, v0
	s_delay_alu instid0(VALU_DEP_1)
	v_cvt_i32_f32_e32 v4, v0
	s_branch .LBB39_1218
.LBB39_1209:
	s_mov_b32 s1, -1
	s_mov_b32 s8, 0
	s_mov_b32 s7, 0
	;; [unrolled: 1-line block ×3, first 2 shown]
                                        ; implicit-def: $vgpr4
	s_branch .LBB39_1277
.LBB39_1210:
	s_mov_b32 s10, -1
	s_mov_b32 s8, 0
	s_mov_b32 s6, s47
                                        ; implicit-def: $vgpr4
	s_branch .LBB39_1245
.LBB39_1211:
	s_mov_b32 s10, -1
	s_mov_b32 s8, 0
	s_mov_b32 s6, s47
                                        ; implicit-def: $vgpr4
	s_branch .LBB39_1228
.LBB39_1212:
	s_mov_b32 s10, -1
	s_mov_b32 s8, 0
	s_mov_b32 s6, s47
                                        ; implicit-def: $vgpr4
	s_branch .LBB39_1223
.LBB39_1213:
	s_mov_b32 s10, -1
	s_mov_b32 s8, 0
	s_mov_b32 s6, s47
	s_branch .LBB39_1217
.LBB39_1214:
	s_and_not1_saveexec_b32 s51, s51
	s_cbranch_execz .LBB39_1096
.LBB39_1215:
	v_add_f32_e64 v5, 0x46000000, |v4|
	s_and_not1_b32 s50, s50, exec_lo
	s_delay_alu instid0(VALU_DEP_1) | instskip(NEXT) | instid1(VALU_DEP_1)
	v_and_b32_e32 v5, 0xff, v5
	v_cmp_ne_u32_e32 vcc_lo, 0, v5
	s_and_b32 s52, vcc_lo, exec_lo
	s_delay_alu instid0(SALU_CYCLE_1)
	s_or_b32 s50, s50, s52
	s_or_b32 exec_lo, exec_lo, s51
	v_mov_b32_e32 v6, 0
	s_and_saveexec_b32 s51, s50
	s_cbranch_execnz .LBB39_1097
	s_branch .LBB39_1098
.LBB39_1216:
	s_mov_b32 s6, -1
	s_mov_b32 s8, 0
.LBB39_1217:
                                        ; implicit-def: $vgpr4
.LBB39_1218:
	s_and_b32 vcc_lo, exec_lo, s10
	s_cbranch_vccz .LBB39_1222
; %bb.1219:
	s_cmp_eq_u32 s1, 44
	s_cbranch_scc0 .LBB39_1221
; %bb.1220:
	global_load_u8 v0, v[8:9], off
	s_mov_b32 s6, 0
	s_mov_b32 s8, -1
	s_wait_loadcnt 0x0
	v_lshlrev_b32_e32 v1, 23, v0
	v_cmp_ne_u32_e32 vcc_lo, 0, v0
	s_delay_alu instid0(VALU_DEP_2) | instskip(NEXT) | instid1(VALU_DEP_1)
	v_cvt_i32_f32_e32 v1, v1
	v_cndmask_b32_e32 v4, 0, v1, vcc_lo
	s_branch .LBB39_1222
.LBB39_1221:
	s_mov_b32 s6, -1
                                        ; implicit-def: $vgpr4
.LBB39_1222:
	s_mov_b32 s10, 0
.LBB39_1223:
	s_delay_alu instid0(SALU_CYCLE_1)
	s_and_b32 vcc_lo, exec_lo, s10
	s_cbranch_vccz .LBB39_1227
; %bb.1224:
	s_cmp_eq_u32 s1, 29
	s_cbranch_scc0 .LBB39_1226
; %bb.1225:
	global_load_b64 v[4:5], v[8:9], off
	s_mov_b32 s6, 0
	s_mov_b32 s8, -1
	s_branch .LBB39_1227
.LBB39_1226:
	s_mov_b32 s6, -1
                                        ; implicit-def: $vgpr4
.LBB39_1227:
	s_mov_b32 s10, 0
.LBB39_1228:
	s_delay_alu instid0(SALU_CYCLE_1)
	s_and_b32 vcc_lo, exec_lo, s10
	s_cbranch_vccz .LBB39_1244
; %bb.1229:
	s_cmp_lt_i32 s1, 27
	s_cbranch_scc1 .LBB39_1232
; %bb.1230:
	s_cmp_gt_i32 s1, 27
	s_cbranch_scc0 .LBB39_1233
; %bb.1231:
	s_wait_loadcnt 0x0
	global_load_b32 v4, v[8:9], off
	s_mov_b32 s8, 0
	s_branch .LBB39_1234
.LBB39_1232:
	s_mov_b32 s8, -1
                                        ; implicit-def: $vgpr4
	s_branch .LBB39_1237
.LBB39_1233:
	s_mov_b32 s8, -1
                                        ; implicit-def: $vgpr4
.LBB39_1234:
	s_delay_alu instid0(SALU_CYCLE_1)
	s_and_not1_b32 vcc_lo, exec_lo, s8
	s_cbranch_vccnz .LBB39_1236
; %bb.1235:
	s_wait_loadcnt 0x0
	global_load_u16 v4, v[8:9], off
.LBB39_1236:
	s_mov_b32 s8, 0
.LBB39_1237:
	s_delay_alu instid0(SALU_CYCLE_1)
	s_and_not1_b32 vcc_lo, exec_lo, s8
	s_cbranch_vccnz .LBB39_1243
; %bb.1238:
	global_load_u8 v0, v[8:9], off
	s_mov_b32 s10, 0
	s_mov_b32 s8, exec_lo
	s_wait_loadcnt 0x0
	v_cmpx_lt_i16_e32 0x7f, v0
	s_xor_b32 s8, exec_lo, s8
	s_cbranch_execz .LBB39_1255
; %bb.1239:
	v_cmp_ne_u16_e32 vcc_lo, 0x80, v0
	s_and_b32 s10, vcc_lo, exec_lo
	s_and_not1_saveexec_b32 s8, s8
	s_cbranch_execnz .LBB39_1256
.LBB39_1240:
	s_or_b32 exec_lo, exec_lo, s8
	v_mov_b32_e32 v4, 0
	s_and_saveexec_b32 s8, s10
	s_cbranch_execz .LBB39_1242
.LBB39_1241:
	v_and_b32_e32 v1, 0xffff, v0
	s_delay_alu instid0(VALU_DEP_1) | instskip(SKIP_1) | instid1(VALU_DEP_2)
	v_and_b32_e32 v3, 7, v1
	v_bfe_u32 v7, v1, 3, 4
	v_clz_i32_u32_e32 v4, v3
	s_delay_alu instid0(VALU_DEP_2) | instskip(NEXT) | instid1(VALU_DEP_2)
	v_cmp_eq_u32_e32 vcc_lo, 0, v7
	v_min_u32_e32 v4, 32, v4
	s_delay_alu instid0(VALU_DEP_1) | instskip(NEXT) | instid1(VALU_DEP_1)
	v_subrev_nc_u32_e32 v5, 28, v4
	v_dual_lshlrev_b32 v1, v5, v1 :: v_dual_sub_nc_u32 v4, 29, v4
	s_delay_alu instid0(VALU_DEP_1) | instskip(NEXT) | instid1(VALU_DEP_1)
	v_dual_lshlrev_b32 v0, 24, v0 :: v_dual_bitop2_b32 v1, 7, v1 bitop3:0x40
	v_cndmask_b32_e32 v1, v3, v1, vcc_lo
	s_delay_alu instid0(VALU_DEP_3) | instskip(NEXT) | instid1(VALU_DEP_3)
	v_cndmask_b32_e32 v4, v7, v4, vcc_lo
	v_and_b32_e32 v0, 0x80000000, v0
	s_delay_alu instid0(VALU_DEP_3) | instskip(NEXT) | instid1(VALU_DEP_3)
	v_lshlrev_b32_e32 v1, 20, v1
	v_lshl_add_u32 v3, v4, 23, 0x3b800000
	s_delay_alu instid0(VALU_DEP_1) | instskip(NEXT) | instid1(VALU_DEP_1)
	v_or3_b32 v0, v0, v3, v1
	v_cvt_i32_f32_e32 v4, v0
.LBB39_1242:
	s_or_b32 exec_lo, exec_lo, s8
.LBB39_1243:
	s_mov_b32 s8, -1
.LBB39_1244:
	s_mov_b32 s10, 0
.LBB39_1245:
	s_delay_alu instid0(SALU_CYCLE_1)
	s_and_b32 vcc_lo, exec_lo, s10
	s_cbranch_vccz .LBB39_1276
; %bb.1246:
	s_cmp_gt_i32 s1, 22
	s_cbranch_scc0 .LBB39_1254
; %bb.1247:
	s_cmp_lt_i32 s1, 24
	s_cbranch_scc1 .LBB39_1257
; %bb.1248:
	s_cmp_gt_i32 s1, 24
	s_cbranch_scc0 .LBB39_1258
; %bb.1249:
	global_load_u8 v0, v[8:9], off
	s_mov_b32 s8, 0
	s_mov_b32 s7, exec_lo
	s_wait_loadcnt 0x0
	v_cmpx_lt_i16_e32 0x7f, v0
	s_xor_b32 s7, exec_lo, s7
	s_cbranch_execz .LBB39_1270
; %bb.1250:
	v_cmp_ne_u16_e32 vcc_lo, 0x80, v0
	s_and_b32 s8, vcc_lo, exec_lo
	s_and_not1_saveexec_b32 s7, s7
	s_cbranch_execnz .LBB39_1271
.LBB39_1251:
	s_or_b32 exec_lo, exec_lo, s7
	v_mov_b32_e32 v4, 0
	s_and_saveexec_b32 s7, s8
	s_cbranch_execz .LBB39_1253
.LBB39_1252:
	v_and_b32_e32 v1, 0xffff, v0
	s_delay_alu instid0(VALU_DEP_1) | instskip(SKIP_1) | instid1(VALU_DEP_2)
	v_and_b32_e32 v3, 3, v1
	v_bfe_u32 v7, v1, 2, 5
	v_clz_i32_u32_e32 v4, v3
	s_delay_alu instid0(VALU_DEP_2) | instskip(NEXT) | instid1(VALU_DEP_2)
	v_cmp_eq_u32_e32 vcc_lo, 0, v7
	v_min_u32_e32 v4, 32, v4
	s_delay_alu instid0(VALU_DEP_1) | instskip(NEXT) | instid1(VALU_DEP_1)
	v_subrev_nc_u32_e32 v5, 29, v4
	v_dual_lshlrev_b32 v1, v5, v1 :: v_dual_sub_nc_u32 v4, 30, v4
	s_delay_alu instid0(VALU_DEP_1) | instskip(NEXT) | instid1(VALU_DEP_1)
	v_dual_lshlrev_b32 v0, 24, v0 :: v_dual_bitop2_b32 v1, 3, v1 bitop3:0x40
	v_cndmask_b32_e32 v1, v3, v1, vcc_lo
	s_delay_alu instid0(VALU_DEP_3) | instskip(NEXT) | instid1(VALU_DEP_3)
	v_cndmask_b32_e32 v4, v7, v4, vcc_lo
	v_and_b32_e32 v0, 0x80000000, v0
	s_delay_alu instid0(VALU_DEP_3) | instskip(NEXT) | instid1(VALU_DEP_3)
	v_lshlrev_b32_e32 v1, 21, v1
	v_lshl_add_u32 v3, v4, 23, 0x37800000
	s_delay_alu instid0(VALU_DEP_1) | instskip(NEXT) | instid1(VALU_DEP_1)
	v_or3_b32 v0, v0, v3, v1
	v_cvt_i32_f32_e32 v4, v0
.LBB39_1253:
	s_or_b32 exec_lo, exec_lo, s7
	s_mov_b32 s7, 0
	s_branch .LBB39_1259
.LBB39_1254:
	s_mov_b32 s7, -1
                                        ; implicit-def: $vgpr4
	s_branch .LBB39_1265
.LBB39_1255:
	s_and_not1_saveexec_b32 s8, s8
	s_cbranch_execz .LBB39_1240
.LBB39_1256:
	v_cmp_ne_u16_e32 vcc_lo, 0, v0
	s_and_not1_b32 s10, s10, exec_lo
	s_and_b32 s11, vcc_lo, exec_lo
	s_delay_alu instid0(SALU_CYCLE_1)
	s_or_b32 s10, s10, s11
	s_or_b32 exec_lo, exec_lo, s8
	v_mov_b32_e32 v4, 0
	s_and_saveexec_b32 s8, s10
	s_cbranch_execnz .LBB39_1241
	s_branch .LBB39_1242
.LBB39_1257:
	s_mov_b32 s7, -1
                                        ; implicit-def: $vgpr4
	s_branch .LBB39_1262
.LBB39_1258:
	s_mov_b32 s7, -1
                                        ; implicit-def: $vgpr4
.LBB39_1259:
	s_delay_alu instid0(SALU_CYCLE_1)
	s_and_b32 vcc_lo, exec_lo, s7
	s_cbranch_vccz .LBB39_1261
; %bb.1260:
	global_load_u8 v0, v[8:9], off
	s_wait_loadcnt 0x0
	v_lshlrev_b32_e32 v0, 24, v0
	s_delay_alu instid0(VALU_DEP_1) | instskip(NEXT) | instid1(VALU_DEP_1)
	v_and_b32_e32 v1, 0x7f000000, v0
	v_clz_i32_u32_e32 v3, v1
	v_add_nc_u32_e32 v5, 0x1000000, v1
	v_cmp_ne_u32_e32 vcc_lo, 0, v1
	s_delay_alu instid0(VALU_DEP_3) | instskip(NEXT) | instid1(VALU_DEP_1)
	v_min_u32_e32 v3, 32, v3
	v_sub_nc_u32_e64 v3, v3, 4 clamp
	s_delay_alu instid0(VALU_DEP_1) | instskip(NEXT) | instid1(VALU_DEP_1)
	v_dual_lshlrev_b32 v4, v3, v1 :: v_dual_lshlrev_b32 v3, 23, v3
	v_lshrrev_b32_e32 v4, 4, v4
	s_delay_alu instid0(VALU_DEP_1) | instskip(NEXT) | instid1(VALU_DEP_1)
	v_dual_sub_nc_u32 v3, v4, v3 :: v_dual_ashrrev_i32 v4, 8, v5
	v_add_nc_u32_e32 v3, 0x3c000000, v3
	s_delay_alu instid0(VALU_DEP_1) | instskip(NEXT) | instid1(VALU_DEP_1)
	v_and_or_b32 v3, 0x7f800000, v4, v3
	v_cndmask_b32_e32 v1, 0, v3, vcc_lo
	s_delay_alu instid0(VALU_DEP_1) | instskip(NEXT) | instid1(VALU_DEP_1)
	v_and_or_b32 v0, 0x80000000, v0, v1
	v_cvt_i32_f32_e32 v4, v0
.LBB39_1261:
	s_mov_b32 s7, 0
.LBB39_1262:
	s_delay_alu instid0(SALU_CYCLE_1)
	s_and_not1_b32 vcc_lo, exec_lo, s7
	s_cbranch_vccnz .LBB39_1264
; %bb.1263:
	global_load_u8 v0, v[8:9], off
	s_wait_loadcnt 0x0
	v_lshlrev_b32_e32 v1, 25, v0
	v_lshlrev_b16 v0, 8, v0
	s_delay_alu instid0(VALU_DEP_2) | instskip(NEXT) | instid1(VALU_DEP_2)
	v_cmp_gt_u32_e32 vcc_lo, 0x8000000, v1
	v_and_or_b32 v4, 0x7f00, v0, 0.5
	v_lshrrev_b32_e32 v3, 4, v1
	v_bfe_i32 v0, v0, 0, 16
	s_delay_alu instid0(VALU_DEP_3) | instskip(NEXT) | instid1(VALU_DEP_3)
	v_add_f32_e32 v4, -0.5, v4
	v_or_b32_e32 v3, 0x70000000, v3
	s_delay_alu instid0(VALU_DEP_1) | instskip(NEXT) | instid1(VALU_DEP_1)
	v_mul_f32_e32 v3, 0x7800000, v3
	v_cndmask_b32_e32 v1, v3, v4, vcc_lo
	s_delay_alu instid0(VALU_DEP_1) | instskip(NEXT) | instid1(VALU_DEP_1)
	v_and_or_b32 v0, 0x80000000, v0, v1
	v_cvt_i32_f32_e32 v4, v0
.LBB39_1264:
	s_mov_b32 s7, 0
	s_mov_b32 s8, -1
.LBB39_1265:
	s_and_not1_b32 vcc_lo, exec_lo, s7
	s_mov_b32 s7, 0
	s_cbranch_vccnz .LBB39_1276
; %bb.1266:
	s_cmp_gt_i32 s1, 14
	s_cbranch_scc0 .LBB39_1269
; %bb.1267:
	s_cmp_eq_u32 s1, 15
	s_cbranch_scc0 .LBB39_1272
; %bb.1268:
	global_load_u16 v0, v[8:9], off
	s_mov_b32 s6, 0
	s_mov_b32 s8, -1
	s_wait_loadcnt 0x0
	v_lshlrev_b32_e32 v0, 16, v0
	s_delay_alu instid0(VALU_DEP_1)
	v_cvt_i32_f32_e32 v4, v0
	s_branch .LBB39_1274
.LBB39_1269:
	s_mov_b32 s7, -1
	s_branch .LBB39_1273
.LBB39_1270:
	s_and_not1_saveexec_b32 s7, s7
	s_cbranch_execz .LBB39_1251
.LBB39_1271:
	v_cmp_ne_u16_e32 vcc_lo, 0, v0
	s_and_not1_b32 s8, s8, exec_lo
	s_and_b32 s10, vcc_lo, exec_lo
	s_delay_alu instid0(SALU_CYCLE_1)
	s_or_b32 s8, s8, s10
	s_or_b32 exec_lo, exec_lo, s7
	v_mov_b32_e32 v4, 0
	s_and_saveexec_b32 s7, s8
	s_cbranch_execnz .LBB39_1252
	s_branch .LBB39_1253
.LBB39_1272:
	s_mov_b32 s6, -1
.LBB39_1273:
                                        ; implicit-def: $vgpr4
.LBB39_1274:
	s_and_b32 vcc_lo, exec_lo, s7
	s_mov_b32 s7, 0
	s_cbranch_vccz .LBB39_1276
; %bb.1275:
	s_cmp_lg_u32 s1, 11
	s_mov_b32 s7, -1
	s_cselect_b32 s1, -1, 0
	s_and_not1_b32 s6, s6, exec_lo
	s_and_b32 s1, s1, exec_lo
	s_delay_alu instid0(SALU_CYCLE_1)
	s_or_b32 s6, s6, s1
.LBB39_1276:
	s_mov_b32 s1, 0
.LBB39_1277:
	s_delay_alu instid0(SALU_CYCLE_1)
	s_and_b32 s50, s1, exec_lo
	s_and_not1_b32 s1, s47, exec_lo
	s_and_b32 s6, s6, exec_lo
	s_and_b32 s24, s8, exec_lo
	s_and_b32 s25, s7, exec_lo
	s_or_b32 s51, s1, s6
.LBB39_1278:
	s_wait_xcnt 0x0
	s_or_b32 exec_lo, exec_lo, s36
	s_delay_alu instid0(SALU_CYCLE_1)
	s_and_not1_b32 s1, s47, exec_lo
	s_and_b32 s6, s51, exec_lo
	s_and_b32 s24, s24, exec_lo
	;; [unrolled: 1-line block ×4, first 2 shown]
	s_or_b32 s47, s1, s6
.LBB39_1279:
	s_or_b32 exec_lo, exec_lo, s46
	s_delay_alu instid0(SALU_CYCLE_1)
	s_and_not1_b32 s1, s43, exec_lo
	s_and_b32 s6, s48, exec_lo
	s_and_not1_b32 s7, s44, exec_lo
	s_and_b32 s8, s49, exec_lo
	s_or_b32 s43, s1, s6
	s_and_not1_b32 s1, s42, exec_lo
	s_and_b32 s6, s47, exec_lo
	s_or_b32 s44, s7, s8
	s_and_b32 s24, s24, exec_lo
	s_and_b32 s46, s50, exec_lo
	;; [unrolled: 1-line block ×3, first 2 shown]
	s_or_b32 s42, s1, s6
.LBB39_1280:
	s_or_b32 exec_lo, exec_lo, s45
	s_delay_alu instid0(SALU_CYCLE_1)
	s_and_not1_b32 s1, s38, exec_lo
	s_and_b32 s6, s43, exec_lo
	s_and_not1_b32 s7, s39, exec_lo
	s_and_b32 s8, s44, exec_lo
	s_or_b32 s38, s1, s6
	s_and_not1_b32 s1, s40, exec_lo
	s_and_b32 s6, s42, exec_lo
	s_or_b32 s39, s7, s8
	s_and_b32 s24, s24, exec_lo
	s_and_b32 s43, s46, exec_lo
	;; [unrolled: 1-line block ×3, first 2 shown]
	s_or_b32 s40, s1, s6
	s_or_b32 exec_lo, exec_lo, s41
	s_mov_b32 s1, 0
	s_and_saveexec_b32 s6, s40
	s_cbranch_execz .LBB39_398
.LBB39_1281:
	s_mov_b32 s1, exec_lo
	s_and_not1_b32 s19, s19, exec_lo
	s_trap 2
	s_or_b32 exec_lo, exec_lo, s6
	s_and_saveexec_b32 s6, s19
	s_delay_alu instid0(SALU_CYCLE_1)
	s_xor_b32 s6, exec_lo, s6
	s_cbranch_execnz .LBB39_399
.LBB39_1282:
	s_or_b32 exec_lo, exec_lo, s6
	s_and_saveexec_b32 s6, s43
	s_cbranch_execz .LBB39_1328
.LBB39_1283:
	s_sext_i32_i16 s7, s0
	s_delay_alu instid0(SALU_CYCLE_1)
	s_cmp_lt_i32 s7, 5
	s_cbranch_scc1 .LBB39_1288
; %bb.1284:
	s_cmp_lt_i32 s7, 8
	s_cbranch_scc1 .LBB39_1289
; %bb.1285:
	s_cmp_lt_i32 s7, 9
	s_cbranch_scc1 .LBB39_1290
; %bb.1286:
	s_cmp_gt_i32 s7, 9
	s_cbranch_scc0 .LBB39_1291
; %bb.1287:
	s_wait_loadcnt 0x0
	global_load_b64 v[0:1], v[8:9], off
	s_mov_b32 s7, 0
	s_wait_loadcnt 0x0
	v_cvt_i32_f64_e32 v4, v[0:1]
	s_branch .LBB39_1292
.LBB39_1288:
                                        ; implicit-def: $vgpr4
	s_branch .LBB39_1309
.LBB39_1289:
                                        ; implicit-def: $vgpr4
	s_branch .LBB39_1298
.LBB39_1290:
	s_mov_b32 s7, -1
                                        ; implicit-def: $vgpr4
	s_branch .LBB39_1295
.LBB39_1291:
	s_mov_b32 s7, -1
                                        ; implicit-def: $vgpr4
.LBB39_1292:
	s_delay_alu instid0(SALU_CYCLE_1)
	s_and_not1_b32 vcc_lo, exec_lo, s7
	s_cbranch_vccnz .LBB39_1294
; %bb.1293:
	s_wait_loadcnt 0x0
	global_load_b32 v0, v[8:9], off
	s_wait_loadcnt 0x0
	v_cvt_i32_f32_e32 v4, v0
.LBB39_1294:
	s_mov_b32 s7, 0
.LBB39_1295:
	s_delay_alu instid0(SALU_CYCLE_1)
	s_and_not1_b32 vcc_lo, exec_lo, s7
	s_cbranch_vccnz .LBB39_1297
; %bb.1296:
	s_wait_loadcnt 0x0
	global_load_b32 v0, v[8:9], off
	s_wait_loadcnt 0x0
	v_cvt_i16_f16_e32 v4, v0
.LBB39_1297:
	s_cbranch_execnz .LBB39_1308
.LBB39_1298:
	s_sext_i32_i16 s7, s0
	s_delay_alu instid0(SALU_CYCLE_1)
	s_cmp_lt_i32 s7, 6
	s_cbranch_scc1 .LBB39_1301
; %bb.1299:
	s_cmp_gt_i32 s7, 6
	s_cbranch_scc0 .LBB39_1302
; %bb.1300:
	s_wait_loadcnt 0x0
	global_load_b64 v[0:1], v[8:9], off
	s_mov_b32 s7, 0
	s_wait_loadcnt 0x0
	v_cvt_i32_f64_e32 v4, v[0:1]
	s_branch .LBB39_1303
.LBB39_1301:
	s_mov_b32 s7, -1
                                        ; implicit-def: $vgpr4
	s_branch .LBB39_1306
.LBB39_1302:
	s_mov_b32 s7, -1
                                        ; implicit-def: $vgpr4
.LBB39_1303:
	s_delay_alu instid0(SALU_CYCLE_1)
	s_and_not1_b32 vcc_lo, exec_lo, s7
	s_cbranch_vccnz .LBB39_1305
; %bb.1304:
	s_wait_loadcnt 0x0
	global_load_b32 v0, v[8:9], off
	s_wait_loadcnt 0x0
	v_cvt_i32_f32_e32 v4, v0
.LBB39_1305:
	s_mov_b32 s7, 0
.LBB39_1306:
	s_delay_alu instid0(SALU_CYCLE_1)
	s_and_not1_b32 vcc_lo, exec_lo, s7
	s_cbranch_vccnz .LBB39_1308
; %bb.1307:
	s_wait_loadcnt 0x0
	global_load_u16 v0, v[8:9], off
	s_wait_loadcnt 0x0
	v_cvt_i16_f16_e32 v4, v0
.LBB39_1308:
	s_cbranch_execnz .LBB39_1327
.LBB39_1309:
	s_sext_i32_i16 s7, s0
	s_delay_alu instid0(SALU_CYCLE_1)
	s_cmp_lt_i32 s7, 2
	s_cbranch_scc1 .LBB39_1313
; %bb.1310:
	s_cmp_lt_i32 s7, 3
	s_cbranch_scc1 .LBB39_1314
; %bb.1311:
	s_cmp_gt_i32 s7, 3
	s_cbranch_scc0 .LBB39_1315
; %bb.1312:
	s_wait_loadcnt 0x0
	global_load_b64 v[4:5], v[8:9], off
	s_mov_b32 s7, 0
	s_branch .LBB39_1316
.LBB39_1313:
                                        ; implicit-def: $vgpr4
	s_branch .LBB39_1322
.LBB39_1314:
	s_mov_b32 s7, -1
                                        ; implicit-def: $vgpr4
	s_branch .LBB39_1319
.LBB39_1315:
	s_mov_b32 s7, -1
                                        ; implicit-def: $vgpr4
.LBB39_1316:
	s_delay_alu instid0(SALU_CYCLE_1)
	s_and_not1_b32 vcc_lo, exec_lo, s7
	s_cbranch_vccnz .LBB39_1318
; %bb.1317:
	s_wait_loadcnt 0x0
	global_load_b32 v4, v[8:9], off
.LBB39_1318:
	s_mov_b32 s7, 0
.LBB39_1319:
	s_delay_alu instid0(SALU_CYCLE_1)
	s_and_not1_b32 vcc_lo, exec_lo, s7
	s_cbranch_vccnz .LBB39_1321
; %bb.1320:
	s_wait_loadcnt 0x0
	global_load_u16 v4, v[8:9], off
.LBB39_1321:
	s_cbranch_execnz .LBB39_1327
.LBB39_1322:
	s_sext_i32_i16 s0, s0
	s_delay_alu instid0(SALU_CYCLE_1)
	s_cmp_gt_i32 s0, 0
	s_mov_b32 s0, 0
	s_cbranch_scc0 .LBB39_1324
; %bb.1323:
	s_wait_loadcnt 0x0
	global_load_i8 v4, v[8:9], off
	s_branch .LBB39_1325
.LBB39_1324:
	s_mov_b32 s0, -1
                                        ; implicit-def: $vgpr4
.LBB39_1325:
	s_delay_alu instid0(SALU_CYCLE_1)
	s_and_not1_b32 vcc_lo, exec_lo, s0
	s_cbranch_vccnz .LBB39_1327
; %bb.1326:
	s_wait_loadcnt 0x0
	global_load_u8 v4, v[8:9], off
.LBB39_1327:
	s_or_b32 s24, s24, exec_lo
.LBB39_1328:
	s_wait_xcnt 0x0
	s_or_b32 exec_lo, exec_lo, s6
	s_mov_b32 s8, 0
	s_mov_b32 s7, 0
	;; [unrolled: 1-line block ×3, first 2 shown]
                                        ; implicit-def: $sgpr0
                                        ; implicit-def: $vgpr0_vgpr1
                                        ; implicit-def: $vgpr8
	s_and_saveexec_b32 s6, s24
	s_cbranch_execz .LBB39_1336
; %bb.1329:
	v_mov_b32_e32 v7, 0
	s_and_b32 s0, s9, 0xff
	s_delay_alu instid0(SALU_CYCLE_1) | instskip(NEXT) | instid1(VALU_DEP_1)
	s_cmp_lt_i32 s0, 11
	v_add_nc_u64_e32 v[0:1], s[16:17], v[6:7]
	s_cbranch_scc1 .LBB39_1339
; %bb.1330:
	s_and_b32 s7, 0xffff, s0
	s_mov_b32 s9, 0
	s_cmp_gt_i32 s7, 25
	s_cbranch_scc0 .LBB39_1340
; %bb.1331:
	s_cmp_gt_i32 s7, 28
	s_cbranch_scc0 .LBB39_1341
; %bb.1332:
	;; [unrolled: 3-line block ×4, first 2 shown]
	s_cmp_eq_u32 s7, 46
	s_mov_b32 s11, 0
	s_cbranch_scc0 .LBB39_1344
; %bb.1335:
	global_load_b32 v3, v[0:1], off
	s_mov_b32 s10, -1
	s_wait_loadcnt 0x0
	v_lshlrev_b32_e32 v3, 16, v3
	s_delay_alu instid0(VALU_DEP_1)
	v_cvt_i32_f32_e32 v8, v3
	s_branch .LBB39_1346
.LBB39_1336:
	s_or_b32 exec_lo, exec_lo, s6
	s_and_saveexec_b32 s6, s39
	s_cbranch_execnz .LBB39_1405
.LBB39_1337:
	s_or_b32 exec_lo, exec_lo, s6
	s_and_saveexec_b32 s6, s8
	s_delay_alu instid0(SALU_CYCLE_1)
	s_xor_b32 s6, exec_lo, s6
	s_cbranch_execz .LBB39_1406
.LBB39_1338:
	global_load_u8 v3, v[0:1], off
	s_or_b32 s10, s10, exec_lo
	s_wait_loadcnt 0x0
	v_cmp_ne_u16_e32 vcc_lo, 0, v3
	v_cndmask_b32_e64 v8, 0, 1, vcc_lo
	s_wait_xcnt 0x0
	s_or_b32 exec_lo, exec_lo, s6
	s_and_saveexec_b32 s6, s7
	s_cbranch_execz .LBB39_1452
	s_branch .LBB39_1407
.LBB39_1339:
	s_mov_b32 s7, -1
	s_mov_b32 s9, 0
	s_mov_b32 s8, s39
                                        ; implicit-def: $vgpr8
	s_branch .LBB39_1404
.LBB39_1340:
	s_mov_b32 s8, s39
                                        ; implicit-def: $vgpr8
	s_cbranch_execnz .LBB39_1373
	s_branch .LBB39_1403
.LBB39_1341:
	s_mov_b32 s11, -1
	s_mov_b32 s8, s39
                                        ; implicit-def: $vgpr8
	s_branch .LBB39_1356
.LBB39_1342:
	s_mov_b32 s11, -1
	s_mov_b32 s8, s39
                                        ; implicit-def: $vgpr8
	s_branch .LBB39_1351
.LBB39_1343:
	s_mov_b32 s11, -1
	s_mov_b32 s8, s39
	s_branch .LBB39_1345
.LBB39_1344:
	s_mov_b32 s8, -1
.LBB39_1345:
                                        ; implicit-def: $vgpr8
.LBB39_1346:
	s_and_b32 vcc_lo, exec_lo, s11
	s_cbranch_vccz .LBB39_1350
; %bb.1347:
	s_cmp_eq_u32 s7, 44
	s_cbranch_scc0 .LBB39_1349
; %bb.1348:
	global_load_u8 v3, v[0:1], off
	s_mov_b32 s8, 0
	s_mov_b32 s10, -1
	s_wait_loadcnt 0x0
	v_lshlrev_b32_e32 v5, 23, v3
	v_cmp_ne_u32_e32 vcc_lo, 0, v3
	s_delay_alu instid0(VALU_DEP_2) | instskip(NEXT) | instid1(VALU_DEP_1)
	v_cvt_i32_f32_e32 v5, v5
	v_cndmask_b32_e32 v8, 0, v5, vcc_lo
	s_branch .LBB39_1350
.LBB39_1349:
	s_mov_b32 s8, -1
                                        ; implicit-def: $vgpr8
.LBB39_1350:
	s_mov_b32 s11, 0
.LBB39_1351:
	s_delay_alu instid0(SALU_CYCLE_1)
	s_and_b32 vcc_lo, exec_lo, s11
	s_cbranch_vccz .LBB39_1355
; %bb.1352:
	s_cmp_eq_u32 s7, 29
	s_cbranch_scc0 .LBB39_1354
; %bb.1353:
	s_wait_loadcnt 0x0
	global_load_b64 v[8:9], v[0:1], off
	s_mov_b32 s8, 0
	s_mov_b32 s10, -1
	s_branch .LBB39_1355
.LBB39_1354:
	s_mov_b32 s8, -1
                                        ; implicit-def: $vgpr8
.LBB39_1355:
	s_mov_b32 s11, 0
.LBB39_1356:
	s_delay_alu instid0(SALU_CYCLE_1)
	s_and_b32 vcc_lo, exec_lo, s11
	s_cbranch_vccz .LBB39_1372
; %bb.1357:
	s_cmp_lt_i32 s7, 27
	s_cbranch_scc1 .LBB39_1360
; %bb.1358:
	s_cmp_gt_i32 s7, 27
	s_cbranch_scc0 .LBB39_1361
; %bb.1359:
	s_wait_loadcnt 0x0
	global_load_b32 v8, v[0:1], off
	s_mov_b32 s10, 0
	s_branch .LBB39_1362
.LBB39_1360:
	s_mov_b32 s10, -1
                                        ; implicit-def: $vgpr8
	s_branch .LBB39_1365
.LBB39_1361:
	s_mov_b32 s10, -1
                                        ; implicit-def: $vgpr8
.LBB39_1362:
	s_delay_alu instid0(SALU_CYCLE_1)
	s_and_not1_b32 vcc_lo, exec_lo, s10
	s_cbranch_vccnz .LBB39_1364
; %bb.1363:
	s_wait_loadcnt 0x0
	global_load_u16 v8, v[0:1], off
.LBB39_1364:
	s_mov_b32 s10, 0
.LBB39_1365:
	s_delay_alu instid0(SALU_CYCLE_1)
	s_and_not1_b32 vcc_lo, exec_lo, s10
	s_cbranch_vccnz .LBB39_1371
; %bb.1366:
	global_load_u8 v3, v[0:1], off
	s_mov_b32 s11, 0
	s_mov_b32 s10, exec_lo
	s_wait_loadcnt 0x0
	v_cmpx_lt_i16_e32 0x7f, v3
	s_xor_b32 s10, exec_lo, s10
	s_cbranch_execz .LBB39_1382
; %bb.1367:
	v_cmp_ne_u16_e32 vcc_lo, 0x80, v3
	s_and_b32 s11, vcc_lo, exec_lo
	s_and_not1_saveexec_b32 s10, s10
	s_cbranch_execnz .LBB39_1383
.LBB39_1368:
	s_or_b32 exec_lo, exec_lo, s10
	v_mov_b32_e32 v8, 0
	s_and_saveexec_b32 s10, s11
	s_cbranch_execz .LBB39_1370
.LBB39_1369:
	v_and_b32_e32 v5, 0xffff, v3
	s_delay_alu instid0(VALU_DEP_1) | instskip(SKIP_1) | instid1(VALU_DEP_2)
	v_and_b32_e32 v6, 7, v5
	v_bfe_u32 v9, v5, 3, 4
	v_clz_i32_u32_e32 v7, v6
	s_delay_alu instid0(VALU_DEP_2) | instskip(NEXT) | instid1(VALU_DEP_2)
	v_cmp_eq_u32_e32 vcc_lo, 0, v9
	v_min_u32_e32 v7, 32, v7
	s_delay_alu instid0(VALU_DEP_1) | instskip(NEXT) | instid1(VALU_DEP_1)
	v_subrev_nc_u32_e32 v8, 28, v7
	v_dual_lshlrev_b32 v5, v8, v5 :: v_dual_sub_nc_u32 v7, 29, v7
	s_delay_alu instid0(VALU_DEP_1) | instskip(NEXT) | instid1(VALU_DEP_1)
	v_dual_lshlrev_b32 v3, 24, v3 :: v_dual_bitop2_b32 v5, 7, v5 bitop3:0x40
	v_dual_cndmask_b32 v5, v6, v5, vcc_lo :: v_dual_cndmask_b32 v7, v9, v7, vcc_lo
	s_delay_alu instid0(VALU_DEP_2) | instskip(NEXT) | instid1(VALU_DEP_2)
	v_and_b32_e32 v3, 0x80000000, v3
	v_lshlrev_b32_e32 v5, 20, v5
	s_delay_alu instid0(VALU_DEP_3) | instskip(NEXT) | instid1(VALU_DEP_1)
	v_lshl_add_u32 v6, v7, 23, 0x3b800000
	v_or3_b32 v3, v3, v6, v5
	s_delay_alu instid0(VALU_DEP_1)
	v_cvt_i32_f32_e32 v8, v3
.LBB39_1370:
	s_or_b32 exec_lo, exec_lo, s10
.LBB39_1371:
	s_mov_b32 s10, -1
.LBB39_1372:
	s_branch .LBB39_1403
.LBB39_1373:
	s_cmp_gt_i32 s7, 22
	s_cbranch_scc0 .LBB39_1381
; %bb.1374:
	s_cmp_lt_i32 s7, 24
	s_cbranch_scc1 .LBB39_1384
; %bb.1375:
	s_cmp_gt_i32 s7, 24
	s_cbranch_scc0 .LBB39_1385
; %bb.1376:
	global_load_u8 v3, v[0:1], off
	s_mov_b32 s10, 0
	s_mov_b32 s9, exec_lo
	s_wait_loadcnt 0x0
	v_cmpx_lt_i16_e32 0x7f, v3
	s_xor_b32 s9, exec_lo, s9
	s_cbranch_execz .LBB39_1397
; %bb.1377:
	v_cmp_ne_u16_e32 vcc_lo, 0x80, v3
	s_and_b32 s10, vcc_lo, exec_lo
	s_and_not1_saveexec_b32 s9, s9
	s_cbranch_execnz .LBB39_1398
.LBB39_1378:
	s_or_b32 exec_lo, exec_lo, s9
	v_mov_b32_e32 v8, 0
	s_and_saveexec_b32 s9, s10
	s_cbranch_execz .LBB39_1380
.LBB39_1379:
	v_and_b32_e32 v5, 0xffff, v3
	s_delay_alu instid0(VALU_DEP_1) | instskip(SKIP_1) | instid1(VALU_DEP_2)
	v_and_b32_e32 v6, 3, v5
	v_bfe_u32 v9, v5, 2, 5
	v_clz_i32_u32_e32 v7, v6
	s_delay_alu instid0(VALU_DEP_2) | instskip(NEXT) | instid1(VALU_DEP_2)
	v_cmp_eq_u32_e32 vcc_lo, 0, v9
	v_min_u32_e32 v7, 32, v7
	s_delay_alu instid0(VALU_DEP_1) | instskip(NEXT) | instid1(VALU_DEP_1)
	v_subrev_nc_u32_e32 v8, 29, v7
	v_dual_lshlrev_b32 v5, v8, v5 :: v_dual_sub_nc_u32 v7, 30, v7
	s_delay_alu instid0(VALU_DEP_1) | instskip(NEXT) | instid1(VALU_DEP_1)
	v_dual_lshlrev_b32 v3, 24, v3 :: v_dual_bitop2_b32 v5, 3, v5 bitop3:0x40
	v_dual_cndmask_b32 v5, v6, v5, vcc_lo :: v_dual_cndmask_b32 v7, v9, v7, vcc_lo
	s_delay_alu instid0(VALU_DEP_2) | instskip(NEXT) | instid1(VALU_DEP_2)
	v_and_b32_e32 v3, 0x80000000, v3
	v_lshlrev_b32_e32 v5, 21, v5
	s_delay_alu instid0(VALU_DEP_3) | instskip(NEXT) | instid1(VALU_DEP_1)
	v_lshl_add_u32 v6, v7, 23, 0x37800000
	v_or3_b32 v3, v3, v6, v5
	s_delay_alu instid0(VALU_DEP_1)
	v_cvt_i32_f32_e32 v8, v3
.LBB39_1380:
	s_or_b32 exec_lo, exec_lo, s9
	s_mov_b32 s9, 0
	s_branch .LBB39_1386
.LBB39_1381:
	s_mov_b32 s9, -1
                                        ; implicit-def: $vgpr8
	s_branch .LBB39_1392
.LBB39_1382:
	s_and_not1_saveexec_b32 s10, s10
	s_cbranch_execz .LBB39_1368
.LBB39_1383:
	v_cmp_ne_u16_e32 vcc_lo, 0, v3
	s_and_not1_b32 s11, s11, exec_lo
	s_and_b32 s12, vcc_lo, exec_lo
	s_delay_alu instid0(SALU_CYCLE_1)
	s_or_b32 s11, s11, s12
	s_or_b32 exec_lo, exec_lo, s10
	v_mov_b32_e32 v8, 0
	s_and_saveexec_b32 s10, s11
	s_cbranch_execnz .LBB39_1369
	s_branch .LBB39_1370
.LBB39_1384:
	s_mov_b32 s9, -1
                                        ; implicit-def: $vgpr8
	s_branch .LBB39_1389
.LBB39_1385:
	s_mov_b32 s9, -1
                                        ; implicit-def: $vgpr8
.LBB39_1386:
	s_delay_alu instid0(SALU_CYCLE_1)
	s_and_b32 vcc_lo, exec_lo, s9
	s_cbranch_vccz .LBB39_1388
; %bb.1387:
	global_load_u8 v3, v[0:1], off
	s_wait_loadcnt 0x0
	v_lshlrev_b32_e32 v3, 24, v3
	s_delay_alu instid0(VALU_DEP_1) | instskip(NEXT) | instid1(VALU_DEP_1)
	v_and_b32_e32 v5, 0x7f000000, v3
	v_clz_i32_u32_e32 v6, v5
	v_cmp_ne_u32_e32 vcc_lo, 0, v5
	v_add_nc_u32_e32 v8, 0x1000000, v5
	s_delay_alu instid0(VALU_DEP_3) | instskip(NEXT) | instid1(VALU_DEP_1)
	v_min_u32_e32 v6, 32, v6
	v_sub_nc_u32_e64 v6, v6, 4 clamp
	s_delay_alu instid0(VALU_DEP_1) | instskip(NEXT) | instid1(VALU_DEP_1)
	v_dual_lshlrev_b32 v7, v6, v5 :: v_dual_lshlrev_b32 v6, 23, v6
	v_lshrrev_b32_e32 v7, 4, v7
	s_delay_alu instid0(VALU_DEP_1) | instskip(NEXT) | instid1(VALU_DEP_1)
	v_dual_sub_nc_u32 v6, v7, v6 :: v_dual_ashrrev_i32 v7, 8, v8
	v_add_nc_u32_e32 v6, 0x3c000000, v6
	s_delay_alu instid0(VALU_DEP_1) | instskip(NEXT) | instid1(VALU_DEP_1)
	v_and_or_b32 v6, 0x7f800000, v7, v6
	v_cndmask_b32_e32 v5, 0, v6, vcc_lo
	s_delay_alu instid0(VALU_DEP_1) | instskip(NEXT) | instid1(VALU_DEP_1)
	v_and_or_b32 v3, 0x80000000, v3, v5
	v_cvt_i32_f32_e32 v8, v3
.LBB39_1388:
	s_mov_b32 s9, 0
.LBB39_1389:
	s_delay_alu instid0(SALU_CYCLE_1)
	s_and_not1_b32 vcc_lo, exec_lo, s9
	s_cbranch_vccnz .LBB39_1391
; %bb.1390:
	global_load_u8 v3, v[0:1], off
	s_wait_loadcnt 0x0
	v_lshlrev_b32_e32 v5, 25, v3
	v_lshlrev_b16 v3, 8, v3
	s_delay_alu instid0(VALU_DEP_1) | instskip(NEXT) | instid1(VALU_DEP_3)
	v_and_or_b32 v7, 0x7f00, v3, 0.5
	v_lshrrev_b32_e32 v6, 4, v5
	v_bfe_i32 v3, v3, 0, 16
	s_delay_alu instid0(VALU_DEP_3) | instskip(NEXT) | instid1(VALU_DEP_3)
	v_add_f32_e32 v7, -0.5, v7
	v_or_b32_e32 v6, 0x70000000, v6
	s_delay_alu instid0(VALU_DEP_1) | instskip(SKIP_1) | instid1(VALU_DEP_2)
	v_mul_f32_e32 v6, 0x7800000, v6
	v_cmp_gt_u32_e32 vcc_lo, 0x8000000, v5
	v_cndmask_b32_e32 v5, v6, v7, vcc_lo
	s_delay_alu instid0(VALU_DEP_1) | instskip(NEXT) | instid1(VALU_DEP_1)
	v_and_or_b32 v3, 0x80000000, v3, v5
	v_cvt_i32_f32_e32 v8, v3
.LBB39_1391:
	s_mov_b32 s9, 0
	s_mov_b32 s10, -1
.LBB39_1392:
	s_and_not1_b32 vcc_lo, exec_lo, s9
	s_mov_b32 s9, 0
	s_cbranch_vccnz .LBB39_1403
; %bb.1393:
	s_cmp_gt_i32 s7, 14
	s_cbranch_scc0 .LBB39_1396
; %bb.1394:
	s_cmp_eq_u32 s7, 15
	s_cbranch_scc0 .LBB39_1399
; %bb.1395:
	global_load_u16 v3, v[0:1], off
	s_mov_b32 s8, 0
	s_mov_b32 s10, -1
	s_wait_loadcnt 0x0
	v_lshlrev_b32_e32 v3, 16, v3
	s_delay_alu instid0(VALU_DEP_1)
	v_cvt_i32_f32_e32 v8, v3
	s_branch .LBB39_1401
.LBB39_1396:
	s_mov_b32 s9, -1
	s_branch .LBB39_1400
.LBB39_1397:
	s_and_not1_saveexec_b32 s9, s9
	s_cbranch_execz .LBB39_1378
.LBB39_1398:
	v_cmp_ne_u16_e32 vcc_lo, 0, v3
	s_and_not1_b32 s10, s10, exec_lo
	s_and_b32 s11, vcc_lo, exec_lo
	s_delay_alu instid0(SALU_CYCLE_1)
	s_or_b32 s10, s10, s11
	s_or_b32 exec_lo, exec_lo, s9
	v_mov_b32_e32 v8, 0
	s_and_saveexec_b32 s9, s10
	s_cbranch_execnz .LBB39_1379
	s_branch .LBB39_1380
.LBB39_1399:
	s_mov_b32 s8, -1
.LBB39_1400:
                                        ; implicit-def: $vgpr8
.LBB39_1401:
	s_and_b32 vcc_lo, exec_lo, s9
	s_mov_b32 s9, 0
	s_cbranch_vccz .LBB39_1403
; %bb.1402:
	s_cmp_lg_u32 s7, 11
	s_mov_b32 s9, -1
	s_cselect_b32 s7, -1, 0
	s_and_not1_b32 s8, s8, exec_lo
	s_and_b32 s7, s7, exec_lo
	s_delay_alu instid0(SALU_CYCLE_1)
	s_or_b32 s8, s8, s7
.LBB39_1403:
	s_mov_b32 s7, 0
.LBB39_1404:
	s_and_not1_b32 s11, s39, exec_lo
	s_and_b32 s12, s8, exec_lo
	s_and_b32 s10, s10, exec_lo
	;; [unrolled: 1-line block ×4, first 2 shown]
	s_or_b32 s39, s11, s12
	s_wait_xcnt 0x0
	s_or_b32 exec_lo, exec_lo, s6
	s_and_saveexec_b32 s6, s39
	s_cbranch_execz .LBB39_1337
.LBB39_1405:
	s_or_b32 s1, s1, exec_lo
	s_and_not1_b32 s8, s8, exec_lo
	s_trap 2
	s_or_b32 exec_lo, exec_lo, s6
	s_and_saveexec_b32 s6, s8
	s_delay_alu instid0(SALU_CYCLE_1)
	s_xor_b32 s6, exec_lo, s6
	s_cbranch_execnz .LBB39_1338
.LBB39_1406:
	s_or_b32 exec_lo, exec_lo, s6
	s_and_saveexec_b32 s6, s7
	s_cbranch_execz .LBB39_1452
.LBB39_1407:
	s_sext_i32_i16 s7, s0
	s_delay_alu instid0(SALU_CYCLE_1)
	s_cmp_lt_i32 s7, 5
	s_cbranch_scc1 .LBB39_1412
; %bb.1408:
	s_cmp_lt_i32 s7, 8
	s_cbranch_scc1 .LBB39_1413
; %bb.1409:
	;; [unrolled: 3-line block ×3, first 2 shown]
	s_cmp_gt_i32 s7, 9
	s_cbranch_scc0 .LBB39_1415
; %bb.1411:
	global_load_b64 v[6:7], v[0:1], off
	s_mov_b32 s7, 0
	s_wait_loadcnt 0x0
	v_cvt_i32_f64_e32 v8, v[6:7]
	s_branch .LBB39_1416
.LBB39_1412:
                                        ; implicit-def: $vgpr8
	s_branch .LBB39_1433
.LBB39_1413:
                                        ; implicit-def: $vgpr8
	s_branch .LBB39_1422
.LBB39_1414:
	s_mov_b32 s7, -1
                                        ; implicit-def: $vgpr8
	s_branch .LBB39_1419
.LBB39_1415:
	s_mov_b32 s7, -1
                                        ; implicit-def: $vgpr8
.LBB39_1416:
	s_delay_alu instid0(SALU_CYCLE_1)
	s_and_not1_b32 vcc_lo, exec_lo, s7
	s_cbranch_vccnz .LBB39_1418
; %bb.1417:
	global_load_b32 v3, v[0:1], off
	s_wait_loadcnt 0x0
	v_cvt_i32_f32_e32 v8, v3
.LBB39_1418:
	s_mov_b32 s7, 0
.LBB39_1419:
	s_delay_alu instid0(SALU_CYCLE_1)
	s_and_not1_b32 vcc_lo, exec_lo, s7
	s_cbranch_vccnz .LBB39_1421
; %bb.1420:
	global_load_b32 v3, v[0:1], off
	s_wait_loadcnt 0x0
	v_cvt_i16_f16_e32 v8, v3
.LBB39_1421:
	s_cbranch_execnz .LBB39_1432
.LBB39_1422:
	s_sext_i32_i16 s7, s0
	s_delay_alu instid0(SALU_CYCLE_1)
	s_cmp_lt_i32 s7, 6
	s_cbranch_scc1 .LBB39_1425
; %bb.1423:
	s_cmp_gt_i32 s7, 6
	s_cbranch_scc0 .LBB39_1426
; %bb.1424:
	global_load_b64 v[6:7], v[0:1], off
	s_mov_b32 s7, 0
	s_wait_loadcnt 0x0
	v_cvt_i32_f64_e32 v8, v[6:7]
	s_branch .LBB39_1427
.LBB39_1425:
	s_mov_b32 s7, -1
                                        ; implicit-def: $vgpr8
	s_branch .LBB39_1430
.LBB39_1426:
	s_mov_b32 s7, -1
                                        ; implicit-def: $vgpr8
.LBB39_1427:
	s_delay_alu instid0(SALU_CYCLE_1)
	s_and_not1_b32 vcc_lo, exec_lo, s7
	s_cbranch_vccnz .LBB39_1429
; %bb.1428:
	global_load_b32 v3, v[0:1], off
	s_wait_loadcnt 0x0
	v_cvt_i32_f32_e32 v8, v3
.LBB39_1429:
	s_mov_b32 s7, 0
.LBB39_1430:
	s_delay_alu instid0(SALU_CYCLE_1)
	s_and_not1_b32 vcc_lo, exec_lo, s7
	s_cbranch_vccnz .LBB39_1432
; %bb.1431:
	global_load_u16 v3, v[0:1], off
	s_wait_loadcnt 0x0
	v_cvt_i16_f16_e32 v8, v3
.LBB39_1432:
	s_cbranch_execnz .LBB39_1451
.LBB39_1433:
	s_sext_i32_i16 s7, s0
	s_delay_alu instid0(SALU_CYCLE_1)
	s_cmp_lt_i32 s7, 2
	s_cbranch_scc1 .LBB39_1437
; %bb.1434:
	s_cmp_lt_i32 s7, 3
	s_cbranch_scc1 .LBB39_1438
; %bb.1435:
	s_cmp_gt_i32 s7, 3
	s_cbranch_scc0 .LBB39_1439
; %bb.1436:
	s_wait_loadcnt 0x0
	global_load_b64 v[8:9], v[0:1], off
	s_mov_b32 s7, 0
	s_branch .LBB39_1440
.LBB39_1437:
                                        ; implicit-def: $vgpr8
	s_branch .LBB39_1446
.LBB39_1438:
	s_mov_b32 s7, -1
                                        ; implicit-def: $vgpr8
	s_branch .LBB39_1443
.LBB39_1439:
	s_mov_b32 s7, -1
                                        ; implicit-def: $vgpr8
.LBB39_1440:
	s_delay_alu instid0(SALU_CYCLE_1)
	s_and_not1_b32 vcc_lo, exec_lo, s7
	s_cbranch_vccnz .LBB39_1442
; %bb.1441:
	s_wait_loadcnt 0x0
	global_load_b32 v8, v[0:1], off
.LBB39_1442:
	s_mov_b32 s7, 0
.LBB39_1443:
	s_delay_alu instid0(SALU_CYCLE_1)
	s_and_not1_b32 vcc_lo, exec_lo, s7
	s_cbranch_vccnz .LBB39_1445
; %bb.1444:
	s_wait_loadcnt 0x0
	global_load_u16 v8, v[0:1], off
.LBB39_1445:
	s_cbranch_execnz .LBB39_1451
.LBB39_1446:
	s_sext_i32_i16 s0, s0
	s_delay_alu instid0(SALU_CYCLE_1)
	s_cmp_gt_i32 s0, 0
	s_mov_b32 s0, 0
	s_cbranch_scc0 .LBB39_1448
; %bb.1447:
	s_wait_loadcnt 0x0
	global_load_i8 v8, v[0:1], off
	s_branch .LBB39_1449
.LBB39_1448:
	s_mov_b32 s0, -1
                                        ; implicit-def: $vgpr8
.LBB39_1449:
	s_delay_alu instid0(SALU_CYCLE_1)
	s_and_not1_b32 vcc_lo, exec_lo, s0
	s_cbranch_vccnz .LBB39_1451
; %bb.1450:
	s_wait_loadcnt 0x0
	global_load_u8 v8, v[0:1], off
.LBB39_1451:
	s_or_b32 s10, s10, exec_lo
.LBB39_1452:
	s_wait_xcnt 0x0
	s_or_b32 exec_lo, exec_lo, s6
	s_mov_b32 s0, 0
	s_mov_b32 s8, 0
                                        ; implicit-def: $sgpr6
                                        ; implicit-def: $vgpr0_vgpr1
                                        ; implicit-def: $vgpr5
	s_and_saveexec_b32 s7, s10
	s_cbranch_execz .LBB39_1464
; %bb.1453:
	s_wait_loadcnt 0x0
	s_delay_alu instid0(VALU_DEP_1) | instskip(SKIP_2) | instid1(VALU_DEP_1)
	v_sub_nc_u16 v0, 0, v8
	s_mov_b32 s6, 0
	s_mov_b32 s0, exec_lo
	v_max_i16 v5, v8, v0
	v_cmpx_ne_u16_e32 0, v4
	s_cbranch_execz .LBB39_1457
; %bb.1454:
	v_sub_nc_u16 v0, 0, v4
	s_delay_alu instid0(VALU_DEP_1) | instskip(SKIP_1) | instid1(VALU_DEP_2)
	v_max_i16 v1, v4, v0
	v_and_b32_e32 v0, 0xffff, v5
	v_and_b32_e32 v1, 0xffff, v1
.LBB39_1455:                            ; =>This Inner Loop Header: Depth=1
	s_delay_alu instid0(VALU_DEP_1) | instskip(NEXT) | instid1(VALU_DEP_2)
	v_bfe_i32 v4, v0, 0, 16
	v_mov_b32_e32 v5, v1
	s_delay_alu instid0(VALU_DEP_2) | instskip(NEXT) | instid1(VALU_DEP_2)
	v_cvt_f32_i32_e32 v7, v4
	v_bfe_i32 v1, v5, 0, 16
	s_delay_alu instid0(VALU_DEP_1) | instskip(SKIP_1) | instid1(VALU_DEP_2)
	v_cvt_f32_i32_e32 v3, v1
	v_xor_b32_e32 v1, v4, v1
	v_rcp_iflag_f32_e32 v6, v3
	v_nop
	s_delay_alu instid0(TRANS32_DEP_1) | instskip(NEXT) | instid1(VALU_DEP_1)
	v_dual_mul_f32 v4, v7, v6 :: v_dual_ashrrev_i32 v1, 30, v1
	v_trunc_f32_e32 v4, v4
	s_delay_alu instid0(VALU_DEP_1) | instskip(SKIP_1) | instid1(VALU_DEP_2)
	v_dual_fma_f32 v6, -v4, v3, v7 :: v_dual_bitop2_b32 v1, 1, v1 bitop3:0x54
	v_cvt_i32_f32_e32 v4, v4
	v_cmp_ge_f32_e64 vcc_lo, |v6|, |v3|
	s_delay_alu instid0(VALU_DEP_3) | instskip(NEXT) | instid1(VALU_DEP_1)
	v_cndmask_b32_e32 v1, 0, v1, vcc_lo
	v_add_nc_u32_e32 v1, v4, v1
	s_delay_alu instid0(VALU_DEP_1) | instskip(NEXT) | instid1(VALU_DEP_1)
	v_mul_lo_u32 v1, v1, v5
	v_sub_nc_u32_e32 v1, v0, v1
	s_delay_alu instid0(VALU_DEP_1) | instskip(SKIP_1) | instid1(VALU_DEP_2)
	v_and_b32_e32 v0, 0xffff, v1
	v_bfe_i32 v1, v1, 0, 16
	v_cmp_eq_u32_e32 vcc_lo, 0, v0
	v_mov_b32_e32 v0, v5
	s_or_b32 s6, vcc_lo, s6
	s_delay_alu instid0(SALU_CYCLE_1)
	s_and_not1_b32 exec_lo, exec_lo, s6
	s_cbranch_execnz .LBB39_1455
; %bb.1456:
	s_or_b32 exec_lo, exec_lo, s6
.LBB39_1457:
	s_delay_alu instid0(SALU_CYCLE_1) | instskip(SKIP_2) | instid1(SALU_CYCLE_1)
	s_or_b32 exec_lo, exec_lo, s0
	v_mov_b32_e32 v3, 0
	s_and_b32 s6, s31, 0xff
	s_cmp_lt_i32 s6, 11
	s_delay_alu instid0(VALU_DEP_1)
	v_add_nc_u64_e32 v[0:1], s[4:5], v[2:3]
	s_cbranch_scc1 .LBB39_1467
; %bb.1458:
	s_and_b32 s4, 0xffff, s6
	s_mov_b32 s5, -1
	s_cmp_gt_i32 s4, 25
	s_mov_b32 s0, s38
	s_cbranch_scc0 .LBB39_1495
; %bb.1459:
	s_cmp_gt_i32 s4, 28
	s_mov_b32 s0, s38
	s_cbranch_scc0 .LBB39_1479
; %bb.1460:
	;; [unrolled: 4-line block ×4, first 2 shown]
	s_cmp_eq_u32 s4, 46
	s_mov_b32 s0, -1
	s_cbranch_scc0 .LBB39_1468
; %bb.1463:
	v_bfe_i32 v2, v5, 0, 16
	s_mov_b32 s0, 0
	s_mov_b32 s5, 0
	s_delay_alu instid0(VALU_DEP_1) | instskip(NEXT) | instid1(VALU_DEP_1)
	v_cvt_f32_i32_e32 v2, v2
	v_bfe_u32 v3, v2, 16, 1
	s_delay_alu instid0(VALU_DEP_1) | instskip(NEXT) | instid1(VALU_DEP_1)
	v_add3_u32 v2, v2, v3, 0x7fff
	v_lshrrev_b32_e32 v2, 16, v2
	global_store_b32 v[0:1], v2, off
	s_branch .LBB39_1469
.LBB39_1464:
	s_or_b32 exec_lo, exec_lo, s7
	s_and_saveexec_b32 s4, s38
	s_cbranch_execnz .LBB39_1537
.LBB39_1465:
	s_or_b32 exec_lo, exec_lo, s4
	s_and_saveexec_b32 s4, s0
	s_delay_alu instid0(SALU_CYCLE_1)
	s_xor_b32 s0, exec_lo, s4
	s_cbranch_execz .LBB39_1538
.LBB39_1466:
	s_wait_loadcnt 0x0
	v_cmp_ne_u16_e32 vcc_lo, 0, v5
	v_cndmask_b32_e64 v2, 0, 1, vcc_lo
	global_store_b8 v[0:1], v2, off
	s_wait_xcnt 0x0
	s_or_b32 exec_lo, exec_lo, s0
	s_and_saveexec_b32 s0, s8
	s_delay_alu instid0(SALU_CYCLE_1)
	s_xor_b32 s0, exec_lo, s0
	s_cbranch_execz .LBB39_1576
	s_branch .LBB39_1539
.LBB39_1467:
	s_mov_b32 s9, 0
	s_mov_b32 s5, -1
	s_mov_b32 s0, s38
	s_branch .LBB39_1536
.LBB39_1468:
	s_mov_b32 s5, 0
.LBB39_1469:
	s_delay_alu instid0(SALU_CYCLE_1)
	s_and_b32 vcc_lo, exec_lo, s5
	s_cbranch_vccz .LBB39_1474
; %bb.1470:
	s_cmp_eq_u32 s4, 44
	s_mov_b32 s0, -1
	s_cbranch_scc0 .LBB39_1474
; %bb.1471:
	s_wait_xcnt 0x0
	v_bfe_i32 v2, v5, 0, 16
	v_mov_b32_e32 v3, 0xff
	s_mov_b32 s5, exec_lo
	s_delay_alu instid0(VALU_DEP_2) | instskip(NEXT) | instid1(VALU_DEP_1)
	v_cvt_f32_i32_e32 v2, v2
	v_bfe_u32 v4, v2, 23, 8
	s_delay_alu instid0(VALU_DEP_1)
	v_cmpx_ne_u32_e32 0xff, v4
	s_cbranch_execz .LBB39_1473
; %bb.1472:
	v_and_b32_e32 v3, 0x400000, v2
	v_and_or_b32 v4, 0x3fffff, v2, v4
	v_lshrrev_b32_e32 v2, 23, v2
	s_delay_alu instid0(VALU_DEP_3) | instskip(NEXT) | instid1(VALU_DEP_3)
	v_cmp_ne_u32_e32 vcc_lo, 0, v3
	v_cmp_ne_u32_e64 s0, 0, v4
	s_and_b32 s0, vcc_lo, s0
	s_delay_alu instid0(SALU_CYCLE_1) | instskip(NEXT) | instid1(VALU_DEP_1)
	v_cndmask_b32_e64 v3, 0, 1, s0
	v_add_nc_u32_e32 v3, v2, v3
.LBB39_1473:
	s_or_b32 exec_lo, exec_lo, s5
	s_mov_b32 s0, 0
	global_store_b8 v[0:1], v3, off
.LBB39_1474:
	s_mov_b32 s5, 0
.LBB39_1475:
	s_delay_alu instid0(SALU_CYCLE_1)
	s_and_b32 vcc_lo, exec_lo, s5
	s_cbranch_vccz .LBB39_1478
; %bb.1476:
	s_cmp_eq_u32 s4, 29
	s_mov_b32 s0, -1
	s_cbranch_scc0 .LBB39_1478
; %bb.1477:
	s_wait_xcnt 0x0
	v_bfe_i32 v2, v5, 0, 16
	s_mov_b32 s0, 0
	s_mov_b32 s5, 0
	s_delay_alu instid0(VALU_DEP_1)
	v_ashrrev_i32_e32 v3, 31, v2
	global_store_b64 v[0:1], v[2:3], off
	s_branch .LBB39_1479
.LBB39_1478:
	s_mov_b32 s5, 0
.LBB39_1479:
	s_delay_alu instid0(SALU_CYCLE_1)
	s_and_b32 vcc_lo, exec_lo, s5
	s_cbranch_vccz .LBB39_1494
; %bb.1480:
	s_cmp_lt_i32 s4, 27
	s_mov_b32 s5, -1
	s_cbranch_scc1 .LBB39_1486
; %bb.1481:
	s_cmp_gt_i32 s4, 27
	s_cbranch_scc0 .LBB39_1483
; %bb.1482:
	s_wait_xcnt 0x0
	v_bfe_i32 v2, v5, 0, 16
	s_mov_b32 s5, 0
	global_store_b32 v[0:1], v2, off
.LBB39_1483:
	s_and_not1_b32 vcc_lo, exec_lo, s5
	s_cbranch_vccnz .LBB39_1485
; %bb.1484:
	global_store_b16 v[0:1], v5, off
.LBB39_1485:
	s_mov_b32 s5, 0
.LBB39_1486:
	s_delay_alu instid0(SALU_CYCLE_1)
	s_and_not1_b32 vcc_lo, exec_lo, s5
	s_cbranch_vccnz .LBB39_1494
; %bb.1487:
	s_wait_xcnt 0x0
	v_bfe_i32 v2, v5, 0, 16
	v_mov_b32_e32 v4, 0x80
	s_mov_b32 s5, exec_lo
	s_delay_alu instid0(VALU_DEP_2) | instskip(NEXT) | instid1(VALU_DEP_1)
	v_cvt_f32_i32_e32 v2, v2
	v_and_b32_e32 v3, 0x7fffffff, v2
	s_delay_alu instid0(VALU_DEP_1)
	v_cmpx_gt_u32_e32 0x43800000, v3
	s_cbranch_execz .LBB39_1493
; %bb.1488:
	v_cmp_lt_u32_e32 vcc_lo, 0x3bffffff, v3
	s_mov_b32 s8, 0
                                        ; implicit-def: $vgpr3
	s_and_saveexec_b32 s9, vcc_lo
	s_delay_alu instid0(SALU_CYCLE_1)
	s_xor_b32 s9, exec_lo, s9
	s_cbranch_execz .LBB39_1635
; %bb.1489:
	v_bfe_u32 v3, v2, 20, 1
	s_mov_b32 s8, exec_lo
	s_delay_alu instid0(VALU_DEP_1) | instskip(NEXT) | instid1(VALU_DEP_1)
	v_add3_u32 v3, v2, v3, 0x487ffff
	v_lshrrev_b32_e32 v3, 20, v3
	s_and_not1_saveexec_b32 s9, s9
	s_cbranch_execnz .LBB39_1636
.LBB39_1490:
	s_or_b32 exec_lo, exec_lo, s9
	v_mov_b32_e32 v4, 0
	s_and_saveexec_b32 s9, s8
.LBB39_1491:
	v_lshrrev_b32_e32 v2, 24, v2
	s_delay_alu instid0(VALU_DEP_1)
	v_and_or_b32 v4, 0x80, v2, v3
.LBB39_1492:
	s_or_b32 exec_lo, exec_lo, s9
.LBB39_1493:
	s_delay_alu instid0(SALU_CYCLE_1)
	s_or_b32 exec_lo, exec_lo, s5
	global_store_b8 v[0:1], v4, off
.LBB39_1494:
	s_mov_b32 s5, 0
.LBB39_1495:
	s_delay_alu instid0(SALU_CYCLE_1)
	s_and_b32 vcc_lo, exec_lo, s5
	s_mov_b32 s5, 0
	s_cbranch_vccz .LBB39_1535
; %bb.1496:
	s_cmp_gt_i32 s4, 22
	s_mov_b32 s8, -1
	s_cbranch_scc0 .LBB39_1528
; %bb.1497:
	s_cmp_lt_i32 s4, 24
	s_cbranch_scc1 .LBB39_1517
; %bb.1498:
	s_cmp_gt_i32 s4, 24
	s_cbranch_scc0 .LBB39_1506
; %bb.1499:
	s_wait_xcnt 0x0
	v_bfe_i32 v2, v5, 0, 16
	v_mov_b32_e32 v4, 0x80
	s_mov_b32 s8, exec_lo
	s_delay_alu instid0(VALU_DEP_2) | instskip(NEXT) | instid1(VALU_DEP_1)
	v_cvt_f32_i32_e32 v2, v2
	v_and_b32_e32 v3, 0x7fffffff, v2
	s_delay_alu instid0(VALU_DEP_1)
	v_cmpx_gt_u32_e32 0x47800000, v3
	s_cbranch_execz .LBB39_1505
; %bb.1500:
	v_cmp_lt_u32_e32 vcc_lo, 0x37ffffff, v3
	s_mov_b32 s9, 0
                                        ; implicit-def: $vgpr3
	s_and_saveexec_b32 s10, vcc_lo
	s_delay_alu instid0(SALU_CYCLE_1)
	s_xor_b32 s10, exec_lo, s10
	s_cbranch_execz .LBB39_1756
; %bb.1501:
	v_bfe_u32 v3, v2, 21, 1
	s_mov_b32 s9, exec_lo
	s_delay_alu instid0(VALU_DEP_1) | instskip(NEXT) | instid1(VALU_DEP_1)
	v_add3_u32 v3, v2, v3, 0x88fffff
	v_lshrrev_b32_e32 v3, 21, v3
	s_and_not1_saveexec_b32 s10, s10
	s_cbranch_execnz .LBB39_1757
.LBB39_1502:
	s_or_b32 exec_lo, exec_lo, s10
	v_mov_b32_e32 v4, 0
	s_and_saveexec_b32 s10, s9
.LBB39_1503:
	v_lshrrev_b32_e32 v2, 24, v2
	s_delay_alu instid0(VALU_DEP_1)
	v_and_or_b32 v4, 0x80, v2, v3
.LBB39_1504:
	s_or_b32 exec_lo, exec_lo, s10
.LBB39_1505:
	s_delay_alu instid0(SALU_CYCLE_1)
	s_or_b32 exec_lo, exec_lo, s8
	s_mov_b32 s8, 0
	global_store_b8 v[0:1], v4, off
.LBB39_1506:
	s_and_b32 vcc_lo, exec_lo, s8
	s_cbranch_vccz .LBB39_1516
; %bb.1507:
	s_wait_xcnt 0x0
	v_bfe_i32 v2, v5, 0, 16
	s_mov_b32 s8, exec_lo
                                        ; implicit-def: $vgpr3
	s_delay_alu instid0(VALU_DEP_1) | instskip(NEXT) | instid1(VALU_DEP_1)
	v_cvt_f32_i32_e32 v2, v2
	v_and_b32_e32 v4, 0x7fffffff, v2
	s_delay_alu instid0(VALU_DEP_1)
	v_cmpx_gt_u32_e32 0x43f00000, v4
	s_xor_b32 s8, exec_lo, s8
	s_cbranch_execz .LBB39_1513
; %bb.1508:
	s_mov_b32 s9, exec_lo
                                        ; implicit-def: $vgpr3
	v_cmpx_lt_u32_e32 0x3c7fffff, v4
	s_xor_b32 s9, exec_lo, s9
; %bb.1509:
	v_bfe_u32 v3, v2, 20, 1
	s_delay_alu instid0(VALU_DEP_1) | instskip(NEXT) | instid1(VALU_DEP_1)
	v_add3_u32 v3, v2, v3, 0x407ffff
	v_and_b32_e32 v4, 0xff00000, v3
	v_lshrrev_b32_e32 v3, 20, v3
	s_delay_alu instid0(VALU_DEP_2) | instskip(NEXT) | instid1(VALU_DEP_2)
	v_cmp_ne_u32_e32 vcc_lo, 0x7f00000, v4
	v_cndmask_b32_e32 v3, 0x7e, v3, vcc_lo
; %bb.1510:
	s_and_not1_saveexec_b32 s9, s9
; %bb.1511:
	v_add_f32_e64 v3, 0x46800000, |v2|
; %bb.1512:
	s_or_b32 exec_lo, exec_lo, s9
                                        ; implicit-def: $vgpr4
.LBB39_1513:
	s_and_not1_saveexec_b32 s8, s8
; %bb.1514:
	v_mov_b32_e32 v3, 0x7f
	v_cmp_lt_u32_e32 vcc_lo, 0x7f800000, v4
	s_delay_alu instid0(VALU_DEP_2)
	v_cndmask_b32_e32 v3, 0x7e, v3, vcc_lo
; %bb.1515:
	s_or_b32 exec_lo, exec_lo, s8
	v_lshrrev_b32_e32 v2, 24, v2
	s_delay_alu instid0(VALU_DEP_1)
	v_and_or_b32 v2, 0x80, v2, v3
	global_store_b8 v[0:1], v2, off
.LBB39_1516:
	s_mov_b32 s8, 0
.LBB39_1517:
	s_delay_alu instid0(SALU_CYCLE_1)
	s_and_not1_b32 vcc_lo, exec_lo, s8
	s_cbranch_vccnz .LBB39_1527
; %bb.1518:
	s_wait_xcnt 0x0
	v_bfe_i32 v2, v5, 0, 16
	s_mov_b32 s8, exec_lo
                                        ; implicit-def: $vgpr3
	s_delay_alu instid0(VALU_DEP_1) | instskip(NEXT) | instid1(VALU_DEP_1)
	v_cvt_f32_i32_e32 v2, v2
	v_and_b32_e32 v4, 0x7fffffff, v2
	s_delay_alu instid0(VALU_DEP_1)
	v_cmpx_gt_u32_e32 0x47800000, v4
	s_xor_b32 s8, exec_lo, s8
	s_cbranch_execz .LBB39_1524
; %bb.1519:
	s_mov_b32 s9, exec_lo
                                        ; implicit-def: $vgpr3
	v_cmpx_lt_u32_e32 0x387fffff, v4
	s_xor_b32 s9, exec_lo, s9
; %bb.1520:
	v_bfe_u32 v3, v2, 21, 1
	s_delay_alu instid0(VALU_DEP_1) | instskip(NEXT) | instid1(VALU_DEP_1)
	v_add3_u32 v3, v2, v3, 0x80fffff
	v_lshrrev_b32_e32 v3, 21, v3
; %bb.1521:
	s_and_not1_saveexec_b32 s9, s9
; %bb.1522:
	v_add_f32_e64 v3, 0x43000000, |v2|
; %bb.1523:
	s_or_b32 exec_lo, exec_lo, s9
                                        ; implicit-def: $vgpr4
.LBB39_1524:
	s_and_not1_saveexec_b32 s8, s8
; %bb.1525:
	v_mov_b32_e32 v3, 0x7f
	v_cmp_lt_u32_e32 vcc_lo, 0x7f800000, v4
	s_delay_alu instid0(VALU_DEP_2)
	v_cndmask_b32_e32 v3, 0x7c, v3, vcc_lo
; %bb.1526:
	s_or_b32 exec_lo, exec_lo, s8
	v_lshrrev_b32_e32 v2, 24, v2
	s_delay_alu instid0(VALU_DEP_1)
	v_and_or_b32 v2, 0x80, v2, v3
	global_store_b8 v[0:1], v2, off
.LBB39_1527:
	s_mov_b32 s8, 0
.LBB39_1528:
	s_delay_alu instid0(SALU_CYCLE_1)
	s_and_not1_b32 vcc_lo, exec_lo, s8
	s_mov_b32 s9, 0
	s_cbranch_vccnz .LBB39_1536
; %bb.1529:
	s_cmp_gt_i32 s4, 14
	s_mov_b32 s8, -1
	s_cbranch_scc0 .LBB39_1533
; %bb.1530:
	s_cmp_eq_u32 s4, 15
	s_mov_b32 s0, -1
	s_cbranch_scc0 .LBB39_1532
; %bb.1531:
	s_wait_xcnt 0x0
	v_bfe_i32 v2, v5, 0, 16
	s_mov_b32 s0, 0
	s_delay_alu instid0(VALU_DEP_1) | instskip(NEXT) | instid1(VALU_DEP_1)
	v_cvt_f32_i32_e32 v2, v2
	v_bfe_u32 v3, v2, 16, 1
	s_delay_alu instid0(VALU_DEP_1)
	v_add3_u32 v2, v2, v3, 0x7fff
	global_store_d16_hi_b16 v[0:1], v2, off
.LBB39_1532:
	s_mov_b32 s8, 0
.LBB39_1533:
	s_delay_alu instid0(SALU_CYCLE_1)
	s_and_b32 vcc_lo, exec_lo, s8
	s_cbranch_vccz .LBB39_1536
; %bb.1534:
	s_cmp_lg_u32 s4, 11
	s_mov_b32 s9, -1
	s_cselect_b32 s4, -1, 0
	s_and_not1_b32 s0, s0, exec_lo
	s_and_b32 s4, s4, exec_lo
	s_delay_alu instid0(SALU_CYCLE_1)
	s_or_b32 s0, s0, s4
	s_branch .LBB39_1536
.LBB39_1535:
	s_mov_b32 s9, 0
.LBB39_1536:
	s_and_b32 s8, s5, exec_lo
	s_and_not1_b32 s4, s38, exec_lo
	s_and_b32 s5, s0, exec_lo
	s_and_b32 s0, s9, exec_lo
	s_or_b32 s38, s4, s5
	s_wait_xcnt 0x0
	s_or_b32 exec_lo, exec_lo, s7
	s_and_saveexec_b32 s4, s38
	s_cbranch_execz .LBB39_1465
.LBB39_1537:
	s_or_b32 s1, s1, exec_lo
	s_and_not1_b32 s0, s0, exec_lo
	s_trap 2
	s_or_b32 exec_lo, exec_lo, s4
	s_and_saveexec_b32 s4, s0
	s_delay_alu instid0(SALU_CYCLE_1)
	s_xor_b32 s0, exec_lo, s4
	s_cbranch_execnz .LBB39_1466
.LBB39_1538:
	s_or_b32 exec_lo, exec_lo, s0
	s_and_saveexec_b32 s0, s8
	s_delay_alu instid0(SALU_CYCLE_1)
	s_xor_b32 s0, exec_lo, s0
	s_cbranch_execz .LBB39_1576
.LBB39_1539:
	s_sext_i32_i16 s5, s6
	s_mov_b32 s4, -1
	s_cmp_lt_i32 s5, 5
	s_cbranch_scc1 .LBB39_1560
; %bb.1540:
	s_cmp_lt_i32 s5, 8
	s_cbranch_scc1 .LBB39_1550
; %bb.1541:
	;; [unrolled: 3-line block ×3, first 2 shown]
	s_wait_loadcnt 0x0
	v_bfe_i32 v2, v5, 0, 16
	s_cmp_gt_i32 s5, 9
	s_cbranch_scc0 .LBB39_1544
; %bb.1543:
	s_delay_alu instid0(VALU_DEP_1) | instskip(SKIP_2) | instid1(VALU_DEP_1)
	v_cvt_f64_i32_e32 v[6:7], v2
	v_mov_b32_e32 v8, 0
	s_mov_b32 s4, 0
	v_mov_b32_e32 v9, v8
	global_store_b128 v[0:1], v[6:9], off
.LBB39_1544:
	s_and_not1_b32 vcc_lo, exec_lo, s4
	s_cbranch_vccnz .LBB39_1546
; %bb.1545:
	v_cvt_f32_i32_e32 v2, v2
	v_mov_b32_e32 v3, 0
	global_store_b64 v[0:1], v[2:3], off
.LBB39_1546:
	s_mov_b32 s4, 0
.LBB39_1547:
	s_delay_alu instid0(SALU_CYCLE_1)
	s_and_not1_b32 vcc_lo, exec_lo, s4
	s_cbranch_vccnz .LBB39_1549
; %bb.1548:
	s_wait_loadcnt 0x0
	v_cvt_f16_i16_e32 v2, v5
	s_delay_alu instid0(VALU_DEP_1)
	v_and_b32_e32 v2, 0xffff, v2
	global_store_b32 v[0:1], v2, off
.LBB39_1549:
	s_mov_b32 s4, 0
.LBB39_1550:
	s_delay_alu instid0(SALU_CYCLE_1)
	s_and_not1_b32 vcc_lo, exec_lo, s4
	s_cbranch_vccnz .LBB39_1559
; %bb.1551:
	s_sext_i32_i16 s5, s6
	s_mov_b32 s4, -1
	s_cmp_lt_i32 s5, 6
	s_cbranch_scc1 .LBB39_1557
; %bb.1552:
	s_wait_loadcnt 0x0
	v_bfe_i32 v2, v5, 0, 16
	s_cmp_gt_i32 s5, 6
	s_cbranch_scc0 .LBB39_1554
; %bb.1553:
	s_delay_alu instid0(VALU_DEP_1)
	v_cvt_f64_i32_e32 v[6:7], v2
	s_mov_b32 s4, 0
	global_store_b64 v[0:1], v[6:7], off
.LBB39_1554:
	s_and_not1_b32 vcc_lo, exec_lo, s4
	s_cbranch_vccnz .LBB39_1556
; %bb.1555:
	v_cvt_f32_i32_e32 v2, v2
	global_store_b32 v[0:1], v2, off
.LBB39_1556:
	s_mov_b32 s4, 0
.LBB39_1557:
	s_delay_alu instid0(SALU_CYCLE_1)
	s_and_not1_b32 vcc_lo, exec_lo, s4
	s_cbranch_vccnz .LBB39_1559
; %bb.1558:
	s_wait_loadcnt 0x0
	v_cvt_f16_i16_e32 v2, v5
	global_store_b16 v[0:1], v2, off
.LBB39_1559:
	s_mov_b32 s4, 0
.LBB39_1560:
	s_delay_alu instid0(SALU_CYCLE_1)
	s_and_not1_b32 vcc_lo, exec_lo, s4
	s_cbranch_vccnz .LBB39_1576
; %bb.1561:
	s_sext_i32_i16 s5, s6
	s_mov_b32 s4, -1
	s_cmp_lt_i32 s5, 2
	s_cbranch_scc1 .LBB39_1571
; %bb.1562:
	s_cmp_lt_i32 s5, 3
	s_cbranch_scc1 .LBB39_1568
; %bb.1563:
	s_wait_loadcnt 0x0
	v_bfe_i32 v2, v5, 0, 16
	s_cmp_gt_i32 s5, 3
	s_cbranch_scc0 .LBB39_1565
; %bb.1564:
	s_delay_alu instid0(VALU_DEP_1)
	v_ashrrev_i32_e32 v3, 31, v2
	s_mov_b32 s4, 0
	global_store_b64 v[0:1], v[2:3], off
.LBB39_1565:
	s_and_not1_b32 vcc_lo, exec_lo, s4
	s_cbranch_vccnz .LBB39_1567
; %bb.1566:
	global_store_b32 v[0:1], v2, off
.LBB39_1567:
	s_mov_b32 s4, 0
.LBB39_1568:
	s_delay_alu instid0(SALU_CYCLE_1)
	s_and_not1_b32 vcc_lo, exec_lo, s4
	s_cbranch_vccnz .LBB39_1570
; %bb.1569:
	s_wait_loadcnt 0x0
	global_store_b16 v[0:1], v5, off
.LBB39_1570:
	s_mov_b32 s4, 0
.LBB39_1571:
	s_delay_alu instid0(SALU_CYCLE_1)
	s_and_not1_b32 vcc_lo, exec_lo, s4
	s_cbranch_vccnz .LBB39_1576
; %bb.1572:
	s_sext_i32_i16 s4, s6
	s_delay_alu instid0(SALU_CYCLE_1)
	s_cmp_gt_i32 s4, 0
	s_mov_b32 s4, -1
	s_cbranch_scc0 .LBB39_1574
; %bb.1573:
	s_mov_b32 s4, 0
	s_wait_loadcnt 0x0
	global_store_b8 v[0:1], v5, off
.LBB39_1574:
	s_and_not1_b32 vcc_lo, exec_lo, s4
	s_cbranch_vccnz .LBB39_1576
; %bb.1575:
	s_wait_loadcnt 0x0
	global_store_b8 v[0:1], v5, off
.LBB39_1576:
	s_wait_xcnt 0x0
	s_or_b32 exec_lo, exec_lo, s0
	s_delay_alu instid0(SALU_CYCLE_1)
	s_and_b32 s8, s1, exec_lo
                                        ; implicit-def: $vgpr1
                                        ; implicit-def: $vgpr0
.LBB39_1577:
	s_or_saveexec_b32 s9, s30
	s_mov_b32 s0, 0
                                        ; implicit-def: $vgpr2_vgpr3
                                        ; implicit-def: $sgpr1
                                        ; implicit-def: $vgpr11
	s_xor_b32 exec_lo, exec_lo, s9
	s_cbranch_execz .LBB39_2727
; %bb.1578:
	v_cndmask_b32_e64 v3, 0, 1, s29
	s_and_not1_b32 vcc_lo, exec_lo, s29
	s_cbranch_vccnz .LBB39_1584
; %bb.1579:
	s_cmp_lg_u32 s26, 0
	s_mov_b32 s4, 0
	s_cbranch_scc0 .LBB39_1588
; %bb.1580:
	s_min_u32 s5, s27, 15
	v_dual_mov_b32 v6, 0 :: v_dual_mov_b32 v2, v0
	v_dual_mov_b32 v22, 0 :: v_dual_mov_b32 v20, 0
	s_add_co_i32 s6, s5, 1
	s_mov_b64 s[0:1], 0xffffffffffffffe8
	s_and_b32 s6, s6, 30
	s_add_nc_u64 s[0:1], s[2:3], s[0:1]
.LBB39_1581:                            ; =>This Inner Loop Header: Depth=1
	s_clause 0x1
	s_load_b128 s[12:15], s[0:1], 0x1c
	s_load_b64 s[10:11], s[0:1], 0x2c
	s_add_co_i32 s6, s6, -2
	s_delay_alu instid0(SALU_CYCLE_1) | instskip(SKIP_3) | instid1(VALU_DEP_1)
	s_cmp_lg_u32 s6, 0
	s_wait_loadcnt 0x0
	s_wait_kmcnt 0x0
	v_mul_hi_u32 v4, s13, v2
	v_add_nc_u32_e32 v4, v2, v4
	s_delay_alu instid0(VALU_DEP_1) | instskip(NEXT) | instid1(VALU_DEP_1)
	v_lshrrev_b32_e32 v4, s14, v4
	v_mul_hi_u32 v5, s10, v4
	v_mul_lo_u32 v7, v4, s12
	s_clause 0x1
	s_load_b128 s[16:19], s[0:1], 0xdc
	s_load_b64 s[12:13], s[0:1], 0xec
	s_wait_xcnt 0x0
	s_add_nc_u64 s[0:1], s[0:1], 24
	s_delay_alu instid0(VALU_DEP_1) | instskip(NEXT) | instid1(VALU_DEP_1)
	v_dual_add_nc_u32 v5, v4, v5 :: v_dual_sub_nc_u32 v7, v2, v7
	v_lshrrev_b32_e32 v2, s11, v5
	s_wait_kmcnt 0x0
	s_delay_alu instid0(VALU_DEP_2) | instskip(NEXT) | instid1(VALU_DEP_2)
	v_mad_u32 v6, v7, s16, v6
	v_mul_lo_u32 v5, v2, s15
	v_mad_u32 v8, v7, s18, v20
	v_mad_u32 v7, v7, s17, v22
	s_delay_alu instid0(VALU_DEP_3) | instskip(NEXT) | instid1(VALU_DEP_1)
	v_sub_nc_u32_e32 v4, v4, v5
	v_mad_u32 v6, v4, s19, v6
	s_delay_alu instid0(VALU_DEP_4) | instskip(NEXT) | instid1(VALU_DEP_4)
	v_mad_u32 v20, v4, s13, v8
	v_mad_u32 v22, v4, s12, v7
	s_cbranch_scc1 .LBB39_1581
; %bb.1582:
	s_bitcmp1_b32 s5, 0
	s_cselect_b32 s5, -1, 0
	s_delay_alu instid0(SALU_CYCLE_1)
	s_and_b32 vcc_lo, exec_lo, s5
	s_cbranch_vccnz .LBB39_1585
; %bb.1583:
	s_clause 0x1
	s_load_b96 s[12:14], s[0:1], 0x1c
	s_load_b96 s[16:18], s[0:1], 0xdc
	s_wait_kmcnt 0x0
	v_mul_hi_u32 v4, s13, v2
	s_delay_alu instid0(VALU_DEP_1) | instskip(NEXT) | instid1(VALU_DEP_1)
	v_add_nc_u32_e32 v4, v2, v4
	v_lshrrev_b32_e32 v4, s14, v4
	s_delay_alu instid0(VALU_DEP_1) | instskip(NEXT) | instid1(VALU_DEP_1)
	v_mul_lo_u32 v4, v4, s12
	v_sub_nc_u32_e32 v2, v2, v4
	s_delay_alu instid0(VALU_DEP_1)
	v_mad_u32 v6, v2, s16, v6
	v_mad_u32 v22, v2, s17, v22
	;; [unrolled: 1-line block ×3, first 2 shown]
	s_and_not1_b32 vcc_lo, exec_lo, s4
	s_cbranch_vccz .LBB39_1586
	s_branch .LBB39_1589
.LBB39_1584:
	s_mov_b32 s4, -1
                                        ; implicit-def: $vgpr20
                                        ; implicit-def: $vgpr22
                                        ; implicit-def: $vgpr6
.LBB39_1585:
	s_delay_alu instid0(SALU_CYCLE_1)
	s_and_not1_b32 vcc_lo, exec_lo, s4
	s_cbranch_vccnz .LBB39_1589
.LBB39_1586:
	s_clause 0x1
	s_load_b96 s[4:6], s[2:3], 0x4
	s_load_b96 s[12:14], s[2:3], 0xc4
	s_cmp_lt_u32 s26, 2
	s_wait_kmcnt 0x0
	v_mul_hi_u32 v2, s5, v0
	s_delay_alu instid0(VALU_DEP_1) | instskip(NEXT) | instid1(VALU_DEP_1)
	v_add_nc_u32_e32 v2, v0, v2
	v_lshrrev_b32_e32 v2, s6, v2
	s_wait_loadcnt 0x0
	s_delay_alu instid0(VALU_DEP_1) | instskip(NEXT) | instid1(VALU_DEP_1)
	v_mul_lo_u32 v4, v2, s4
	v_sub_nc_u32_e32 v4, v0, v4
	s_delay_alu instid0(VALU_DEP_1)
	v_mul_lo_u32 v6, v4, s12
	v_mul_lo_u32 v20, v4, s14
	;; [unrolled: 1-line block ×3, first 2 shown]
	s_cbranch_scc1 .LBB39_1589
; %bb.1587:
	s_clause 0x1
	s_load_b96 s[4:6], s[2:3], 0x10
	s_load_b96 s[12:14], s[2:3], 0xd0
	s_wait_kmcnt 0x0
	v_mul_hi_u32 v4, s5, v2
	s_delay_alu instid0(VALU_DEP_1) | instskip(NEXT) | instid1(VALU_DEP_1)
	v_add_nc_u32_e32 v4, v2, v4
	v_lshrrev_b32_e32 v4, s6, v4
	s_delay_alu instid0(VALU_DEP_1) | instskip(NEXT) | instid1(VALU_DEP_1)
	v_mul_lo_u32 v4, v4, s4
	v_sub_nc_u32_e32 v2, v2, v4
	s_delay_alu instid0(VALU_DEP_1)
	v_mad_u32 v6, v2, s12, v6
	v_mad_u32 v22, v2, s13, v22
	;; [unrolled: 1-line block ×3, first 2 shown]
	s_branch .LBB39_1589
.LBB39_1588:
	v_dual_mov_b32 v20, 0 :: v_dual_mov_b32 v22, 0
	v_mov_b32_e32 v6, 0
	s_and_not1_b32 vcc_lo, exec_lo, s4
	s_cbranch_vccz .LBB39_1586
.LBB39_1589:
	v_cmp_ne_u32_e32 vcc_lo, 1, v3
	v_add_nc_u32_e32 v2, 0x80, v0
	s_cbranch_vccnz .LBB39_1595
; %bb.1590:
	s_cmp_lg_u32 s26, 0
	s_mov_b32 s4, 0
	s_cbranch_scc0 .LBB39_1599
; %bb.1591:
	s_min_u32 s5, s27, 15
	s_wait_loadcnt 0x0
	v_dual_mov_b32 v4, 0 :: v_dual_mov_b32 v5, v2
	v_dual_mov_b32 v18, 0 :: v_dual_mov_b32 v16, 0
	s_add_co_i32 s6, s5, 1
	s_mov_b64 s[0:1], 0xffffffffffffffe8
	s_and_b32 s6, s6, 30
	s_add_nc_u64 s[0:1], s[2:3], s[0:1]
.LBB39_1592:                            ; =>This Inner Loop Header: Depth=1
	s_clause 0x1
	s_load_b128 s[12:15], s[0:1], 0x1c
	s_load_b64 s[10:11], s[0:1], 0x2c
	s_add_co_i32 s6, s6, -2
	s_delay_alu instid0(SALU_CYCLE_1) | instskip(SKIP_2) | instid1(VALU_DEP_1)
	s_cmp_lg_u32 s6, 0
	s_wait_kmcnt 0x0
	v_mul_hi_u32 v7, s13, v5
	v_add_nc_u32_e32 v7, v5, v7
	s_delay_alu instid0(VALU_DEP_1) | instskip(NEXT) | instid1(VALU_DEP_1)
	v_lshrrev_b32_e32 v7, s14, v7
	v_mul_hi_u32 v8, s10, v7
	v_mul_lo_u32 v9, v7, s12
	s_clause 0x1
	s_load_b128 s[16:19], s[0:1], 0xdc
	s_load_b64 s[12:13], s[0:1], 0xec
	s_wait_xcnt 0x0
	s_add_nc_u64 s[0:1], s[0:1], 24
	s_delay_alu instid0(VALU_DEP_1) | instskip(NEXT) | instid1(VALU_DEP_1)
	v_dual_add_nc_u32 v8, v7, v8 :: v_dual_sub_nc_u32 v9, v5, v9
	v_lshrrev_b32_e32 v5, s11, v8
	s_wait_kmcnt 0x0
	s_delay_alu instid0(VALU_DEP_2) | instskip(NEXT) | instid1(VALU_DEP_2)
	v_mad_u32 v4, v9, s16, v4
	v_mul_lo_u32 v8, v5, s15
	v_mad_u32 v10, v9, s18, v16
	v_mad_u32 v9, v9, s17, v18
	s_delay_alu instid0(VALU_DEP_3) | instskip(NEXT) | instid1(VALU_DEP_1)
	v_sub_nc_u32_e32 v7, v7, v8
	v_mad_u32 v4, v7, s19, v4
	s_delay_alu instid0(VALU_DEP_4) | instskip(NEXT) | instid1(VALU_DEP_4)
	v_mad_u32 v16, v7, s13, v10
	v_mad_u32 v18, v7, s12, v9
	s_cbranch_scc1 .LBB39_1592
; %bb.1593:
	s_bitcmp1_b32 s5, 0
	s_cselect_b32 s5, -1, 0
	s_delay_alu instid0(SALU_CYCLE_1)
	s_and_b32 vcc_lo, exec_lo, s5
	s_cbranch_vccnz .LBB39_1596
; %bb.1594:
	s_clause 0x1
	s_load_b96 s[12:14], s[0:1], 0x1c
	s_load_b96 s[16:18], s[0:1], 0xdc
	s_wait_kmcnt 0x0
	v_mul_hi_u32 v7, s13, v5
	s_delay_alu instid0(VALU_DEP_1) | instskip(NEXT) | instid1(VALU_DEP_1)
	v_add_nc_u32_e32 v7, v5, v7
	v_lshrrev_b32_e32 v7, s14, v7
	s_delay_alu instid0(VALU_DEP_1) | instskip(NEXT) | instid1(VALU_DEP_1)
	v_mul_lo_u32 v7, v7, s12
	v_sub_nc_u32_e32 v5, v5, v7
	s_delay_alu instid0(VALU_DEP_1)
	v_mad_u32 v4, v5, s16, v4
	v_mad_u32 v18, v5, s17, v18
	;; [unrolled: 1-line block ×3, first 2 shown]
	s_and_not1_b32 vcc_lo, exec_lo, s4
	s_cbranch_vccz .LBB39_1597
	s_branch .LBB39_1600
.LBB39_1595:
	s_mov_b32 s4, -1
                                        ; implicit-def: $vgpr16
                                        ; implicit-def: $vgpr18
                                        ; implicit-def: $vgpr4
.LBB39_1596:
	s_delay_alu instid0(SALU_CYCLE_1)
	s_and_not1_b32 vcc_lo, exec_lo, s4
	s_cbranch_vccnz .LBB39_1600
.LBB39_1597:
	s_clause 0x1
	s_load_b96 s[4:6], s[2:3], 0x4
	s_load_b96 s[12:14], s[2:3], 0xc4
	s_cmp_lt_u32 s26, 2
	s_wait_loadcnt 0x0
	s_wait_kmcnt 0x0
	v_mul_hi_u32 v4, s5, v2
	s_delay_alu instid0(VALU_DEP_1) | instskip(NEXT) | instid1(VALU_DEP_1)
	v_add_nc_u32_e32 v4, v2, v4
	v_lshrrev_b32_e32 v5, s6, v4
	s_delay_alu instid0(VALU_DEP_1) | instskip(NEXT) | instid1(VALU_DEP_1)
	v_mul_lo_u32 v4, v5, s4
	v_sub_nc_u32_e32 v2, v2, v4
	s_delay_alu instid0(VALU_DEP_1)
	v_mul_lo_u32 v4, v2, s12
	v_mul_lo_u32 v16, v2, s14
	;; [unrolled: 1-line block ×3, first 2 shown]
	s_cbranch_scc1 .LBB39_1600
; %bb.1598:
	s_clause 0x1
	s_load_b96 s[4:6], s[2:3], 0x10
	s_load_b96 s[12:14], s[2:3], 0xd0
	s_wait_kmcnt 0x0
	v_mul_hi_u32 v2, s5, v5
	s_delay_alu instid0(VALU_DEP_1) | instskip(NEXT) | instid1(VALU_DEP_1)
	v_add_nc_u32_e32 v2, v5, v2
	v_lshrrev_b32_e32 v2, s6, v2
	s_delay_alu instid0(VALU_DEP_1) | instskip(NEXT) | instid1(VALU_DEP_1)
	v_mul_lo_u32 v2, v2, s4
	v_sub_nc_u32_e32 v2, v5, v2
	s_delay_alu instid0(VALU_DEP_1)
	v_mad_u32 v4, v2, s12, v4
	v_mad_u32 v18, v2, s13, v18
	;; [unrolled: 1-line block ×3, first 2 shown]
	s_branch .LBB39_1600
.LBB39_1599:
	v_dual_mov_b32 v16, 0 :: v_dual_mov_b32 v18, 0
	s_wait_loadcnt 0x0
	v_mov_b32_e32 v4, 0
	s_and_not1_b32 vcc_lo, exec_lo, s4
	s_cbranch_vccz .LBB39_1597
.LBB39_1600:
	v_cmp_ne_u32_e32 vcc_lo, 1, v3
	v_add_nc_u32_e32 v0, 0x100, v0
	s_cbranch_vccnz .LBB39_1606
; %bb.1601:
	s_cmp_lg_u32 s26, 0
	s_mov_b32 s4, 0
	s_cbranch_scc0 .LBB39_1610
; %bb.1602:
	s_min_u32 s5, s27, 15
	s_wait_loadcnt 0x0
	v_dual_mov_b32 v2, 0 :: v_dual_mov_b32 v5, v0
	v_dual_mov_b32 v14, 0 :: v_dual_mov_b32 v12, 0
	s_add_co_i32 s6, s5, 1
	s_mov_b64 s[0:1], 0xffffffffffffffe8
	s_and_b32 s6, s6, 30
	s_add_nc_u64 s[0:1], s[2:3], s[0:1]
.LBB39_1603:                            ; =>This Inner Loop Header: Depth=1
	s_clause 0x1
	s_load_b128 s[12:15], s[0:1], 0x1c
	s_load_b64 s[10:11], s[0:1], 0x2c
	s_add_co_i32 s6, s6, -2
	s_delay_alu instid0(SALU_CYCLE_1) | instskip(SKIP_2) | instid1(VALU_DEP_1)
	s_cmp_lg_u32 s6, 0
	s_wait_kmcnt 0x0
	v_mul_hi_u32 v7, s13, v5
	v_add_nc_u32_e32 v7, v5, v7
	s_delay_alu instid0(VALU_DEP_1) | instskip(NEXT) | instid1(VALU_DEP_1)
	v_lshrrev_b32_e32 v7, s14, v7
	v_mul_hi_u32 v8, s10, v7
	v_mul_lo_u32 v9, v7, s12
	s_clause 0x1
	s_load_b128 s[16:19], s[0:1], 0xdc
	s_load_b64 s[12:13], s[0:1], 0xec
	s_wait_xcnt 0x0
	s_add_nc_u64 s[0:1], s[0:1], 24
	s_delay_alu instid0(VALU_DEP_1) | instskip(NEXT) | instid1(VALU_DEP_1)
	v_dual_add_nc_u32 v8, v7, v8 :: v_dual_sub_nc_u32 v9, v5, v9
	v_lshrrev_b32_e32 v5, s11, v8
	s_wait_kmcnt 0x0
	s_delay_alu instid0(VALU_DEP_2) | instskip(NEXT) | instid1(VALU_DEP_2)
	v_mad_u32 v2, v9, s16, v2
	v_mul_lo_u32 v8, v5, s15
	v_mad_u32 v10, v9, s18, v12
	v_mad_u32 v9, v9, s17, v14
	s_delay_alu instid0(VALU_DEP_3) | instskip(NEXT) | instid1(VALU_DEP_1)
	v_sub_nc_u32_e32 v7, v7, v8
	v_mad_u32 v2, v7, s19, v2
	s_delay_alu instid0(VALU_DEP_4) | instskip(NEXT) | instid1(VALU_DEP_4)
	v_mad_u32 v12, v7, s13, v10
	v_mad_u32 v14, v7, s12, v9
	s_cbranch_scc1 .LBB39_1603
; %bb.1604:
	s_bitcmp1_b32 s5, 0
	s_cselect_b32 s5, -1, 0
	s_delay_alu instid0(SALU_CYCLE_1)
	s_and_b32 vcc_lo, exec_lo, s5
	s_cbranch_vccnz .LBB39_1607
; %bb.1605:
	s_clause 0x1
	s_load_b96 s[12:14], s[0:1], 0x1c
	s_load_b96 s[16:18], s[0:1], 0xdc
	s_wait_kmcnt 0x0
	v_mul_hi_u32 v7, s13, v5
	s_delay_alu instid0(VALU_DEP_1) | instskip(NEXT) | instid1(VALU_DEP_1)
	v_add_nc_u32_e32 v7, v5, v7
	v_lshrrev_b32_e32 v7, s14, v7
	s_delay_alu instid0(VALU_DEP_1) | instskip(NEXT) | instid1(VALU_DEP_1)
	v_mul_lo_u32 v7, v7, s12
	v_sub_nc_u32_e32 v5, v5, v7
	s_delay_alu instid0(VALU_DEP_1)
	v_mad_u32 v2, v5, s16, v2
	v_mad_u32 v14, v5, s17, v14
	;; [unrolled: 1-line block ×3, first 2 shown]
	s_and_not1_b32 vcc_lo, exec_lo, s4
	s_cbranch_vccz .LBB39_1608
	s_branch .LBB39_1611
.LBB39_1606:
	s_mov_b32 s4, -1
                                        ; implicit-def: $vgpr12
                                        ; implicit-def: $vgpr14
                                        ; implicit-def: $vgpr2
.LBB39_1607:
	s_delay_alu instid0(SALU_CYCLE_1)
	s_and_not1_b32 vcc_lo, exec_lo, s4
	s_cbranch_vccnz .LBB39_1611
.LBB39_1608:
	s_clause 0x1
	s_load_b96 s[4:6], s[2:3], 0x4
	s_load_b96 s[12:14], s[2:3], 0xc4
	s_cmp_lt_u32 s26, 2
	s_wait_kmcnt 0x0
	v_mul_hi_u32 v2, s5, v0
	s_delay_alu instid0(VALU_DEP_1) | instskip(SKIP_1) | instid1(VALU_DEP_1)
	v_add_nc_u32_e32 v2, v0, v2
	s_wait_loadcnt 0x0
	v_lshrrev_b32_e32 v5, s6, v2
	s_delay_alu instid0(VALU_DEP_1) | instskip(NEXT) | instid1(VALU_DEP_1)
	v_mul_lo_u32 v2, v5, s4
	v_sub_nc_u32_e32 v0, v0, v2
	s_delay_alu instid0(VALU_DEP_1)
	v_mul_lo_u32 v2, v0, s12
	v_mul_lo_u32 v12, v0, s14
	;; [unrolled: 1-line block ×3, first 2 shown]
	s_cbranch_scc1 .LBB39_1611
; %bb.1609:
	s_clause 0x1
	s_load_b96 s[4:6], s[2:3], 0x10
	s_load_b96 s[12:14], s[2:3], 0xd0
	s_wait_kmcnt 0x0
	v_mul_hi_u32 v0, s5, v5
	s_delay_alu instid0(VALU_DEP_1) | instskip(NEXT) | instid1(VALU_DEP_1)
	v_add_nc_u32_e32 v0, v5, v0
	v_lshrrev_b32_e32 v0, s6, v0
	s_delay_alu instid0(VALU_DEP_1) | instskip(NEXT) | instid1(VALU_DEP_1)
	v_mul_lo_u32 v0, v0, s4
	v_sub_nc_u32_e32 v0, v5, v0
	s_delay_alu instid0(VALU_DEP_1)
	v_mad_u32 v2, v0, s12, v2
	v_mad_u32 v14, v0, s13, v14
	;; [unrolled: 1-line block ×3, first 2 shown]
	s_branch .LBB39_1611
.LBB39_1610:
	v_dual_mov_b32 v12, 0 :: v_dual_mov_b32 v14, 0
	v_mov_b32_e32 v2, 0
	s_and_not1_b32 vcc_lo, exec_lo, s4
	s_cbranch_vccz .LBB39_1608
.LBB39_1611:
	v_cmp_ne_u32_e32 vcc_lo, 1, v3
	s_cbranch_vccnz .LBB39_1617
; %bb.1612:
	s_cmp_lg_u32 s26, 0
	s_mov_b32 s4, 0
	s_cbranch_scc0 .LBB39_1621
; %bb.1613:
	s_min_u32 s5, s27, 15
	v_dual_mov_b32 v0, 0 :: v_dual_mov_b32 v3, v1
	s_wait_loadcnt 0x0
	v_dual_mov_b32 v10, 0 :: v_dual_mov_b32 v8, 0
	s_add_co_i32 s6, s5, 1
	s_mov_b64 s[0:1], 0xffffffffffffffe8
	s_and_b32 s6, s6, 30
	s_add_nc_u64 s[0:1], s[2:3], s[0:1]
.LBB39_1614:                            ; =>This Inner Loop Header: Depth=1
	s_clause 0x1
	s_load_b128 s[12:15], s[0:1], 0x1c
	s_load_b64 s[10:11], s[0:1], 0x2c
	s_add_co_i32 s6, s6, -2
	s_delay_alu instid0(SALU_CYCLE_1) | instskip(SKIP_2) | instid1(VALU_DEP_1)
	s_cmp_lg_u32 s6, 0
	s_wait_kmcnt 0x0
	v_mul_hi_u32 v5, s13, v3
	v_add_nc_u32_e32 v5, v3, v5
	s_delay_alu instid0(VALU_DEP_1) | instskip(NEXT) | instid1(VALU_DEP_1)
	v_lshrrev_b32_e32 v5, s14, v5
	v_mul_hi_u32 v7, s10, v5
	v_mul_lo_u32 v9, v5, s12
	s_clause 0x1
	s_load_b128 s[16:19], s[0:1], 0xdc
	s_load_b64 s[12:13], s[0:1], 0xec
	s_wait_xcnt 0x0
	s_add_nc_u64 s[0:1], s[0:1], 24
	s_delay_alu instid0(VALU_DEP_1) | instskip(NEXT) | instid1(VALU_DEP_1)
	v_dual_add_nc_u32 v7, v5, v7 :: v_dual_sub_nc_u32 v9, v3, v9
	v_lshrrev_b32_e32 v3, s11, v7
	s_wait_kmcnt 0x0
	s_delay_alu instid0(VALU_DEP_2) | instskip(NEXT) | instid1(VALU_DEP_2)
	v_mad_u32 v0, v9, s16, v0
	v_mul_lo_u32 v7, v3, s15
	v_mad_u32 v8, v9, s18, v8
	v_mad_u32 v9, v9, s17, v10
	s_delay_alu instid0(VALU_DEP_3) | instskip(NEXT) | instid1(VALU_DEP_1)
	v_sub_nc_u32_e32 v5, v5, v7
	v_mad_u32 v0, v5, s19, v0
	s_delay_alu instid0(VALU_DEP_4) | instskip(NEXT) | instid1(VALU_DEP_4)
	v_mad_u32 v8, v5, s13, v8
	v_mad_u32 v10, v5, s12, v9
	s_cbranch_scc1 .LBB39_1614
; %bb.1615:
	s_bitcmp1_b32 s5, 0
	s_cselect_b32 s5, -1, 0
	s_delay_alu instid0(SALU_CYCLE_1)
	s_and_b32 vcc_lo, exec_lo, s5
	s_cbranch_vccnz .LBB39_1618
; %bb.1616:
	s_clause 0x1
	s_load_b96 s[12:14], s[0:1], 0x1c
	s_load_b96 s[16:18], s[0:1], 0xdc
	s_wait_kmcnt 0x0
	v_mul_hi_u32 v5, s13, v3
	s_delay_alu instid0(VALU_DEP_1) | instskip(NEXT) | instid1(VALU_DEP_1)
	v_add_nc_u32_e32 v5, v3, v5
	v_lshrrev_b32_e32 v5, s14, v5
	s_delay_alu instid0(VALU_DEP_1) | instskip(NEXT) | instid1(VALU_DEP_1)
	v_mul_lo_u32 v5, v5, s12
	v_sub_nc_u32_e32 v3, v3, v5
	s_delay_alu instid0(VALU_DEP_1)
	v_mad_u32 v0, v3, s16, v0
	v_mad_u32 v10, v3, s17, v10
	v_mad_u32 v8, v3, s18, v8
	s_and_not1_b32 vcc_lo, exec_lo, s4
	s_cbranch_vccz .LBB39_1619
	s_branch .LBB39_1622
.LBB39_1617:
	s_mov_b32 s4, -1
                                        ; implicit-def: $vgpr8
                                        ; implicit-def: $vgpr10
                                        ; implicit-def: $vgpr0
.LBB39_1618:
	s_delay_alu instid0(SALU_CYCLE_1)
	s_and_not1_b32 vcc_lo, exec_lo, s4
	s_cbranch_vccnz .LBB39_1622
.LBB39_1619:
	s_clause 0x1
	s_load_b96 s[4:6], s[2:3], 0x4
	s_load_b96 s[12:14], s[2:3], 0xc4
	s_cmp_lt_u32 s26, 2
	s_wait_kmcnt 0x0
	v_mul_hi_u32 v0, s5, v1
	s_delay_alu instid0(VALU_DEP_1) | instskip(NEXT) | instid1(VALU_DEP_1)
	v_add_nc_u32_e32 v0, v1, v0
	v_lshrrev_b32_e32 v3, s6, v0
	s_delay_alu instid0(VALU_DEP_1) | instskip(NEXT) | instid1(VALU_DEP_1)
	v_mul_lo_u32 v0, v3, s4
	v_sub_nc_u32_e32 v1, v1, v0
	s_delay_alu instid0(VALU_DEP_1)
	v_mul_lo_u32 v0, v1, s12
	s_wait_loadcnt 0x0
	v_mul_lo_u32 v8, v1, s14
	v_mul_lo_u32 v10, v1, s13
	s_cbranch_scc1 .LBB39_1622
; %bb.1620:
	s_clause 0x1
	s_load_b96 s[4:6], s[2:3], 0x10
	s_load_b96 s[12:14], s[2:3], 0xd0
	s_wait_kmcnt 0x0
	v_mul_hi_u32 v1, s5, v3
	s_delay_alu instid0(VALU_DEP_1) | instskip(NEXT) | instid1(VALU_DEP_1)
	v_add_nc_u32_e32 v1, v3, v1
	v_lshrrev_b32_e32 v1, s6, v1
	s_delay_alu instid0(VALU_DEP_1) | instskip(NEXT) | instid1(VALU_DEP_1)
	v_mul_lo_u32 v1, v1, s4
	v_sub_nc_u32_e32 v1, v3, v1
	s_delay_alu instid0(VALU_DEP_1)
	v_mad_u32 v0, v1, s12, v0
	v_mad_u32 v10, v1, s13, v10
	;; [unrolled: 1-line block ×3, first 2 shown]
	s_branch .LBB39_1622
.LBB39_1621:
	s_wait_loadcnt 0x0
	v_dual_mov_b32 v8, 0 :: v_dual_mov_b32 v10, 0
	v_mov_b32_e32 v0, 0
	s_and_not1_b32 vcc_lo, exec_lo, s4
	s_cbranch_vccz .LBB39_1619
.LBB39_1622:
	v_mov_b32_e32 v23, 0
	s_load_b128 s[4:7], s[2:3], 0x188
	global_load_u8 v1, v23, s[2:3] offset:418
	s_wait_kmcnt 0x0
	v_add_nc_u64_e32 v[24:25], s[6:7], v[22:23]
	s_wait_loadcnt 0x0
	v_and_b32_e32 v3, 0xffff, v1
	v_readfirstlane_b32 s11, v1
	s_delay_alu instid0(VALU_DEP_2)
	v_cmp_gt_i32_e32 vcc_lo, 11, v3
	s_cbranch_vccnz .LBB39_1629
; %bb.1623:
	s_and_b32 s0, 0xffff, s11
	s_mov_b32 s12, 0
	s_cmp_gt_i32 s0, 25
	s_cbranch_scc0 .LBB39_1631
; %bb.1624:
	s_cmp_gt_i32 s0, 28
	s_cbranch_scc0 .LBB39_1632
; %bb.1625:
	;; [unrolled: 3-line block ×4, first 2 shown]
	s_cmp_eq_u32 s0, 46
	s_mov_b32 s10, 0
	s_cbranch_scc0 .LBB39_1637
; %bb.1628:
	global_load_b32 v1, v[24:25], off
	s_mov_b32 s1, 0
	s_mov_b32 s13, -1
	s_wait_loadcnt 0x0
	v_lshlrev_b32_e32 v1, 16, v1
	s_delay_alu instid0(VALU_DEP_1)
	v_cvt_i32_f32_e32 v22, v1
	s_branch .LBB39_1639
.LBB39_1629:
	s_mov_b32 s13, 0
	s_mov_b32 s10, s8
                                        ; implicit-def: $vgpr22
	s_cbranch_execnz .LBB39_1697
.LBB39_1630:
	s_and_not1_b32 vcc_lo, exec_lo, s13
	s_cbranch_vccz .LBB39_1742
	s_branch .LBB39_2725
.LBB39_1631:
	s_mov_b32 s13, 0
	s_mov_b32 s1, 0
                                        ; implicit-def: $vgpr22
	s_cbranch_execnz .LBB39_1664
	s_branch .LBB39_1693
.LBB39_1632:
	s_mov_b32 s13, 0
	s_mov_b32 s1, 0
                                        ; implicit-def: $vgpr22
	s_cbranch_execz .LBB39_1663
	s_branch .LBB39_1648
.LBB39_1633:
	s_mov_b32 s13, 0
	s_mov_b32 s1, 0
                                        ; implicit-def: $vgpr22
	s_cbranch_execnz .LBB39_1644
	s_branch .LBB39_1647
.LBB39_1634:
	s_mov_b32 s10, -1
	s_mov_b32 s13, 0
	s_mov_b32 s1, 0
	s_branch .LBB39_1638
.LBB39_1635:
	s_and_not1_saveexec_b32 s9, s9
	s_cbranch_execz .LBB39_1490
.LBB39_1636:
	v_add_f32_e64 v3, 0x46000000, |v2|
	s_and_not1_b32 s8, s8, exec_lo
	s_delay_alu instid0(VALU_DEP_1) | instskip(NEXT) | instid1(VALU_DEP_1)
	v_and_b32_e32 v3, 0xff, v3
	v_cmp_ne_u32_e32 vcc_lo, 0, v3
	s_and_b32 s10, vcc_lo, exec_lo
	s_delay_alu instid0(SALU_CYCLE_1)
	s_or_b32 s8, s8, s10
	s_or_b32 exec_lo, exec_lo, s9
	v_mov_b32_e32 v4, 0
	s_and_saveexec_b32 s9, s8
	s_cbranch_execnz .LBB39_1491
	s_branch .LBB39_1492
.LBB39_1637:
	s_mov_b32 s1, -1
	s_mov_b32 s13, 0
.LBB39_1638:
                                        ; implicit-def: $vgpr22
.LBB39_1639:
	s_and_b32 vcc_lo, exec_lo, s10
	s_cbranch_vccz .LBB39_1642
; %bb.1640:
	s_cmp_eq_u32 s0, 44
	s_cbranch_scc0 .LBB39_1643
; %bb.1641:
	global_load_u8 v1, v[24:25], off
	s_mov_b32 s1, 0
	s_mov_b32 s13, -1
	s_wait_loadcnt 0x0
	v_lshlrev_b32_e32 v3, 23, v1
	v_cmp_ne_u32_e32 vcc_lo, 0, v1
	s_delay_alu instid0(VALU_DEP_2) | instskip(NEXT) | instid1(VALU_DEP_1)
	v_cvt_i32_f32_e32 v3, v3
	v_cndmask_b32_e32 v22, 0, v3, vcc_lo
.LBB39_1642:
	s_branch .LBB39_1647
.LBB39_1643:
	s_mov_b32 s1, -1
                                        ; implicit-def: $vgpr22
	s_branch .LBB39_1647
.LBB39_1644:
	s_cmp_eq_u32 s0, 29
	s_cbranch_scc0 .LBB39_1646
; %bb.1645:
	global_load_b64 v[22:23], v[24:25], off
	s_mov_b32 s1, 0
	s_mov_b32 s13, -1
	s_branch .LBB39_1647
.LBB39_1646:
	s_mov_b32 s1, -1
                                        ; implicit-def: $vgpr22
.LBB39_1647:
	s_branch .LBB39_1663
.LBB39_1648:
	s_cmp_lt_i32 s0, 27
	s_cbranch_scc1 .LBB39_1651
; %bb.1649:
	s_cmp_gt_i32 s0, 27
	s_cbranch_scc0 .LBB39_1652
; %bb.1650:
	s_wait_loadcnt 0x0
	global_load_b32 v22, v[24:25], off
	s_mov_b32 s10, 0
	s_branch .LBB39_1653
.LBB39_1651:
	s_mov_b32 s10, -1
                                        ; implicit-def: $vgpr22
	s_branch .LBB39_1656
.LBB39_1652:
	s_mov_b32 s10, -1
                                        ; implicit-def: $vgpr22
.LBB39_1653:
	s_delay_alu instid0(SALU_CYCLE_1)
	s_and_not1_b32 vcc_lo, exec_lo, s10
	s_cbranch_vccnz .LBB39_1655
; %bb.1654:
	s_wait_loadcnt 0x0
	global_load_u16 v22, v[24:25], off
.LBB39_1655:
	s_mov_b32 s10, 0
.LBB39_1656:
	s_delay_alu instid0(SALU_CYCLE_1)
	s_and_not1_b32 vcc_lo, exec_lo, s10
	s_cbranch_vccnz .LBB39_1662
; %bb.1657:
	global_load_u8 v1, v[24:25], off
	s_mov_b32 s13, 0
	s_mov_b32 s10, exec_lo
	s_wait_loadcnt 0x0
	v_cmpx_lt_i16_e32 0x7f, v1
	s_xor_b32 s10, exec_lo, s10
	s_cbranch_execz .LBB39_1673
; %bb.1658:
	v_cmp_ne_u16_e32 vcc_lo, 0x80, v1
	s_and_b32 s13, vcc_lo, exec_lo
	s_and_not1_saveexec_b32 s10, s10
	s_cbranch_execnz .LBB39_1674
.LBB39_1659:
	s_or_b32 exec_lo, exec_lo, s10
	v_mov_b32_e32 v22, 0
	s_and_saveexec_b32 s10, s13
	s_cbranch_execz .LBB39_1661
.LBB39_1660:
	v_and_b32_e32 v3, 0xffff, v1
	s_delay_alu instid0(VALU_DEP_1) | instskip(SKIP_1) | instid1(VALU_DEP_2)
	v_dual_lshlrev_b32 v1, 24, v1 :: v_dual_bitop2_b32 v5, 7, v3 bitop3:0x40
	v_bfe_u32 v11, v3, 3, 4
	v_and_b32_e32 v1, 0x80000000, v1
	s_delay_alu instid0(VALU_DEP_3) | instskip(NEXT) | instid1(VALU_DEP_3)
	v_clz_i32_u32_e32 v7, v5
	v_cmp_eq_u32_e32 vcc_lo, 0, v11
	s_delay_alu instid0(VALU_DEP_2) | instskip(NEXT) | instid1(VALU_DEP_1)
	v_min_u32_e32 v7, 32, v7
	v_subrev_nc_u32_e32 v9, 28, v7
	v_sub_nc_u32_e32 v7, 29, v7
	s_delay_alu instid0(VALU_DEP_2) | instskip(NEXT) | instid1(VALU_DEP_2)
	v_lshlrev_b32_e32 v3, v9, v3
	v_cndmask_b32_e32 v7, v11, v7, vcc_lo
	s_delay_alu instid0(VALU_DEP_2) | instskip(NEXT) | instid1(VALU_DEP_1)
	v_and_b32_e32 v3, 7, v3
	v_cndmask_b32_e32 v3, v5, v3, vcc_lo
	s_delay_alu instid0(VALU_DEP_3) | instskip(NEXT) | instid1(VALU_DEP_2)
	v_lshl_add_u32 v5, v7, 23, 0x3b800000
	v_lshlrev_b32_e32 v3, 20, v3
	s_delay_alu instid0(VALU_DEP_1) | instskip(NEXT) | instid1(VALU_DEP_1)
	v_or3_b32 v1, v1, v5, v3
	v_cvt_i32_f32_e32 v22, v1
.LBB39_1661:
	s_or_b32 exec_lo, exec_lo, s10
.LBB39_1662:
	s_mov_b32 s13, -1
.LBB39_1663:
	s_branch .LBB39_1693
.LBB39_1664:
	s_cmp_gt_i32 s0, 22
	s_cbranch_scc0 .LBB39_1672
; %bb.1665:
	s_cmp_lt_i32 s0, 24
	s_cbranch_scc1 .LBB39_1675
; %bb.1666:
	s_cmp_gt_i32 s0, 24
	s_cbranch_scc0 .LBB39_1676
; %bb.1667:
	global_load_u8 v1, v[24:25], off
	s_mov_b32 s10, exec_lo
	s_wait_loadcnt 0x0
	v_cmpx_lt_i16_e32 0x7f, v1
	s_xor_b32 s10, exec_lo, s10
	s_cbranch_execz .LBB39_1687
; %bb.1668:
	v_cmp_ne_u16_e32 vcc_lo, 0x80, v1
	s_and_b32 s12, vcc_lo, exec_lo
	s_and_not1_saveexec_b32 s10, s10
	s_cbranch_execnz .LBB39_1688
.LBB39_1669:
	s_or_b32 exec_lo, exec_lo, s10
	v_mov_b32_e32 v22, 0
	s_and_saveexec_b32 s10, s12
	s_cbranch_execz .LBB39_1671
.LBB39_1670:
	v_and_b32_e32 v3, 0xffff, v1
	s_delay_alu instid0(VALU_DEP_1) | instskip(SKIP_1) | instid1(VALU_DEP_2)
	v_dual_lshlrev_b32 v1, 24, v1 :: v_dual_bitop2_b32 v5, 3, v3 bitop3:0x40
	v_bfe_u32 v11, v3, 2, 5
	v_and_b32_e32 v1, 0x80000000, v1
	s_delay_alu instid0(VALU_DEP_3) | instskip(NEXT) | instid1(VALU_DEP_3)
	v_clz_i32_u32_e32 v7, v5
	v_cmp_eq_u32_e32 vcc_lo, 0, v11
	s_delay_alu instid0(VALU_DEP_2) | instskip(NEXT) | instid1(VALU_DEP_1)
	v_min_u32_e32 v7, 32, v7
	v_subrev_nc_u32_e32 v9, 29, v7
	v_sub_nc_u32_e32 v7, 30, v7
	s_delay_alu instid0(VALU_DEP_2) | instskip(NEXT) | instid1(VALU_DEP_2)
	v_lshlrev_b32_e32 v3, v9, v3
	v_cndmask_b32_e32 v7, v11, v7, vcc_lo
	s_delay_alu instid0(VALU_DEP_2) | instskip(NEXT) | instid1(VALU_DEP_1)
	v_and_b32_e32 v3, 3, v3
	v_cndmask_b32_e32 v3, v5, v3, vcc_lo
	s_delay_alu instid0(VALU_DEP_3) | instskip(NEXT) | instid1(VALU_DEP_2)
	v_lshl_add_u32 v5, v7, 23, 0x37800000
	v_lshlrev_b32_e32 v3, 21, v3
	s_delay_alu instid0(VALU_DEP_1) | instskip(NEXT) | instid1(VALU_DEP_1)
	v_or3_b32 v1, v1, v5, v3
	v_cvt_i32_f32_e32 v22, v1
.LBB39_1671:
	s_or_b32 exec_lo, exec_lo, s10
	s_mov_b32 s10, 0
	s_branch .LBB39_1677
.LBB39_1672:
                                        ; implicit-def: $vgpr22
	s_mov_b32 s12, 0
	s_branch .LBB39_1683
.LBB39_1673:
	s_and_not1_saveexec_b32 s10, s10
	s_cbranch_execz .LBB39_1659
.LBB39_1674:
	v_cmp_ne_u16_e32 vcc_lo, 0, v1
	s_and_not1_b32 s13, s13, exec_lo
	s_and_b32 s14, vcc_lo, exec_lo
	s_delay_alu instid0(SALU_CYCLE_1)
	s_or_b32 s13, s13, s14
	s_or_b32 exec_lo, exec_lo, s10
	v_mov_b32_e32 v22, 0
	s_and_saveexec_b32 s10, s13
	s_cbranch_execnz .LBB39_1660
	s_branch .LBB39_1661
.LBB39_1675:
	s_mov_b32 s10, -1
                                        ; implicit-def: $vgpr22
	s_branch .LBB39_1680
.LBB39_1676:
	s_mov_b32 s10, -1
                                        ; implicit-def: $vgpr22
.LBB39_1677:
	s_delay_alu instid0(SALU_CYCLE_1)
	s_and_b32 vcc_lo, exec_lo, s10
	s_cbranch_vccz .LBB39_1679
; %bb.1678:
	global_load_u8 v1, v[24:25], off
	s_wait_loadcnt 0x0
	v_lshlrev_b32_e32 v1, 24, v1
	s_delay_alu instid0(VALU_DEP_1) | instskip(NEXT) | instid1(VALU_DEP_1)
	v_and_b32_e32 v3, 0x7f000000, v1
	v_clz_i32_u32_e32 v5, v3
	v_add_nc_u32_e32 v9, 0x1000000, v3
	v_cmp_ne_u32_e32 vcc_lo, 0, v3
	s_delay_alu instid0(VALU_DEP_3) | instskip(NEXT) | instid1(VALU_DEP_1)
	v_min_u32_e32 v5, 32, v5
	v_sub_nc_u32_e64 v5, v5, 4 clamp
	s_delay_alu instid0(VALU_DEP_1) | instskip(NEXT) | instid1(VALU_DEP_1)
	v_dual_lshlrev_b32 v7, v5, v3 :: v_dual_lshlrev_b32 v5, 23, v5
	v_lshrrev_b32_e32 v7, 4, v7
	s_delay_alu instid0(VALU_DEP_1) | instskip(SKIP_1) | instid1(VALU_DEP_2)
	v_sub_nc_u32_e32 v5, v7, v5
	v_ashrrev_i32_e32 v7, 8, v9
	v_add_nc_u32_e32 v5, 0x3c000000, v5
	s_delay_alu instid0(VALU_DEP_1) | instskip(NEXT) | instid1(VALU_DEP_1)
	v_and_or_b32 v5, 0x7f800000, v7, v5
	v_cndmask_b32_e32 v3, 0, v5, vcc_lo
	s_delay_alu instid0(VALU_DEP_1) | instskip(NEXT) | instid1(VALU_DEP_1)
	v_and_or_b32 v1, 0x80000000, v1, v3
	v_cvt_i32_f32_e32 v22, v1
.LBB39_1679:
	s_mov_b32 s10, 0
.LBB39_1680:
	s_delay_alu instid0(SALU_CYCLE_1)
	s_and_not1_b32 vcc_lo, exec_lo, s10
	s_cbranch_vccnz .LBB39_1682
; %bb.1681:
	global_load_u8 v1, v[24:25], off
	s_wait_loadcnt 0x0
	v_lshlrev_b32_e32 v3, 25, v1
	v_lshlrev_b16 v1, 8, v1
	s_delay_alu instid0(VALU_DEP_1) | instskip(SKIP_1) | instid1(VALU_DEP_2)
	v_and_or_b32 v7, 0x7f00, v1, 0.5
	v_bfe_i32 v1, v1, 0, 16
	v_add_f32_e32 v7, -0.5, v7
	v_lshrrev_b32_e32 v5, 4, v3
	v_cmp_gt_u32_e32 vcc_lo, 0x8000000, v3
	s_delay_alu instid0(VALU_DEP_2) | instskip(NEXT) | instid1(VALU_DEP_1)
	v_or_b32_e32 v5, 0x70000000, v5
	v_mul_f32_e32 v5, 0x7800000, v5
	s_delay_alu instid0(VALU_DEP_1) | instskip(NEXT) | instid1(VALU_DEP_1)
	v_cndmask_b32_e32 v3, v5, v7, vcc_lo
	v_and_or_b32 v1, 0x80000000, v1, v3
	s_delay_alu instid0(VALU_DEP_1)
	v_cvt_i32_f32_e32 v22, v1
.LBB39_1682:
	s_mov_b32 s13, -1
	s_mov_b32 s12, 0
	s_cbranch_execnz .LBB39_1693
.LBB39_1683:
	s_cmp_gt_i32 s0, 14
	s_cbranch_scc0 .LBB39_1686
; %bb.1684:
	s_cmp_eq_u32 s0, 15
	s_cbranch_scc0 .LBB39_1689
; %bb.1685:
	global_load_u16 v1, v[24:25], off
	s_mov_b32 s1, 0
	s_mov_b32 s13, -1
	s_wait_loadcnt 0x0
	v_lshlrev_b32_e32 v1, 16, v1
	s_delay_alu instid0(VALU_DEP_1)
	v_cvt_i32_f32_e32 v22, v1
	s_branch .LBB39_1690
.LBB39_1686:
	s_mov_b32 s10, -1
                                        ; implicit-def: $vgpr22
	s_branch .LBB39_1691
.LBB39_1687:
	s_and_not1_saveexec_b32 s10, s10
	s_cbranch_execz .LBB39_1669
.LBB39_1688:
	v_cmp_ne_u16_e32 vcc_lo, 0, v1
	s_and_not1_b32 s12, s12, exec_lo
	s_and_b32 s13, vcc_lo, exec_lo
	s_delay_alu instid0(SALU_CYCLE_1)
	s_or_b32 s12, s12, s13
	s_or_b32 exec_lo, exec_lo, s10
	v_mov_b32_e32 v22, 0
	s_and_saveexec_b32 s10, s12
	s_cbranch_execnz .LBB39_1670
	s_branch .LBB39_1671
.LBB39_1689:
	s_mov_b32 s1, -1
                                        ; implicit-def: $vgpr22
.LBB39_1690:
	s_mov_b32 s10, 0
.LBB39_1691:
	s_delay_alu instid0(SALU_CYCLE_1)
	s_and_b32 vcc_lo, exec_lo, s10
	s_cbranch_vccz .LBB39_1693
; %bb.1692:
	s_cmp_lg_u32 s0, 11
	s_mov_b32 s12, -1
	s_cselect_b32 s1, -1, 0
.LBB39_1693:
	s_delay_alu instid0(SALU_CYCLE_1)
	s_and_b32 vcc_lo, exec_lo, s1
	s_mov_b32 s10, s8
	s_cbranch_vccnz .LBB39_1754
; %bb.1694:
	s_and_not1_b32 vcc_lo, exec_lo, s12
	s_cbranch_vccnz .LBB39_1696
.LBB39_1695:
	global_load_u8 v1, v[24:25], off
	s_mov_b32 s13, -1
	s_wait_loadcnt 0x0
	v_cmp_ne_u16_e32 vcc_lo, 0, v1
	v_cndmask_b32_e64 v22, 0, 1, vcc_lo
.LBB39_1696:
	s_branch .LBB39_1630
.LBB39_1697:
	s_and_b32 s0, 0xffff, s11
	s_delay_alu instid0(SALU_CYCLE_1)
	s_cmp_lt_i32 s0, 5
	s_cbranch_scc1 .LBB39_1702
; %bb.1698:
	s_cmp_lt_i32 s0, 8
	s_cbranch_scc1 .LBB39_1703
; %bb.1699:
	s_cmp_lt_i32 s0, 9
	s_cbranch_scc1 .LBB39_1704
; %bb.1700:
	s_cmp_gt_i32 s0, 9
	s_cbranch_scc0 .LBB39_1705
; %bb.1701:
	s_wait_loadcnt 0x0
	global_load_b64 v[22:23], v[24:25], off
	s_mov_b32 s1, 0
	s_wait_loadcnt 0x0
	v_cvt_i32_f64_e32 v22, v[22:23]
	s_branch .LBB39_1706
.LBB39_1702:
                                        ; implicit-def: $vgpr22
	s_branch .LBB39_1723
.LBB39_1703:
                                        ; implicit-def: $vgpr22
	s_branch .LBB39_1712
.LBB39_1704:
	s_mov_b32 s1, -1
                                        ; implicit-def: $vgpr22
	s_branch .LBB39_1709
.LBB39_1705:
	s_mov_b32 s1, -1
                                        ; implicit-def: $vgpr22
.LBB39_1706:
	s_delay_alu instid0(SALU_CYCLE_1)
	s_and_not1_b32 vcc_lo, exec_lo, s1
	s_cbranch_vccnz .LBB39_1708
; %bb.1707:
	global_load_b32 v1, v[24:25], off
	s_wait_loadcnt 0x0
	v_cvt_i32_f32_e32 v22, v1
.LBB39_1708:
	s_mov_b32 s1, 0
.LBB39_1709:
	s_delay_alu instid0(SALU_CYCLE_1)
	s_and_not1_b32 vcc_lo, exec_lo, s1
	s_cbranch_vccnz .LBB39_1711
; %bb.1710:
	global_load_b32 v1, v[24:25], off
	s_wait_loadcnt 0x0
	v_cvt_i16_f16_e32 v22, v1
.LBB39_1711:
	s_cbranch_execnz .LBB39_1722
.LBB39_1712:
	s_cmp_lt_i32 s0, 6
	s_cbranch_scc1 .LBB39_1715
; %bb.1713:
	s_cmp_gt_i32 s0, 6
	s_cbranch_scc0 .LBB39_1716
; %bb.1714:
	s_wait_loadcnt 0x0
	global_load_b64 v[22:23], v[24:25], off
	s_mov_b32 s1, 0
	s_wait_loadcnt 0x0
	v_cvt_i32_f64_e32 v22, v[22:23]
	s_branch .LBB39_1717
.LBB39_1715:
	s_mov_b32 s1, -1
                                        ; implicit-def: $vgpr22
	s_branch .LBB39_1720
.LBB39_1716:
	s_mov_b32 s1, -1
                                        ; implicit-def: $vgpr22
.LBB39_1717:
	s_delay_alu instid0(SALU_CYCLE_1)
	s_and_not1_b32 vcc_lo, exec_lo, s1
	s_cbranch_vccnz .LBB39_1719
; %bb.1718:
	global_load_b32 v1, v[24:25], off
	s_wait_loadcnt 0x0
	v_cvt_i32_f32_e32 v22, v1
.LBB39_1719:
	s_mov_b32 s1, 0
.LBB39_1720:
	s_delay_alu instid0(SALU_CYCLE_1)
	s_and_not1_b32 vcc_lo, exec_lo, s1
	s_cbranch_vccnz .LBB39_1722
; %bb.1721:
	global_load_u16 v1, v[24:25], off
	s_wait_loadcnt 0x0
	v_cvt_i16_f16_e32 v22, v1
.LBB39_1722:
	s_cbranch_execnz .LBB39_1741
.LBB39_1723:
	s_cmp_lt_i32 s0, 2
	s_cbranch_scc1 .LBB39_1727
; %bb.1724:
	s_cmp_lt_i32 s0, 3
	s_cbranch_scc1 .LBB39_1728
; %bb.1725:
	s_cmp_gt_i32 s0, 3
	s_cbranch_scc0 .LBB39_1729
; %bb.1726:
	s_wait_loadcnt 0x0
	global_load_b64 v[22:23], v[24:25], off
	s_mov_b32 s1, 0
	s_branch .LBB39_1730
.LBB39_1727:
                                        ; implicit-def: $vgpr22
	s_branch .LBB39_1736
.LBB39_1728:
	s_mov_b32 s1, -1
                                        ; implicit-def: $vgpr22
	s_branch .LBB39_1733
.LBB39_1729:
	s_mov_b32 s1, -1
                                        ; implicit-def: $vgpr22
.LBB39_1730:
	s_delay_alu instid0(SALU_CYCLE_1)
	s_and_not1_b32 vcc_lo, exec_lo, s1
	s_cbranch_vccnz .LBB39_1732
; %bb.1731:
	s_wait_loadcnt 0x0
	global_load_b32 v22, v[24:25], off
.LBB39_1732:
	s_mov_b32 s1, 0
.LBB39_1733:
	s_delay_alu instid0(SALU_CYCLE_1)
	s_and_not1_b32 vcc_lo, exec_lo, s1
	s_cbranch_vccnz .LBB39_1735
; %bb.1734:
	s_wait_loadcnt 0x0
	global_load_u16 v22, v[24:25], off
.LBB39_1735:
	s_cbranch_execnz .LBB39_1741
.LBB39_1736:
	s_cmp_gt_i32 s0, 0
	s_mov_b32 s0, 0
	s_cbranch_scc0 .LBB39_1738
; %bb.1737:
	s_wait_loadcnt 0x0
	global_load_i8 v22, v[24:25], off
	s_branch .LBB39_1739
.LBB39_1738:
	s_mov_b32 s0, -1
                                        ; implicit-def: $vgpr22
.LBB39_1739:
	s_delay_alu instid0(SALU_CYCLE_1)
	s_and_not1_b32 vcc_lo, exec_lo, s0
	s_cbranch_vccnz .LBB39_1741
; %bb.1740:
	s_wait_loadcnt 0x0
	global_load_u8 v22, v[24:25], off
.LBB39_1741:
.LBB39_1742:
	v_mov_b32_e32 v21, 0
	s_load_b64 s[0:1], s[2:3], 0x198
	global_load_u8 v1, v21, s[2:3] offset:419
	s_wait_kmcnt 0x0
	v_add_nc_u64_e32 v[20:21], s[0:1], v[20:21]
	s_wait_loadcnt 0x0
	v_and_b32_e32 v3, 0xffff, v1
	v_readfirstlane_b32 s12, v1
	s_delay_alu instid0(VALU_DEP_2)
	v_cmp_gt_i32_e32 vcc_lo, 11, v3
	s_cbranch_vccnz .LBB39_1749
; %bb.1743:
	s_and_b32 s13, 0xffff, s12
	s_mov_b32 s15, 0
	s_cmp_gt_i32 s13, 25
	s_cbranch_scc0 .LBB39_1751
; %bb.1744:
	s_cmp_gt_i32 s13, 28
	s_cbranch_scc0 .LBB39_1752
; %bb.1745:
	;; [unrolled: 3-line block ×4, first 2 shown]
	s_cmp_eq_u32 s13, 46
	s_mov_b32 s17, 0
	s_cbranch_scc0 .LBB39_1758
; %bb.1748:
	global_load_b32 v1, v[20:21], off
	s_mov_b32 s14, 0
	s_mov_b32 s16, -1
	s_wait_loadcnt 0x0
	v_lshlrev_b32_e32 v1, 16, v1
	s_delay_alu instid0(VALU_DEP_1)
	v_cvt_i32_f32_e32 v24, v1
	s_branch .LBB39_1760
.LBB39_1749:
	s_mov_b32 s16, 0
                                        ; implicit-def: $vgpr24
	s_cbranch_execnz .LBB39_1821
.LBB39_1750:
	s_and_not1_b32 vcc_lo, exec_lo, s16
	s_cbranch_vccnz .LBB39_2725
	s_branch .LBB39_1868
.LBB39_1751:
	s_mov_b32 s16, 0
	s_mov_b32 s14, 0
                                        ; implicit-def: $vgpr24
	s_cbranch_execnz .LBB39_1787
	s_branch .LBB39_1817
.LBB39_1752:
	s_mov_b32 s17, -1
	s_mov_b32 s16, 0
	s_mov_b32 s14, 0
                                        ; implicit-def: $vgpr24
	s_branch .LBB39_1770
.LBB39_1753:
	s_mov_b32 s17, -1
	s_mov_b32 s16, 0
	s_mov_b32 s14, 0
                                        ; implicit-def: $vgpr24
	s_branch .LBB39_1765
.LBB39_1754:
	s_or_b32 s10, s8, exec_lo
	s_trap 2
	s_cbranch_execz .LBB39_1695
	s_branch .LBB39_1696
.LBB39_1755:
	s_mov_b32 s17, -1
	s_mov_b32 s16, 0
	s_mov_b32 s14, 0
	s_branch .LBB39_1759
.LBB39_1756:
	s_and_not1_saveexec_b32 s10, s10
	s_cbranch_execz .LBB39_1502
.LBB39_1757:
	v_add_f32_e64 v3, 0x42800000, |v2|
	s_and_not1_b32 s9, s9, exec_lo
	s_delay_alu instid0(VALU_DEP_1) | instskip(NEXT) | instid1(VALU_DEP_1)
	v_and_b32_e32 v3, 0xff, v3
	v_cmp_ne_u32_e32 vcc_lo, 0, v3
	s_and_b32 s11, vcc_lo, exec_lo
	s_delay_alu instid0(SALU_CYCLE_1)
	s_or_b32 s9, s9, s11
	s_or_b32 exec_lo, exec_lo, s10
	v_mov_b32_e32 v4, 0
	s_and_saveexec_b32 s10, s9
	s_cbranch_execnz .LBB39_1503
	s_branch .LBB39_1504
.LBB39_1758:
	s_mov_b32 s14, -1
	s_mov_b32 s16, 0
.LBB39_1759:
                                        ; implicit-def: $vgpr24
.LBB39_1760:
	s_and_b32 vcc_lo, exec_lo, s17
	s_cbranch_vccz .LBB39_1764
; %bb.1761:
	s_cmp_eq_u32 s13, 44
	s_cbranch_scc0 .LBB39_1763
; %bb.1762:
	global_load_u8 v1, v[20:21], off
	s_mov_b32 s14, 0
	s_mov_b32 s16, -1
	s_wait_loadcnt 0x0
	v_lshlrev_b32_e32 v3, 23, v1
	v_cmp_ne_u32_e32 vcc_lo, 0, v1
	s_delay_alu instid0(VALU_DEP_2) | instskip(NEXT) | instid1(VALU_DEP_1)
	v_cvt_i32_f32_e32 v3, v3
	v_cndmask_b32_e32 v24, 0, v3, vcc_lo
	s_branch .LBB39_1764
.LBB39_1763:
	s_mov_b32 s14, -1
                                        ; implicit-def: $vgpr24
.LBB39_1764:
	s_mov_b32 s17, 0
.LBB39_1765:
	s_delay_alu instid0(SALU_CYCLE_1)
	s_and_b32 vcc_lo, exec_lo, s17
	s_cbranch_vccz .LBB39_1769
; %bb.1766:
	s_cmp_eq_u32 s13, 29
	s_cbranch_scc0 .LBB39_1768
; %bb.1767:
	global_load_b64 v[24:25], v[20:21], off
	s_mov_b32 s14, 0
	s_mov_b32 s16, -1
	s_branch .LBB39_1769
.LBB39_1768:
	s_mov_b32 s14, -1
                                        ; implicit-def: $vgpr24
.LBB39_1769:
	s_mov_b32 s17, 0
.LBB39_1770:
	s_delay_alu instid0(SALU_CYCLE_1)
	s_and_b32 vcc_lo, exec_lo, s17
	s_cbranch_vccz .LBB39_1786
; %bb.1771:
	s_cmp_lt_i32 s13, 27
	s_cbranch_scc1 .LBB39_1774
; %bb.1772:
	s_cmp_gt_i32 s13, 27
	s_cbranch_scc0 .LBB39_1775
; %bb.1773:
	s_wait_loadcnt 0x0
	global_load_b32 v24, v[20:21], off
	s_mov_b32 s16, 0
	s_branch .LBB39_1776
.LBB39_1774:
	s_mov_b32 s16, -1
                                        ; implicit-def: $vgpr24
	s_branch .LBB39_1779
.LBB39_1775:
	s_mov_b32 s16, -1
                                        ; implicit-def: $vgpr24
.LBB39_1776:
	s_delay_alu instid0(SALU_CYCLE_1)
	s_and_not1_b32 vcc_lo, exec_lo, s16
	s_cbranch_vccnz .LBB39_1778
; %bb.1777:
	s_wait_loadcnt 0x0
	global_load_u16 v24, v[20:21], off
.LBB39_1778:
	s_mov_b32 s16, 0
.LBB39_1779:
	s_delay_alu instid0(SALU_CYCLE_1)
	s_and_not1_b32 vcc_lo, exec_lo, s16
	s_cbranch_vccnz .LBB39_1785
; %bb.1780:
	global_load_u8 v1, v[20:21], off
	s_mov_b32 s17, 0
	s_mov_b32 s16, exec_lo
	s_wait_loadcnt 0x0
	v_cmpx_lt_i16_e32 0x7f, v1
	s_xor_b32 s16, exec_lo, s16
	s_cbranch_execz .LBB39_1796
; %bb.1781:
	v_cmp_ne_u16_e32 vcc_lo, 0x80, v1
	s_and_b32 s17, vcc_lo, exec_lo
	s_and_not1_saveexec_b32 s16, s16
	s_cbranch_execnz .LBB39_1797
.LBB39_1782:
	s_or_b32 exec_lo, exec_lo, s16
	v_mov_b32_e32 v24, 0
	s_and_saveexec_b32 s16, s17
	s_cbranch_execz .LBB39_1784
.LBB39_1783:
	v_and_b32_e32 v3, 0xffff, v1
	s_delay_alu instid0(VALU_DEP_1) | instskip(SKIP_1) | instid1(VALU_DEP_2)
	v_dual_lshlrev_b32 v1, 24, v1 :: v_dual_bitop2_b32 v5, 7, v3 bitop3:0x40
	v_bfe_u32 v11, v3, 3, 4
	v_and_b32_e32 v1, 0x80000000, v1
	s_delay_alu instid0(VALU_DEP_3) | instskip(NEXT) | instid1(VALU_DEP_3)
	v_clz_i32_u32_e32 v7, v5
	v_cmp_eq_u32_e32 vcc_lo, 0, v11
	s_delay_alu instid0(VALU_DEP_2) | instskip(NEXT) | instid1(VALU_DEP_1)
	v_min_u32_e32 v7, 32, v7
	v_subrev_nc_u32_e32 v9, 28, v7
	v_sub_nc_u32_e32 v7, 29, v7
	s_delay_alu instid0(VALU_DEP_2) | instskip(NEXT) | instid1(VALU_DEP_2)
	v_lshlrev_b32_e32 v3, v9, v3
	v_cndmask_b32_e32 v7, v11, v7, vcc_lo
	s_delay_alu instid0(VALU_DEP_2) | instskip(NEXT) | instid1(VALU_DEP_1)
	v_and_b32_e32 v3, 7, v3
	v_cndmask_b32_e32 v3, v5, v3, vcc_lo
	s_delay_alu instid0(VALU_DEP_3) | instskip(NEXT) | instid1(VALU_DEP_2)
	v_lshl_add_u32 v5, v7, 23, 0x3b800000
	v_lshlrev_b32_e32 v3, 20, v3
	s_delay_alu instid0(VALU_DEP_1) | instskip(NEXT) | instid1(VALU_DEP_1)
	v_or3_b32 v1, v1, v5, v3
	v_cvt_i32_f32_e32 v24, v1
.LBB39_1784:
	s_or_b32 exec_lo, exec_lo, s16
.LBB39_1785:
	s_mov_b32 s16, -1
.LBB39_1786:
	s_branch .LBB39_1817
.LBB39_1787:
	s_cmp_gt_i32 s13, 22
	s_cbranch_scc0 .LBB39_1795
; %bb.1788:
	s_cmp_lt_i32 s13, 24
	s_cbranch_scc1 .LBB39_1798
; %bb.1789:
	s_cmp_gt_i32 s13, 24
	s_cbranch_scc0 .LBB39_1799
; %bb.1790:
	global_load_u8 v1, v[20:21], off
	s_mov_b32 s16, 0
	s_mov_b32 s15, exec_lo
	s_wait_loadcnt 0x0
	v_cmpx_lt_i16_e32 0x7f, v1
	s_xor_b32 s15, exec_lo, s15
	s_cbranch_execz .LBB39_1811
; %bb.1791:
	v_cmp_ne_u16_e32 vcc_lo, 0x80, v1
	s_and_b32 s16, vcc_lo, exec_lo
	s_and_not1_saveexec_b32 s15, s15
	s_cbranch_execnz .LBB39_1812
.LBB39_1792:
	s_or_b32 exec_lo, exec_lo, s15
	v_mov_b32_e32 v24, 0
	s_and_saveexec_b32 s15, s16
	s_cbranch_execz .LBB39_1794
.LBB39_1793:
	v_and_b32_e32 v3, 0xffff, v1
	s_delay_alu instid0(VALU_DEP_1) | instskip(SKIP_1) | instid1(VALU_DEP_2)
	v_dual_lshlrev_b32 v1, 24, v1 :: v_dual_bitop2_b32 v5, 3, v3 bitop3:0x40
	v_bfe_u32 v11, v3, 2, 5
	v_and_b32_e32 v1, 0x80000000, v1
	s_delay_alu instid0(VALU_DEP_3) | instskip(NEXT) | instid1(VALU_DEP_3)
	v_clz_i32_u32_e32 v7, v5
	v_cmp_eq_u32_e32 vcc_lo, 0, v11
	s_delay_alu instid0(VALU_DEP_2) | instskip(NEXT) | instid1(VALU_DEP_1)
	v_min_u32_e32 v7, 32, v7
	v_subrev_nc_u32_e32 v9, 29, v7
	v_sub_nc_u32_e32 v7, 30, v7
	s_delay_alu instid0(VALU_DEP_2) | instskip(NEXT) | instid1(VALU_DEP_2)
	v_lshlrev_b32_e32 v3, v9, v3
	v_cndmask_b32_e32 v7, v11, v7, vcc_lo
	s_delay_alu instid0(VALU_DEP_2) | instskip(NEXT) | instid1(VALU_DEP_1)
	v_and_b32_e32 v3, 3, v3
	v_cndmask_b32_e32 v3, v5, v3, vcc_lo
	s_delay_alu instid0(VALU_DEP_3) | instskip(NEXT) | instid1(VALU_DEP_2)
	v_lshl_add_u32 v5, v7, 23, 0x37800000
	v_lshlrev_b32_e32 v3, 21, v3
	s_delay_alu instid0(VALU_DEP_1) | instskip(NEXT) | instid1(VALU_DEP_1)
	v_or3_b32 v1, v1, v5, v3
	v_cvt_i32_f32_e32 v24, v1
.LBB39_1794:
	s_or_b32 exec_lo, exec_lo, s15
	s_mov_b32 s15, 0
	s_branch .LBB39_1800
.LBB39_1795:
	s_mov_b32 s15, -1
                                        ; implicit-def: $vgpr24
	s_branch .LBB39_1806
.LBB39_1796:
	s_and_not1_saveexec_b32 s16, s16
	s_cbranch_execz .LBB39_1782
.LBB39_1797:
	v_cmp_ne_u16_e32 vcc_lo, 0, v1
	s_and_not1_b32 s17, s17, exec_lo
	s_and_b32 s18, vcc_lo, exec_lo
	s_delay_alu instid0(SALU_CYCLE_1)
	s_or_b32 s17, s17, s18
	s_or_b32 exec_lo, exec_lo, s16
	v_mov_b32_e32 v24, 0
	s_and_saveexec_b32 s16, s17
	s_cbranch_execnz .LBB39_1783
	s_branch .LBB39_1784
.LBB39_1798:
	s_mov_b32 s15, -1
                                        ; implicit-def: $vgpr24
	s_branch .LBB39_1803
.LBB39_1799:
	s_mov_b32 s15, -1
                                        ; implicit-def: $vgpr24
.LBB39_1800:
	s_delay_alu instid0(SALU_CYCLE_1)
	s_and_b32 vcc_lo, exec_lo, s15
	s_cbranch_vccz .LBB39_1802
; %bb.1801:
	global_load_u8 v1, v[20:21], off
	s_wait_loadcnt 0x0
	v_lshlrev_b32_e32 v1, 24, v1
	s_delay_alu instid0(VALU_DEP_1) | instskip(NEXT) | instid1(VALU_DEP_1)
	v_and_b32_e32 v3, 0x7f000000, v1
	v_clz_i32_u32_e32 v5, v3
	v_add_nc_u32_e32 v9, 0x1000000, v3
	v_cmp_ne_u32_e32 vcc_lo, 0, v3
	s_delay_alu instid0(VALU_DEP_3) | instskip(NEXT) | instid1(VALU_DEP_1)
	v_min_u32_e32 v5, 32, v5
	v_sub_nc_u32_e64 v5, v5, 4 clamp
	s_delay_alu instid0(VALU_DEP_1) | instskip(NEXT) | instid1(VALU_DEP_1)
	v_dual_lshlrev_b32 v7, v5, v3 :: v_dual_lshlrev_b32 v5, 23, v5
	v_lshrrev_b32_e32 v7, 4, v7
	s_delay_alu instid0(VALU_DEP_1) | instskip(SKIP_1) | instid1(VALU_DEP_2)
	v_sub_nc_u32_e32 v5, v7, v5
	v_ashrrev_i32_e32 v7, 8, v9
	v_add_nc_u32_e32 v5, 0x3c000000, v5
	s_delay_alu instid0(VALU_DEP_1) | instskip(NEXT) | instid1(VALU_DEP_1)
	v_and_or_b32 v5, 0x7f800000, v7, v5
	v_cndmask_b32_e32 v3, 0, v5, vcc_lo
	s_delay_alu instid0(VALU_DEP_1) | instskip(NEXT) | instid1(VALU_DEP_1)
	v_and_or_b32 v1, 0x80000000, v1, v3
	v_cvt_i32_f32_e32 v24, v1
.LBB39_1802:
	s_mov_b32 s15, 0
.LBB39_1803:
	s_delay_alu instid0(SALU_CYCLE_1)
	s_and_not1_b32 vcc_lo, exec_lo, s15
	s_cbranch_vccnz .LBB39_1805
; %bb.1804:
	global_load_u8 v1, v[20:21], off
	s_wait_loadcnt 0x0
	v_lshlrev_b32_e32 v3, 25, v1
	v_lshlrev_b16 v1, 8, v1
	s_delay_alu instid0(VALU_DEP_1) | instskip(SKIP_1) | instid1(VALU_DEP_2)
	v_and_or_b32 v7, 0x7f00, v1, 0.5
	v_bfe_i32 v1, v1, 0, 16
	v_add_f32_e32 v7, -0.5, v7
	v_lshrrev_b32_e32 v5, 4, v3
	v_cmp_gt_u32_e32 vcc_lo, 0x8000000, v3
	s_delay_alu instid0(VALU_DEP_2) | instskip(NEXT) | instid1(VALU_DEP_1)
	v_or_b32_e32 v5, 0x70000000, v5
	v_mul_f32_e32 v5, 0x7800000, v5
	s_delay_alu instid0(VALU_DEP_1) | instskip(NEXT) | instid1(VALU_DEP_1)
	v_cndmask_b32_e32 v3, v5, v7, vcc_lo
	v_and_or_b32 v1, 0x80000000, v1, v3
	s_delay_alu instid0(VALU_DEP_1)
	v_cvt_i32_f32_e32 v24, v1
.LBB39_1805:
	s_mov_b32 s15, 0
	s_mov_b32 s16, -1
.LBB39_1806:
	s_and_not1_b32 vcc_lo, exec_lo, s15
	s_mov_b32 s15, 0
	s_cbranch_vccnz .LBB39_1817
; %bb.1807:
	s_cmp_gt_i32 s13, 14
	s_cbranch_scc0 .LBB39_1810
; %bb.1808:
	s_cmp_eq_u32 s13, 15
	s_cbranch_scc0 .LBB39_1813
; %bb.1809:
	global_load_u16 v1, v[20:21], off
	s_mov_b32 s14, 0
	s_mov_b32 s16, -1
	s_wait_loadcnt 0x0
	v_lshlrev_b32_e32 v1, 16, v1
	s_delay_alu instid0(VALU_DEP_1)
	v_cvt_i32_f32_e32 v24, v1
	s_branch .LBB39_1815
.LBB39_1810:
	s_mov_b32 s15, -1
	s_branch .LBB39_1814
.LBB39_1811:
	s_and_not1_saveexec_b32 s15, s15
	s_cbranch_execz .LBB39_1792
.LBB39_1812:
	v_cmp_ne_u16_e32 vcc_lo, 0, v1
	s_and_not1_b32 s16, s16, exec_lo
	s_and_b32 s17, vcc_lo, exec_lo
	s_delay_alu instid0(SALU_CYCLE_1)
	s_or_b32 s16, s16, s17
	s_or_b32 exec_lo, exec_lo, s15
	v_mov_b32_e32 v24, 0
	s_and_saveexec_b32 s15, s16
	s_cbranch_execnz .LBB39_1793
	s_branch .LBB39_1794
.LBB39_1813:
	s_mov_b32 s14, -1
.LBB39_1814:
                                        ; implicit-def: $vgpr24
.LBB39_1815:
	s_and_b32 vcc_lo, exec_lo, s15
	s_mov_b32 s15, 0
	s_cbranch_vccz .LBB39_1817
; %bb.1816:
	s_cmp_lg_u32 s13, 11
	s_mov_b32 s15, -1
	s_cselect_b32 s14, -1, 0
.LBB39_1817:
	s_delay_alu instid0(SALU_CYCLE_1)
	s_and_b32 vcc_lo, exec_lo, s14
	s_cbranch_vccnz .LBB39_1884
; %bb.1818:
	s_and_not1_b32 vcc_lo, exec_lo, s15
	s_cbranch_vccnz .LBB39_1820
.LBB39_1819:
	global_load_u8 v1, v[20:21], off
	s_mov_b32 s16, -1
	s_wait_loadcnt 0x0
	v_cmp_ne_u16_e32 vcc_lo, 0, v1
	v_cndmask_b32_e64 v24, 0, 1, vcc_lo
.LBB39_1820:
	s_branch .LBB39_1750
.LBB39_1821:
	s_and_b32 s13, 0xffff, s12
	s_delay_alu instid0(SALU_CYCLE_1)
	s_cmp_lt_i32 s13, 5
	s_cbranch_scc1 .LBB39_1826
; %bb.1822:
	s_cmp_lt_i32 s13, 8
	s_cbranch_scc1 .LBB39_1827
; %bb.1823:
	;; [unrolled: 3-line block ×3, first 2 shown]
	s_cmp_gt_i32 s13, 9
	s_cbranch_scc0 .LBB39_1829
; %bb.1825:
	s_wait_loadcnt 0x0
	global_load_b64 v[24:25], v[20:21], off
	s_mov_b32 s14, 0
	s_wait_loadcnt 0x0
	v_cvt_i32_f64_e32 v24, v[24:25]
	s_branch .LBB39_1830
.LBB39_1826:
                                        ; implicit-def: $vgpr24
	s_branch .LBB39_1848
.LBB39_1827:
	s_mov_b32 s14, -1
                                        ; implicit-def: $vgpr24
	s_branch .LBB39_1836
.LBB39_1828:
	s_mov_b32 s14, -1
                                        ; implicit-def: $vgpr24
	s_branch .LBB39_1833
.LBB39_1829:
	s_mov_b32 s14, -1
                                        ; implicit-def: $vgpr24
.LBB39_1830:
	s_delay_alu instid0(SALU_CYCLE_1)
	s_and_not1_b32 vcc_lo, exec_lo, s14
	s_cbranch_vccnz .LBB39_1832
; %bb.1831:
	global_load_b32 v1, v[20:21], off
	s_wait_loadcnt 0x0
	v_cvt_i32_f32_e32 v24, v1
.LBB39_1832:
	s_mov_b32 s14, 0
.LBB39_1833:
	s_delay_alu instid0(SALU_CYCLE_1)
	s_and_not1_b32 vcc_lo, exec_lo, s14
	s_cbranch_vccnz .LBB39_1835
; %bb.1834:
	global_load_b32 v1, v[20:21], off
	s_wait_loadcnt 0x0
	v_cvt_i16_f16_e32 v24, v1
.LBB39_1835:
	s_mov_b32 s14, 0
.LBB39_1836:
	s_delay_alu instid0(SALU_CYCLE_1)
	s_and_not1_b32 vcc_lo, exec_lo, s14
	s_cbranch_vccnz .LBB39_1847
; %bb.1837:
	s_cmp_lt_i32 s13, 6
	s_cbranch_scc1 .LBB39_1840
; %bb.1838:
	s_cmp_gt_i32 s13, 6
	s_cbranch_scc0 .LBB39_1841
; %bb.1839:
	s_wait_loadcnt 0x0
	global_load_b64 v[24:25], v[20:21], off
	s_mov_b32 s14, 0
	s_wait_loadcnt 0x0
	v_cvt_i32_f64_e32 v24, v[24:25]
	s_branch .LBB39_1842
.LBB39_1840:
	s_mov_b32 s14, -1
                                        ; implicit-def: $vgpr24
	s_branch .LBB39_1845
.LBB39_1841:
	s_mov_b32 s14, -1
                                        ; implicit-def: $vgpr24
.LBB39_1842:
	s_delay_alu instid0(SALU_CYCLE_1)
	s_and_not1_b32 vcc_lo, exec_lo, s14
	s_cbranch_vccnz .LBB39_1844
; %bb.1843:
	global_load_b32 v1, v[20:21], off
	s_wait_loadcnt 0x0
	v_cvt_i32_f32_e32 v24, v1
.LBB39_1844:
	s_mov_b32 s14, 0
.LBB39_1845:
	s_delay_alu instid0(SALU_CYCLE_1)
	s_and_not1_b32 vcc_lo, exec_lo, s14
	s_cbranch_vccnz .LBB39_1847
; %bb.1846:
	global_load_u16 v1, v[20:21], off
	s_wait_loadcnt 0x0
	v_cvt_i16_f16_e32 v24, v1
.LBB39_1847:
	s_cbranch_execnz .LBB39_1867
.LBB39_1848:
	s_cmp_lt_i32 s13, 2
	s_cbranch_scc1 .LBB39_1852
; %bb.1849:
	s_cmp_lt_i32 s13, 3
	s_cbranch_scc1 .LBB39_1853
; %bb.1850:
	s_cmp_gt_i32 s13, 3
	s_cbranch_scc0 .LBB39_1854
; %bb.1851:
	s_wait_loadcnt 0x0
	global_load_b64 v[24:25], v[20:21], off
	s_mov_b32 s14, 0
	s_branch .LBB39_1855
.LBB39_1852:
	s_mov_b32 s14, -1
                                        ; implicit-def: $vgpr24
	s_branch .LBB39_1861
.LBB39_1853:
	s_mov_b32 s14, -1
                                        ; implicit-def: $vgpr24
	s_branch .LBB39_1858
.LBB39_1854:
	s_mov_b32 s14, -1
                                        ; implicit-def: $vgpr24
.LBB39_1855:
	s_delay_alu instid0(SALU_CYCLE_1)
	s_and_not1_b32 vcc_lo, exec_lo, s14
	s_cbranch_vccnz .LBB39_1857
; %bb.1856:
	s_wait_loadcnt 0x0
	global_load_b32 v24, v[20:21], off
.LBB39_1857:
	s_mov_b32 s14, 0
.LBB39_1858:
	s_delay_alu instid0(SALU_CYCLE_1)
	s_and_not1_b32 vcc_lo, exec_lo, s14
	s_cbranch_vccnz .LBB39_1860
; %bb.1859:
	s_wait_loadcnt 0x0
	global_load_u16 v24, v[20:21], off
.LBB39_1860:
	s_mov_b32 s14, 0
.LBB39_1861:
	s_delay_alu instid0(SALU_CYCLE_1)
	s_and_not1_b32 vcc_lo, exec_lo, s14
	s_cbranch_vccnz .LBB39_1867
; %bb.1862:
	s_cmp_gt_i32 s13, 0
	s_mov_b32 s13, 0
	s_cbranch_scc0 .LBB39_1864
; %bb.1863:
	s_wait_loadcnt 0x0
	global_load_i8 v24, v[20:21], off
	s_branch .LBB39_1865
.LBB39_1864:
	s_mov_b32 s13, -1
                                        ; implicit-def: $vgpr24
.LBB39_1865:
	s_delay_alu instid0(SALU_CYCLE_1)
	s_and_not1_b32 vcc_lo, exec_lo, s13
	s_cbranch_vccnz .LBB39_1867
; %bb.1866:
	s_wait_loadcnt 0x0
	global_load_u8 v24, v[20:21], off
.LBB39_1867:
.LBB39_1868:
	s_wait_loadcnt 0x0
	s_delay_alu instid0(VALU_DEP_1) | instskip(SKIP_2) | instid1(VALU_DEP_1)
	v_sub_nc_u16 v1, 0, v24
	s_mov_b32 s14, 0
	s_mov_b32 s13, exec_lo
	v_max_i16 v1, v24, v1
	s_wait_xcnt 0x0
	v_cmpx_ne_u16_e32 0, v22
	s_cbranch_execz .LBB39_1872
; %bb.1869:
	v_sub_nc_u16 v3, 0, v22
	s_delay_alu instid0(VALU_DEP_1) | instskip(SKIP_1) | instid1(VALU_DEP_2)
	v_max_i16 v5, v22, v3
	v_and_b32_e32 v3, 0xffff, v1
	v_and_b32_e32 v5, 0xffff, v5
.LBB39_1870:                            ; =>This Inner Loop Header: Depth=1
	s_delay_alu instid0(VALU_DEP_1) | instskip(NEXT) | instid1(VALU_DEP_2)
	v_mov_b32_e32 v1, v5
	v_bfe_i32 v9, v3, 0, 16
	s_delay_alu instid0(VALU_DEP_2) | instskip(NEXT) | instid1(VALU_DEP_2)
	v_bfe_i32 v5, v1, 0, 16
	v_cvt_f32_i32_e32 v13, v9
	s_delay_alu instid0(VALU_DEP_2) | instskip(SKIP_1) | instid1(VALU_DEP_2)
	v_cvt_f32_i32_e32 v7, v5
	v_xor_b32_e32 v5, v9, v5
	v_rcp_iflag_f32_e32 v11, v7
	v_nop
	s_delay_alu instid0(TRANS32_DEP_1) | instskip(NEXT) | instid1(VALU_DEP_1)
	v_mul_f32_e32 v9, v13, v11
	v_trunc_f32_e32 v9, v9
	s_delay_alu instid0(VALU_DEP_1) | instskip(SKIP_1) | instid1(VALU_DEP_2)
	v_dual_fma_f32 v11, -v9, v7, v13 :: v_dual_ashrrev_i32 v5, 30, v5
	v_cvt_i32_f32_e32 v9, v9
	v_cmp_ge_f32_e64 vcc_lo, |v11|, |v7|
	s_delay_alu instid0(VALU_DEP_3) | instskip(NEXT) | instid1(VALU_DEP_1)
	v_or_b32_e32 v5, 1, v5
	v_cndmask_b32_e32 v5, 0, v5, vcc_lo
	s_delay_alu instid0(VALU_DEP_1) | instskip(NEXT) | instid1(VALU_DEP_1)
	v_add_nc_u32_e32 v5, v9, v5
	v_mul_lo_u32 v5, v5, v1
	s_delay_alu instid0(VALU_DEP_1) | instskip(NEXT) | instid1(VALU_DEP_1)
	v_sub_nc_u32_e32 v5, v3, v5
	v_and_b32_e32 v3, 0xffff, v5
	v_bfe_i32 v5, v5, 0, 16
	s_delay_alu instid0(VALU_DEP_2) | instskip(SKIP_2) | instid1(SALU_CYCLE_1)
	v_cmp_eq_u32_e32 vcc_lo, 0, v3
	v_mov_b32_e32 v3, v1
	s_or_b32 s14, vcc_lo, s14
	s_and_not1_b32 exec_lo, exec_lo, s14
	s_cbranch_execnz .LBB39_1870
; %bb.1871:
	s_or_b32 exec_lo, exec_lo, s14
.LBB39_1872:
	s_delay_alu instid0(SALU_CYCLE_1) | instskip(SKIP_2) | instid1(SALU_CYCLE_1)
	s_or_b32 exec_lo, exec_lo, s13
	v_mov_b32_e32 v19, 0
	s_and_b32 s11, 0xffff, s11
	s_cmp_lt_i32 s11, 11
	s_delay_alu instid0(VALU_DEP_1)
	v_add_nc_u64_e32 v[20:21], s[6:7], v[18:19]
	s_cbranch_scc1 .LBB39_1879
; %bb.1873:
	s_cmp_gt_i32 s11, 25
	s_mov_b32 s14, 0
	s_cbranch_scc0 .LBB39_1881
; %bb.1874:
	s_cmp_gt_i32 s11, 28
	s_cbranch_scc0 .LBB39_1882
; %bb.1875:
	s_cmp_gt_i32 s11, 43
	;; [unrolled: 3-line block ×3, first 2 shown]
	s_cbranch_scc0 .LBB39_1885
; %bb.1877:
	s_cmp_eq_u32 s11, 46
	s_mov_b32 s16, 0
	s_cbranch_scc0 .LBB39_1886
; %bb.1878:
	global_load_b32 v3, v[20:21], off
	s_mov_b32 s13, 0
	s_mov_b32 s15, -1
	s_wait_loadcnt 0x0
	v_lshlrev_b32_e32 v3, 16, v3
	s_delay_alu instid0(VALU_DEP_1)
	v_cvt_i32_f32_e32 v18, v3
	s_branch .LBB39_1888
.LBB39_1879:
	s_mov_b32 s15, 0
                                        ; implicit-def: $vgpr18
	s_cbranch_execnz .LBB39_1950
.LBB39_1880:
	s_and_not1_b32 vcc_lo, exec_lo, s15
	s_cbranch_vccnz .LBB39_2725
	s_branch .LBB39_1998
.LBB39_1881:
	s_mov_b32 s16, -1
	s_mov_b32 s15, 0
	s_mov_b32 s13, 0
                                        ; implicit-def: $vgpr18
	s_branch .LBB39_1915
.LBB39_1882:
	s_mov_b32 s16, -1
	s_mov_b32 s15, 0
	s_mov_b32 s13, 0
                                        ; implicit-def: $vgpr18
	s_branch .LBB39_1898
.LBB39_1883:
	s_mov_b32 s16, -1
	s_mov_b32 s15, 0
	s_mov_b32 s13, 0
                                        ; implicit-def: $vgpr18
	s_branch .LBB39_1893
.LBB39_1884:
	s_or_b32 s10, s10, exec_lo
	s_trap 2
	s_cbranch_execz .LBB39_1819
	s_branch .LBB39_1820
.LBB39_1885:
	s_mov_b32 s16, -1
	s_mov_b32 s15, 0
	s_mov_b32 s13, 0
	s_branch .LBB39_1887
.LBB39_1886:
	s_mov_b32 s13, -1
	s_mov_b32 s15, 0
.LBB39_1887:
                                        ; implicit-def: $vgpr18
.LBB39_1888:
	s_and_b32 vcc_lo, exec_lo, s16
	s_cbranch_vccz .LBB39_1892
; %bb.1889:
	s_cmp_eq_u32 s11, 44
	s_cbranch_scc0 .LBB39_1891
; %bb.1890:
	global_load_u8 v3, v[20:21], off
	s_mov_b32 s13, 0
	s_mov_b32 s15, -1
	s_wait_loadcnt 0x0
	v_lshlrev_b32_e32 v5, 23, v3
	v_cmp_ne_u32_e32 vcc_lo, 0, v3
	s_delay_alu instid0(VALU_DEP_2) | instskip(NEXT) | instid1(VALU_DEP_1)
	v_cvt_i32_f32_e32 v5, v5
	v_cndmask_b32_e32 v18, 0, v5, vcc_lo
	s_branch .LBB39_1892
.LBB39_1891:
	s_mov_b32 s13, -1
                                        ; implicit-def: $vgpr18
.LBB39_1892:
	s_mov_b32 s16, 0
.LBB39_1893:
	s_delay_alu instid0(SALU_CYCLE_1)
	s_and_b32 vcc_lo, exec_lo, s16
	s_cbranch_vccz .LBB39_1897
; %bb.1894:
	s_cmp_eq_u32 s11, 29
	s_cbranch_scc0 .LBB39_1896
; %bb.1895:
	global_load_b64 v[18:19], v[20:21], off
	s_mov_b32 s13, 0
	s_mov_b32 s15, -1
	s_branch .LBB39_1897
.LBB39_1896:
	s_mov_b32 s13, -1
                                        ; implicit-def: $vgpr18
.LBB39_1897:
	s_mov_b32 s16, 0
.LBB39_1898:
	s_delay_alu instid0(SALU_CYCLE_1)
	s_and_b32 vcc_lo, exec_lo, s16
	s_cbranch_vccz .LBB39_1914
; %bb.1899:
	s_cmp_lt_i32 s11, 27
	s_cbranch_scc1 .LBB39_1902
; %bb.1900:
	s_cmp_gt_i32 s11, 27
	s_cbranch_scc0 .LBB39_1903
; %bb.1901:
	s_wait_loadcnt 0x0
	global_load_b32 v18, v[20:21], off
	s_mov_b32 s15, 0
	s_branch .LBB39_1904
.LBB39_1902:
	s_mov_b32 s15, -1
                                        ; implicit-def: $vgpr18
	s_branch .LBB39_1907
.LBB39_1903:
	s_mov_b32 s15, -1
                                        ; implicit-def: $vgpr18
.LBB39_1904:
	s_delay_alu instid0(SALU_CYCLE_1)
	s_and_not1_b32 vcc_lo, exec_lo, s15
	s_cbranch_vccnz .LBB39_1906
; %bb.1905:
	s_wait_loadcnt 0x0
	global_load_u16 v18, v[20:21], off
.LBB39_1906:
	s_mov_b32 s15, 0
.LBB39_1907:
	s_delay_alu instid0(SALU_CYCLE_1)
	s_and_not1_b32 vcc_lo, exec_lo, s15
	s_cbranch_vccnz .LBB39_1913
; %bb.1908:
	global_load_u8 v3, v[20:21], off
	s_mov_b32 s16, 0
	s_mov_b32 s15, exec_lo
	s_wait_loadcnt 0x0
	v_cmpx_lt_i16_e32 0x7f, v3
	s_xor_b32 s15, exec_lo, s15
	s_cbranch_execz .LBB39_1925
; %bb.1909:
	v_cmp_ne_u16_e32 vcc_lo, 0x80, v3
	s_and_b32 s16, vcc_lo, exec_lo
	s_and_not1_saveexec_b32 s15, s15
	s_cbranch_execnz .LBB39_1926
.LBB39_1910:
	s_or_b32 exec_lo, exec_lo, s15
	v_mov_b32_e32 v18, 0
	s_and_saveexec_b32 s15, s16
	s_cbranch_execz .LBB39_1912
.LBB39_1911:
	v_and_b32_e32 v5, 0xffff, v3
	s_delay_alu instid0(VALU_DEP_1) | instskip(SKIP_1) | instid1(VALU_DEP_2)
	v_dual_lshlrev_b32 v3, 24, v3 :: v_dual_bitop2_b32 v7, 7, v5 bitop3:0x40
	v_bfe_u32 v13, v5, 3, 4
	v_and_b32_e32 v3, 0x80000000, v3
	s_delay_alu instid0(VALU_DEP_3) | instskip(NEXT) | instid1(VALU_DEP_3)
	v_clz_i32_u32_e32 v9, v7
	v_cmp_eq_u32_e32 vcc_lo, 0, v13
	s_delay_alu instid0(VALU_DEP_2) | instskip(NEXT) | instid1(VALU_DEP_1)
	v_min_u32_e32 v9, 32, v9
	v_subrev_nc_u32_e32 v11, 28, v9
	v_sub_nc_u32_e32 v9, 29, v9
	s_delay_alu instid0(VALU_DEP_2) | instskip(NEXT) | instid1(VALU_DEP_2)
	v_lshlrev_b32_e32 v5, v11, v5
	v_cndmask_b32_e32 v9, v13, v9, vcc_lo
	s_delay_alu instid0(VALU_DEP_2) | instskip(NEXT) | instid1(VALU_DEP_1)
	v_and_b32_e32 v5, 7, v5
	v_cndmask_b32_e32 v5, v7, v5, vcc_lo
	s_delay_alu instid0(VALU_DEP_3) | instskip(NEXT) | instid1(VALU_DEP_2)
	v_lshl_add_u32 v7, v9, 23, 0x3b800000
	v_lshlrev_b32_e32 v5, 20, v5
	s_delay_alu instid0(VALU_DEP_1) | instskip(NEXT) | instid1(VALU_DEP_1)
	v_or3_b32 v3, v3, v7, v5
	v_cvt_i32_f32_e32 v18, v3
.LBB39_1912:
	s_or_b32 exec_lo, exec_lo, s15
.LBB39_1913:
	s_mov_b32 s15, -1
.LBB39_1914:
	s_mov_b32 s16, 0
.LBB39_1915:
	s_delay_alu instid0(SALU_CYCLE_1)
	s_and_b32 vcc_lo, exec_lo, s16
	s_cbranch_vccz .LBB39_1946
; %bb.1916:
	s_cmp_gt_i32 s11, 22
	s_cbranch_scc0 .LBB39_1924
; %bb.1917:
	s_cmp_lt_i32 s11, 24
	s_cbranch_scc1 .LBB39_1927
; %bb.1918:
	s_cmp_gt_i32 s11, 24
	s_cbranch_scc0 .LBB39_1928
; %bb.1919:
	global_load_u8 v3, v[20:21], off
	s_mov_b32 s15, 0
	s_mov_b32 s14, exec_lo
	s_wait_loadcnt 0x0
	v_cmpx_lt_i16_e32 0x7f, v3
	s_xor_b32 s14, exec_lo, s14
	s_cbranch_execz .LBB39_1940
; %bb.1920:
	v_cmp_ne_u16_e32 vcc_lo, 0x80, v3
	s_and_b32 s15, vcc_lo, exec_lo
	s_and_not1_saveexec_b32 s14, s14
	s_cbranch_execnz .LBB39_1941
.LBB39_1921:
	s_or_b32 exec_lo, exec_lo, s14
	v_mov_b32_e32 v18, 0
	s_and_saveexec_b32 s14, s15
	s_cbranch_execz .LBB39_1923
.LBB39_1922:
	v_and_b32_e32 v5, 0xffff, v3
	s_delay_alu instid0(VALU_DEP_1) | instskip(SKIP_1) | instid1(VALU_DEP_2)
	v_dual_lshlrev_b32 v3, 24, v3 :: v_dual_bitop2_b32 v7, 3, v5 bitop3:0x40
	v_bfe_u32 v13, v5, 2, 5
	v_and_b32_e32 v3, 0x80000000, v3
	s_delay_alu instid0(VALU_DEP_3) | instskip(NEXT) | instid1(VALU_DEP_3)
	v_clz_i32_u32_e32 v9, v7
	v_cmp_eq_u32_e32 vcc_lo, 0, v13
	s_delay_alu instid0(VALU_DEP_2) | instskip(NEXT) | instid1(VALU_DEP_1)
	v_min_u32_e32 v9, 32, v9
	v_subrev_nc_u32_e32 v11, 29, v9
	v_sub_nc_u32_e32 v9, 30, v9
	s_delay_alu instid0(VALU_DEP_2) | instskip(NEXT) | instid1(VALU_DEP_2)
	v_lshlrev_b32_e32 v5, v11, v5
	v_cndmask_b32_e32 v9, v13, v9, vcc_lo
	s_delay_alu instid0(VALU_DEP_2) | instskip(NEXT) | instid1(VALU_DEP_1)
	v_and_b32_e32 v5, 3, v5
	v_cndmask_b32_e32 v5, v7, v5, vcc_lo
	s_delay_alu instid0(VALU_DEP_3) | instskip(NEXT) | instid1(VALU_DEP_2)
	v_lshl_add_u32 v7, v9, 23, 0x37800000
	v_lshlrev_b32_e32 v5, 21, v5
	s_delay_alu instid0(VALU_DEP_1) | instskip(NEXT) | instid1(VALU_DEP_1)
	v_or3_b32 v3, v3, v7, v5
	v_cvt_i32_f32_e32 v18, v3
.LBB39_1923:
	s_or_b32 exec_lo, exec_lo, s14
	s_mov_b32 s14, 0
	s_branch .LBB39_1929
.LBB39_1924:
	s_mov_b32 s14, -1
                                        ; implicit-def: $vgpr18
	s_branch .LBB39_1935
.LBB39_1925:
	s_and_not1_saveexec_b32 s15, s15
	s_cbranch_execz .LBB39_1910
.LBB39_1926:
	v_cmp_ne_u16_e32 vcc_lo, 0, v3
	s_and_not1_b32 s16, s16, exec_lo
	s_and_b32 s17, vcc_lo, exec_lo
	s_delay_alu instid0(SALU_CYCLE_1)
	s_or_b32 s16, s16, s17
	s_or_b32 exec_lo, exec_lo, s15
	v_mov_b32_e32 v18, 0
	s_and_saveexec_b32 s15, s16
	s_cbranch_execnz .LBB39_1911
	s_branch .LBB39_1912
.LBB39_1927:
	s_mov_b32 s14, -1
                                        ; implicit-def: $vgpr18
	s_branch .LBB39_1932
.LBB39_1928:
	s_mov_b32 s14, -1
                                        ; implicit-def: $vgpr18
.LBB39_1929:
	s_delay_alu instid0(SALU_CYCLE_1)
	s_and_b32 vcc_lo, exec_lo, s14
	s_cbranch_vccz .LBB39_1931
; %bb.1930:
	global_load_u8 v3, v[20:21], off
	s_wait_loadcnt 0x0
	v_lshlrev_b32_e32 v3, 24, v3
	s_delay_alu instid0(VALU_DEP_1) | instskip(NEXT) | instid1(VALU_DEP_1)
	v_and_b32_e32 v5, 0x7f000000, v3
	v_clz_i32_u32_e32 v7, v5
	v_add_nc_u32_e32 v11, 0x1000000, v5
	v_cmp_ne_u32_e32 vcc_lo, 0, v5
	s_delay_alu instid0(VALU_DEP_3) | instskip(NEXT) | instid1(VALU_DEP_1)
	v_min_u32_e32 v7, 32, v7
	v_sub_nc_u32_e64 v7, v7, 4 clamp
	s_delay_alu instid0(VALU_DEP_1) | instskip(NEXT) | instid1(VALU_DEP_1)
	v_dual_lshlrev_b32 v9, v7, v5 :: v_dual_lshlrev_b32 v7, 23, v7
	v_lshrrev_b32_e32 v9, 4, v9
	s_delay_alu instid0(VALU_DEP_1) | instskip(SKIP_1) | instid1(VALU_DEP_2)
	v_sub_nc_u32_e32 v7, v9, v7
	v_ashrrev_i32_e32 v9, 8, v11
	v_add_nc_u32_e32 v7, 0x3c000000, v7
	s_delay_alu instid0(VALU_DEP_1) | instskip(NEXT) | instid1(VALU_DEP_1)
	v_and_or_b32 v7, 0x7f800000, v9, v7
	v_cndmask_b32_e32 v5, 0, v7, vcc_lo
	s_delay_alu instid0(VALU_DEP_1) | instskip(NEXT) | instid1(VALU_DEP_1)
	v_and_or_b32 v3, 0x80000000, v3, v5
	v_cvt_i32_f32_e32 v18, v3
.LBB39_1931:
	s_mov_b32 s14, 0
.LBB39_1932:
	s_delay_alu instid0(SALU_CYCLE_1)
	s_and_not1_b32 vcc_lo, exec_lo, s14
	s_cbranch_vccnz .LBB39_1934
; %bb.1933:
	global_load_u8 v3, v[20:21], off
	s_wait_loadcnt 0x0
	v_lshlrev_b32_e32 v5, 25, v3
	v_lshlrev_b16 v3, 8, v3
	s_delay_alu instid0(VALU_DEP_1) | instskip(SKIP_1) | instid1(VALU_DEP_2)
	v_and_or_b32 v9, 0x7f00, v3, 0.5
	v_bfe_i32 v3, v3, 0, 16
	v_add_f32_e32 v9, -0.5, v9
	v_lshrrev_b32_e32 v7, 4, v5
	v_cmp_gt_u32_e32 vcc_lo, 0x8000000, v5
	s_delay_alu instid0(VALU_DEP_2) | instskip(NEXT) | instid1(VALU_DEP_1)
	v_or_b32_e32 v7, 0x70000000, v7
	v_mul_f32_e32 v7, 0x7800000, v7
	s_delay_alu instid0(VALU_DEP_1) | instskip(NEXT) | instid1(VALU_DEP_1)
	v_cndmask_b32_e32 v5, v7, v9, vcc_lo
	v_and_or_b32 v3, 0x80000000, v3, v5
	s_delay_alu instid0(VALU_DEP_1)
	v_cvt_i32_f32_e32 v18, v3
.LBB39_1934:
	s_mov_b32 s14, 0
	s_mov_b32 s15, -1
.LBB39_1935:
	s_and_not1_b32 vcc_lo, exec_lo, s14
	s_mov_b32 s14, 0
	s_cbranch_vccnz .LBB39_1946
; %bb.1936:
	s_cmp_gt_i32 s11, 14
	s_cbranch_scc0 .LBB39_1939
; %bb.1937:
	s_cmp_eq_u32 s11, 15
	s_cbranch_scc0 .LBB39_1942
; %bb.1938:
	global_load_u16 v3, v[20:21], off
	s_mov_b32 s13, 0
	s_mov_b32 s15, -1
	s_wait_loadcnt 0x0
	v_lshlrev_b32_e32 v3, 16, v3
	s_delay_alu instid0(VALU_DEP_1)
	v_cvt_i32_f32_e32 v18, v3
	s_branch .LBB39_1944
.LBB39_1939:
	s_mov_b32 s14, -1
	s_branch .LBB39_1943
.LBB39_1940:
	s_and_not1_saveexec_b32 s14, s14
	s_cbranch_execz .LBB39_1921
.LBB39_1941:
	v_cmp_ne_u16_e32 vcc_lo, 0, v3
	s_and_not1_b32 s15, s15, exec_lo
	s_and_b32 s16, vcc_lo, exec_lo
	s_delay_alu instid0(SALU_CYCLE_1)
	s_or_b32 s15, s15, s16
	s_or_b32 exec_lo, exec_lo, s14
	v_mov_b32_e32 v18, 0
	s_and_saveexec_b32 s14, s15
	s_cbranch_execnz .LBB39_1922
	s_branch .LBB39_1923
.LBB39_1942:
	s_mov_b32 s13, -1
.LBB39_1943:
                                        ; implicit-def: $vgpr18
.LBB39_1944:
	s_and_b32 vcc_lo, exec_lo, s14
	s_mov_b32 s14, 0
	s_cbranch_vccz .LBB39_1946
; %bb.1945:
	s_cmp_lg_u32 s11, 11
	s_mov_b32 s14, -1
	s_cselect_b32 s13, -1, 0
.LBB39_1946:
	s_delay_alu instid0(SALU_CYCLE_1)
	s_and_b32 vcc_lo, exec_lo, s13
	s_cbranch_vccnz .LBB39_2009
; %bb.1947:
	s_and_not1_b32 vcc_lo, exec_lo, s14
	s_cbranch_vccnz .LBB39_1949
.LBB39_1948:
	global_load_u8 v3, v[20:21], off
	s_mov_b32 s15, -1
	s_wait_loadcnt 0x0
	v_cmp_ne_u16_e32 vcc_lo, 0, v3
	v_cndmask_b32_e64 v18, 0, 1, vcc_lo
.LBB39_1949:
	s_branch .LBB39_1880
.LBB39_1950:
	s_cmp_lt_i32 s11, 5
	s_cbranch_scc1 .LBB39_1955
; %bb.1951:
	s_cmp_lt_i32 s11, 8
	s_cbranch_scc1 .LBB39_1956
; %bb.1952:
	;; [unrolled: 3-line block ×3, first 2 shown]
	s_cmp_gt_i32 s11, 9
	s_cbranch_scc0 .LBB39_1958
; %bb.1954:
	s_wait_loadcnt 0x0
	global_load_b64 v[18:19], v[20:21], off
	s_mov_b32 s13, 0
	s_wait_loadcnt 0x0
	v_cvt_i32_f64_e32 v18, v[18:19]
	s_branch .LBB39_1959
.LBB39_1955:
	s_mov_b32 s13, -1
                                        ; implicit-def: $vgpr18
	s_branch .LBB39_1977
.LBB39_1956:
	s_mov_b32 s13, -1
                                        ; implicit-def: $vgpr18
	s_branch .LBB39_1965
.LBB39_1957:
	s_mov_b32 s13, -1
                                        ; implicit-def: $vgpr18
	s_branch .LBB39_1962
.LBB39_1958:
	s_mov_b32 s13, -1
                                        ; implicit-def: $vgpr18
.LBB39_1959:
	s_delay_alu instid0(SALU_CYCLE_1)
	s_and_not1_b32 vcc_lo, exec_lo, s13
	s_cbranch_vccnz .LBB39_1961
; %bb.1960:
	global_load_b32 v3, v[20:21], off
	s_wait_loadcnt 0x0
	v_cvt_i32_f32_e32 v18, v3
.LBB39_1961:
	s_mov_b32 s13, 0
.LBB39_1962:
	s_delay_alu instid0(SALU_CYCLE_1)
	s_and_not1_b32 vcc_lo, exec_lo, s13
	s_cbranch_vccnz .LBB39_1964
; %bb.1963:
	global_load_b32 v3, v[20:21], off
	s_wait_loadcnt 0x0
	v_cvt_i16_f16_e32 v18, v3
.LBB39_1964:
	s_mov_b32 s13, 0
.LBB39_1965:
	s_delay_alu instid0(SALU_CYCLE_1)
	s_and_not1_b32 vcc_lo, exec_lo, s13
	s_cbranch_vccnz .LBB39_1976
; %bb.1966:
	s_cmp_lt_i32 s11, 6
	s_cbranch_scc1 .LBB39_1969
; %bb.1967:
	s_cmp_gt_i32 s11, 6
	s_cbranch_scc0 .LBB39_1970
; %bb.1968:
	s_wait_loadcnt 0x0
	global_load_b64 v[18:19], v[20:21], off
	s_mov_b32 s13, 0
	s_wait_loadcnt 0x0
	v_cvt_i32_f64_e32 v18, v[18:19]
	s_branch .LBB39_1971
.LBB39_1969:
	s_mov_b32 s13, -1
                                        ; implicit-def: $vgpr18
	s_branch .LBB39_1974
.LBB39_1970:
	s_mov_b32 s13, -1
                                        ; implicit-def: $vgpr18
.LBB39_1971:
	s_delay_alu instid0(SALU_CYCLE_1)
	s_and_not1_b32 vcc_lo, exec_lo, s13
	s_cbranch_vccnz .LBB39_1973
; %bb.1972:
	global_load_b32 v3, v[20:21], off
	s_wait_loadcnt 0x0
	v_cvt_i32_f32_e32 v18, v3
.LBB39_1973:
	s_mov_b32 s13, 0
.LBB39_1974:
	s_delay_alu instid0(SALU_CYCLE_1)
	s_and_not1_b32 vcc_lo, exec_lo, s13
	s_cbranch_vccnz .LBB39_1976
; %bb.1975:
	global_load_u16 v3, v[20:21], off
	s_wait_loadcnt 0x0
	v_cvt_i16_f16_e32 v18, v3
.LBB39_1976:
	s_mov_b32 s13, 0
.LBB39_1977:
	s_delay_alu instid0(SALU_CYCLE_1)
	s_and_not1_b32 vcc_lo, exec_lo, s13
	s_cbranch_vccnz .LBB39_1997
; %bb.1978:
	s_cmp_lt_i32 s11, 2
	s_cbranch_scc1 .LBB39_1982
; %bb.1979:
	s_cmp_lt_i32 s11, 3
	s_cbranch_scc1 .LBB39_1983
; %bb.1980:
	s_cmp_gt_i32 s11, 3
	s_cbranch_scc0 .LBB39_1984
; %bb.1981:
	s_wait_loadcnt 0x0
	global_load_b64 v[18:19], v[20:21], off
	s_mov_b32 s13, 0
	s_branch .LBB39_1985
.LBB39_1982:
	s_mov_b32 s13, -1
                                        ; implicit-def: $vgpr18
	s_branch .LBB39_1991
.LBB39_1983:
	s_mov_b32 s13, -1
                                        ; implicit-def: $vgpr18
	s_branch .LBB39_1988
.LBB39_1984:
	s_mov_b32 s13, -1
                                        ; implicit-def: $vgpr18
.LBB39_1985:
	s_delay_alu instid0(SALU_CYCLE_1)
	s_and_not1_b32 vcc_lo, exec_lo, s13
	s_cbranch_vccnz .LBB39_1987
; %bb.1986:
	s_wait_loadcnt 0x0
	global_load_b32 v18, v[20:21], off
.LBB39_1987:
	s_mov_b32 s13, 0
.LBB39_1988:
	s_delay_alu instid0(SALU_CYCLE_1)
	s_and_not1_b32 vcc_lo, exec_lo, s13
	s_cbranch_vccnz .LBB39_1990
; %bb.1989:
	s_wait_loadcnt 0x0
	global_load_u16 v18, v[20:21], off
.LBB39_1990:
	s_mov_b32 s13, 0
.LBB39_1991:
	s_delay_alu instid0(SALU_CYCLE_1)
	s_and_not1_b32 vcc_lo, exec_lo, s13
	s_cbranch_vccnz .LBB39_1997
; %bb.1992:
	s_cmp_gt_i32 s11, 0
	s_mov_b32 s13, 0
	s_cbranch_scc0 .LBB39_1994
; %bb.1993:
	s_wait_loadcnt 0x0
	global_load_i8 v18, v[20:21], off
	s_branch .LBB39_1995
.LBB39_1994:
	s_mov_b32 s13, -1
                                        ; implicit-def: $vgpr18
.LBB39_1995:
	s_delay_alu instid0(SALU_CYCLE_1)
	s_and_not1_b32 vcc_lo, exec_lo, s13
	s_cbranch_vccnz .LBB39_1997
; %bb.1996:
	s_wait_loadcnt 0x0
	global_load_u8 v18, v[20:21], off
.LBB39_1997:
.LBB39_1998:
	v_mov_b32_e32 v17, 0
	s_and_b32 s12, 0xffff, s12
	s_delay_alu instid0(SALU_CYCLE_1) | instskip(NEXT) | instid1(VALU_DEP_1)
	s_cmp_lt_i32 s12, 11
	v_add_nc_u64_e32 v[16:17], s[0:1], v[16:17]
	s_cbranch_scc1 .LBB39_2005
; %bb.1999:
	s_cmp_gt_i32 s12, 25
	s_mov_b32 s14, 0
	s_cbranch_scc0 .LBB39_2006
; %bb.2000:
	s_cmp_gt_i32 s12, 28
	s_cbranch_scc0 .LBB39_2007
; %bb.2001:
	s_cmp_gt_i32 s12, 43
	;; [unrolled: 3-line block ×3, first 2 shown]
	s_cbranch_scc0 .LBB39_2010
; %bb.2003:
	s_cmp_eq_u32 s12, 46
	s_mov_b32 s16, 0
	s_cbranch_scc0 .LBB39_2011
; %bb.2004:
	global_load_b32 v3, v[16:17], off
	s_mov_b32 s13, 0
	s_mov_b32 s15, -1
	s_wait_loadcnt 0x0
	v_lshlrev_b32_e32 v3, 16, v3
	s_wait_xcnt 0x1
	s_delay_alu instid0(VALU_DEP_1)
	v_cvt_i32_f32_e32 v20, v3
	s_branch .LBB39_2013
.LBB39_2005:
	s_mov_b32 s13, -1
	s_mov_b32 s15, 0
                                        ; implicit-def: $vgpr20
	s_branch .LBB39_2075
.LBB39_2006:
	s_mov_b32 s16, -1
	s_mov_b32 s15, 0
	s_mov_b32 s13, 0
                                        ; implicit-def: $vgpr20
	s_branch .LBB39_2040
.LBB39_2007:
	s_mov_b32 s16, -1
	s_mov_b32 s15, 0
	s_mov_b32 s13, 0
                                        ; implicit-def: $vgpr20
	s_branch .LBB39_2023
.LBB39_2008:
	s_mov_b32 s16, -1
	s_mov_b32 s15, 0
	s_mov_b32 s13, 0
                                        ; implicit-def: $vgpr20
	s_branch .LBB39_2018
.LBB39_2009:
	s_or_b32 s10, s10, exec_lo
	s_trap 2
	s_cbranch_execz .LBB39_1948
	s_branch .LBB39_1949
.LBB39_2010:
	s_mov_b32 s16, -1
	s_mov_b32 s15, 0
	s_mov_b32 s13, 0
	s_branch .LBB39_2012
.LBB39_2011:
	s_mov_b32 s13, -1
	s_mov_b32 s15, 0
.LBB39_2012:
                                        ; implicit-def: $vgpr20
.LBB39_2013:
	s_and_b32 vcc_lo, exec_lo, s16
	s_cbranch_vccz .LBB39_2017
; %bb.2014:
	s_cmp_eq_u32 s12, 44
	s_cbranch_scc0 .LBB39_2016
; %bb.2015:
	global_load_u8 v3, v[16:17], off
	s_mov_b32 s13, 0
	s_mov_b32 s15, -1
	s_wait_loadcnt 0x0
	v_lshlrev_b32_e32 v5, 23, v3
	v_cmp_ne_u32_e32 vcc_lo, 0, v3
	s_delay_alu instid0(VALU_DEP_2) | instskip(SKIP_1) | instid1(VALU_DEP_1)
	v_cvt_i32_f32_e32 v5, v5
	s_wait_xcnt 0x1
	v_cndmask_b32_e32 v20, 0, v5, vcc_lo
	s_branch .LBB39_2017
.LBB39_2016:
	s_mov_b32 s13, -1
                                        ; implicit-def: $vgpr20
.LBB39_2017:
	s_mov_b32 s16, 0
.LBB39_2018:
	s_delay_alu instid0(SALU_CYCLE_1)
	s_and_b32 vcc_lo, exec_lo, s16
	s_cbranch_vccz .LBB39_2022
; %bb.2019:
	s_cmp_eq_u32 s12, 29
	s_cbranch_scc0 .LBB39_2021
; %bb.2020:
	global_load_b64 v[20:21], v[16:17], off
	s_mov_b32 s13, 0
	s_mov_b32 s15, -1
	s_branch .LBB39_2022
.LBB39_2021:
	s_mov_b32 s13, -1
                                        ; implicit-def: $vgpr20
.LBB39_2022:
	s_mov_b32 s16, 0
.LBB39_2023:
	s_delay_alu instid0(SALU_CYCLE_1)
	s_and_b32 vcc_lo, exec_lo, s16
	s_cbranch_vccz .LBB39_2039
; %bb.2024:
	s_cmp_lt_i32 s12, 27
	s_cbranch_scc1 .LBB39_2027
; %bb.2025:
	s_cmp_gt_i32 s12, 27
	s_cbranch_scc0 .LBB39_2028
; %bb.2026:
	s_wait_loadcnt 0x0
	global_load_b32 v20, v[16:17], off
	s_mov_b32 s15, 0
	s_branch .LBB39_2029
.LBB39_2027:
	s_mov_b32 s15, -1
                                        ; implicit-def: $vgpr20
	s_branch .LBB39_2032
.LBB39_2028:
	s_mov_b32 s15, -1
                                        ; implicit-def: $vgpr20
.LBB39_2029:
	s_delay_alu instid0(SALU_CYCLE_1)
	s_and_not1_b32 vcc_lo, exec_lo, s15
	s_cbranch_vccnz .LBB39_2031
; %bb.2030:
	s_wait_loadcnt 0x0
	global_load_u16 v20, v[16:17], off
.LBB39_2031:
	s_mov_b32 s15, 0
.LBB39_2032:
	s_delay_alu instid0(SALU_CYCLE_1)
	s_and_not1_b32 vcc_lo, exec_lo, s15
	s_cbranch_vccnz .LBB39_2038
; %bb.2033:
	global_load_u8 v3, v[16:17], off
	s_mov_b32 s16, 0
	s_mov_b32 s15, exec_lo
	s_wait_loadcnt 0x0
	v_cmpx_lt_i16_e32 0x7f, v3
	s_xor_b32 s15, exec_lo, s15
	s_cbranch_execz .LBB39_2050
; %bb.2034:
	v_cmp_ne_u16_e32 vcc_lo, 0x80, v3
	s_and_b32 s16, vcc_lo, exec_lo
	s_and_not1_saveexec_b32 s15, s15
	s_cbranch_execnz .LBB39_2051
.LBB39_2035:
	s_or_b32 exec_lo, exec_lo, s15
	v_mov_b32_e32 v20, 0
	s_and_saveexec_b32 s15, s16
	s_cbranch_execz .LBB39_2037
.LBB39_2036:
	v_and_b32_e32 v5, 0xffff, v3
	s_delay_alu instid0(VALU_DEP_1) | instskip(SKIP_1) | instid1(VALU_DEP_2)
	v_dual_lshlrev_b32 v3, 24, v3 :: v_dual_bitop2_b32 v7, 7, v5 bitop3:0x40
	v_bfe_u32 v13, v5, 3, 4
	v_and_b32_e32 v3, 0x80000000, v3
	s_delay_alu instid0(VALU_DEP_3) | instskip(NEXT) | instid1(VALU_DEP_3)
	v_clz_i32_u32_e32 v9, v7
	v_cmp_eq_u32_e32 vcc_lo, 0, v13
	s_delay_alu instid0(VALU_DEP_2) | instskip(NEXT) | instid1(VALU_DEP_1)
	v_min_u32_e32 v9, 32, v9
	v_subrev_nc_u32_e32 v11, 28, v9
	v_sub_nc_u32_e32 v9, 29, v9
	s_delay_alu instid0(VALU_DEP_2) | instskip(NEXT) | instid1(VALU_DEP_2)
	v_lshlrev_b32_e32 v5, v11, v5
	v_cndmask_b32_e32 v9, v13, v9, vcc_lo
	s_delay_alu instid0(VALU_DEP_2) | instskip(NEXT) | instid1(VALU_DEP_1)
	v_and_b32_e32 v5, 7, v5
	v_cndmask_b32_e32 v5, v7, v5, vcc_lo
	s_delay_alu instid0(VALU_DEP_3) | instskip(NEXT) | instid1(VALU_DEP_2)
	v_lshl_add_u32 v7, v9, 23, 0x3b800000
	v_lshlrev_b32_e32 v5, 20, v5
	s_delay_alu instid0(VALU_DEP_1) | instskip(NEXT) | instid1(VALU_DEP_1)
	v_or3_b32 v3, v3, v7, v5
	v_cvt_i32_f32_e32 v20, v3
.LBB39_2037:
	s_or_b32 exec_lo, exec_lo, s15
.LBB39_2038:
	s_mov_b32 s15, -1
.LBB39_2039:
	s_mov_b32 s16, 0
.LBB39_2040:
	s_delay_alu instid0(SALU_CYCLE_1)
	s_and_b32 vcc_lo, exec_lo, s16
	s_cbranch_vccz .LBB39_2071
; %bb.2041:
	s_cmp_gt_i32 s12, 22
	s_cbranch_scc0 .LBB39_2049
; %bb.2042:
	s_cmp_lt_i32 s12, 24
	s_cbranch_scc1 .LBB39_2052
; %bb.2043:
	s_cmp_gt_i32 s12, 24
	s_cbranch_scc0 .LBB39_2053
; %bb.2044:
	global_load_u8 v3, v[16:17], off
	s_mov_b32 s15, 0
	s_mov_b32 s14, exec_lo
	s_wait_loadcnt 0x0
	v_cmpx_lt_i16_e32 0x7f, v3
	s_xor_b32 s14, exec_lo, s14
	s_cbranch_execz .LBB39_2065
; %bb.2045:
	v_cmp_ne_u16_e32 vcc_lo, 0x80, v3
	s_and_b32 s15, vcc_lo, exec_lo
	s_and_not1_saveexec_b32 s14, s14
	s_cbranch_execnz .LBB39_2066
.LBB39_2046:
	s_or_b32 exec_lo, exec_lo, s14
	v_mov_b32_e32 v20, 0
	s_and_saveexec_b32 s14, s15
	s_cbranch_execz .LBB39_2048
.LBB39_2047:
	v_and_b32_e32 v5, 0xffff, v3
	s_delay_alu instid0(VALU_DEP_1) | instskip(SKIP_1) | instid1(VALU_DEP_2)
	v_dual_lshlrev_b32 v3, 24, v3 :: v_dual_bitop2_b32 v7, 3, v5 bitop3:0x40
	v_bfe_u32 v13, v5, 2, 5
	v_and_b32_e32 v3, 0x80000000, v3
	s_delay_alu instid0(VALU_DEP_3) | instskip(NEXT) | instid1(VALU_DEP_3)
	v_clz_i32_u32_e32 v9, v7
	v_cmp_eq_u32_e32 vcc_lo, 0, v13
	s_delay_alu instid0(VALU_DEP_2) | instskip(NEXT) | instid1(VALU_DEP_1)
	v_min_u32_e32 v9, 32, v9
	v_subrev_nc_u32_e32 v11, 29, v9
	v_sub_nc_u32_e32 v9, 30, v9
	s_delay_alu instid0(VALU_DEP_2) | instskip(NEXT) | instid1(VALU_DEP_2)
	v_lshlrev_b32_e32 v5, v11, v5
	v_cndmask_b32_e32 v9, v13, v9, vcc_lo
	s_delay_alu instid0(VALU_DEP_2) | instskip(NEXT) | instid1(VALU_DEP_1)
	v_and_b32_e32 v5, 3, v5
	v_cndmask_b32_e32 v5, v7, v5, vcc_lo
	s_delay_alu instid0(VALU_DEP_3) | instskip(NEXT) | instid1(VALU_DEP_2)
	v_lshl_add_u32 v7, v9, 23, 0x37800000
	v_lshlrev_b32_e32 v5, 21, v5
	s_delay_alu instid0(VALU_DEP_1) | instskip(NEXT) | instid1(VALU_DEP_1)
	v_or3_b32 v3, v3, v7, v5
	v_cvt_i32_f32_e32 v20, v3
.LBB39_2048:
	s_or_b32 exec_lo, exec_lo, s14
	s_mov_b32 s14, 0
	s_branch .LBB39_2054
.LBB39_2049:
	s_mov_b32 s14, -1
                                        ; implicit-def: $vgpr20
	s_branch .LBB39_2060
.LBB39_2050:
	s_and_not1_saveexec_b32 s15, s15
	s_cbranch_execz .LBB39_2035
.LBB39_2051:
	v_cmp_ne_u16_e32 vcc_lo, 0, v3
	s_and_not1_b32 s16, s16, exec_lo
	s_and_b32 s17, vcc_lo, exec_lo
	s_delay_alu instid0(SALU_CYCLE_1)
	s_or_b32 s16, s16, s17
	s_or_b32 exec_lo, exec_lo, s15
	v_mov_b32_e32 v20, 0
	s_and_saveexec_b32 s15, s16
	s_cbranch_execnz .LBB39_2036
	s_branch .LBB39_2037
.LBB39_2052:
	s_mov_b32 s14, -1
                                        ; implicit-def: $vgpr20
	s_branch .LBB39_2057
.LBB39_2053:
	s_mov_b32 s14, -1
                                        ; implicit-def: $vgpr20
.LBB39_2054:
	s_delay_alu instid0(SALU_CYCLE_1)
	s_and_b32 vcc_lo, exec_lo, s14
	s_cbranch_vccz .LBB39_2056
; %bb.2055:
	global_load_u8 v3, v[16:17], off
	s_wait_loadcnt 0x0
	v_lshlrev_b32_e32 v3, 24, v3
	s_delay_alu instid0(VALU_DEP_1) | instskip(NEXT) | instid1(VALU_DEP_1)
	v_and_b32_e32 v5, 0x7f000000, v3
	v_clz_i32_u32_e32 v7, v5
	v_add_nc_u32_e32 v11, 0x1000000, v5
	v_cmp_ne_u32_e32 vcc_lo, 0, v5
	s_delay_alu instid0(VALU_DEP_3) | instskip(NEXT) | instid1(VALU_DEP_1)
	v_min_u32_e32 v7, 32, v7
	v_sub_nc_u32_e64 v7, v7, 4 clamp
	s_delay_alu instid0(VALU_DEP_1) | instskip(NEXT) | instid1(VALU_DEP_1)
	v_dual_lshlrev_b32 v9, v7, v5 :: v_dual_lshlrev_b32 v7, 23, v7
	v_lshrrev_b32_e32 v9, 4, v9
	s_delay_alu instid0(VALU_DEP_1) | instskip(SKIP_1) | instid1(VALU_DEP_2)
	v_sub_nc_u32_e32 v7, v9, v7
	v_ashrrev_i32_e32 v9, 8, v11
	v_add_nc_u32_e32 v7, 0x3c000000, v7
	s_delay_alu instid0(VALU_DEP_1) | instskip(NEXT) | instid1(VALU_DEP_1)
	v_and_or_b32 v7, 0x7f800000, v9, v7
	v_cndmask_b32_e32 v5, 0, v7, vcc_lo
	s_delay_alu instid0(VALU_DEP_1) | instskip(SKIP_1) | instid1(VALU_DEP_1)
	v_and_or_b32 v3, 0x80000000, v3, v5
	s_wait_xcnt 0x1
	v_cvt_i32_f32_e32 v20, v3
.LBB39_2056:
	s_mov_b32 s14, 0
.LBB39_2057:
	s_delay_alu instid0(SALU_CYCLE_1)
	s_and_not1_b32 vcc_lo, exec_lo, s14
	s_cbranch_vccnz .LBB39_2059
; %bb.2058:
	global_load_u8 v3, v[16:17], off
	s_wait_loadcnt 0x0
	v_lshlrev_b32_e32 v5, 25, v3
	v_lshlrev_b16 v3, 8, v3
	s_delay_alu instid0(VALU_DEP_1) | instskip(SKIP_1) | instid1(VALU_DEP_2)
	v_and_or_b32 v9, 0x7f00, v3, 0.5
	v_bfe_i32 v3, v3, 0, 16
	v_add_f32_e32 v9, -0.5, v9
	v_lshrrev_b32_e32 v7, 4, v5
	v_cmp_gt_u32_e32 vcc_lo, 0x8000000, v5
	s_delay_alu instid0(VALU_DEP_2) | instskip(NEXT) | instid1(VALU_DEP_1)
	v_or_b32_e32 v7, 0x70000000, v7
	v_mul_f32_e32 v7, 0x7800000, v7
	s_delay_alu instid0(VALU_DEP_1) | instskip(NEXT) | instid1(VALU_DEP_1)
	v_cndmask_b32_e32 v5, v7, v9, vcc_lo
	v_and_or_b32 v3, 0x80000000, v3, v5
	s_wait_xcnt 0x1
	s_delay_alu instid0(VALU_DEP_1)
	v_cvt_i32_f32_e32 v20, v3
.LBB39_2059:
	s_mov_b32 s14, 0
	s_mov_b32 s15, -1
.LBB39_2060:
	s_and_not1_b32 vcc_lo, exec_lo, s14
	s_mov_b32 s14, 0
	s_cbranch_vccnz .LBB39_2071
; %bb.2061:
	s_cmp_gt_i32 s12, 14
	s_cbranch_scc0 .LBB39_2064
; %bb.2062:
	s_cmp_eq_u32 s12, 15
	s_cbranch_scc0 .LBB39_2067
; %bb.2063:
	global_load_u16 v3, v[16:17], off
	s_mov_b32 s13, 0
	s_mov_b32 s15, -1
	s_wait_loadcnt 0x0
	v_lshlrev_b32_e32 v3, 16, v3
	s_wait_xcnt 0x1
	s_delay_alu instid0(VALU_DEP_1)
	v_cvt_i32_f32_e32 v20, v3
	s_branch .LBB39_2069
.LBB39_2064:
	s_mov_b32 s14, -1
	s_branch .LBB39_2068
.LBB39_2065:
	s_and_not1_saveexec_b32 s14, s14
	s_cbranch_execz .LBB39_2046
.LBB39_2066:
	v_cmp_ne_u16_e32 vcc_lo, 0, v3
	s_and_not1_b32 s15, s15, exec_lo
	s_and_b32 s16, vcc_lo, exec_lo
	s_delay_alu instid0(SALU_CYCLE_1)
	s_or_b32 s15, s15, s16
	s_or_b32 exec_lo, exec_lo, s14
	v_mov_b32_e32 v20, 0
	s_and_saveexec_b32 s14, s15
	s_cbranch_execnz .LBB39_2047
	s_branch .LBB39_2048
.LBB39_2067:
	s_mov_b32 s13, -1
.LBB39_2068:
                                        ; implicit-def: $vgpr20
.LBB39_2069:
	s_and_b32 vcc_lo, exec_lo, s14
	s_mov_b32 s14, 0
	s_cbranch_vccz .LBB39_2071
; %bb.2070:
	s_cmp_lg_u32 s12, 11
	s_mov_b32 s14, -1
	s_cselect_b32 s13, -1, 0
.LBB39_2071:
	s_delay_alu instid0(SALU_CYCLE_1)
	s_and_b32 vcc_lo, exec_lo, s13
	s_cbranch_vccnz .LBB39_2140
; %bb.2072:
	s_and_not1_b32 vcc_lo, exec_lo, s14
	s_cbranch_vccnz .LBB39_2074
.LBB39_2073:
	global_load_u8 v3, v[16:17], off
	s_mov_b32 s15, -1
	s_wait_loadcnt 0x0
	v_cmp_ne_u16_e32 vcc_lo, 0, v3
	s_wait_xcnt 0x1
	v_cndmask_b32_e64 v20, 0, 1, vcc_lo
.LBB39_2074:
	s_mov_b32 s13, 0
.LBB39_2075:
	s_delay_alu instid0(SALU_CYCLE_1)
	s_and_b32 vcc_lo, exec_lo, s13
	s_cbranch_vccz .LBB39_2124
; %bb.2076:
	s_cmp_lt_i32 s12, 5
	s_cbranch_scc1 .LBB39_2081
; %bb.2077:
	s_cmp_lt_i32 s12, 8
	s_cbranch_scc1 .LBB39_2082
	;; [unrolled: 3-line block ×3, first 2 shown]
; %bb.2079:
	s_cmp_gt_i32 s12, 9
	s_cbranch_scc0 .LBB39_2084
; %bb.2080:
	s_wait_loadcnt 0x0
	global_load_b64 v[20:21], v[16:17], off
	s_mov_b32 s13, 0
	s_wait_loadcnt 0x0
	v_cvt_i32_f64_e32 v20, v[20:21]
	s_branch .LBB39_2085
.LBB39_2081:
	s_mov_b32 s13, -1
                                        ; implicit-def: $vgpr20
	s_branch .LBB39_2103
.LBB39_2082:
	s_mov_b32 s13, -1
                                        ; implicit-def: $vgpr20
	s_branch .LBB39_2091
.LBB39_2083:
	s_mov_b32 s13, -1
                                        ; implicit-def: $vgpr20
	s_branch .LBB39_2088
.LBB39_2084:
	s_mov_b32 s13, -1
                                        ; implicit-def: $vgpr20
.LBB39_2085:
	s_delay_alu instid0(SALU_CYCLE_1)
	s_and_not1_b32 vcc_lo, exec_lo, s13
	s_cbranch_vccnz .LBB39_2087
; %bb.2086:
	global_load_b32 v3, v[16:17], off
	s_wait_loadcnt 0x0
	s_wait_xcnt 0x1
	v_cvt_i32_f32_e32 v20, v3
.LBB39_2087:
	s_mov_b32 s13, 0
.LBB39_2088:
	s_delay_alu instid0(SALU_CYCLE_1)
	s_and_not1_b32 vcc_lo, exec_lo, s13
	s_cbranch_vccnz .LBB39_2090
; %bb.2089:
	global_load_b32 v3, v[16:17], off
	s_wait_loadcnt 0x0
	s_wait_xcnt 0x1
	v_cvt_i16_f16_e32 v20, v3
.LBB39_2090:
	s_mov_b32 s13, 0
.LBB39_2091:
	s_delay_alu instid0(SALU_CYCLE_1)
	s_and_not1_b32 vcc_lo, exec_lo, s13
	s_cbranch_vccnz .LBB39_2102
; %bb.2092:
	s_cmp_lt_i32 s12, 6
	s_cbranch_scc1 .LBB39_2095
; %bb.2093:
	s_cmp_gt_i32 s12, 6
	s_cbranch_scc0 .LBB39_2096
; %bb.2094:
	s_wait_loadcnt 0x0
	global_load_b64 v[20:21], v[16:17], off
	s_mov_b32 s13, 0
	s_wait_loadcnt 0x0
	v_cvt_i32_f64_e32 v20, v[20:21]
	s_branch .LBB39_2097
.LBB39_2095:
	s_mov_b32 s13, -1
                                        ; implicit-def: $vgpr20
	s_branch .LBB39_2100
.LBB39_2096:
	s_mov_b32 s13, -1
                                        ; implicit-def: $vgpr20
.LBB39_2097:
	s_delay_alu instid0(SALU_CYCLE_1)
	s_and_not1_b32 vcc_lo, exec_lo, s13
	s_cbranch_vccnz .LBB39_2099
; %bb.2098:
	global_load_b32 v3, v[16:17], off
	s_wait_loadcnt 0x0
	s_wait_xcnt 0x1
	v_cvt_i32_f32_e32 v20, v3
.LBB39_2099:
	s_mov_b32 s13, 0
.LBB39_2100:
	s_delay_alu instid0(SALU_CYCLE_1)
	s_and_not1_b32 vcc_lo, exec_lo, s13
	s_cbranch_vccnz .LBB39_2102
; %bb.2101:
	global_load_u16 v3, v[16:17], off
	s_wait_loadcnt 0x0
	s_wait_xcnt 0x1
	v_cvt_i16_f16_e32 v20, v3
.LBB39_2102:
	s_mov_b32 s13, 0
.LBB39_2103:
	s_delay_alu instid0(SALU_CYCLE_1)
	s_and_not1_b32 vcc_lo, exec_lo, s13
	s_cbranch_vccnz .LBB39_2123
; %bb.2104:
	s_cmp_lt_i32 s12, 2
	s_cbranch_scc1 .LBB39_2108
; %bb.2105:
	s_cmp_lt_i32 s12, 3
	s_cbranch_scc1 .LBB39_2109
; %bb.2106:
	s_cmp_gt_i32 s12, 3
	s_cbranch_scc0 .LBB39_2110
; %bb.2107:
	s_wait_loadcnt 0x0
	global_load_b64 v[20:21], v[16:17], off
	s_mov_b32 s13, 0
	s_branch .LBB39_2111
.LBB39_2108:
	s_mov_b32 s13, -1
                                        ; implicit-def: $vgpr20
	s_branch .LBB39_2117
.LBB39_2109:
	s_mov_b32 s13, -1
                                        ; implicit-def: $vgpr20
	s_branch .LBB39_2114
.LBB39_2110:
	s_mov_b32 s13, -1
                                        ; implicit-def: $vgpr20
.LBB39_2111:
	s_delay_alu instid0(SALU_CYCLE_1)
	s_and_not1_b32 vcc_lo, exec_lo, s13
	s_cbranch_vccnz .LBB39_2113
; %bb.2112:
	s_wait_loadcnt 0x0
	global_load_b32 v20, v[16:17], off
.LBB39_2113:
	s_mov_b32 s13, 0
.LBB39_2114:
	s_delay_alu instid0(SALU_CYCLE_1)
	s_and_not1_b32 vcc_lo, exec_lo, s13
	s_cbranch_vccnz .LBB39_2116
; %bb.2115:
	s_wait_loadcnt 0x0
	global_load_u16 v20, v[16:17], off
.LBB39_2116:
	s_mov_b32 s13, 0
.LBB39_2117:
	s_delay_alu instid0(SALU_CYCLE_1)
	s_and_not1_b32 vcc_lo, exec_lo, s13
	s_cbranch_vccnz .LBB39_2123
; %bb.2118:
	s_cmp_gt_i32 s12, 0
	s_mov_b32 s13, 0
	s_cbranch_scc0 .LBB39_2120
; %bb.2119:
	s_wait_loadcnt 0x0
	global_load_i8 v20, v[16:17], off
	s_branch .LBB39_2121
.LBB39_2120:
	s_mov_b32 s13, -1
                                        ; implicit-def: $vgpr20
.LBB39_2121:
	s_delay_alu instid0(SALU_CYCLE_1)
	s_and_not1_b32 vcc_lo, exec_lo, s13
	s_cbranch_vccnz .LBB39_2123
; %bb.2122:
	s_wait_loadcnt 0x0
	global_load_u8 v20, v[16:17], off
.LBB39_2123:
	s_mov_b32 s15, -1
.LBB39_2124:
	s_delay_alu instid0(SALU_CYCLE_1)
	s_and_not1_b32 vcc_lo, exec_lo, s15
	s_cbranch_vccnz .LBB39_2725
; %bb.2125:
	s_wait_loadcnt 0x0
	s_delay_alu instid0(VALU_DEP_1) | instskip(SKIP_2) | instid1(VALU_DEP_1)
	v_sub_nc_u16 v3, 0, v20
	s_mov_b32 s14, 0
	s_mov_b32 s13, exec_lo
	v_max_i16 v3, v20, v3
	s_wait_xcnt 0x0
	v_cmpx_ne_u16_e32 0, v18
	s_cbranch_execz .LBB39_2129
; %bb.2126:
	v_sub_nc_u16 v5, 0, v18
	s_delay_alu instid0(VALU_DEP_1) | instskip(SKIP_1) | instid1(VALU_DEP_2)
	v_max_i16 v7, v18, v5
	v_and_b32_e32 v5, 0xffff, v3
	v_and_b32_e32 v7, 0xffff, v7
.LBB39_2127:                            ; =>This Inner Loop Header: Depth=1
	s_delay_alu instid0(VALU_DEP_1) | instskip(NEXT) | instid1(VALU_DEP_2)
	v_mov_b32_e32 v3, v7
	v_bfe_i32 v11, v5, 0, 16
	s_delay_alu instid0(VALU_DEP_2) | instskip(NEXT) | instid1(VALU_DEP_2)
	v_bfe_i32 v7, v3, 0, 16
	v_cvt_f32_i32_e32 v15, v11
	s_delay_alu instid0(VALU_DEP_2) | instskip(SKIP_1) | instid1(VALU_DEP_2)
	v_cvt_f32_i32_e32 v9, v7
	v_xor_b32_e32 v7, v11, v7
	v_rcp_iflag_f32_e32 v13, v9
	v_nop
	s_delay_alu instid0(TRANS32_DEP_1) | instskip(NEXT) | instid1(VALU_DEP_1)
	v_mul_f32_e32 v11, v15, v13
	v_trunc_f32_e32 v11, v11
	s_delay_alu instid0(VALU_DEP_1) | instskip(SKIP_1) | instid1(VALU_DEP_2)
	v_dual_fma_f32 v13, -v11, v9, v15 :: v_dual_ashrrev_i32 v7, 30, v7
	v_cvt_i32_f32_e32 v11, v11
	v_cmp_ge_f32_e64 vcc_lo, |v13|, |v9|
	s_delay_alu instid0(VALU_DEP_3) | instskip(NEXT) | instid1(VALU_DEP_1)
	v_or_b32_e32 v7, 1, v7
	v_cndmask_b32_e32 v7, 0, v7, vcc_lo
	s_delay_alu instid0(VALU_DEP_1) | instskip(NEXT) | instid1(VALU_DEP_1)
	v_add_nc_u32_e32 v7, v11, v7
	v_mul_lo_u32 v7, v7, v3
	s_delay_alu instid0(VALU_DEP_1) | instskip(NEXT) | instid1(VALU_DEP_1)
	v_sub_nc_u32_e32 v7, v5, v7
	v_and_b32_e32 v5, 0xffff, v7
	v_bfe_i32 v7, v7, 0, 16
	s_delay_alu instid0(VALU_DEP_2) | instskip(SKIP_2) | instid1(SALU_CYCLE_1)
	v_cmp_eq_u32_e32 vcc_lo, 0, v5
	v_mov_b32_e32 v5, v3
	s_or_b32 s14, vcc_lo, s14
	s_and_not1_b32 exec_lo, exec_lo, s14
	s_cbranch_execnz .LBB39_2127
; %bb.2128:
	s_or_b32 exec_lo, exec_lo, s14
.LBB39_2129:
	s_delay_alu instid0(SALU_CYCLE_1) | instskip(SKIP_2) | instid1(VALU_DEP_1)
	s_or_b32 exec_lo, exec_lo, s13
	v_mov_b32_e32 v15, 0
	s_cmp_lt_i32 s11, 11
	v_add_nc_u64_e32 v[16:17], s[6:7], v[14:15]
	s_cbranch_scc1 .LBB39_2136
; %bb.2130:
	s_cmp_gt_i32 s11, 25
	s_mov_b32 s14, 0
	s_cbranch_scc0 .LBB39_2137
; %bb.2131:
	s_cmp_gt_i32 s11, 28
	s_cbranch_scc0 .LBB39_2138
; %bb.2132:
	s_cmp_gt_i32 s11, 43
	;; [unrolled: 3-line block ×3, first 2 shown]
	s_cbranch_scc0 .LBB39_2141
; %bb.2134:
	s_cmp_eq_u32 s11, 46
	s_mov_b32 s16, 0
	s_cbranch_scc0 .LBB39_2142
; %bb.2135:
	global_load_b32 v5, v[16:17], off
	s_mov_b32 s13, 0
	s_mov_b32 s15, -1
	s_wait_loadcnt 0x0
	v_lshlrev_b32_e32 v5, 16, v5
	s_delay_alu instid0(VALU_DEP_1)
	v_cvt_i32_f32_e32 v14, v5
	s_branch .LBB39_2144
.LBB39_2136:
	s_mov_b32 s13, -1
	s_mov_b32 s15, 0
                                        ; implicit-def: $vgpr14
	s_branch .LBB39_2206
.LBB39_2137:
	s_mov_b32 s16, -1
	s_mov_b32 s15, 0
	s_mov_b32 s13, 0
                                        ; implicit-def: $vgpr14
	s_branch .LBB39_2171
.LBB39_2138:
	s_mov_b32 s16, -1
	s_mov_b32 s15, 0
	s_mov_b32 s13, 0
                                        ; implicit-def: $vgpr14
	s_branch .LBB39_2154
.LBB39_2139:
	s_mov_b32 s16, -1
	s_mov_b32 s15, 0
	s_mov_b32 s13, 0
                                        ; implicit-def: $vgpr14
	s_branch .LBB39_2149
.LBB39_2140:
	s_or_b32 s10, s10, exec_lo
	s_trap 2
	s_cbranch_execz .LBB39_2073
	s_branch .LBB39_2074
.LBB39_2141:
	s_mov_b32 s16, -1
	s_mov_b32 s15, 0
	s_mov_b32 s13, 0
	s_branch .LBB39_2143
.LBB39_2142:
	s_mov_b32 s13, -1
	s_mov_b32 s15, 0
.LBB39_2143:
                                        ; implicit-def: $vgpr14
.LBB39_2144:
	s_and_b32 vcc_lo, exec_lo, s16
	s_cbranch_vccz .LBB39_2148
; %bb.2145:
	s_cmp_eq_u32 s11, 44
	s_cbranch_scc0 .LBB39_2147
; %bb.2146:
	global_load_u8 v5, v[16:17], off
	s_mov_b32 s13, 0
	s_mov_b32 s15, -1
	s_wait_loadcnt 0x0
	v_lshlrev_b32_e32 v7, 23, v5
	v_cmp_ne_u32_e32 vcc_lo, 0, v5
	s_delay_alu instid0(VALU_DEP_2) | instskip(NEXT) | instid1(VALU_DEP_1)
	v_cvt_i32_f32_e32 v7, v7
	v_cndmask_b32_e32 v14, 0, v7, vcc_lo
	s_branch .LBB39_2148
.LBB39_2147:
	s_mov_b32 s13, -1
                                        ; implicit-def: $vgpr14
.LBB39_2148:
	s_mov_b32 s16, 0
.LBB39_2149:
	s_delay_alu instid0(SALU_CYCLE_1)
	s_and_b32 vcc_lo, exec_lo, s16
	s_cbranch_vccz .LBB39_2153
; %bb.2150:
	s_cmp_eq_u32 s11, 29
	s_cbranch_scc0 .LBB39_2152
; %bb.2151:
	global_load_b64 v[14:15], v[16:17], off
	s_mov_b32 s13, 0
	s_mov_b32 s15, -1
	s_branch .LBB39_2153
.LBB39_2152:
	s_mov_b32 s13, -1
                                        ; implicit-def: $vgpr14
.LBB39_2153:
	s_mov_b32 s16, 0
.LBB39_2154:
	s_delay_alu instid0(SALU_CYCLE_1)
	s_and_b32 vcc_lo, exec_lo, s16
	s_cbranch_vccz .LBB39_2170
; %bb.2155:
	s_cmp_lt_i32 s11, 27
	s_cbranch_scc1 .LBB39_2158
; %bb.2156:
	s_cmp_gt_i32 s11, 27
	s_cbranch_scc0 .LBB39_2159
; %bb.2157:
	s_wait_loadcnt 0x0
	global_load_b32 v14, v[16:17], off
	s_mov_b32 s15, 0
	s_branch .LBB39_2160
.LBB39_2158:
	s_mov_b32 s15, -1
                                        ; implicit-def: $vgpr14
	s_branch .LBB39_2163
.LBB39_2159:
	s_mov_b32 s15, -1
                                        ; implicit-def: $vgpr14
.LBB39_2160:
	s_delay_alu instid0(SALU_CYCLE_1)
	s_and_not1_b32 vcc_lo, exec_lo, s15
	s_cbranch_vccnz .LBB39_2162
; %bb.2161:
	s_wait_loadcnt 0x0
	global_load_u16 v14, v[16:17], off
.LBB39_2162:
	s_mov_b32 s15, 0
.LBB39_2163:
	s_delay_alu instid0(SALU_CYCLE_1)
	s_and_not1_b32 vcc_lo, exec_lo, s15
	s_cbranch_vccnz .LBB39_2169
; %bb.2164:
	global_load_u8 v5, v[16:17], off
	s_mov_b32 s16, 0
	s_mov_b32 s15, exec_lo
	s_wait_loadcnt 0x0
	v_cmpx_lt_i16_e32 0x7f, v5
	s_xor_b32 s15, exec_lo, s15
	s_cbranch_execz .LBB39_2181
; %bb.2165:
	v_cmp_ne_u16_e32 vcc_lo, 0x80, v5
	s_and_b32 s16, vcc_lo, exec_lo
	s_and_not1_saveexec_b32 s15, s15
	s_cbranch_execnz .LBB39_2182
.LBB39_2166:
	s_or_b32 exec_lo, exec_lo, s15
	v_mov_b32_e32 v14, 0
	s_and_saveexec_b32 s15, s16
	s_cbranch_execz .LBB39_2168
.LBB39_2167:
	v_and_b32_e32 v7, 0xffff, v5
	s_delay_alu instid0(VALU_DEP_1) | instskip(SKIP_1) | instid1(VALU_DEP_2)
	v_dual_lshlrev_b32 v5, 24, v5 :: v_dual_bitop2_b32 v9, 7, v7 bitop3:0x40
	v_bfe_u32 v14, v7, 3, 4
	v_and_b32_e32 v5, 0x80000000, v5
	s_delay_alu instid0(VALU_DEP_3) | instskip(NEXT) | instid1(VALU_DEP_3)
	v_clz_i32_u32_e32 v11, v9
	v_cmp_eq_u32_e32 vcc_lo, 0, v14
	s_delay_alu instid0(VALU_DEP_2) | instskip(NEXT) | instid1(VALU_DEP_1)
	v_min_u32_e32 v11, 32, v11
	v_subrev_nc_u32_e32 v13, 28, v11
	v_sub_nc_u32_e32 v11, 29, v11
	s_delay_alu instid0(VALU_DEP_2) | instskip(NEXT) | instid1(VALU_DEP_2)
	v_lshlrev_b32_e32 v7, v13, v7
	v_cndmask_b32_e32 v11, v14, v11, vcc_lo
	s_delay_alu instid0(VALU_DEP_2) | instskip(NEXT) | instid1(VALU_DEP_1)
	v_and_b32_e32 v7, 7, v7
	v_cndmask_b32_e32 v7, v9, v7, vcc_lo
	s_delay_alu instid0(VALU_DEP_3) | instskip(NEXT) | instid1(VALU_DEP_2)
	v_lshl_add_u32 v9, v11, 23, 0x3b800000
	v_lshlrev_b32_e32 v7, 20, v7
	s_delay_alu instid0(VALU_DEP_1) | instskip(NEXT) | instid1(VALU_DEP_1)
	v_or3_b32 v5, v5, v9, v7
	v_cvt_i32_f32_e32 v14, v5
.LBB39_2168:
	s_or_b32 exec_lo, exec_lo, s15
.LBB39_2169:
	s_mov_b32 s15, -1
.LBB39_2170:
	s_mov_b32 s16, 0
.LBB39_2171:
	s_delay_alu instid0(SALU_CYCLE_1)
	s_and_b32 vcc_lo, exec_lo, s16
	s_cbranch_vccz .LBB39_2202
; %bb.2172:
	s_cmp_gt_i32 s11, 22
	s_cbranch_scc0 .LBB39_2180
; %bb.2173:
	s_cmp_lt_i32 s11, 24
	s_cbranch_scc1 .LBB39_2183
; %bb.2174:
	s_cmp_gt_i32 s11, 24
	s_cbranch_scc0 .LBB39_2184
; %bb.2175:
	global_load_u8 v5, v[16:17], off
	s_mov_b32 s15, 0
	s_mov_b32 s14, exec_lo
	s_wait_loadcnt 0x0
	v_cmpx_lt_i16_e32 0x7f, v5
	s_xor_b32 s14, exec_lo, s14
	s_cbranch_execz .LBB39_2196
; %bb.2176:
	v_cmp_ne_u16_e32 vcc_lo, 0x80, v5
	s_and_b32 s15, vcc_lo, exec_lo
	s_and_not1_saveexec_b32 s14, s14
	s_cbranch_execnz .LBB39_2197
.LBB39_2177:
	s_or_b32 exec_lo, exec_lo, s14
	v_mov_b32_e32 v14, 0
	s_and_saveexec_b32 s14, s15
	s_cbranch_execz .LBB39_2179
.LBB39_2178:
	v_and_b32_e32 v7, 0xffff, v5
	s_delay_alu instid0(VALU_DEP_1) | instskip(SKIP_1) | instid1(VALU_DEP_2)
	v_dual_lshlrev_b32 v5, 24, v5 :: v_dual_bitop2_b32 v9, 3, v7 bitop3:0x40
	v_bfe_u32 v14, v7, 2, 5
	v_and_b32_e32 v5, 0x80000000, v5
	s_delay_alu instid0(VALU_DEP_3) | instskip(NEXT) | instid1(VALU_DEP_3)
	v_clz_i32_u32_e32 v11, v9
	v_cmp_eq_u32_e32 vcc_lo, 0, v14
	s_delay_alu instid0(VALU_DEP_2) | instskip(NEXT) | instid1(VALU_DEP_1)
	v_min_u32_e32 v11, 32, v11
	v_subrev_nc_u32_e32 v13, 29, v11
	v_sub_nc_u32_e32 v11, 30, v11
	s_delay_alu instid0(VALU_DEP_2) | instskip(NEXT) | instid1(VALU_DEP_2)
	v_lshlrev_b32_e32 v7, v13, v7
	v_cndmask_b32_e32 v11, v14, v11, vcc_lo
	s_delay_alu instid0(VALU_DEP_2) | instskip(NEXT) | instid1(VALU_DEP_1)
	v_and_b32_e32 v7, 3, v7
	v_cndmask_b32_e32 v7, v9, v7, vcc_lo
	s_delay_alu instid0(VALU_DEP_3) | instskip(NEXT) | instid1(VALU_DEP_2)
	v_lshl_add_u32 v9, v11, 23, 0x37800000
	v_lshlrev_b32_e32 v7, 21, v7
	s_delay_alu instid0(VALU_DEP_1) | instskip(NEXT) | instid1(VALU_DEP_1)
	v_or3_b32 v5, v5, v9, v7
	v_cvt_i32_f32_e32 v14, v5
.LBB39_2179:
	s_or_b32 exec_lo, exec_lo, s14
	s_mov_b32 s14, 0
	s_branch .LBB39_2185
.LBB39_2180:
	s_mov_b32 s14, -1
                                        ; implicit-def: $vgpr14
	s_branch .LBB39_2191
.LBB39_2181:
	s_and_not1_saveexec_b32 s15, s15
	s_cbranch_execz .LBB39_2166
.LBB39_2182:
	v_cmp_ne_u16_e32 vcc_lo, 0, v5
	s_and_not1_b32 s16, s16, exec_lo
	s_and_b32 s17, vcc_lo, exec_lo
	s_delay_alu instid0(SALU_CYCLE_1)
	s_or_b32 s16, s16, s17
	s_or_b32 exec_lo, exec_lo, s15
	v_mov_b32_e32 v14, 0
	s_and_saveexec_b32 s15, s16
	s_cbranch_execnz .LBB39_2167
	s_branch .LBB39_2168
.LBB39_2183:
	s_mov_b32 s14, -1
                                        ; implicit-def: $vgpr14
	s_branch .LBB39_2188
.LBB39_2184:
	s_mov_b32 s14, -1
                                        ; implicit-def: $vgpr14
.LBB39_2185:
	s_delay_alu instid0(SALU_CYCLE_1)
	s_and_b32 vcc_lo, exec_lo, s14
	s_cbranch_vccz .LBB39_2187
; %bb.2186:
	global_load_u8 v5, v[16:17], off
	s_wait_loadcnt 0x0
	v_lshlrev_b32_e32 v5, 24, v5
	s_delay_alu instid0(VALU_DEP_1) | instskip(NEXT) | instid1(VALU_DEP_1)
	v_and_b32_e32 v7, 0x7f000000, v5
	v_clz_i32_u32_e32 v9, v7
	v_add_nc_u32_e32 v13, 0x1000000, v7
	v_cmp_ne_u32_e32 vcc_lo, 0, v7
	s_delay_alu instid0(VALU_DEP_3) | instskip(NEXT) | instid1(VALU_DEP_1)
	v_min_u32_e32 v9, 32, v9
	v_sub_nc_u32_e64 v9, v9, 4 clamp
	s_delay_alu instid0(VALU_DEP_1) | instskip(NEXT) | instid1(VALU_DEP_1)
	v_dual_lshlrev_b32 v11, v9, v7 :: v_dual_lshlrev_b32 v9, 23, v9
	v_lshrrev_b32_e32 v11, 4, v11
	s_delay_alu instid0(VALU_DEP_1) | instskip(SKIP_1) | instid1(VALU_DEP_2)
	v_sub_nc_u32_e32 v9, v11, v9
	v_ashrrev_i32_e32 v11, 8, v13
	v_add_nc_u32_e32 v9, 0x3c000000, v9
	s_delay_alu instid0(VALU_DEP_1) | instskip(NEXT) | instid1(VALU_DEP_1)
	v_and_or_b32 v9, 0x7f800000, v11, v9
	v_cndmask_b32_e32 v7, 0, v9, vcc_lo
	s_delay_alu instid0(VALU_DEP_1) | instskip(NEXT) | instid1(VALU_DEP_1)
	v_and_or_b32 v5, 0x80000000, v5, v7
	v_cvt_i32_f32_e32 v14, v5
.LBB39_2187:
	s_mov_b32 s14, 0
.LBB39_2188:
	s_delay_alu instid0(SALU_CYCLE_1)
	s_and_not1_b32 vcc_lo, exec_lo, s14
	s_cbranch_vccnz .LBB39_2190
; %bb.2189:
	global_load_u8 v5, v[16:17], off
	s_wait_loadcnt 0x0
	v_lshlrev_b32_e32 v7, 25, v5
	v_lshlrev_b16 v5, 8, v5
	s_delay_alu instid0(VALU_DEP_1) | instskip(SKIP_1) | instid1(VALU_DEP_2)
	v_and_or_b32 v11, 0x7f00, v5, 0.5
	v_bfe_i32 v5, v5, 0, 16
	v_add_f32_e32 v11, -0.5, v11
	v_lshrrev_b32_e32 v9, 4, v7
	v_cmp_gt_u32_e32 vcc_lo, 0x8000000, v7
	s_delay_alu instid0(VALU_DEP_2) | instskip(NEXT) | instid1(VALU_DEP_1)
	v_or_b32_e32 v9, 0x70000000, v9
	v_mul_f32_e32 v9, 0x7800000, v9
	s_delay_alu instid0(VALU_DEP_1) | instskip(NEXT) | instid1(VALU_DEP_1)
	v_cndmask_b32_e32 v7, v9, v11, vcc_lo
	v_and_or_b32 v5, 0x80000000, v5, v7
	s_delay_alu instid0(VALU_DEP_1)
	v_cvt_i32_f32_e32 v14, v5
.LBB39_2190:
	s_mov_b32 s14, 0
	s_mov_b32 s15, -1
.LBB39_2191:
	s_and_not1_b32 vcc_lo, exec_lo, s14
	s_mov_b32 s14, 0
	s_cbranch_vccnz .LBB39_2202
; %bb.2192:
	s_cmp_gt_i32 s11, 14
	s_cbranch_scc0 .LBB39_2195
; %bb.2193:
	s_cmp_eq_u32 s11, 15
	s_cbranch_scc0 .LBB39_2198
; %bb.2194:
	global_load_u16 v5, v[16:17], off
	s_mov_b32 s13, 0
	s_mov_b32 s15, -1
	s_wait_loadcnt 0x0
	v_lshlrev_b32_e32 v5, 16, v5
	s_delay_alu instid0(VALU_DEP_1)
	v_cvt_i32_f32_e32 v14, v5
	s_branch .LBB39_2200
.LBB39_2195:
	s_mov_b32 s14, -1
	s_branch .LBB39_2199
.LBB39_2196:
	s_and_not1_saveexec_b32 s14, s14
	s_cbranch_execz .LBB39_2177
.LBB39_2197:
	v_cmp_ne_u16_e32 vcc_lo, 0, v5
	s_and_not1_b32 s15, s15, exec_lo
	s_and_b32 s16, vcc_lo, exec_lo
	s_delay_alu instid0(SALU_CYCLE_1)
	s_or_b32 s15, s15, s16
	s_or_b32 exec_lo, exec_lo, s14
	v_mov_b32_e32 v14, 0
	s_and_saveexec_b32 s14, s15
	s_cbranch_execnz .LBB39_2178
	s_branch .LBB39_2179
.LBB39_2198:
	s_mov_b32 s13, -1
.LBB39_2199:
                                        ; implicit-def: $vgpr14
.LBB39_2200:
	s_and_b32 vcc_lo, exec_lo, s14
	s_mov_b32 s14, 0
	s_cbranch_vccz .LBB39_2202
; %bb.2201:
	s_cmp_lg_u32 s11, 11
	s_mov_b32 s14, -1
	s_cselect_b32 s13, -1, 0
.LBB39_2202:
	s_delay_alu instid0(SALU_CYCLE_1)
	s_and_b32 vcc_lo, exec_lo, s13
	s_cbranch_vccnz .LBB39_2267
; %bb.2203:
	s_and_not1_b32 vcc_lo, exec_lo, s14
	s_cbranch_vccnz .LBB39_2205
.LBB39_2204:
	global_load_u8 v5, v[16:17], off
	s_mov_b32 s15, -1
	s_wait_loadcnt 0x0
	v_cmp_ne_u16_e32 vcc_lo, 0, v5
	v_cndmask_b32_e64 v14, 0, 1, vcc_lo
.LBB39_2205:
	s_mov_b32 s13, 0
.LBB39_2206:
	s_delay_alu instid0(SALU_CYCLE_1)
	s_and_b32 vcc_lo, exec_lo, s13
	s_cbranch_vccz .LBB39_2255
; %bb.2207:
	s_cmp_lt_i32 s11, 5
	s_cbranch_scc1 .LBB39_2212
; %bb.2208:
	s_cmp_lt_i32 s11, 8
	s_cbranch_scc1 .LBB39_2213
	;; [unrolled: 3-line block ×3, first 2 shown]
; %bb.2210:
	s_cmp_gt_i32 s11, 9
	s_cbranch_scc0 .LBB39_2215
; %bb.2211:
	s_wait_loadcnt 0x0
	global_load_b64 v[14:15], v[16:17], off
	s_mov_b32 s13, 0
	s_wait_loadcnt 0x0
	v_cvt_i32_f64_e32 v14, v[14:15]
	s_branch .LBB39_2216
.LBB39_2212:
	s_mov_b32 s13, -1
                                        ; implicit-def: $vgpr14
	s_branch .LBB39_2234
.LBB39_2213:
	s_mov_b32 s13, -1
                                        ; implicit-def: $vgpr14
	s_branch .LBB39_2222
.LBB39_2214:
	s_mov_b32 s13, -1
                                        ; implicit-def: $vgpr14
	s_branch .LBB39_2219
.LBB39_2215:
	s_mov_b32 s13, -1
                                        ; implicit-def: $vgpr14
.LBB39_2216:
	s_delay_alu instid0(SALU_CYCLE_1)
	s_and_not1_b32 vcc_lo, exec_lo, s13
	s_cbranch_vccnz .LBB39_2218
; %bb.2217:
	global_load_b32 v5, v[16:17], off
	s_wait_loadcnt 0x0
	v_cvt_i32_f32_e32 v14, v5
.LBB39_2218:
	s_mov_b32 s13, 0
.LBB39_2219:
	s_delay_alu instid0(SALU_CYCLE_1)
	s_and_not1_b32 vcc_lo, exec_lo, s13
	s_cbranch_vccnz .LBB39_2221
; %bb.2220:
	global_load_b32 v5, v[16:17], off
	s_wait_loadcnt 0x0
	v_cvt_i16_f16_e32 v14, v5
.LBB39_2221:
	s_mov_b32 s13, 0
.LBB39_2222:
	s_delay_alu instid0(SALU_CYCLE_1)
	s_and_not1_b32 vcc_lo, exec_lo, s13
	s_cbranch_vccnz .LBB39_2233
; %bb.2223:
	s_cmp_lt_i32 s11, 6
	s_cbranch_scc1 .LBB39_2226
; %bb.2224:
	s_cmp_gt_i32 s11, 6
	s_cbranch_scc0 .LBB39_2227
; %bb.2225:
	s_wait_loadcnt 0x0
	global_load_b64 v[14:15], v[16:17], off
	s_mov_b32 s13, 0
	s_wait_loadcnt 0x0
	v_cvt_i32_f64_e32 v14, v[14:15]
	s_branch .LBB39_2228
.LBB39_2226:
	s_mov_b32 s13, -1
                                        ; implicit-def: $vgpr14
	s_branch .LBB39_2231
.LBB39_2227:
	s_mov_b32 s13, -1
                                        ; implicit-def: $vgpr14
.LBB39_2228:
	s_delay_alu instid0(SALU_CYCLE_1)
	s_and_not1_b32 vcc_lo, exec_lo, s13
	s_cbranch_vccnz .LBB39_2230
; %bb.2229:
	global_load_b32 v5, v[16:17], off
	s_wait_loadcnt 0x0
	v_cvt_i32_f32_e32 v14, v5
.LBB39_2230:
	s_mov_b32 s13, 0
.LBB39_2231:
	s_delay_alu instid0(SALU_CYCLE_1)
	s_and_not1_b32 vcc_lo, exec_lo, s13
	s_cbranch_vccnz .LBB39_2233
; %bb.2232:
	global_load_u16 v5, v[16:17], off
	s_wait_loadcnt 0x0
	v_cvt_i16_f16_e32 v14, v5
.LBB39_2233:
	s_mov_b32 s13, 0
.LBB39_2234:
	s_delay_alu instid0(SALU_CYCLE_1)
	s_and_not1_b32 vcc_lo, exec_lo, s13
	s_cbranch_vccnz .LBB39_2254
; %bb.2235:
	s_cmp_lt_i32 s11, 2
	s_cbranch_scc1 .LBB39_2239
; %bb.2236:
	s_cmp_lt_i32 s11, 3
	s_cbranch_scc1 .LBB39_2240
; %bb.2237:
	s_cmp_gt_i32 s11, 3
	s_cbranch_scc0 .LBB39_2241
; %bb.2238:
	s_wait_loadcnt 0x0
	global_load_b64 v[14:15], v[16:17], off
	s_mov_b32 s13, 0
	s_branch .LBB39_2242
.LBB39_2239:
	s_mov_b32 s13, -1
                                        ; implicit-def: $vgpr14
	s_branch .LBB39_2248
.LBB39_2240:
	s_mov_b32 s13, -1
                                        ; implicit-def: $vgpr14
	s_branch .LBB39_2245
.LBB39_2241:
	s_mov_b32 s13, -1
                                        ; implicit-def: $vgpr14
.LBB39_2242:
	s_delay_alu instid0(SALU_CYCLE_1)
	s_and_not1_b32 vcc_lo, exec_lo, s13
	s_cbranch_vccnz .LBB39_2244
; %bb.2243:
	s_wait_loadcnt 0x0
	global_load_b32 v14, v[16:17], off
.LBB39_2244:
	s_mov_b32 s13, 0
.LBB39_2245:
	s_delay_alu instid0(SALU_CYCLE_1)
	s_and_not1_b32 vcc_lo, exec_lo, s13
	s_cbranch_vccnz .LBB39_2247
; %bb.2246:
	s_wait_loadcnt 0x0
	global_load_u16 v14, v[16:17], off
.LBB39_2247:
	s_mov_b32 s13, 0
.LBB39_2248:
	s_delay_alu instid0(SALU_CYCLE_1)
	s_and_not1_b32 vcc_lo, exec_lo, s13
	s_cbranch_vccnz .LBB39_2254
; %bb.2249:
	s_cmp_gt_i32 s11, 0
	s_mov_b32 s13, 0
	s_cbranch_scc0 .LBB39_2251
; %bb.2250:
	s_wait_loadcnt 0x0
	global_load_i8 v14, v[16:17], off
	s_branch .LBB39_2252
.LBB39_2251:
	s_mov_b32 s13, -1
                                        ; implicit-def: $vgpr14
.LBB39_2252:
	s_delay_alu instid0(SALU_CYCLE_1)
	s_and_not1_b32 vcc_lo, exec_lo, s13
	s_cbranch_vccnz .LBB39_2254
; %bb.2253:
	s_wait_loadcnt 0x0
	global_load_u8 v14, v[16:17], off
.LBB39_2254:
	s_mov_b32 s15, -1
.LBB39_2255:
	s_delay_alu instid0(SALU_CYCLE_1)
	s_and_not1_b32 vcc_lo, exec_lo, s15
	s_cbranch_vccnz .LBB39_2725
; %bb.2256:
	v_mov_b32_e32 v13, 0
	s_cmp_lt_i32 s12, 11
	s_delay_alu instid0(VALU_DEP_1)
	v_add_nc_u64_e32 v[12:13], s[0:1], v[12:13]
	s_cbranch_scc1 .LBB39_2263
; %bb.2257:
	s_cmp_gt_i32 s12, 25
	s_mov_b32 s14, 0
	s_cbranch_scc0 .LBB39_2264
; %bb.2258:
	s_cmp_gt_i32 s12, 28
	s_cbranch_scc0 .LBB39_2265
; %bb.2259:
	s_cmp_gt_i32 s12, 43
	;; [unrolled: 3-line block ×3, first 2 shown]
	s_cbranch_scc0 .LBB39_2268
; %bb.2261:
	s_cmp_eq_u32 s12, 46
	s_mov_b32 s16, 0
	s_cbranch_scc0 .LBB39_2271
; %bb.2262:
	global_load_b32 v5, v[12:13], off
	s_mov_b32 s13, 0
	s_mov_b32 s15, -1
	s_wait_loadcnt 0x0
	v_lshlrev_b32_e32 v5, 16, v5
	s_wait_xcnt 0x1
	s_delay_alu instid0(VALU_DEP_1)
	v_cvt_i32_f32_e32 v16, v5
	s_branch .LBB39_2273
.LBB39_2263:
	s_mov_b32 s13, -1
	s_mov_b32 s15, 0
                                        ; implicit-def: $vgpr16
	s_branch .LBB39_2335
.LBB39_2264:
	s_mov_b32 s16, -1
	s_mov_b32 s15, 0
	s_mov_b32 s13, 0
                                        ; implicit-def: $vgpr16
	s_branch .LBB39_2300
.LBB39_2265:
	s_mov_b32 s16, -1
	s_mov_b32 s15, 0
	s_mov_b32 s13, 0
                                        ; implicit-def: $vgpr16
	s_branch .LBB39_2283
.LBB39_2266:
	s_mov_b32 s16, -1
	s_mov_b32 s15, 0
	s_mov_b32 s13, 0
                                        ; implicit-def: $vgpr16
	s_branch .LBB39_2278
.LBB39_2267:
	s_or_b32 s10, s10, exec_lo
	s_trap 2
	s_cbranch_execz .LBB39_2204
	s_branch .LBB39_2205
.LBB39_2268:
	s_mov_b32 s16, -1
	s_mov_b32 s15, 0
	s_mov_b32 s13, 0
	s_branch .LBB39_2272
.LBB39_2269:
	s_and_not1_saveexec_b32 s51, s51
	s_cbranch_execz .LBB39_1109
.LBB39_2270:
	v_add_f32_e64 v5, 0x42800000, |v4|
	s_and_not1_b32 s50, s50, exec_lo
	s_delay_alu instid0(VALU_DEP_1) | instskip(NEXT) | instid1(VALU_DEP_1)
	v_and_b32_e32 v5, 0xff, v5
	v_cmp_ne_u32_e32 vcc_lo, 0, v5
	s_and_b32 s52, vcc_lo, exec_lo
	s_delay_alu instid0(SALU_CYCLE_1)
	s_or_b32 s50, s50, s52
	s_or_b32 exec_lo, exec_lo, s51
	v_mov_b32_e32 v6, 0
	s_and_saveexec_b32 s51, s50
	s_cbranch_execnz .LBB39_1110
	s_branch .LBB39_1111
.LBB39_2271:
	s_mov_b32 s13, -1
	s_mov_b32 s15, 0
.LBB39_2272:
                                        ; implicit-def: $vgpr16
.LBB39_2273:
	s_and_b32 vcc_lo, exec_lo, s16
	s_cbranch_vccz .LBB39_2277
; %bb.2274:
	s_cmp_eq_u32 s12, 44
	s_cbranch_scc0 .LBB39_2276
; %bb.2275:
	global_load_u8 v5, v[12:13], off
	s_mov_b32 s13, 0
	s_mov_b32 s15, -1
	s_wait_loadcnt 0x0
	v_lshlrev_b32_e32 v7, 23, v5
	v_cmp_ne_u32_e32 vcc_lo, 0, v5
	s_delay_alu instid0(VALU_DEP_2) | instskip(SKIP_1) | instid1(VALU_DEP_1)
	v_cvt_i32_f32_e32 v7, v7
	s_wait_xcnt 0x1
	v_cndmask_b32_e32 v16, 0, v7, vcc_lo
	s_branch .LBB39_2277
.LBB39_2276:
	s_mov_b32 s13, -1
                                        ; implicit-def: $vgpr16
.LBB39_2277:
	s_mov_b32 s16, 0
.LBB39_2278:
	s_delay_alu instid0(SALU_CYCLE_1)
	s_and_b32 vcc_lo, exec_lo, s16
	s_cbranch_vccz .LBB39_2282
; %bb.2279:
	s_cmp_eq_u32 s12, 29
	s_cbranch_scc0 .LBB39_2281
; %bb.2280:
	global_load_b64 v[16:17], v[12:13], off
	s_mov_b32 s13, 0
	s_mov_b32 s15, -1
	s_branch .LBB39_2282
.LBB39_2281:
	s_mov_b32 s13, -1
                                        ; implicit-def: $vgpr16
.LBB39_2282:
	s_mov_b32 s16, 0
.LBB39_2283:
	s_delay_alu instid0(SALU_CYCLE_1)
	s_and_b32 vcc_lo, exec_lo, s16
	s_cbranch_vccz .LBB39_2299
; %bb.2284:
	s_cmp_lt_i32 s12, 27
	s_cbranch_scc1 .LBB39_2287
; %bb.2285:
	s_cmp_gt_i32 s12, 27
	s_cbranch_scc0 .LBB39_2288
; %bb.2286:
	s_wait_loadcnt 0x0
	global_load_b32 v16, v[12:13], off
	s_mov_b32 s15, 0
	s_branch .LBB39_2289
.LBB39_2287:
	s_mov_b32 s15, -1
                                        ; implicit-def: $vgpr16
	s_branch .LBB39_2292
.LBB39_2288:
	s_mov_b32 s15, -1
                                        ; implicit-def: $vgpr16
.LBB39_2289:
	s_delay_alu instid0(SALU_CYCLE_1)
	s_and_not1_b32 vcc_lo, exec_lo, s15
	s_cbranch_vccnz .LBB39_2291
; %bb.2290:
	s_wait_loadcnt 0x0
	global_load_u16 v16, v[12:13], off
.LBB39_2291:
	s_mov_b32 s15, 0
.LBB39_2292:
	s_delay_alu instid0(SALU_CYCLE_1)
	s_and_not1_b32 vcc_lo, exec_lo, s15
	s_cbranch_vccnz .LBB39_2298
; %bb.2293:
	global_load_u8 v5, v[12:13], off
	s_mov_b32 s16, 0
	s_mov_b32 s15, exec_lo
	s_wait_loadcnt 0x0
	v_cmpx_lt_i16_e32 0x7f, v5
	s_xor_b32 s15, exec_lo, s15
	s_cbranch_execz .LBB39_2310
; %bb.2294:
	v_cmp_ne_u16_e32 vcc_lo, 0x80, v5
	s_and_b32 s16, vcc_lo, exec_lo
	s_and_not1_saveexec_b32 s15, s15
	s_cbranch_execnz .LBB39_2311
.LBB39_2295:
	s_or_b32 exec_lo, exec_lo, s15
	v_mov_b32_e32 v16, 0
	s_and_saveexec_b32 s15, s16
	s_cbranch_execz .LBB39_2297
.LBB39_2296:
	v_and_b32_e32 v7, 0xffff, v5
	s_delay_alu instid0(VALU_DEP_1) | instskip(SKIP_1) | instid1(VALU_DEP_2)
	v_dual_lshlrev_b32 v5, 24, v5 :: v_dual_bitop2_b32 v9, 7, v7 bitop3:0x40
	v_bfe_u32 v16, v7, 3, 4
	v_and_b32_e32 v5, 0x80000000, v5
	s_delay_alu instid0(VALU_DEP_3) | instskip(NEXT) | instid1(VALU_DEP_3)
	v_clz_i32_u32_e32 v11, v9
	v_cmp_eq_u32_e32 vcc_lo, 0, v16
	s_delay_alu instid0(VALU_DEP_2) | instskip(NEXT) | instid1(VALU_DEP_1)
	v_min_u32_e32 v11, 32, v11
	v_subrev_nc_u32_e32 v15, 28, v11
	v_sub_nc_u32_e32 v11, 29, v11
	s_delay_alu instid0(VALU_DEP_2) | instskip(NEXT) | instid1(VALU_DEP_2)
	v_lshlrev_b32_e32 v7, v15, v7
	v_cndmask_b32_e32 v11, v16, v11, vcc_lo
	s_delay_alu instid0(VALU_DEP_2) | instskip(NEXT) | instid1(VALU_DEP_1)
	v_and_b32_e32 v7, 7, v7
	v_cndmask_b32_e32 v7, v9, v7, vcc_lo
	s_delay_alu instid0(VALU_DEP_3) | instskip(NEXT) | instid1(VALU_DEP_2)
	v_lshl_add_u32 v9, v11, 23, 0x3b800000
	v_lshlrev_b32_e32 v7, 20, v7
	s_delay_alu instid0(VALU_DEP_1) | instskip(NEXT) | instid1(VALU_DEP_1)
	v_or3_b32 v5, v5, v9, v7
	v_cvt_i32_f32_e32 v16, v5
.LBB39_2297:
	s_or_b32 exec_lo, exec_lo, s15
.LBB39_2298:
	s_mov_b32 s15, -1
.LBB39_2299:
	s_mov_b32 s16, 0
.LBB39_2300:
	s_delay_alu instid0(SALU_CYCLE_1)
	s_and_b32 vcc_lo, exec_lo, s16
	s_cbranch_vccz .LBB39_2331
; %bb.2301:
	s_cmp_gt_i32 s12, 22
	s_cbranch_scc0 .LBB39_2309
; %bb.2302:
	s_cmp_lt_i32 s12, 24
	s_cbranch_scc1 .LBB39_2312
; %bb.2303:
	s_cmp_gt_i32 s12, 24
	s_cbranch_scc0 .LBB39_2313
; %bb.2304:
	global_load_u8 v5, v[12:13], off
	s_mov_b32 s15, 0
	s_mov_b32 s14, exec_lo
	s_wait_loadcnt 0x0
	v_cmpx_lt_i16_e32 0x7f, v5
	s_xor_b32 s14, exec_lo, s14
	s_cbranch_execz .LBB39_2325
; %bb.2305:
	v_cmp_ne_u16_e32 vcc_lo, 0x80, v5
	s_and_b32 s15, vcc_lo, exec_lo
	s_and_not1_saveexec_b32 s14, s14
	s_cbranch_execnz .LBB39_2326
.LBB39_2306:
	s_or_b32 exec_lo, exec_lo, s14
	v_mov_b32_e32 v16, 0
	s_and_saveexec_b32 s14, s15
	s_cbranch_execz .LBB39_2308
.LBB39_2307:
	v_and_b32_e32 v7, 0xffff, v5
	s_delay_alu instid0(VALU_DEP_1) | instskip(SKIP_1) | instid1(VALU_DEP_2)
	v_dual_lshlrev_b32 v5, 24, v5 :: v_dual_bitop2_b32 v9, 3, v7 bitop3:0x40
	v_bfe_u32 v16, v7, 2, 5
	v_and_b32_e32 v5, 0x80000000, v5
	s_delay_alu instid0(VALU_DEP_3) | instskip(NEXT) | instid1(VALU_DEP_3)
	v_clz_i32_u32_e32 v11, v9
	v_cmp_eq_u32_e32 vcc_lo, 0, v16
	s_delay_alu instid0(VALU_DEP_2) | instskip(NEXT) | instid1(VALU_DEP_1)
	v_min_u32_e32 v11, 32, v11
	v_subrev_nc_u32_e32 v15, 29, v11
	v_sub_nc_u32_e32 v11, 30, v11
	s_delay_alu instid0(VALU_DEP_2) | instskip(NEXT) | instid1(VALU_DEP_2)
	v_lshlrev_b32_e32 v7, v15, v7
	v_cndmask_b32_e32 v11, v16, v11, vcc_lo
	s_delay_alu instid0(VALU_DEP_2) | instskip(NEXT) | instid1(VALU_DEP_1)
	v_and_b32_e32 v7, 3, v7
	v_cndmask_b32_e32 v7, v9, v7, vcc_lo
	s_delay_alu instid0(VALU_DEP_3) | instskip(NEXT) | instid1(VALU_DEP_2)
	v_lshl_add_u32 v9, v11, 23, 0x37800000
	v_lshlrev_b32_e32 v7, 21, v7
	s_delay_alu instid0(VALU_DEP_1) | instskip(NEXT) | instid1(VALU_DEP_1)
	v_or3_b32 v5, v5, v9, v7
	v_cvt_i32_f32_e32 v16, v5
.LBB39_2308:
	s_or_b32 exec_lo, exec_lo, s14
	s_mov_b32 s14, 0
	s_branch .LBB39_2314
.LBB39_2309:
	s_mov_b32 s14, -1
                                        ; implicit-def: $vgpr16
	s_branch .LBB39_2320
.LBB39_2310:
	s_and_not1_saveexec_b32 s15, s15
	s_cbranch_execz .LBB39_2295
.LBB39_2311:
	v_cmp_ne_u16_e32 vcc_lo, 0, v5
	s_and_not1_b32 s16, s16, exec_lo
	s_and_b32 s17, vcc_lo, exec_lo
	s_delay_alu instid0(SALU_CYCLE_1)
	s_or_b32 s16, s16, s17
	s_or_b32 exec_lo, exec_lo, s15
	v_mov_b32_e32 v16, 0
	s_and_saveexec_b32 s15, s16
	s_cbranch_execnz .LBB39_2296
	s_branch .LBB39_2297
.LBB39_2312:
	s_mov_b32 s14, -1
                                        ; implicit-def: $vgpr16
	s_branch .LBB39_2317
.LBB39_2313:
	s_mov_b32 s14, -1
                                        ; implicit-def: $vgpr16
.LBB39_2314:
	s_delay_alu instid0(SALU_CYCLE_1)
	s_and_b32 vcc_lo, exec_lo, s14
	s_cbranch_vccz .LBB39_2316
; %bb.2315:
	global_load_u8 v5, v[12:13], off
	s_wait_loadcnt 0x0
	v_lshlrev_b32_e32 v5, 24, v5
	s_delay_alu instid0(VALU_DEP_1) | instskip(NEXT) | instid1(VALU_DEP_1)
	v_and_b32_e32 v7, 0x7f000000, v5
	v_clz_i32_u32_e32 v9, v7
	v_add_nc_u32_e32 v15, 0x1000000, v7
	v_cmp_ne_u32_e32 vcc_lo, 0, v7
	s_delay_alu instid0(VALU_DEP_3) | instskip(NEXT) | instid1(VALU_DEP_1)
	v_min_u32_e32 v9, 32, v9
	v_sub_nc_u32_e64 v9, v9, 4 clamp
	s_delay_alu instid0(VALU_DEP_1) | instskip(NEXT) | instid1(VALU_DEP_1)
	v_dual_lshlrev_b32 v11, v9, v7 :: v_dual_lshlrev_b32 v9, 23, v9
	v_lshrrev_b32_e32 v11, 4, v11
	s_delay_alu instid0(VALU_DEP_1) | instskip(NEXT) | instid1(VALU_DEP_1)
	v_dual_sub_nc_u32 v9, v11, v9 :: v_dual_ashrrev_i32 v11, 8, v15
	v_add_nc_u32_e32 v9, 0x3c000000, v9
	s_delay_alu instid0(VALU_DEP_1) | instskip(NEXT) | instid1(VALU_DEP_1)
	v_and_or_b32 v9, 0x7f800000, v11, v9
	v_cndmask_b32_e32 v7, 0, v9, vcc_lo
	s_delay_alu instid0(VALU_DEP_1) | instskip(SKIP_1) | instid1(VALU_DEP_1)
	v_and_or_b32 v5, 0x80000000, v5, v7
	s_wait_xcnt 0x1
	v_cvt_i32_f32_e32 v16, v5
.LBB39_2316:
	s_mov_b32 s14, 0
.LBB39_2317:
	s_delay_alu instid0(SALU_CYCLE_1)
	s_and_not1_b32 vcc_lo, exec_lo, s14
	s_cbranch_vccnz .LBB39_2319
; %bb.2318:
	global_load_u8 v5, v[12:13], off
	s_wait_loadcnt 0x0
	v_lshlrev_b32_e32 v7, 25, v5
	v_lshlrev_b16 v5, 8, v5
	s_delay_alu instid0(VALU_DEP_1) | instskip(SKIP_1) | instid1(VALU_DEP_2)
	v_and_or_b32 v11, 0x7f00, v5, 0.5
	v_bfe_i32 v5, v5, 0, 16
	v_add_f32_e32 v11, -0.5, v11
	v_lshrrev_b32_e32 v9, 4, v7
	v_cmp_gt_u32_e32 vcc_lo, 0x8000000, v7
	s_delay_alu instid0(VALU_DEP_2) | instskip(NEXT) | instid1(VALU_DEP_1)
	v_or_b32_e32 v9, 0x70000000, v9
	v_mul_f32_e32 v9, 0x7800000, v9
	s_delay_alu instid0(VALU_DEP_1) | instskip(NEXT) | instid1(VALU_DEP_1)
	v_cndmask_b32_e32 v7, v9, v11, vcc_lo
	v_and_or_b32 v5, 0x80000000, v5, v7
	s_wait_xcnt 0x1
	s_delay_alu instid0(VALU_DEP_1)
	v_cvt_i32_f32_e32 v16, v5
.LBB39_2319:
	s_mov_b32 s14, 0
	s_mov_b32 s15, -1
.LBB39_2320:
	s_and_not1_b32 vcc_lo, exec_lo, s14
	s_mov_b32 s14, 0
	s_cbranch_vccnz .LBB39_2331
; %bb.2321:
	s_cmp_gt_i32 s12, 14
	s_cbranch_scc0 .LBB39_2324
; %bb.2322:
	s_cmp_eq_u32 s12, 15
	s_cbranch_scc0 .LBB39_2327
; %bb.2323:
	global_load_u16 v5, v[12:13], off
	s_mov_b32 s13, 0
	s_mov_b32 s15, -1
	s_wait_loadcnt 0x0
	v_lshlrev_b32_e32 v5, 16, v5
	s_wait_xcnt 0x1
	s_delay_alu instid0(VALU_DEP_1)
	v_cvt_i32_f32_e32 v16, v5
	s_branch .LBB39_2329
.LBB39_2324:
	s_mov_b32 s14, -1
	s_branch .LBB39_2328
.LBB39_2325:
	s_and_not1_saveexec_b32 s14, s14
	s_cbranch_execz .LBB39_2306
.LBB39_2326:
	v_cmp_ne_u16_e32 vcc_lo, 0, v5
	s_and_not1_b32 s15, s15, exec_lo
	s_and_b32 s16, vcc_lo, exec_lo
	s_delay_alu instid0(SALU_CYCLE_1)
	s_or_b32 s15, s15, s16
	s_or_b32 exec_lo, exec_lo, s14
	v_mov_b32_e32 v16, 0
	s_and_saveexec_b32 s14, s15
	s_cbranch_execnz .LBB39_2307
	s_branch .LBB39_2308
.LBB39_2327:
	s_mov_b32 s13, -1
.LBB39_2328:
                                        ; implicit-def: $vgpr16
.LBB39_2329:
	s_and_b32 vcc_lo, exec_lo, s14
	s_mov_b32 s14, 0
	s_cbranch_vccz .LBB39_2331
; %bb.2330:
	s_cmp_lg_u32 s12, 11
	s_mov_b32 s14, -1
	s_cselect_b32 s13, -1, 0
.LBB39_2331:
	s_delay_alu instid0(SALU_CYCLE_1)
	s_and_b32 vcc_lo, exec_lo, s13
	s_cbranch_vccnz .LBB39_2400
; %bb.2332:
	s_and_not1_b32 vcc_lo, exec_lo, s14
	s_cbranch_vccnz .LBB39_2334
.LBB39_2333:
	global_load_u8 v5, v[12:13], off
	s_mov_b32 s15, -1
	s_wait_loadcnt 0x0
	v_cmp_ne_u16_e32 vcc_lo, 0, v5
	s_wait_xcnt 0x1
	v_cndmask_b32_e64 v16, 0, 1, vcc_lo
.LBB39_2334:
	s_mov_b32 s13, 0
.LBB39_2335:
	s_delay_alu instid0(SALU_CYCLE_1)
	s_and_b32 vcc_lo, exec_lo, s13
	s_cbranch_vccz .LBB39_2384
; %bb.2336:
	s_cmp_lt_i32 s12, 5
	s_cbranch_scc1 .LBB39_2341
; %bb.2337:
	s_cmp_lt_i32 s12, 8
	s_cbranch_scc1 .LBB39_2342
	;; [unrolled: 3-line block ×3, first 2 shown]
; %bb.2339:
	s_cmp_gt_i32 s12, 9
	s_cbranch_scc0 .LBB39_2344
; %bb.2340:
	s_wait_loadcnt 0x0
	global_load_b64 v[16:17], v[12:13], off
	s_mov_b32 s13, 0
	s_wait_loadcnt 0x0
	v_cvt_i32_f64_e32 v16, v[16:17]
	s_branch .LBB39_2345
.LBB39_2341:
	s_mov_b32 s13, -1
                                        ; implicit-def: $vgpr16
	s_branch .LBB39_2363
.LBB39_2342:
	s_mov_b32 s13, -1
                                        ; implicit-def: $vgpr16
	s_branch .LBB39_2351
.LBB39_2343:
	s_mov_b32 s13, -1
                                        ; implicit-def: $vgpr16
	s_branch .LBB39_2348
.LBB39_2344:
	s_mov_b32 s13, -1
                                        ; implicit-def: $vgpr16
.LBB39_2345:
	s_delay_alu instid0(SALU_CYCLE_1)
	s_and_not1_b32 vcc_lo, exec_lo, s13
	s_cbranch_vccnz .LBB39_2347
; %bb.2346:
	global_load_b32 v5, v[12:13], off
	s_wait_loadcnt 0x0
	s_wait_xcnt 0x1
	v_cvt_i32_f32_e32 v16, v5
.LBB39_2347:
	s_mov_b32 s13, 0
.LBB39_2348:
	s_delay_alu instid0(SALU_CYCLE_1)
	s_and_not1_b32 vcc_lo, exec_lo, s13
	s_cbranch_vccnz .LBB39_2350
; %bb.2349:
	global_load_b32 v5, v[12:13], off
	s_wait_loadcnt 0x0
	s_wait_xcnt 0x1
	v_cvt_i16_f16_e32 v16, v5
.LBB39_2350:
	s_mov_b32 s13, 0
.LBB39_2351:
	s_delay_alu instid0(SALU_CYCLE_1)
	s_and_not1_b32 vcc_lo, exec_lo, s13
	s_cbranch_vccnz .LBB39_2362
; %bb.2352:
	s_cmp_lt_i32 s12, 6
	s_cbranch_scc1 .LBB39_2355
; %bb.2353:
	s_cmp_gt_i32 s12, 6
	s_cbranch_scc0 .LBB39_2356
; %bb.2354:
	s_wait_loadcnt 0x0
	global_load_b64 v[16:17], v[12:13], off
	s_mov_b32 s13, 0
	s_wait_loadcnt 0x0
	v_cvt_i32_f64_e32 v16, v[16:17]
	s_branch .LBB39_2357
.LBB39_2355:
	s_mov_b32 s13, -1
                                        ; implicit-def: $vgpr16
	s_branch .LBB39_2360
.LBB39_2356:
	s_mov_b32 s13, -1
                                        ; implicit-def: $vgpr16
.LBB39_2357:
	s_delay_alu instid0(SALU_CYCLE_1)
	s_and_not1_b32 vcc_lo, exec_lo, s13
	s_cbranch_vccnz .LBB39_2359
; %bb.2358:
	global_load_b32 v5, v[12:13], off
	s_wait_loadcnt 0x0
	s_wait_xcnt 0x1
	v_cvt_i32_f32_e32 v16, v5
.LBB39_2359:
	s_mov_b32 s13, 0
.LBB39_2360:
	s_delay_alu instid0(SALU_CYCLE_1)
	s_and_not1_b32 vcc_lo, exec_lo, s13
	s_cbranch_vccnz .LBB39_2362
; %bb.2361:
	global_load_u16 v5, v[12:13], off
	s_wait_loadcnt 0x0
	s_wait_xcnt 0x1
	v_cvt_i16_f16_e32 v16, v5
.LBB39_2362:
	s_mov_b32 s13, 0
.LBB39_2363:
	s_delay_alu instid0(SALU_CYCLE_1)
	s_and_not1_b32 vcc_lo, exec_lo, s13
	s_cbranch_vccnz .LBB39_2383
; %bb.2364:
	s_cmp_lt_i32 s12, 2
	s_cbranch_scc1 .LBB39_2368
; %bb.2365:
	s_cmp_lt_i32 s12, 3
	s_cbranch_scc1 .LBB39_2369
; %bb.2366:
	s_cmp_gt_i32 s12, 3
	s_cbranch_scc0 .LBB39_2370
; %bb.2367:
	s_wait_loadcnt 0x0
	global_load_b64 v[16:17], v[12:13], off
	s_mov_b32 s13, 0
	s_branch .LBB39_2371
.LBB39_2368:
	s_mov_b32 s13, -1
                                        ; implicit-def: $vgpr16
	s_branch .LBB39_2377
.LBB39_2369:
	s_mov_b32 s13, -1
                                        ; implicit-def: $vgpr16
	s_branch .LBB39_2374
.LBB39_2370:
	s_mov_b32 s13, -1
                                        ; implicit-def: $vgpr16
.LBB39_2371:
	s_delay_alu instid0(SALU_CYCLE_1)
	s_and_not1_b32 vcc_lo, exec_lo, s13
	s_cbranch_vccnz .LBB39_2373
; %bb.2372:
	s_wait_loadcnt 0x0
	global_load_b32 v16, v[12:13], off
.LBB39_2373:
	s_mov_b32 s13, 0
.LBB39_2374:
	s_delay_alu instid0(SALU_CYCLE_1)
	s_and_not1_b32 vcc_lo, exec_lo, s13
	s_cbranch_vccnz .LBB39_2376
; %bb.2375:
	s_wait_loadcnt 0x0
	global_load_u16 v16, v[12:13], off
.LBB39_2376:
	s_mov_b32 s13, 0
.LBB39_2377:
	s_delay_alu instid0(SALU_CYCLE_1)
	s_and_not1_b32 vcc_lo, exec_lo, s13
	s_cbranch_vccnz .LBB39_2383
; %bb.2378:
	s_cmp_gt_i32 s12, 0
	s_mov_b32 s13, 0
	s_cbranch_scc0 .LBB39_2380
; %bb.2379:
	s_wait_loadcnt 0x0
	global_load_i8 v16, v[12:13], off
	s_branch .LBB39_2381
.LBB39_2380:
	s_mov_b32 s13, -1
                                        ; implicit-def: $vgpr16
.LBB39_2381:
	s_delay_alu instid0(SALU_CYCLE_1)
	s_and_not1_b32 vcc_lo, exec_lo, s13
	s_cbranch_vccnz .LBB39_2383
; %bb.2382:
	s_wait_loadcnt 0x0
	global_load_u8 v16, v[12:13], off
.LBB39_2383:
	s_mov_b32 s15, -1
.LBB39_2384:
	s_delay_alu instid0(SALU_CYCLE_1)
	s_and_not1_b32 vcc_lo, exec_lo, s15
	s_cbranch_vccnz .LBB39_2725
; %bb.2385:
	s_wait_loadcnt 0x0
	s_delay_alu instid0(VALU_DEP_1) | instskip(SKIP_2) | instid1(VALU_DEP_1)
	v_sub_nc_u16 v5, 0, v16
	s_mov_b32 s14, 0
	s_mov_b32 s13, exec_lo
	v_max_i16 v15, v16, v5
	s_wait_xcnt 0x0
	v_cmpx_ne_u16_e32 0, v14
	s_cbranch_execz .LBB39_2389
; %bb.2386:
	v_sub_nc_u16 v5, 0, v14
	s_delay_alu instid0(VALU_DEP_1) | instskip(SKIP_1) | instid1(VALU_DEP_2)
	v_max_i16 v7, v14, v5
	v_and_b32_e32 v5, 0xffff, v15
	v_and_b32_e32 v7, 0xffff, v7
.LBB39_2387:                            ; =>This Inner Loop Header: Depth=1
	s_delay_alu instid0(VALU_DEP_1) | instskip(NEXT) | instid1(VALU_DEP_1)
	v_bfe_i32 v11, v5, 0, 16
	v_cvt_f32_i32_e32 v13, v11
	s_delay_alu instid0(VALU_DEP_3) | instskip(NEXT) | instid1(VALU_DEP_1)
	v_mov_b32_e32 v15, v7
	v_bfe_i32 v7, v15, 0, 16
	s_delay_alu instid0(VALU_DEP_1) | instskip(SKIP_1) | instid1(VALU_DEP_2)
	v_cvt_f32_i32_e32 v9, v7
	v_xor_b32_e32 v7, v11, v7
	v_rcp_iflag_f32_e32 v12, v9
	v_nop
	s_delay_alu instid0(TRANS32_DEP_1) | instskip(NEXT) | instid1(VALU_DEP_1)
	v_mul_f32_e32 v11, v13, v12
	v_trunc_f32_e32 v11, v11
	s_delay_alu instid0(VALU_DEP_1) | instskip(SKIP_1) | instid1(VALU_DEP_2)
	v_dual_fma_f32 v12, -v11, v9, v13 :: v_dual_ashrrev_i32 v7, 30, v7
	v_cvt_i32_f32_e32 v11, v11
	v_cmp_ge_f32_e64 vcc_lo, |v12|, |v9|
	s_delay_alu instid0(VALU_DEP_3) | instskip(NEXT) | instid1(VALU_DEP_1)
	v_or_b32_e32 v7, 1, v7
	v_cndmask_b32_e32 v7, 0, v7, vcc_lo
	s_delay_alu instid0(VALU_DEP_1) | instskip(NEXT) | instid1(VALU_DEP_1)
	v_add_nc_u32_e32 v7, v11, v7
	v_mul_lo_u32 v7, v7, v15
	s_delay_alu instid0(VALU_DEP_1) | instskip(NEXT) | instid1(VALU_DEP_1)
	v_sub_nc_u32_e32 v7, v5, v7
	v_and_b32_e32 v5, 0xffff, v7
	v_bfe_i32 v7, v7, 0, 16
	s_delay_alu instid0(VALU_DEP_2) | instskip(SKIP_2) | instid1(SALU_CYCLE_1)
	v_cmp_eq_u32_e32 vcc_lo, 0, v5
	v_mov_b32_e32 v5, v15
	s_or_b32 s14, vcc_lo, s14
	s_and_not1_b32 exec_lo, exec_lo, s14
	s_cbranch_execnz .LBB39_2387
; %bb.2388:
	s_or_b32 exec_lo, exec_lo, s14
.LBB39_2389:
	s_delay_alu instid0(SALU_CYCLE_1) | instskip(SKIP_2) | instid1(VALU_DEP_1)
	s_or_b32 exec_lo, exec_lo, s13
	v_mov_b32_e32 v11, 0
	s_cmp_lt_i32 s11, 11
	v_add_nc_u64_e32 v[12:13], s[6:7], v[10:11]
	s_cbranch_scc1 .LBB39_2396
; %bb.2390:
	s_cmp_gt_i32 s11, 25
	s_mov_b32 s7, 0
	s_cbranch_scc0 .LBB39_2397
; %bb.2391:
	s_cmp_gt_i32 s11, 28
	s_cbranch_scc0 .LBB39_2398
; %bb.2392:
	s_cmp_gt_i32 s11, 43
	;; [unrolled: 3-line block ×3, first 2 shown]
	s_cbranch_scc0 .LBB39_2401
; %bb.2394:
	s_cmp_eq_u32 s11, 46
	s_mov_b32 s14, 0
	s_cbranch_scc0 .LBB39_2402
; %bb.2395:
	global_load_b32 v5, v[12:13], off
	s_mov_b32 s6, 0
	s_mov_b32 s13, -1
	s_wait_loadcnt 0x0
	v_lshlrev_b32_e32 v5, 16, v5
	s_delay_alu instid0(VALU_DEP_1)
	v_cvt_i32_f32_e32 v10, v5
	s_branch .LBB39_2404
.LBB39_2396:
	s_mov_b32 s6, -1
	s_mov_b32 s13, 0
                                        ; implicit-def: $vgpr10
	s_branch .LBB39_2466
.LBB39_2397:
	s_mov_b32 s14, -1
	s_mov_b32 s13, 0
	s_mov_b32 s6, 0
                                        ; implicit-def: $vgpr10
	s_branch .LBB39_2431
.LBB39_2398:
	s_mov_b32 s14, -1
	s_mov_b32 s13, 0
	s_mov_b32 s6, 0
                                        ; implicit-def: $vgpr10
	s_branch .LBB39_2414
.LBB39_2399:
	s_mov_b32 s14, -1
	s_mov_b32 s13, 0
	s_mov_b32 s6, 0
                                        ; implicit-def: $vgpr10
	s_branch .LBB39_2409
.LBB39_2400:
	s_or_b32 s10, s10, exec_lo
	s_trap 2
	s_cbranch_execz .LBB39_2333
	s_branch .LBB39_2334
.LBB39_2401:
	s_mov_b32 s14, -1
	s_mov_b32 s13, 0
	s_mov_b32 s6, 0
	s_branch .LBB39_2403
.LBB39_2402:
	s_mov_b32 s6, -1
	s_mov_b32 s13, 0
.LBB39_2403:
                                        ; implicit-def: $vgpr10
.LBB39_2404:
	s_and_b32 vcc_lo, exec_lo, s14
	s_cbranch_vccz .LBB39_2408
; %bb.2405:
	s_cmp_eq_u32 s11, 44
	s_cbranch_scc0 .LBB39_2407
; %bb.2406:
	global_load_u8 v5, v[12:13], off
	s_mov_b32 s6, 0
	s_mov_b32 s13, -1
	s_wait_loadcnt 0x0
	v_lshlrev_b32_e32 v7, 23, v5
	v_cmp_ne_u32_e32 vcc_lo, 0, v5
	s_delay_alu instid0(VALU_DEP_2) | instskip(NEXT) | instid1(VALU_DEP_1)
	v_cvt_i32_f32_e32 v7, v7
	v_cndmask_b32_e32 v10, 0, v7, vcc_lo
	s_branch .LBB39_2408
.LBB39_2407:
	s_mov_b32 s6, -1
                                        ; implicit-def: $vgpr10
.LBB39_2408:
	s_mov_b32 s14, 0
.LBB39_2409:
	s_delay_alu instid0(SALU_CYCLE_1)
	s_and_b32 vcc_lo, exec_lo, s14
	s_cbranch_vccz .LBB39_2413
; %bb.2410:
	s_cmp_eq_u32 s11, 29
	s_cbranch_scc0 .LBB39_2412
; %bb.2411:
	global_load_b64 v[10:11], v[12:13], off
	s_mov_b32 s6, 0
	s_mov_b32 s13, -1
	s_branch .LBB39_2413
.LBB39_2412:
	s_mov_b32 s6, -1
                                        ; implicit-def: $vgpr10
.LBB39_2413:
	s_mov_b32 s14, 0
.LBB39_2414:
	s_delay_alu instid0(SALU_CYCLE_1)
	s_and_b32 vcc_lo, exec_lo, s14
	s_cbranch_vccz .LBB39_2430
; %bb.2415:
	s_cmp_lt_i32 s11, 27
	s_cbranch_scc1 .LBB39_2418
; %bb.2416:
	s_cmp_gt_i32 s11, 27
	s_cbranch_scc0 .LBB39_2419
; %bb.2417:
	s_wait_loadcnt 0x0
	global_load_b32 v10, v[12:13], off
	s_mov_b32 s13, 0
	s_branch .LBB39_2420
.LBB39_2418:
	s_mov_b32 s13, -1
                                        ; implicit-def: $vgpr10
	s_branch .LBB39_2423
.LBB39_2419:
	s_mov_b32 s13, -1
                                        ; implicit-def: $vgpr10
.LBB39_2420:
	s_delay_alu instid0(SALU_CYCLE_1)
	s_and_not1_b32 vcc_lo, exec_lo, s13
	s_cbranch_vccnz .LBB39_2422
; %bb.2421:
	s_wait_loadcnt 0x0
	global_load_u16 v10, v[12:13], off
.LBB39_2422:
	s_mov_b32 s13, 0
.LBB39_2423:
	s_delay_alu instid0(SALU_CYCLE_1)
	s_and_not1_b32 vcc_lo, exec_lo, s13
	s_cbranch_vccnz .LBB39_2429
; %bb.2424:
	global_load_u8 v5, v[12:13], off
	s_mov_b32 s14, 0
	s_mov_b32 s13, exec_lo
	s_wait_loadcnt 0x0
	v_cmpx_lt_i16_e32 0x7f, v5
	s_xor_b32 s13, exec_lo, s13
	s_cbranch_execz .LBB39_2441
; %bb.2425:
	v_cmp_ne_u16_e32 vcc_lo, 0x80, v5
	s_and_b32 s14, vcc_lo, exec_lo
	s_and_not1_saveexec_b32 s13, s13
	s_cbranch_execnz .LBB39_2442
.LBB39_2426:
	s_or_b32 exec_lo, exec_lo, s13
	v_mov_b32_e32 v10, 0
	s_and_saveexec_b32 s13, s14
	s_cbranch_execz .LBB39_2428
.LBB39_2427:
	v_and_b32_e32 v7, 0xffff, v5
	s_delay_alu instid0(VALU_DEP_1) | instskip(SKIP_1) | instid1(VALU_DEP_2)
	v_and_b32_e32 v9, 7, v7
	v_bfe_u32 v14, v7, 3, 4
	v_clz_i32_u32_e32 v10, v9
	s_delay_alu instid0(VALU_DEP_2) | instskip(NEXT) | instid1(VALU_DEP_2)
	v_cmp_eq_u32_e32 vcc_lo, 0, v14
	v_min_u32_e32 v10, 32, v10
	s_delay_alu instid0(VALU_DEP_1) | instskip(NEXT) | instid1(VALU_DEP_1)
	v_subrev_nc_u32_e32 v11, 28, v10
	v_dual_lshlrev_b32 v7, v11, v7 :: v_dual_sub_nc_u32 v10, 29, v10
	s_delay_alu instid0(VALU_DEP_1) | instskip(NEXT) | instid1(VALU_DEP_1)
	v_dual_lshlrev_b32 v5, 24, v5 :: v_dual_bitop2_b32 v7, 7, v7 bitop3:0x40
	v_dual_cndmask_b32 v10, v14, v10 :: v_dual_cndmask_b32 v7, v9, v7
	s_delay_alu instid0(VALU_DEP_2) | instskip(NEXT) | instid1(VALU_DEP_2)
	v_and_b32_e32 v5, 0x80000000, v5
	v_lshl_add_u32 v9, v10, 23, 0x3b800000
	s_delay_alu instid0(VALU_DEP_3) | instskip(NEXT) | instid1(VALU_DEP_1)
	v_lshlrev_b32_e32 v7, 20, v7
	v_or3_b32 v5, v5, v9, v7
	s_delay_alu instid0(VALU_DEP_1)
	v_cvt_i32_f32_e32 v10, v5
.LBB39_2428:
	s_or_b32 exec_lo, exec_lo, s13
.LBB39_2429:
	s_mov_b32 s13, -1
.LBB39_2430:
	s_mov_b32 s14, 0
.LBB39_2431:
	s_delay_alu instid0(SALU_CYCLE_1)
	s_and_b32 vcc_lo, exec_lo, s14
	s_cbranch_vccz .LBB39_2462
; %bb.2432:
	s_cmp_gt_i32 s11, 22
	s_cbranch_scc0 .LBB39_2440
; %bb.2433:
	s_cmp_lt_i32 s11, 24
	s_cbranch_scc1 .LBB39_2443
; %bb.2434:
	s_cmp_gt_i32 s11, 24
	s_cbranch_scc0 .LBB39_2444
; %bb.2435:
	global_load_u8 v5, v[12:13], off
	s_mov_b32 s13, 0
	s_mov_b32 s7, exec_lo
	s_wait_loadcnt 0x0
	v_cmpx_lt_i16_e32 0x7f, v5
	s_xor_b32 s7, exec_lo, s7
	s_cbranch_execz .LBB39_2456
; %bb.2436:
	v_cmp_ne_u16_e32 vcc_lo, 0x80, v5
	s_and_b32 s13, vcc_lo, exec_lo
	s_and_not1_saveexec_b32 s7, s7
	s_cbranch_execnz .LBB39_2457
.LBB39_2437:
	s_or_b32 exec_lo, exec_lo, s7
	v_mov_b32_e32 v10, 0
	s_and_saveexec_b32 s7, s13
	s_cbranch_execz .LBB39_2439
.LBB39_2438:
	v_and_b32_e32 v7, 0xffff, v5
	s_delay_alu instid0(VALU_DEP_1) | instskip(SKIP_1) | instid1(VALU_DEP_2)
	v_and_b32_e32 v9, 3, v7
	v_bfe_u32 v14, v7, 2, 5
	v_clz_i32_u32_e32 v10, v9
	s_delay_alu instid0(VALU_DEP_2) | instskip(NEXT) | instid1(VALU_DEP_2)
	v_cmp_eq_u32_e32 vcc_lo, 0, v14
	v_min_u32_e32 v10, 32, v10
	s_delay_alu instid0(VALU_DEP_1) | instskip(NEXT) | instid1(VALU_DEP_1)
	v_subrev_nc_u32_e32 v11, 29, v10
	v_dual_lshlrev_b32 v7, v11, v7 :: v_dual_sub_nc_u32 v10, 30, v10
	s_delay_alu instid0(VALU_DEP_1) | instskip(NEXT) | instid1(VALU_DEP_1)
	v_dual_lshlrev_b32 v5, 24, v5 :: v_dual_bitop2_b32 v7, 3, v7 bitop3:0x40
	v_dual_cndmask_b32 v10, v14, v10 :: v_dual_cndmask_b32 v7, v9, v7
	s_delay_alu instid0(VALU_DEP_2) | instskip(NEXT) | instid1(VALU_DEP_2)
	v_and_b32_e32 v5, 0x80000000, v5
	v_lshl_add_u32 v9, v10, 23, 0x37800000
	s_delay_alu instid0(VALU_DEP_3) | instskip(NEXT) | instid1(VALU_DEP_1)
	v_lshlrev_b32_e32 v7, 21, v7
	v_or3_b32 v5, v5, v9, v7
	s_delay_alu instid0(VALU_DEP_1)
	v_cvt_i32_f32_e32 v10, v5
.LBB39_2439:
	s_or_b32 exec_lo, exec_lo, s7
	s_mov_b32 s7, 0
	s_branch .LBB39_2445
.LBB39_2440:
	s_mov_b32 s7, -1
                                        ; implicit-def: $vgpr10
	s_branch .LBB39_2451
.LBB39_2441:
	s_and_not1_saveexec_b32 s13, s13
	s_cbranch_execz .LBB39_2426
.LBB39_2442:
	v_cmp_ne_u16_e32 vcc_lo, 0, v5
	s_and_not1_b32 s14, s14, exec_lo
	s_and_b32 s15, vcc_lo, exec_lo
	s_delay_alu instid0(SALU_CYCLE_1)
	s_or_b32 s14, s14, s15
	s_or_b32 exec_lo, exec_lo, s13
	v_mov_b32_e32 v10, 0
	s_and_saveexec_b32 s13, s14
	s_cbranch_execnz .LBB39_2427
	s_branch .LBB39_2428
.LBB39_2443:
	s_mov_b32 s7, -1
                                        ; implicit-def: $vgpr10
	s_branch .LBB39_2448
.LBB39_2444:
	s_mov_b32 s7, -1
                                        ; implicit-def: $vgpr10
.LBB39_2445:
	s_delay_alu instid0(SALU_CYCLE_1)
	s_and_b32 vcc_lo, exec_lo, s7
	s_cbranch_vccz .LBB39_2447
; %bb.2446:
	global_load_u8 v5, v[12:13], off
	s_wait_loadcnt 0x0
	v_lshlrev_b32_e32 v5, 24, v5
	s_delay_alu instid0(VALU_DEP_1) | instskip(NEXT) | instid1(VALU_DEP_1)
	v_and_b32_e32 v7, 0x7f000000, v5
	v_clz_i32_u32_e32 v9, v7
	v_add_nc_u32_e32 v11, 0x1000000, v7
	v_cmp_ne_u32_e32 vcc_lo, 0, v7
	s_delay_alu instid0(VALU_DEP_3) | instskip(NEXT) | instid1(VALU_DEP_1)
	v_min_u32_e32 v9, 32, v9
	v_sub_nc_u32_e64 v9, v9, 4 clamp
	s_delay_alu instid0(VALU_DEP_1) | instskip(NEXT) | instid1(VALU_DEP_1)
	v_dual_lshlrev_b32 v10, v9, v7 :: v_dual_lshlrev_b32 v9, 23, v9
	v_lshrrev_b32_e32 v10, 4, v10
	s_delay_alu instid0(VALU_DEP_1) | instskip(NEXT) | instid1(VALU_DEP_1)
	v_dual_sub_nc_u32 v9, v10, v9 :: v_dual_ashrrev_i32 v10, 8, v11
	v_add_nc_u32_e32 v9, 0x3c000000, v9
	s_delay_alu instid0(VALU_DEP_1) | instskip(NEXT) | instid1(VALU_DEP_1)
	v_and_or_b32 v9, 0x7f800000, v10, v9
	v_cndmask_b32_e32 v7, 0, v9, vcc_lo
	s_delay_alu instid0(VALU_DEP_1) | instskip(NEXT) | instid1(VALU_DEP_1)
	v_and_or_b32 v5, 0x80000000, v5, v7
	v_cvt_i32_f32_e32 v10, v5
.LBB39_2447:
	s_mov_b32 s7, 0
.LBB39_2448:
	s_delay_alu instid0(SALU_CYCLE_1)
	s_and_not1_b32 vcc_lo, exec_lo, s7
	s_cbranch_vccnz .LBB39_2450
; %bb.2449:
	global_load_u8 v5, v[12:13], off
	s_wait_loadcnt 0x0
	v_lshlrev_b32_e32 v7, 25, v5
	v_lshlrev_b16 v5, 8, v5
	s_delay_alu instid0(VALU_DEP_1) | instskip(SKIP_1) | instid1(VALU_DEP_2)
	v_and_or_b32 v10, 0x7f00, v5, 0.5
	v_bfe_i32 v5, v5, 0, 16
	v_dual_add_f32 v10, -0.5, v10 :: v_dual_lshrrev_b32 v9, 4, v7
	v_cmp_gt_u32_e32 vcc_lo, 0x8000000, v7
	s_delay_alu instid0(VALU_DEP_2) | instskip(NEXT) | instid1(VALU_DEP_1)
	v_or_b32_e32 v9, 0x70000000, v9
	v_mul_f32_e32 v9, 0x7800000, v9
	s_delay_alu instid0(VALU_DEP_1) | instskip(NEXT) | instid1(VALU_DEP_1)
	v_cndmask_b32_e32 v7, v9, v10, vcc_lo
	v_and_or_b32 v5, 0x80000000, v5, v7
	s_delay_alu instid0(VALU_DEP_1)
	v_cvt_i32_f32_e32 v10, v5
.LBB39_2450:
	s_mov_b32 s7, 0
	s_mov_b32 s13, -1
.LBB39_2451:
	s_and_not1_b32 vcc_lo, exec_lo, s7
	s_mov_b32 s7, 0
	s_cbranch_vccnz .LBB39_2462
; %bb.2452:
	s_cmp_gt_i32 s11, 14
	s_cbranch_scc0 .LBB39_2455
; %bb.2453:
	s_cmp_eq_u32 s11, 15
	s_cbranch_scc0 .LBB39_2458
; %bb.2454:
	global_load_u16 v5, v[12:13], off
	s_mov_b32 s6, 0
	s_mov_b32 s13, -1
	s_wait_loadcnt 0x0
	v_lshlrev_b32_e32 v5, 16, v5
	s_delay_alu instid0(VALU_DEP_1)
	v_cvt_i32_f32_e32 v10, v5
	s_branch .LBB39_2460
.LBB39_2455:
	s_mov_b32 s7, -1
	s_branch .LBB39_2459
.LBB39_2456:
	s_and_not1_saveexec_b32 s7, s7
	s_cbranch_execz .LBB39_2437
.LBB39_2457:
	v_cmp_ne_u16_e32 vcc_lo, 0, v5
	s_and_not1_b32 s13, s13, exec_lo
	s_and_b32 s14, vcc_lo, exec_lo
	s_delay_alu instid0(SALU_CYCLE_1)
	s_or_b32 s13, s13, s14
	s_or_b32 exec_lo, exec_lo, s7
	v_mov_b32_e32 v10, 0
	s_and_saveexec_b32 s7, s13
	s_cbranch_execnz .LBB39_2438
	s_branch .LBB39_2439
.LBB39_2458:
	s_mov_b32 s6, -1
.LBB39_2459:
                                        ; implicit-def: $vgpr10
.LBB39_2460:
	s_and_b32 vcc_lo, exec_lo, s7
	s_mov_b32 s7, 0
	s_cbranch_vccz .LBB39_2462
; %bb.2461:
	s_cmp_lg_u32 s11, 11
	s_mov_b32 s7, -1
	s_cselect_b32 s6, -1, 0
.LBB39_2462:
	s_delay_alu instid0(SALU_CYCLE_1)
	s_and_b32 vcc_lo, exec_lo, s6
	s_cbranch_vccnz .LBB39_2527
; %bb.2463:
	s_and_not1_b32 vcc_lo, exec_lo, s7
	s_cbranch_vccnz .LBB39_2465
.LBB39_2464:
	global_load_u8 v5, v[12:13], off
	s_mov_b32 s13, -1
	s_wait_loadcnt 0x0
	v_cmp_ne_u16_e32 vcc_lo, 0, v5
	v_cndmask_b32_e64 v10, 0, 1, vcc_lo
.LBB39_2465:
	s_mov_b32 s6, 0
.LBB39_2466:
	s_delay_alu instid0(SALU_CYCLE_1)
	s_and_b32 vcc_lo, exec_lo, s6
	s_cbranch_vccz .LBB39_2515
; %bb.2467:
	s_cmp_lt_i32 s11, 5
	s_cbranch_scc1 .LBB39_2472
; %bb.2468:
	s_cmp_lt_i32 s11, 8
	s_cbranch_scc1 .LBB39_2473
	;; [unrolled: 3-line block ×3, first 2 shown]
; %bb.2470:
	s_cmp_gt_i32 s11, 9
	s_cbranch_scc0 .LBB39_2475
; %bb.2471:
	s_wait_loadcnt 0x0
	global_load_b64 v[10:11], v[12:13], off
	s_mov_b32 s6, 0
	s_wait_loadcnt 0x0
	v_cvt_i32_f64_e32 v10, v[10:11]
	s_branch .LBB39_2476
.LBB39_2472:
	s_mov_b32 s6, -1
                                        ; implicit-def: $vgpr10
	s_branch .LBB39_2494
.LBB39_2473:
	s_mov_b32 s6, -1
                                        ; implicit-def: $vgpr10
	s_branch .LBB39_2482
.LBB39_2474:
	s_mov_b32 s6, -1
                                        ; implicit-def: $vgpr10
	s_branch .LBB39_2479
.LBB39_2475:
	s_mov_b32 s6, -1
                                        ; implicit-def: $vgpr10
.LBB39_2476:
	s_delay_alu instid0(SALU_CYCLE_1)
	s_and_not1_b32 vcc_lo, exec_lo, s6
	s_cbranch_vccnz .LBB39_2478
; %bb.2477:
	global_load_b32 v5, v[12:13], off
	s_wait_loadcnt 0x0
	v_cvt_i32_f32_e32 v10, v5
.LBB39_2478:
	s_mov_b32 s6, 0
.LBB39_2479:
	s_delay_alu instid0(SALU_CYCLE_1)
	s_and_not1_b32 vcc_lo, exec_lo, s6
	s_cbranch_vccnz .LBB39_2481
; %bb.2480:
	global_load_b32 v5, v[12:13], off
	s_wait_loadcnt 0x0
	v_cvt_i16_f16_e32 v10, v5
.LBB39_2481:
	s_mov_b32 s6, 0
.LBB39_2482:
	s_delay_alu instid0(SALU_CYCLE_1)
	s_and_not1_b32 vcc_lo, exec_lo, s6
	s_cbranch_vccnz .LBB39_2493
; %bb.2483:
	s_cmp_lt_i32 s11, 6
	s_cbranch_scc1 .LBB39_2486
; %bb.2484:
	s_cmp_gt_i32 s11, 6
	s_cbranch_scc0 .LBB39_2487
; %bb.2485:
	s_wait_loadcnt 0x0
	global_load_b64 v[10:11], v[12:13], off
	s_mov_b32 s6, 0
	s_wait_loadcnt 0x0
	v_cvt_i32_f64_e32 v10, v[10:11]
	s_branch .LBB39_2488
.LBB39_2486:
	s_mov_b32 s6, -1
                                        ; implicit-def: $vgpr10
	s_branch .LBB39_2491
.LBB39_2487:
	s_mov_b32 s6, -1
                                        ; implicit-def: $vgpr10
.LBB39_2488:
	s_delay_alu instid0(SALU_CYCLE_1)
	s_and_not1_b32 vcc_lo, exec_lo, s6
	s_cbranch_vccnz .LBB39_2490
; %bb.2489:
	global_load_b32 v5, v[12:13], off
	s_wait_loadcnt 0x0
	v_cvt_i32_f32_e32 v10, v5
.LBB39_2490:
	s_mov_b32 s6, 0
.LBB39_2491:
	s_delay_alu instid0(SALU_CYCLE_1)
	s_and_not1_b32 vcc_lo, exec_lo, s6
	s_cbranch_vccnz .LBB39_2493
; %bb.2492:
	global_load_u16 v5, v[12:13], off
	s_wait_loadcnt 0x0
	v_cvt_i16_f16_e32 v10, v5
.LBB39_2493:
	s_mov_b32 s6, 0
.LBB39_2494:
	s_delay_alu instid0(SALU_CYCLE_1)
	s_and_not1_b32 vcc_lo, exec_lo, s6
	s_cbranch_vccnz .LBB39_2514
; %bb.2495:
	s_cmp_lt_i32 s11, 2
	s_cbranch_scc1 .LBB39_2499
; %bb.2496:
	s_cmp_lt_i32 s11, 3
	s_cbranch_scc1 .LBB39_2500
; %bb.2497:
	s_cmp_gt_i32 s11, 3
	s_cbranch_scc0 .LBB39_2501
; %bb.2498:
	s_wait_loadcnt 0x0
	global_load_b64 v[10:11], v[12:13], off
	s_mov_b32 s6, 0
	s_branch .LBB39_2502
.LBB39_2499:
	s_mov_b32 s6, -1
                                        ; implicit-def: $vgpr10
	s_branch .LBB39_2508
.LBB39_2500:
	s_mov_b32 s6, -1
                                        ; implicit-def: $vgpr10
	s_branch .LBB39_2505
.LBB39_2501:
	s_mov_b32 s6, -1
                                        ; implicit-def: $vgpr10
.LBB39_2502:
	s_delay_alu instid0(SALU_CYCLE_1)
	s_and_not1_b32 vcc_lo, exec_lo, s6
	s_cbranch_vccnz .LBB39_2504
; %bb.2503:
	s_wait_loadcnt 0x0
	global_load_b32 v10, v[12:13], off
.LBB39_2504:
	s_mov_b32 s6, 0
.LBB39_2505:
	s_delay_alu instid0(SALU_CYCLE_1)
	s_and_not1_b32 vcc_lo, exec_lo, s6
	s_cbranch_vccnz .LBB39_2507
; %bb.2506:
	s_wait_loadcnt 0x0
	global_load_u16 v10, v[12:13], off
.LBB39_2507:
	s_mov_b32 s6, 0
.LBB39_2508:
	s_delay_alu instid0(SALU_CYCLE_1)
	s_and_not1_b32 vcc_lo, exec_lo, s6
	s_cbranch_vccnz .LBB39_2514
; %bb.2509:
	s_cmp_gt_i32 s11, 0
	s_mov_b32 s6, 0
	s_cbranch_scc0 .LBB39_2511
; %bb.2510:
	s_wait_loadcnt 0x0
	global_load_i8 v10, v[12:13], off
	s_branch .LBB39_2512
.LBB39_2511:
	s_mov_b32 s6, -1
                                        ; implicit-def: $vgpr10
.LBB39_2512:
	s_delay_alu instid0(SALU_CYCLE_1)
	s_and_not1_b32 vcc_lo, exec_lo, s6
	s_cbranch_vccnz .LBB39_2514
; %bb.2513:
	s_wait_loadcnt 0x0
	global_load_u8 v10, v[12:13], off
.LBB39_2514:
	s_mov_b32 s13, -1
.LBB39_2515:
	s_delay_alu instid0(SALU_CYCLE_1)
	s_and_not1_b32 vcc_lo, exec_lo, s13
	s_cbranch_vccnz .LBB39_2725
; %bb.2516:
	v_mov_b32_e32 v9, 0
	s_cmp_lt_i32 s12, 11
	s_delay_alu instid0(VALU_DEP_1)
	v_add_nc_u64_e32 v[8:9], s[0:1], v[8:9]
	s_cbranch_scc1 .LBB39_2523
; %bb.2517:
	s_cmp_gt_i32 s12, 25
	s_mov_b32 s1, 0
	s_cbranch_scc0 .LBB39_2524
; %bb.2518:
	s_cmp_gt_i32 s12, 28
	s_cbranch_scc0 .LBB39_2525
; %bb.2519:
	s_cmp_gt_i32 s12, 43
	;; [unrolled: 3-line block ×3, first 2 shown]
	s_cbranch_scc0 .LBB39_2528
; %bb.2521:
	s_cmp_eq_u32 s12, 46
	s_mov_b32 s7, 0
	s_cbranch_scc0 .LBB39_2529
; %bb.2522:
	global_load_b32 v5, v[8:9], off
	s_mov_b32 s0, 0
	s_mov_b32 s6, -1
	s_wait_loadcnt 0x0
	v_lshlrev_b32_e32 v5, 16, v5
	s_wait_xcnt 0x1
	s_delay_alu instid0(VALU_DEP_1)
	v_cvt_i32_f32_e32 v12, v5
	s_branch .LBB39_2531
.LBB39_2523:
	s_mov_b32 s0, -1
	s_mov_b32 s6, 0
                                        ; implicit-def: $vgpr12
	s_branch .LBB39_2593
.LBB39_2524:
	s_mov_b32 s7, -1
	s_mov_b32 s6, 0
	s_mov_b32 s0, 0
                                        ; implicit-def: $vgpr12
	s_branch .LBB39_2558
.LBB39_2525:
	s_mov_b32 s7, -1
	s_mov_b32 s6, 0
	s_mov_b32 s0, 0
                                        ; implicit-def: $vgpr12
	s_branch .LBB39_2541
.LBB39_2526:
	s_mov_b32 s7, -1
	s_mov_b32 s6, 0
	s_mov_b32 s0, 0
                                        ; implicit-def: $vgpr12
	s_branch .LBB39_2536
.LBB39_2527:
	s_or_b32 s10, s10, exec_lo
	s_trap 2
	s_cbranch_execz .LBB39_2464
	s_branch .LBB39_2465
.LBB39_2528:
	s_mov_b32 s7, -1
	s_mov_b32 s6, 0
	s_mov_b32 s0, 0
	s_branch .LBB39_2530
.LBB39_2529:
	s_mov_b32 s0, -1
	s_mov_b32 s6, 0
.LBB39_2530:
                                        ; implicit-def: $vgpr12
.LBB39_2531:
	s_and_b32 vcc_lo, exec_lo, s7
	s_cbranch_vccz .LBB39_2535
; %bb.2532:
	s_cmp_eq_u32 s12, 44
	s_cbranch_scc0 .LBB39_2534
; %bb.2533:
	global_load_u8 v5, v[8:9], off
	s_mov_b32 s0, 0
	s_mov_b32 s6, -1
	s_wait_loadcnt 0x0
	v_lshlrev_b32_e32 v7, 23, v5
	v_cmp_ne_u32_e32 vcc_lo, 0, v5
	s_delay_alu instid0(VALU_DEP_2) | instskip(SKIP_1) | instid1(VALU_DEP_1)
	v_cvt_i32_f32_e32 v7, v7
	s_wait_xcnt 0x1
	v_cndmask_b32_e32 v12, 0, v7, vcc_lo
	s_branch .LBB39_2535
.LBB39_2534:
	s_mov_b32 s0, -1
                                        ; implicit-def: $vgpr12
.LBB39_2535:
	s_mov_b32 s7, 0
.LBB39_2536:
	s_delay_alu instid0(SALU_CYCLE_1)
	s_and_b32 vcc_lo, exec_lo, s7
	s_cbranch_vccz .LBB39_2540
; %bb.2537:
	s_cmp_eq_u32 s12, 29
	s_cbranch_scc0 .LBB39_2539
; %bb.2538:
	global_load_b64 v[12:13], v[8:9], off
	s_mov_b32 s0, 0
	s_mov_b32 s6, -1
	s_branch .LBB39_2540
.LBB39_2539:
	s_mov_b32 s0, -1
                                        ; implicit-def: $vgpr12
.LBB39_2540:
	s_mov_b32 s7, 0
.LBB39_2541:
	s_delay_alu instid0(SALU_CYCLE_1)
	s_and_b32 vcc_lo, exec_lo, s7
	s_cbranch_vccz .LBB39_2557
; %bb.2542:
	s_cmp_lt_i32 s12, 27
	s_cbranch_scc1 .LBB39_2545
; %bb.2543:
	s_cmp_gt_i32 s12, 27
	s_cbranch_scc0 .LBB39_2546
; %bb.2544:
	s_wait_loadcnt 0x0
	global_load_b32 v12, v[8:9], off
	s_mov_b32 s6, 0
	s_branch .LBB39_2547
.LBB39_2545:
	s_mov_b32 s6, -1
                                        ; implicit-def: $vgpr12
	s_branch .LBB39_2550
.LBB39_2546:
	s_mov_b32 s6, -1
                                        ; implicit-def: $vgpr12
.LBB39_2547:
	s_delay_alu instid0(SALU_CYCLE_1)
	s_and_not1_b32 vcc_lo, exec_lo, s6
	s_cbranch_vccnz .LBB39_2549
; %bb.2548:
	s_wait_loadcnt 0x0
	global_load_u16 v12, v[8:9], off
.LBB39_2549:
	s_mov_b32 s6, 0
.LBB39_2550:
	s_delay_alu instid0(SALU_CYCLE_1)
	s_and_not1_b32 vcc_lo, exec_lo, s6
	s_cbranch_vccnz .LBB39_2556
; %bb.2551:
	global_load_u8 v5, v[8:9], off
	s_mov_b32 s7, 0
	s_mov_b32 s6, exec_lo
	s_wait_loadcnt 0x0
	v_cmpx_lt_i16_e32 0x7f, v5
	s_xor_b32 s6, exec_lo, s6
	s_cbranch_execz .LBB39_2568
; %bb.2552:
	v_cmp_ne_u16_e32 vcc_lo, 0x80, v5
	s_and_b32 s7, vcc_lo, exec_lo
	s_and_not1_saveexec_b32 s6, s6
	s_cbranch_execnz .LBB39_2569
.LBB39_2553:
	s_or_b32 exec_lo, exec_lo, s6
	v_mov_b32_e32 v12, 0
	s_and_saveexec_b32 s6, s7
	s_cbranch_execz .LBB39_2555
.LBB39_2554:
	v_and_b32_e32 v7, 0xffff, v5
	s_delay_alu instid0(VALU_DEP_1) | instskip(SKIP_1) | instid1(VALU_DEP_2)
	v_and_b32_e32 v11, 7, v7
	v_bfe_u32 v14, v7, 3, 4
	v_clz_i32_u32_e32 v12, v11
	s_delay_alu instid0(VALU_DEP_2) | instskip(NEXT) | instid1(VALU_DEP_2)
	v_cmp_eq_u32_e32 vcc_lo, 0, v14
	v_min_u32_e32 v12, 32, v12
	s_delay_alu instid0(VALU_DEP_1) | instskip(NEXT) | instid1(VALU_DEP_1)
	v_subrev_nc_u32_e32 v13, 28, v12
	v_dual_lshlrev_b32 v7, v13, v7 :: v_dual_sub_nc_u32 v12, 29, v12
	s_delay_alu instid0(VALU_DEP_1) | instskip(NEXT) | instid1(VALU_DEP_1)
	v_dual_lshlrev_b32 v5, 24, v5 :: v_dual_bitop2_b32 v7, 7, v7 bitop3:0x40
	v_dual_cndmask_b32 v12, v14, v12 :: v_dual_cndmask_b32 v7, v11, v7
	s_delay_alu instid0(VALU_DEP_2) | instskip(NEXT) | instid1(VALU_DEP_2)
	v_and_b32_e32 v5, 0x80000000, v5
	v_lshl_add_u32 v11, v12, 23, 0x3b800000
	s_delay_alu instid0(VALU_DEP_3) | instskip(NEXT) | instid1(VALU_DEP_1)
	v_lshlrev_b32_e32 v7, 20, v7
	v_or3_b32 v5, v5, v11, v7
	s_delay_alu instid0(VALU_DEP_1)
	v_cvt_i32_f32_e32 v12, v5
.LBB39_2555:
	s_or_b32 exec_lo, exec_lo, s6
.LBB39_2556:
	s_mov_b32 s6, -1
.LBB39_2557:
	s_mov_b32 s7, 0
.LBB39_2558:
	s_delay_alu instid0(SALU_CYCLE_1)
	s_and_b32 vcc_lo, exec_lo, s7
	s_cbranch_vccz .LBB39_2589
; %bb.2559:
	s_cmp_gt_i32 s12, 22
	s_cbranch_scc0 .LBB39_2567
; %bb.2560:
	s_cmp_lt_i32 s12, 24
	s_cbranch_scc1 .LBB39_2570
; %bb.2561:
	s_cmp_gt_i32 s12, 24
	s_cbranch_scc0 .LBB39_2571
; %bb.2562:
	global_load_u8 v5, v[8:9], off
	s_mov_b32 s6, 0
	s_mov_b32 s1, exec_lo
	s_wait_loadcnt 0x0
	v_cmpx_lt_i16_e32 0x7f, v5
	s_xor_b32 s1, exec_lo, s1
	s_cbranch_execz .LBB39_2583
; %bb.2563:
	v_cmp_ne_u16_e32 vcc_lo, 0x80, v5
	s_and_b32 s6, vcc_lo, exec_lo
	s_and_not1_saveexec_b32 s1, s1
	s_cbranch_execnz .LBB39_2584
.LBB39_2564:
	s_or_b32 exec_lo, exec_lo, s1
	v_mov_b32_e32 v12, 0
	s_and_saveexec_b32 s1, s6
	s_cbranch_execz .LBB39_2566
.LBB39_2565:
	v_and_b32_e32 v7, 0xffff, v5
	s_delay_alu instid0(VALU_DEP_1) | instskip(SKIP_1) | instid1(VALU_DEP_2)
	v_and_b32_e32 v11, 3, v7
	v_bfe_u32 v14, v7, 2, 5
	v_clz_i32_u32_e32 v12, v11
	s_delay_alu instid0(VALU_DEP_2) | instskip(NEXT) | instid1(VALU_DEP_2)
	v_cmp_eq_u32_e32 vcc_lo, 0, v14
	v_min_u32_e32 v12, 32, v12
	s_delay_alu instid0(VALU_DEP_1) | instskip(NEXT) | instid1(VALU_DEP_1)
	v_subrev_nc_u32_e32 v13, 29, v12
	v_dual_lshlrev_b32 v7, v13, v7 :: v_dual_sub_nc_u32 v12, 30, v12
	s_delay_alu instid0(VALU_DEP_1) | instskip(NEXT) | instid1(VALU_DEP_1)
	v_dual_lshlrev_b32 v5, 24, v5 :: v_dual_bitop2_b32 v7, 3, v7 bitop3:0x40
	v_dual_cndmask_b32 v12, v14, v12 :: v_dual_cndmask_b32 v7, v11, v7
	s_delay_alu instid0(VALU_DEP_2) | instskip(NEXT) | instid1(VALU_DEP_2)
	v_and_b32_e32 v5, 0x80000000, v5
	v_lshl_add_u32 v11, v12, 23, 0x37800000
	s_delay_alu instid0(VALU_DEP_3) | instskip(NEXT) | instid1(VALU_DEP_1)
	v_lshlrev_b32_e32 v7, 21, v7
	v_or3_b32 v5, v5, v11, v7
	s_delay_alu instid0(VALU_DEP_1)
	v_cvt_i32_f32_e32 v12, v5
.LBB39_2566:
	s_or_b32 exec_lo, exec_lo, s1
	s_mov_b32 s1, 0
	s_branch .LBB39_2572
.LBB39_2567:
	s_mov_b32 s1, -1
                                        ; implicit-def: $vgpr12
	s_branch .LBB39_2578
.LBB39_2568:
	s_and_not1_saveexec_b32 s6, s6
	s_cbranch_execz .LBB39_2553
.LBB39_2569:
	v_cmp_ne_u16_e32 vcc_lo, 0, v5
	s_and_not1_b32 s7, s7, exec_lo
	s_and_b32 s11, vcc_lo, exec_lo
	s_delay_alu instid0(SALU_CYCLE_1)
	s_or_b32 s7, s7, s11
	s_or_b32 exec_lo, exec_lo, s6
	v_mov_b32_e32 v12, 0
	s_and_saveexec_b32 s6, s7
	s_cbranch_execnz .LBB39_2554
	s_branch .LBB39_2555
.LBB39_2570:
	s_mov_b32 s1, -1
                                        ; implicit-def: $vgpr12
	s_branch .LBB39_2575
.LBB39_2571:
	s_mov_b32 s1, -1
                                        ; implicit-def: $vgpr12
.LBB39_2572:
	s_delay_alu instid0(SALU_CYCLE_1)
	s_and_b32 vcc_lo, exec_lo, s1
	s_cbranch_vccz .LBB39_2574
; %bb.2573:
	global_load_u8 v5, v[8:9], off
	s_wait_loadcnt 0x0
	v_lshlrev_b32_e32 v5, 24, v5
	s_delay_alu instid0(VALU_DEP_1) | instskip(NEXT) | instid1(VALU_DEP_1)
	v_and_b32_e32 v7, 0x7f000000, v5
	v_clz_i32_u32_e32 v11, v7
	s_wait_xcnt 0x1
	v_add_nc_u32_e32 v13, 0x1000000, v7
	v_cmp_ne_u32_e32 vcc_lo, 0, v7
	s_delay_alu instid0(VALU_DEP_3) | instskip(NEXT) | instid1(VALU_DEP_1)
	v_min_u32_e32 v11, 32, v11
	v_sub_nc_u32_e64 v11, v11, 4 clamp
	s_delay_alu instid0(VALU_DEP_1) | instskip(NEXT) | instid1(VALU_DEP_1)
	v_lshlrev_b32_e32 v12, v11, v7
	v_dual_lshlrev_b32 v11, 23, v11 :: v_dual_lshrrev_b32 v12, 4, v12
	s_delay_alu instid0(VALU_DEP_1) | instskip(NEXT) | instid1(VALU_DEP_1)
	v_dual_sub_nc_u32 v11, v12, v11 :: v_dual_ashrrev_i32 v12, 8, v13
	v_add_nc_u32_e32 v11, 0x3c000000, v11
	s_delay_alu instid0(VALU_DEP_1) | instskip(NEXT) | instid1(VALU_DEP_1)
	v_and_or_b32 v11, 0x7f800000, v12, v11
	v_cndmask_b32_e32 v7, 0, v11, vcc_lo
	s_delay_alu instid0(VALU_DEP_1) | instskip(NEXT) | instid1(VALU_DEP_1)
	v_and_or_b32 v5, 0x80000000, v5, v7
	v_cvt_i32_f32_e32 v12, v5
.LBB39_2574:
	s_mov_b32 s1, 0
.LBB39_2575:
	s_delay_alu instid0(SALU_CYCLE_1)
	s_and_not1_b32 vcc_lo, exec_lo, s1
	s_cbranch_vccnz .LBB39_2577
; %bb.2576:
	global_load_u8 v5, v[8:9], off
	s_wait_loadcnt 0x0
	v_lshlrev_b32_e32 v7, 25, v5
	v_lshlrev_b16 v5, 8, v5
	s_wait_xcnt 0x1
	s_delay_alu instid0(VALU_DEP_1) | instskip(SKIP_1) | instid1(VALU_DEP_2)
	v_and_or_b32 v12, 0x7f00, v5, 0.5
	v_bfe_i32 v5, v5, 0, 16
	v_dual_add_f32 v12, -0.5, v12 :: v_dual_lshrrev_b32 v11, 4, v7
	v_cmp_gt_u32_e32 vcc_lo, 0x8000000, v7
	s_delay_alu instid0(VALU_DEP_2) | instskip(NEXT) | instid1(VALU_DEP_1)
	v_or_b32_e32 v11, 0x70000000, v11
	v_mul_f32_e32 v11, 0x7800000, v11
	s_delay_alu instid0(VALU_DEP_1) | instskip(NEXT) | instid1(VALU_DEP_1)
	v_cndmask_b32_e32 v7, v11, v12, vcc_lo
	v_and_or_b32 v5, 0x80000000, v5, v7
	s_delay_alu instid0(VALU_DEP_1)
	v_cvt_i32_f32_e32 v12, v5
.LBB39_2577:
	s_mov_b32 s1, 0
	s_mov_b32 s6, -1
.LBB39_2578:
	s_and_not1_b32 vcc_lo, exec_lo, s1
	s_mov_b32 s1, 0
	s_cbranch_vccnz .LBB39_2589
; %bb.2579:
	s_cmp_gt_i32 s12, 14
	s_cbranch_scc0 .LBB39_2582
; %bb.2580:
	s_cmp_eq_u32 s12, 15
	s_cbranch_scc0 .LBB39_2585
; %bb.2581:
	global_load_u16 v5, v[8:9], off
	s_mov_b32 s0, 0
	s_mov_b32 s6, -1
	s_wait_loadcnt 0x0
	v_lshlrev_b32_e32 v5, 16, v5
	s_wait_xcnt 0x1
	s_delay_alu instid0(VALU_DEP_1)
	v_cvt_i32_f32_e32 v12, v5
	s_branch .LBB39_2587
.LBB39_2582:
	s_mov_b32 s1, -1
	s_branch .LBB39_2586
.LBB39_2583:
	s_and_not1_saveexec_b32 s1, s1
	s_cbranch_execz .LBB39_2564
.LBB39_2584:
	v_cmp_ne_u16_e32 vcc_lo, 0, v5
	s_and_not1_b32 s6, s6, exec_lo
	s_and_b32 s7, vcc_lo, exec_lo
	s_delay_alu instid0(SALU_CYCLE_1)
	s_or_b32 s6, s6, s7
	s_or_b32 exec_lo, exec_lo, s1
	v_mov_b32_e32 v12, 0
	s_and_saveexec_b32 s1, s6
	s_cbranch_execnz .LBB39_2565
	s_branch .LBB39_2566
.LBB39_2585:
	s_mov_b32 s0, -1
.LBB39_2586:
                                        ; implicit-def: $vgpr12
.LBB39_2587:
	s_and_b32 vcc_lo, exec_lo, s1
	s_mov_b32 s1, 0
	s_cbranch_vccz .LBB39_2589
; %bb.2588:
	s_cmp_lg_u32 s12, 11
	s_mov_b32 s1, -1
	s_cselect_b32 s0, -1, 0
.LBB39_2589:
	s_delay_alu instid0(SALU_CYCLE_1)
	s_and_b32 vcc_lo, exec_lo, s0
	s_cbranch_vccnz .LBB39_3127
; %bb.2590:
	s_and_not1_b32 vcc_lo, exec_lo, s1
	s_cbranch_vccnz .LBB39_2592
.LBB39_2591:
	global_load_u8 v5, v[8:9], off
	s_mov_b32 s6, -1
	s_wait_loadcnt 0x0
	v_cmp_ne_u16_e32 vcc_lo, 0, v5
	s_wait_xcnt 0x1
	v_cndmask_b32_e64 v12, 0, 1, vcc_lo
.LBB39_2592:
	s_mov_b32 s0, 0
.LBB39_2593:
	s_delay_alu instid0(SALU_CYCLE_1)
	s_and_b32 vcc_lo, exec_lo, s0
	s_cbranch_vccz .LBB39_2642
; %bb.2594:
	s_cmp_lt_i32 s12, 5
	s_cbranch_scc1 .LBB39_2599
; %bb.2595:
	s_cmp_lt_i32 s12, 8
	s_cbranch_scc1 .LBB39_2600
	;; [unrolled: 3-line block ×3, first 2 shown]
; %bb.2597:
	s_cmp_gt_i32 s12, 9
	s_cbranch_scc0 .LBB39_2602
; %bb.2598:
	s_wait_loadcnt 0x0
	global_load_b64 v[12:13], v[8:9], off
	s_mov_b32 s0, 0
	s_wait_loadcnt 0x0
	v_cvt_i32_f64_e32 v12, v[12:13]
	s_branch .LBB39_2603
.LBB39_2599:
	s_mov_b32 s0, -1
                                        ; implicit-def: $vgpr12
	s_branch .LBB39_2621
.LBB39_2600:
	s_mov_b32 s0, -1
                                        ; implicit-def: $vgpr12
	s_branch .LBB39_2609
.LBB39_2601:
	s_mov_b32 s0, -1
                                        ; implicit-def: $vgpr12
	s_branch .LBB39_2606
.LBB39_2602:
	s_mov_b32 s0, -1
                                        ; implicit-def: $vgpr12
.LBB39_2603:
	s_delay_alu instid0(SALU_CYCLE_1)
	s_and_not1_b32 vcc_lo, exec_lo, s0
	s_cbranch_vccnz .LBB39_2605
; %bb.2604:
	global_load_b32 v5, v[8:9], off
	s_wait_loadcnt 0x0
	s_wait_xcnt 0x1
	v_cvt_i32_f32_e32 v12, v5
.LBB39_2605:
	s_mov_b32 s0, 0
.LBB39_2606:
	s_delay_alu instid0(SALU_CYCLE_1)
	s_and_not1_b32 vcc_lo, exec_lo, s0
	s_cbranch_vccnz .LBB39_2608
; %bb.2607:
	global_load_b32 v5, v[8:9], off
	s_wait_loadcnt 0x0
	s_wait_xcnt 0x1
	v_cvt_i16_f16_e32 v12, v5
.LBB39_2608:
	s_mov_b32 s0, 0
.LBB39_2609:
	s_delay_alu instid0(SALU_CYCLE_1)
	s_and_not1_b32 vcc_lo, exec_lo, s0
	s_cbranch_vccnz .LBB39_2620
; %bb.2610:
	s_cmp_lt_i32 s12, 6
	s_cbranch_scc1 .LBB39_2613
; %bb.2611:
	s_cmp_gt_i32 s12, 6
	s_cbranch_scc0 .LBB39_2614
; %bb.2612:
	s_wait_loadcnt 0x0
	global_load_b64 v[12:13], v[8:9], off
	s_mov_b32 s0, 0
	s_wait_loadcnt 0x0
	v_cvt_i32_f64_e32 v12, v[12:13]
	s_branch .LBB39_2615
.LBB39_2613:
	s_mov_b32 s0, -1
                                        ; implicit-def: $vgpr12
	s_branch .LBB39_2618
.LBB39_2614:
	s_mov_b32 s0, -1
                                        ; implicit-def: $vgpr12
.LBB39_2615:
	s_delay_alu instid0(SALU_CYCLE_1)
	s_and_not1_b32 vcc_lo, exec_lo, s0
	s_cbranch_vccnz .LBB39_2617
; %bb.2616:
	global_load_b32 v5, v[8:9], off
	s_wait_loadcnt 0x0
	s_wait_xcnt 0x1
	v_cvt_i32_f32_e32 v12, v5
.LBB39_2617:
	s_mov_b32 s0, 0
.LBB39_2618:
	s_delay_alu instid0(SALU_CYCLE_1)
	s_and_not1_b32 vcc_lo, exec_lo, s0
	s_cbranch_vccnz .LBB39_2620
; %bb.2619:
	global_load_u16 v5, v[8:9], off
	s_wait_loadcnt 0x0
	s_wait_xcnt 0x1
	v_cvt_i16_f16_e32 v12, v5
.LBB39_2620:
	s_mov_b32 s0, 0
.LBB39_2621:
	s_delay_alu instid0(SALU_CYCLE_1)
	s_and_not1_b32 vcc_lo, exec_lo, s0
	s_cbranch_vccnz .LBB39_2641
; %bb.2622:
	s_cmp_lt_i32 s12, 2
	s_cbranch_scc1 .LBB39_2626
; %bb.2623:
	s_cmp_lt_i32 s12, 3
	s_cbranch_scc1 .LBB39_2627
; %bb.2624:
	s_cmp_gt_i32 s12, 3
	s_cbranch_scc0 .LBB39_2628
; %bb.2625:
	s_wait_loadcnt 0x0
	global_load_b64 v[12:13], v[8:9], off
	s_mov_b32 s0, 0
	s_branch .LBB39_2629
.LBB39_2626:
	s_mov_b32 s0, -1
                                        ; implicit-def: $vgpr12
	s_branch .LBB39_2635
.LBB39_2627:
	s_mov_b32 s0, -1
                                        ; implicit-def: $vgpr12
	s_branch .LBB39_2632
.LBB39_2628:
	s_mov_b32 s0, -1
                                        ; implicit-def: $vgpr12
.LBB39_2629:
	s_delay_alu instid0(SALU_CYCLE_1)
	s_and_not1_b32 vcc_lo, exec_lo, s0
	s_cbranch_vccnz .LBB39_2631
; %bb.2630:
	s_wait_loadcnt 0x0
	global_load_b32 v12, v[8:9], off
.LBB39_2631:
	s_mov_b32 s0, 0
.LBB39_2632:
	s_delay_alu instid0(SALU_CYCLE_1)
	s_and_not1_b32 vcc_lo, exec_lo, s0
	s_cbranch_vccnz .LBB39_2634
; %bb.2633:
	s_wait_loadcnt 0x0
	global_load_u16 v12, v[8:9], off
.LBB39_2634:
	s_mov_b32 s0, 0
.LBB39_2635:
	s_delay_alu instid0(SALU_CYCLE_1)
	s_and_not1_b32 vcc_lo, exec_lo, s0
	s_cbranch_vccnz .LBB39_2641
; %bb.2636:
	s_cmp_gt_i32 s12, 0
	s_mov_b32 s0, 0
	s_cbranch_scc0 .LBB39_2638
; %bb.2637:
	s_wait_loadcnt 0x0
	global_load_i8 v12, v[8:9], off
	s_branch .LBB39_2639
.LBB39_2638:
	s_mov_b32 s0, -1
                                        ; implicit-def: $vgpr12
.LBB39_2639:
	s_delay_alu instid0(SALU_CYCLE_1)
	s_and_not1_b32 vcc_lo, exec_lo, s0
	s_cbranch_vccnz .LBB39_2641
; %bb.2640:
	s_wait_loadcnt 0x0
	global_load_u8 v12, v[8:9], off
.LBB39_2641:
	s_mov_b32 s6, -1
.LBB39_2642:
	s_delay_alu instid0(SALU_CYCLE_1)
	s_and_not1_b32 vcc_lo, exec_lo, s6
	s_cbranch_vccnz .LBB39_2725
; %bb.2643:
	s_wait_loadcnt 0x0
	s_delay_alu instid0(VALU_DEP_1) | instskip(SKIP_2) | instid1(VALU_DEP_1)
	v_sub_nc_u16 v5, 0, v12
	s_mov_b32 s1, 0
	s_mov_b32 s0, exec_lo
	v_max_i16 v11, v12, v5
	s_wait_xcnt 0x0
	v_cmpx_ne_u16_e32 0, v10
	s_cbranch_execz .LBB39_2647
; %bb.2644:
	v_sub_nc_u16 v5, 0, v10
	s_delay_alu instid0(VALU_DEP_1) | instskip(SKIP_1) | instid1(VALU_DEP_2)
	v_max_i16 v7, v10, v5
	v_and_b32_e32 v5, 0xffff, v11
	v_and_b32_e32 v7, 0xffff, v7
.LBB39_2645:                            ; =>This Inner Loop Header: Depth=1
	s_delay_alu instid0(VALU_DEP_1) | instskip(NEXT) | instid1(VALU_DEP_2)
	v_bfe_i32 v9, v5, 0, 16
	v_mov_b32_e32 v11, v7
	s_delay_alu instid0(VALU_DEP_2) | instskip(NEXT) | instid1(VALU_DEP_2)
	v_cvt_f32_i32_e32 v12, v9
	v_bfe_i32 v7, v11, 0, 16
	s_delay_alu instid0(VALU_DEP_1) | instskip(SKIP_1) | instid1(VALU_DEP_2)
	v_cvt_f32_i32_e32 v8, v7
	v_xor_b32_e32 v7, v9, v7
	v_rcp_iflag_f32_e32 v10, v8
	v_nop
	s_delay_alu instid0(TRANS32_DEP_1) | instskip(NEXT) | instid1(VALU_DEP_1)
	v_dual_ashrrev_i32 v7, 30, v7 :: v_dual_mul_f32 v9, v12, v10
	v_trunc_f32_e32 v9, v9
	s_delay_alu instid0(VALU_DEP_1) | instskip(SKIP_1) | instid1(VALU_DEP_2)
	v_dual_fma_f32 v10, -v9, v8, v12 :: v_dual_bitop2_b32 v7, 1, v7 bitop3:0x54
	v_cvt_i32_f32_e32 v9, v9
	v_cmp_ge_f32_e64 vcc_lo, |v10|, |v8|
	s_delay_alu instid0(VALU_DEP_3) | instskip(NEXT) | instid1(VALU_DEP_1)
	v_cndmask_b32_e32 v7, 0, v7, vcc_lo
	v_add_nc_u32_e32 v7, v9, v7
	s_delay_alu instid0(VALU_DEP_1) | instskip(NEXT) | instid1(VALU_DEP_1)
	v_mul_lo_u32 v7, v7, v11
	v_sub_nc_u32_e32 v7, v5, v7
	s_delay_alu instid0(VALU_DEP_1) | instskip(SKIP_1) | instid1(VALU_DEP_2)
	v_and_b32_e32 v5, 0xffff, v7
	v_bfe_i32 v7, v7, 0, 16
	v_cmp_eq_u32_e32 vcc_lo, 0, v5
	v_mov_b32_e32 v5, v11
	s_or_b32 s1, vcc_lo, s1
	s_delay_alu instid0(SALU_CYCLE_1)
	s_and_not1_b32 exec_lo, exec_lo, s1
	s_cbranch_execnz .LBB39_2645
; %bb.2646:
	s_or_b32 exec_lo, exec_lo, s1
.LBB39_2647:
	s_delay_alu instid0(SALU_CYCLE_1)
	s_or_b32 exec_lo, exec_lo, s0
	v_mov_b32_e32 v7, 0
	global_load_u8 v5, v7, s[2:3] offset:417
	s_wait_xcnt 0x0
	v_add_nc_u64_e32 v[6:7], s[4:5], v[6:7]
	s_wait_loadcnt 0x0
	v_and_b32_e32 v8, 0xffff, v5
	v_readfirstlane_b32 s1, v5
	s_delay_alu instid0(VALU_DEP_2)
	v_cmp_gt_i32_e32 vcc_lo, 11, v8
	s_cbranch_vccnz .LBB39_2770
; %bb.2648:
	s_and_b32 s2, 0xffff, s1
	s_mov_b32 s7, -1
	s_mov_b32 s3, 0
	s_cmp_gt_i32 s2, 25
	s_mov_b32 s6, 0
	s_mov_b32 s0, 0
	s_cbranch_scc0 .LBB39_2681
; %bb.2649:
	s_cmp_gt_i32 s2, 28
	s_cbranch_scc0 .LBB39_2664
; %bb.2650:
	s_cmp_gt_i32 s2, 43
	;; [unrolled: 3-line block ×3, first 2 shown]
	s_cbranch_scc0 .LBB39_2654
; %bb.2652:
	s_mov_b32 s0, -1
	s_mov_b32 s7, 0
	s_cmp_eq_u32 s2, 46
	s_cbranch_scc0 .LBB39_2654
; %bb.2653:
	v_bfe_i32 v5, v1, 0, 16
	s_mov_b32 s0, 0
	s_mov_b32 s6, -1
	s_delay_alu instid0(VALU_DEP_1) | instskip(NEXT) | instid1(VALU_DEP_1)
	v_cvt_f32_i32_e32 v5, v5
	v_bfe_u32 v8, v5, 16, 1
	s_delay_alu instid0(VALU_DEP_1) | instskip(NEXT) | instid1(VALU_DEP_1)
	v_add3_u32 v5, v5, v8, 0x7fff
	v_lshrrev_b32_e32 v5, 16, v5
	global_store_b32 v[6:7], v5, off
.LBB39_2654:
	s_and_b32 vcc_lo, exec_lo, s7
	s_cbranch_vccz .LBB39_2659
; %bb.2655:
	s_cmp_eq_u32 s2, 44
	s_mov_b32 s0, -1
	s_cbranch_scc0 .LBB39_2659
; %bb.2656:
	s_wait_xcnt 0x0
	v_bfe_i32 v5, v1, 0, 16
	v_mov_b32_e32 v8, 0xff
	s_mov_b32 s6, exec_lo
	s_delay_alu instid0(VALU_DEP_2) | instskip(NEXT) | instid1(VALU_DEP_1)
	v_cvt_f32_i32_e32 v5, v5
	v_bfe_u32 v9, v5, 23, 8
	s_delay_alu instid0(VALU_DEP_1)
	v_cmpx_ne_u32_e32 0xff, v9
	s_cbranch_execz .LBB39_2658
; %bb.2657:
	v_and_b32_e32 v8, 0x400000, v5
	v_and_or_b32 v9, 0x3fffff, v5, v9
	v_lshrrev_b32_e32 v5, 23, v5
	s_delay_alu instid0(VALU_DEP_3) | instskip(NEXT) | instid1(VALU_DEP_3)
	v_cmp_ne_u32_e32 vcc_lo, 0, v8
	v_cmp_ne_u32_e64 s0, 0, v9
	s_and_b32 s0, vcc_lo, s0
	s_delay_alu instid0(SALU_CYCLE_1) | instskip(NEXT) | instid1(VALU_DEP_1)
	v_cndmask_b32_e64 v8, 0, 1, s0
	v_add_nc_u32_e32 v8, v5, v8
.LBB39_2658:
	s_or_b32 exec_lo, exec_lo, s6
	s_mov_b32 s0, 0
	s_mov_b32 s6, -1
	global_store_b8 v[6:7], v8, off
.LBB39_2659:
	s_mov_b32 s7, 0
.LBB39_2660:
	s_delay_alu instid0(SALU_CYCLE_1)
	s_and_b32 vcc_lo, exec_lo, s7
	s_cbranch_vccz .LBB39_2663
; %bb.2661:
	s_cmp_eq_u32 s2, 29
	s_mov_b32 s0, -1
	s_cbranch_scc0 .LBB39_2663
; %bb.2662:
	s_wait_xcnt 0x0
	v_bfe_i32 v8, v1, 0, 16
	s_mov_b32 s0, 0
	s_mov_b32 s6, -1
	s_delay_alu instid0(VALU_DEP_1)
	v_ashrrev_i32_e32 v9, 31, v8
	global_store_b64 v[6:7], v[8:9], off
.LBB39_2663:
	s_mov_b32 s7, 0
.LBB39_2664:
	s_delay_alu instid0(SALU_CYCLE_1)
	s_and_b32 vcc_lo, exec_lo, s7
	s_cbranch_vccz .LBB39_2680
; %bb.2665:
	s_cmp_lt_i32 s2, 27
	s_mov_b32 s6, -1
	s_cbranch_scc1 .LBB39_2671
; %bb.2666:
	s_cmp_gt_i32 s2, 27
	s_cbranch_scc0 .LBB39_2668
; %bb.2667:
	s_wait_xcnt 0x0
	v_bfe_i32 v5, v1, 0, 16
	s_mov_b32 s6, 0
	global_store_b32 v[6:7], v5, off
.LBB39_2668:
	s_and_not1_b32 vcc_lo, exec_lo, s6
	s_cbranch_vccnz .LBB39_2670
; %bb.2669:
	global_store_b16 v[6:7], v1, off
.LBB39_2670:
	s_mov_b32 s6, 0
.LBB39_2671:
	s_delay_alu instid0(SALU_CYCLE_1)
	s_and_not1_b32 vcc_lo, exec_lo, s6
	s_cbranch_vccnz .LBB39_2679
; %bb.2672:
	s_wait_xcnt 0x0
	v_bfe_i32 v5, v1, 0, 16
	v_mov_b32_e32 v9, 0x80
	s_mov_b32 s6, exec_lo
	s_delay_alu instid0(VALU_DEP_2) | instskip(NEXT) | instid1(VALU_DEP_1)
	v_cvt_f32_i32_e32 v5, v5
	v_and_b32_e32 v8, 0x7fffffff, v5
	s_delay_alu instid0(VALU_DEP_1)
	v_cmpx_gt_u32_e32 0x43800000, v8
	s_cbranch_execz .LBB39_2678
; %bb.2673:
	v_cmp_lt_u32_e32 vcc_lo, 0x3bffffff, v8
	s_mov_b32 s7, 0
                                        ; implicit-def: $vgpr8
	s_and_saveexec_b32 s11, vcc_lo
	s_delay_alu instid0(SALU_CYCLE_1)
	s_xor_b32 s11, exec_lo, s11
	s_cbranch_execz .LBB39_3128
; %bb.2674:
	v_bfe_u32 v8, v5, 20, 1
	s_mov_b32 s7, exec_lo
	s_delay_alu instid0(VALU_DEP_1) | instskip(NEXT) | instid1(VALU_DEP_1)
	v_add3_u32 v8, v5, v8, 0x487ffff
	v_lshrrev_b32_e32 v8, 20, v8
	s_and_not1_saveexec_b32 s11, s11
	s_cbranch_execnz .LBB39_3129
.LBB39_2675:
	s_or_b32 exec_lo, exec_lo, s11
	v_mov_b32_e32 v9, 0
	s_and_saveexec_b32 s11, s7
.LBB39_2676:
	v_lshrrev_b32_e32 v5, 24, v5
	s_delay_alu instid0(VALU_DEP_1)
	v_and_or_b32 v9, 0x80, v5, v8
.LBB39_2677:
	s_or_b32 exec_lo, exec_lo, s11
.LBB39_2678:
	s_delay_alu instid0(SALU_CYCLE_1)
	s_or_b32 exec_lo, exec_lo, s6
	global_store_b8 v[6:7], v9, off
.LBB39_2679:
	s_mov_b32 s6, -1
.LBB39_2680:
	s_mov_b32 s7, 0
.LBB39_2681:
	s_delay_alu instid0(SALU_CYCLE_1)
	s_and_b32 vcc_lo, exec_lo, s7
	s_cbranch_vccz .LBB39_2721
; %bb.2682:
	s_cmp_gt_i32 s2, 22
	s_mov_b32 s3, -1
	s_cbranch_scc0 .LBB39_2714
; %bb.2683:
	s_cmp_lt_i32 s2, 24
	s_cbranch_scc1 .LBB39_2703
; %bb.2684:
	s_cmp_gt_i32 s2, 24
	s_cbranch_scc0 .LBB39_2692
; %bb.2685:
	s_wait_xcnt 0x0
	v_bfe_i32 v5, v1, 0, 16
	v_mov_b32_e32 v9, 0x80
	s_mov_b32 s3, exec_lo
	s_delay_alu instid0(VALU_DEP_2) | instskip(NEXT) | instid1(VALU_DEP_1)
	v_cvt_f32_i32_e32 v5, v5
	v_and_b32_e32 v8, 0x7fffffff, v5
	s_delay_alu instid0(VALU_DEP_1)
	v_cmpx_gt_u32_e32 0x47800000, v8
	s_cbranch_execz .LBB39_2691
; %bb.2686:
	v_cmp_lt_u32_e32 vcc_lo, 0x37ffffff, v8
	s_mov_b32 s6, 0
                                        ; implicit-def: $vgpr8
	s_and_saveexec_b32 s7, vcc_lo
	s_delay_alu instid0(SALU_CYCLE_1)
	s_xor_b32 s7, exec_lo, s7
	s_cbranch_execz .LBB39_3131
; %bb.2687:
	v_bfe_u32 v8, v5, 21, 1
	s_mov_b32 s6, exec_lo
	s_delay_alu instid0(VALU_DEP_1) | instskip(NEXT) | instid1(VALU_DEP_1)
	v_add3_u32 v8, v5, v8, 0x88fffff
	v_lshrrev_b32_e32 v8, 21, v8
	s_and_not1_saveexec_b32 s7, s7
	s_cbranch_execnz .LBB39_3132
.LBB39_2688:
	s_or_b32 exec_lo, exec_lo, s7
	v_mov_b32_e32 v9, 0
	s_and_saveexec_b32 s7, s6
.LBB39_2689:
	v_lshrrev_b32_e32 v5, 24, v5
	s_delay_alu instid0(VALU_DEP_1)
	v_and_or_b32 v9, 0x80, v5, v8
.LBB39_2690:
	s_or_b32 exec_lo, exec_lo, s7
.LBB39_2691:
	s_delay_alu instid0(SALU_CYCLE_1)
	s_or_b32 exec_lo, exec_lo, s3
	s_mov_b32 s3, 0
	global_store_b8 v[6:7], v9, off
.LBB39_2692:
	s_and_b32 vcc_lo, exec_lo, s3
	s_cbranch_vccz .LBB39_2702
; %bb.2693:
	s_wait_xcnt 0x0
	v_bfe_i32 v5, v1, 0, 16
	s_mov_b32 s3, exec_lo
                                        ; implicit-def: $vgpr8
	s_delay_alu instid0(VALU_DEP_1) | instskip(NEXT) | instid1(VALU_DEP_1)
	v_cvt_f32_i32_e32 v5, v5
	v_and_b32_e32 v9, 0x7fffffff, v5
	s_delay_alu instid0(VALU_DEP_1)
	v_cmpx_gt_u32_e32 0x43f00000, v9
	s_xor_b32 s3, exec_lo, s3
	s_cbranch_execz .LBB39_2699
; %bb.2694:
	s_mov_b32 s6, exec_lo
                                        ; implicit-def: $vgpr8
	v_cmpx_lt_u32_e32 0x3c7fffff, v9
	s_xor_b32 s6, exec_lo, s6
; %bb.2695:
	v_bfe_u32 v8, v5, 20, 1
	s_delay_alu instid0(VALU_DEP_1) | instskip(NEXT) | instid1(VALU_DEP_1)
	v_add3_u32 v8, v5, v8, 0x407ffff
	v_and_b32_e32 v9, 0xff00000, v8
	v_lshrrev_b32_e32 v8, 20, v8
	s_delay_alu instid0(VALU_DEP_2) | instskip(NEXT) | instid1(VALU_DEP_2)
	v_cmp_ne_u32_e32 vcc_lo, 0x7f00000, v9
	v_cndmask_b32_e32 v8, 0x7e, v8, vcc_lo
; %bb.2696:
	s_and_not1_saveexec_b32 s6, s6
; %bb.2697:
	v_add_f32_e64 v8, 0x46800000, |v5|
; %bb.2698:
	s_or_b32 exec_lo, exec_lo, s6
                                        ; implicit-def: $vgpr9
.LBB39_2699:
	s_and_not1_saveexec_b32 s3, s3
; %bb.2700:
	v_mov_b32_e32 v8, 0x7f
	v_cmp_lt_u32_e32 vcc_lo, 0x7f800000, v9
	s_delay_alu instid0(VALU_DEP_2)
	v_cndmask_b32_e32 v8, 0x7e, v8, vcc_lo
; %bb.2701:
	s_or_b32 exec_lo, exec_lo, s3
	v_lshrrev_b32_e32 v5, 24, v5
	s_delay_alu instid0(VALU_DEP_1)
	v_and_or_b32 v5, 0x80, v5, v8
	global_store_b8 v[6:7], v5, off
.LBB39_2702:
	s_mov_b32 s3, 0
.LBB39_2703:
	s_delay_alu instid0(SALU_CYCLE_1)
	s_and_not1_b32 vcc_lo, exec_lo, s3
	s_cbranch_vccnz .LBB39_2713
; %bb.2704:
	s_wait_xcnt 0x0
	v_bfe_i32 v5, v1, 0, 16
	s_mov_b32 s3, exec_lo
                                        ; implicit-def: $vgpr8
	s_delay_alu instid0(VALU_DEP_1) | instskip(NEXT) | instid1(VALU_DEP_1)
	v_cvt_f32_i32_e32 v5, v5
	v_and_b32_e32 v9, 0x7fffffff, v5
	s_delay_alu instid0(VALU_DEP_1)
	v_cmpx_gt_u32_e32 0x47800000, v9
	s_xor_b32 s3, exec_lo, s3
	s_cbranch_execz .LBB39_2710
; %bb.2705:
	s_mov_b32 s6, exec_lo
                                        ; implicit-def: $vgpr8
	v_cmpx_lt_u32_e32 0x387fffff, v9
	s_xor_b32 s6, exec_lo, s6
; %bb.2706:
	v_bfe_u32 v8, v5, 21, 1
	s_delay_alu instid0(VALU_DEP_1) | instskip(NEXT) | instid1(VALU_DEP_1)
	v_add3_u32 v8, v5, v8, 0x80fffff
	v_lshrrev_b32_e32 v8, 21, v8
; %bb.2707:
	s_and_not1_saveexec_b32 s6, s6
; %bb.2708:
	v_add_f32_e64 v8, 0x43000000, |v5|
; %bb.2709:
	s_or_b32 exec_lo, exec_lo, s6
                                        ; implicit-def: $vgpr9
.LBB39_2710:
	s_and_not1_saveexec_b32 s3, s3
; %bb.2711:
	v_mov_b32_e32 v8, 0x7f
	v_cmp_lt_u32_e32 vcc_lo, 0x7f800000, v9
	s_delay_alu instid0(VALU_DEP_2)
	v_cndmask_b32_e32 v8, 0x7c, v8, vcc_lo
; %bb.2712:
	s_or_b32 exec_lo, exec_lo, s3
	v_lshrrev_b32_e32 v5, 24, v5
	s_delay_alu instid0(VALU_DEP_1)
	v_and_or_b32 v5, 0x80, v5, v8
	global_store_b8 v[6:7], v5, off
.LBB39_2713:
	s_mov_b32 s3, 0
	s_mov_b32 s6, -1
.LBB39_2714:
	s_and_not1_b32 vcc_lo, exec_lo, s3
	s_mov_b32 s3, 0
	s_cbranch_vccnz .LBB39_2721
; %bb.2715:
	s_cmp_gt_i32 s2, 14
	s_mov_b32 s3, -1
	s_cbranch_scc0 .LBB39_2719
; %bb.2716:
	s_cmp_eq_u32 s2, 15
	s_mov_b32 s0, -1
	s_cbranch_scc0 .LBB39_2718
; %bb.2717:
	s_wait_xcnt 0x0
	v_bfe_i32 v5, v1, 0, 16
	s_mov_b32 s0, 0
	s_mov_b32 s6, -1
	s_delay_alu instid0(VALU_DEP_1) | instskip(NEXT) | instid1(VALU_DEP_1)
	v_cvt_f32_i32_e32 v5, v5
	v_bfe_u32 v8, v5, 16, 1
	s_delay_alu instid0(VALU_DEP_1)
	v_add3_u32 v5, v5, v8, 0x7fff
	global_store_d16_hi_b16 v[6:7], v5, off
.LBB39_2718:
	s_mov_b32 s3, 0
.LBB39_2719:
	s_delay_alu instid0(SALU_CYCLE_1)
	s_and_b32 vcc_lo, exec_lo, s3
	s_mov_b32 s3, 0
	s_cbranch_vccz .LBB39_2721
; %bb.2720:
	s_cmp_lg_u32 s2, 11
	s_mov_b32 s3, -1
	s_cselect_b32 s0, -1, 0
.LBB39_2721:
	s_delay_alu instid0(SALU_CYCLE_1)
	s_and_b32 vcc_lo, exec_lo, s0
	s_cbranch_vccnz .LBB39_3130
; %bb.2722:
	s_and_not1_b32 vcc_lo, exec_lo, s3
	s_cbranch_vccnz .LBB39_2724
.LBB39_2723:
	v_cmp_ne_u16_e32 vcc_lo, 0, v1
	s_mov_b32 s6, -1
	s_wait_xcnt 0x0
	v_cndmask_b32_e64 v5, 0, 1, vcc_lo
	global_store_b8 v[6:7], v5, off
.LBB39_2724:
	s_mov_b32 s0, 0
	s_branch .LBB39_2771
.LBB39_2725:
	s_mov_b32 s0, 0
	s_wait_xcnt 0x0
	s_mov_b32 s3, 0
                                        ; implicit-def: $vgpr2_vgpr3
                                        ; implicit-def: $sgpr1
                                        ; implicit-def: $vgpr11
.LBB39_2726:
	s_and_not1_b32 s2, s8, exec_lo
	s_and_b32 s4, s10, exec_lo
	s_and_b32 s0, s0, exec_lo
	;; [unrolled: 1-line block ×3, first 2 shown]
	s_or_b32 s8, s2, s4
.LBB39_2727:
	s_wait_xcnt 0x0
	s_or_b32 exec_lo, exec_lo, s9
	s_and_saveexec_b32 s2, s8
	s_cbranch_execz .LBB39_2730
; %bb.2728:
	; divergent unreachable
	s_or_b32 exec_lo, exec_lo, s2
	s_and_saveexec_b32 s2, s28
	s_delay_alu instid0(SALU_CYCLE_1)
	s_xor_b32 s2, exec_lo, s2
	s_cbranch_execnz .LBB39_2731
.LBB39_2729:
	s_or_b32 exec_lo, exec_lo, s2
	s_and_saveexec_b32 s2, s0
	s_cbranch_execnz .LBB39_2732
	s_branch .LBB39_2769
.LBB39_2730:
	s_or_b32 exec_lo, exec_lo, s2
	s_and_saveexec_b32 s2, s28
	s_delay_alu instid0(SALU_CYCLE_1)
	s_xor_b32 s2, exec_lo, s2
	s_cbranch_execz .LBB39_2729
.LBB39_2731:
	s_wait_loadcnt 0x0
	v_cmp_ne_u16_e32 vcc_lo, 0, v11
	v_cndmask_b32_e64 v0, 0, 1, vcc_lo
	global_store_b8 v[2:3], v0, off
	s_wait_xcnt 0x0
	s_or_b32 exec_lo, exec_lo, s2
	s_and_saveexec_b32 s2, s0
	s_cbranch_execz .LBB39_2769
.LBB39_2732:
	s_sext_i32_i16 s2, s1
	s_mov_b32 s0, -1
	s_cmp_lt_i32 s2, 5
	s_cbranch_scc1 .LBB39_2753
; %bb.2733:
	s_cmp_lt_i32 s2, 8
	s_cbranch_scc1 .LBB39_2743
; %bb.2734:
	;; [unrolled: 3-line block ×3, first 2 shown]
	s_wait_loadcnt 0x0
	v_bfe_i32 v0, v11, 0, 16
	s_cmp_gt_i32 s2, 9
	s_cbranch_scc0 .LBB39_2737
; %bb.2736:
	s_delay_alu instid0(VALU_DEP_1) | instskip(SKIP_2) | instid1(VALU_DEP_1)
	v_cvt_f64_i32_e32 v[4:5], v0
	v_mov_b32_e32 v6, 0
	s_mov_b32 s0, 0
	v_mov_b32_e32 v7, v6
	global_store_b128 v[2:3], v[4:7], off
.LBB39_2737:
	s_and_not1_b32 vcc_lo, exec_lo, s0
	s_cbranch_vccnz .LBB39_2739
; %bb.2738:
	v_cvt_f32_i32_e32 v0, v0
	v_mov_b32_e32 v1, 0
	global_store_b64 v[2:3], v[0:1], off
.LBB39_2739:
	s_mov_b32 s0, 0
.LBB39_2740:
	s_delay_alu instid0(SALU_CYCLE_1)
	s_and_not1_b32 vcc_lo, exec_lo, s0
	s_cbranch_vccnz .LBB39_2742
; %bb.2741:
	s_wait_loadcnt 0x0
	v_cvt_f16_i16_e32 v0, v11
	s_delay_alu instid0(VALU_DEP_1)
	v_and_b32_e32 v0, 0xffff, v0
	global_store_b32 v[2:3], v0, off
.LBB39_2742:
	s_mov_b32 s0, 0
.LBB39_2743:
	s_delay_alu instid0(SALU_CYCLE_1)
	s_and_not1_b32 vcc_lo, exec_lo, s0
	s_cbranch_vccnz .LBB39_2752
; %bb.2744:
	s_sext_i32_i16 s2, s1
	s_mov_b32 s0, -1
	s_cmp_lt_i32 s2, 6
	s_cbranch_scc1 .LBB39_2750
; %bb.2745:
	s_wait_loadcnt 0x0
	v_bfe_i32 v0, v11, 0, 16
	s_cmp_gt_i32 s2, 6
	s_cbranch_scc0 .LBB39_2747
; %bb.2746:
	s_delay_alu instid0(VALU_DEP_1)
	v_cvt_f64_i32_e32 v[4:5], v0
	s_mov_b32 s0, 0
	global_store_b64 v[2:3], v[4:5], off
.LBB39_2747:
	s_and_not1_b32 vcc_lo, exec_lo, s0
	s_cbranch_vccnz .LBB39_2749
; %bb.2748:
	v_cvt_f32_i32_e32 v0, v0
	global_store_b32 v[2:3], v0, off
.LBB39_2749:
	s_mov_b32 s0, 0
.LBB39_2750:
	s_delay_alu instid0(SALU_CYCLE_1)
	s_and_not1_b32 vcc_lo, exec_lo, s0
	s_cbranch_vccnz .LBB39_2752
; %bb.2751:
	s_wait_loadcnt 0x0
	v_cvt_f16_i16_e32 v0, v11
	global_store_b16 v[2:3], v0, off
.LBB39_2752:
	s_mov_b32 s0, 0
.LBB39_2753:
	s_delay_alu instid0(SALU_CYCLE_1)
	s_and_not1_b32 vcc_lo, exec_lo, s0
	s_cbranch_vccnz .LBB39_2769
; %bb.2754:
	s_sext_i32_i16 s2, s1
	s_mov_b32 s0, -1
	s_cmp_lt_i32 s2, 2
	s_cbranch_scc1 .LBB39_2764
; %bb.2755:
	s_cmp_lt_i32 s2, 3
	s_cbranch_scc1 .LBB39_2761
; %bb.2756:
	s_wait_loadcnt 0x0
	v_bfe_i32 v0, v11, 0, 16
	s_cmp_gt_i32 s2, 3
	s_cbranch_scc0 .LBB39_2758
; %bb.2757:
	s_delay_alu instid0(VALU_DEP_1)
	v_ashrrev_i32_e32 v1, 31, v0
	s_mov_b32 s0, 0
	global_store_b64 v[2:3], v[0:1], off
.LBB39_2758:
	s_and_not1_b32 vcc_lo, exec_lo, s0
	s_cbranch_vccnz .LBB39_2760
; %bb.2759:
	global_store_b32 v[2:3], v0, off
.LBB39_2760:
	s_mov_b32 s0, 0
.LBB39_2761:
	s_delay_alu instid0(SALU_CYCLE_1)
	s_and_not1_b32 vcc_lo, exec_lo, s0
	s_cbranch_vccnz .LBB39_2763
; %bb.2762:
	s_wait_loadcnt 0x0
	global_store_b16 v[2:3], v11, off
.LBB39_2763:
	s_mov_b32 s0, 0
.LBB39_2764:
	s_delay_alu instid0(SALU_CYCLE_1)
	s_and_not1_b32 vcc_lo, exec_lo, s0
	s_cbranch_vccnz .LBB39_2769
; %bb.2765:
	s_sext_i32_i16 s0, s1
	s_delay_alu instid0(SALU_CYCLE_1)
	s_cmp_gt_i32 s0, 0
	s_mov_b32 s0, -1
	s_cbranch_scc0 .LBB39_2767
; %bb.2766:
	s_mov_b32 s0, 0
	s_wait_loadcnt 0x0
	global_store_b8 v[2:3], v11, off
.LBB39_2767:
	s_and_not1_b32 vcc_lo, exec_lo, s0
	s_cbranch_vccnz .LBB39_2769
; %bb.2768:
	s_wait_loadcnt 0x0
	global_store_b8 v[2:3], v11, off
	s_endpgm
.LBB39_2769:
	s_endpgm
.LBB39_2770:
	s_mov_b32 s0, -1
	s_mov_b32 s6, 0
.LBB39_2771:
	s_and_b32 vcc_lo, exec_lo, s0
	s_cbranch_vccz .LBB39_2810
; %bb.2772:
	s_and_b32 s0, 0xffff, s1
	s_mov_b32 s2, -1
	s_cmp_lt_i32 s0, 5
	s_cbranch_scc1 .LBB39_2793
; %bb.2773:
	s_cmp_lt_i32 s0, 8
	s_cbranch_scc1 .LBB39_2783
; %bb.2774:
	;; [unrolled: 3-line block ×3, first 2 shown]
	s_cmp_gt_i32 s0, 9
	s_cbranch_scc0 .LBB39_2777
; %bb.2776:
	s_wait_xcnt 0x0
	v_bfe_i32 v5, v1, 0, 16
	v_mov_b32_e32 v18, 0
	s_mov_b32 s2, 0
	s_delay_alu instid0(VALU_DEP_2) | instskip(NEXT) | instid1(VALU_DEP_2)
	v_cvt_f64_i32_e32 v[16:17], v5
	v_mov_b32_e32 v19, v18
	global_store_b128 v[6:7], v[16:19], off
.LBB39_2777:
	s_and_not1_b32 vcc_lo, exec_lo, s2
	s_cbranch_vccnz .LBB39_2779
; %bb.2778:
	s_wait_xcnt 0x0
	v_bfe_i32 v5, v1, 0, 16
	v_mov_b32_e32 v9, 0
	s_delay_alu instid0(VALU_DEP_2)
	v_cvt_f32_i32_e32 v8, v5
	global_store_b64 v[6:7], v[8:9], off
.LBB39_2779:
	s_mov_b32 s2, 0
.LBB39_2780:
	s_delay_alu instid0(SALU_CYCLE_1)
	s_and_not1_b32 vcc_lo, exec_lo, s2
	s_cbranch_vccnz .LBB39_2782
; %bb.2781:
	s_wait_xcnt 0x0
	v_cvt_f16_i16_e32 v5, v1
	s_delay_alu instid0(VALU_DEP_1)
	v_and_b32_e32 v5, 0xffff, v5
	global_store_b32 v[6:7], v5, off
.LBB39_2782:
	s_mov_b32 s2, 0
.LBB39_2783:
	s_delay_alu instid0(SALU_CYCLE_1)
	s_and_not1_b32 vcc_lo, exec_lo, s2
	s_cbranch_vccnz .LBB39_2792
; %bb.2784:
	s_cmp_lt_i32 s0, 6
	s_mov_b32 s2, -1
	s_cbranch_scc1 .LBB39_2790
; %bb.2785:
	s_cmp_gt_i32 s0, 6
	s_cbranch_scc0 .LBB39_2787
; %bb.2786:
	s_wait_xcnt 0x0
	v_bfe_i32 v5, v1, 0, 16
	s_mov_b32 s2, 0
	s_delay_alu instid0(VALU_DEP_1)
	v_cvt_f64_i32_e32 v[8:9], v5
	global_store_b64 v[6:7], v[8:9], off
.LBB39_2787:
	s_and_not1_b32 vcc_lo, exec_lo, s2
	s_cbranch_vccnz .LBB39_2789
; %bb.2788:
	s_wait_xcnt 0x0
	v_bfe_i32 v5, v1, 0, 16
	s_delay_alu instid0(VALU_DEP_1)
	v_cvt_f32_i32_e32 v5, v5
	global_store_b32 v[6:7], v5, off
.LBB39_2789:
	s_mov_b32 s2, 0
.LBB39_2790:
	s_delay_alu instid0(SALU_CYCLE_1)
	s_and_not1_b32 vcc_lo, exec_lo, s2
	s_cbranch_vccnz .LBB39_2792
; %bb.2791:
	s_wait_xcnt 0x0
	v_cvt_f16_i16_e32 v5, v1
	global_store_b16 v[6:7], v5, off
.LBB39_2792:
	s_mov_b32 s2, 0
.LBB39_2793:
	s_delay_alu instid0(SALU_CYCLE_1)
	s_and_not1_b32 vcc_lo, exec_lo, s2
	s_cbranch_vccnz .LBB39_2809
; %bb.2794:
	s_cmp_lt_i32 s0, 2
	s_mov_b32 s2, -1
	s_cbranch_scc1 .LBB39_2804
; %bb.2795:
	s_cmp_lt_i32 s0, 3
	s_cbranch_scc1 .LBB39_2801
; %bb.2796:
	s_wait_xcnt 0x0
	v_bfe_i32 v8, v1, 0, 16
	s_cmp_gt_i32 s0, 3
	s_cbranch_scc0 .LBB39_2798
; %bb.2797:
	s_delay_alu instid0(VALU_DEP_1)
	v_ashrrev_i32_e32 v9, 31, v8
	s_mov_b32 s2, 0
	global_store_b64 v[6:7], v[8:9], off
.LBB39_2798:
	s_and_not1_b32 vcc_lo, exec_lo, s2
	s_cbranch_vccnz .LBB39_2800
; %bb.2799:
	global_store_b32 v[6:7], v8, off
.LBB39_2800:
	s_mov_b32 s2, 0
.LBB39_2801:
	s_delay_alu instid0(SALU_CYCLE_1)
	s_and_not1_b32 vcc_lo, exec_lo, s2
	s_cbranch_vccnz .LBB39_2803
; %bb.2802:
	global_store_b16 v[6:7], v1, off
.LBB39_2803:
	s_mov_b32 s2, 0
.LBB39_2804:
	s_delay_alu instid0(SALU_CYCLE_1)
	s_and_not1_b32 vcc_lo, exec_lo, s2
	s_cbranch_vccnz .LBB39_2809
; %bb.2805:
	s_cmp_gt_i32 s0, 0
	s_mov_b32 s0, -1
	s_cbranch_scc0 .LBB39_2807
; %bb.2806:
	s_mov_b32 s0, 0
	global_store_b8 v[6:7], v1, off
.LBB39_2807:
	s_and_not1_b32 vcc_lo, exec_lo, s0
	s_cbranch_vccnz .LBB39_2809
; %bb.2808:
	global_store_b8 v[6:7], v1, off
.LBB39_2809:
	s_mov_b32 s6, -1
.LBB39_2810:
	s_delay_alu instid0(SALU_CYCLE_1)
	s_and_not1_b32 vcc_lo, exec_lo, s6
	s_cbranch_vccnz .LBB39_3125
; %bb.2811:
	s_wait_xcnt 0x0
	v_mov_b32_e32 v5, 0
	s_and_b32 s2, 0xffff, s1
	s_delay_alu instid0(SALU_CYCLE_1) | instskip(NEXT) | instid1(VALU_DEP_1)
	s_cmp_lt_i32 s2, 11
	v_add_nc_u64_e32 v[4:5], s[4:5], v[4:5]
	s_cbranch_scc1 .LBB39_2889
; %bb.2812:
	s_mov_b32 s7, -1
	s_mov_b32 s3, 0
	s_cmp_gt_i32 s2, 25
	s_mov_b32 s6, 0
	s_mov_b32 s0, 0
	s_cbranch_scc0 .LBB39_2845
; %bb.2813:
	s_cmp_gt_i32 s2, 28
	s_cbranch_scc0 .LBB39_2828
; %bb.2814:
	s_cmp_gt_i32 s2, 43
	;; [unrolled: 3-line block ×3, first 2 shown]
	s_cbranch_scc0 .LBB39_2818
; %bb.2816:
	s_mov_b32 s0, -1
	s_mov_b32 s7, 0
	s_cmp_eq_u32 s2, 46
	s_cbranch_scc0 .LBB39_2818
; %bb.2817:
	v_bfe_i32 v1, v3, 0, 16
	s_mov_b32 s0, 0
	s_mov_b32 s6, -1
	s_delay_alu instid0(VALU_DEP_1) | instskip(NEXT) | instid1(VALU_DEP_1)
	v_cvt_f32_i32_e32 v1, v1
	v_bfe_u32 v6, v1, 16, 1
	s_delay_alu instid0(VALU_DEP_1) | instskip(NEXT) | instid1(VALU_DEP_1)
	v_add3_u32 v1, v1, v6, 0x7fff
	v_lshrrev_b32_e32 v1, 16, v1
	global_store_b32 v[4:5], v1, off
.LBB39_2818:
	s_and_b32 vcc_lo, exec_lo, s7
	s_cbranch_vccz .LBB39_2823
; %bb.2819:
	s_cmp_eq_u32 s2, 44
	s_mov_b32 s0, -1
	s_cbranch_scc0 .LBB39_2823
; %bb.2820:
	s_wait_xcnt 0x0
	v_bfe_i32 v1, v3, 0, 16
	v_mov_b32_e32 v6, 0xff
	s_mov_b32 s6, exec_lo
	s_delay_alu instid0(VALU_DEP_2) | instskip(NEXT) | instid1(VALU_DEP_1)
	v_cvt_f32_i32_e32 v1, v1
	v_bfe_u32 v7, v1, 23, 8
	s_delay_alu instid0(VALU_DEP_1)
	v_cmpx_ne_u32_e32 0xff, v7
	s_cbranch_execz .LBB39_2822
; %bb.2821:
	v_and_b32_e32 v6, 0x400000, v1
	v_and_or_b32 v7, 0x3fffff, v1, v7
	v_lshrrev_b32_e32 v1, 23, v1
	s_delay_alu instid0(VALU_DEP_3) | instskip(NEXT) | instid1(VALU_DEP_3)
	v_cmp_ne_u32_e32 vcc_lo, 0, v6
	v_cmp_ne_u32_e64 s0, 0, v7
	s_and_b32 s0, vcc_lo, s0
	s_delay_alu instid0(SALU_CYCLE_1) | instskip(NEXT) | instid1(VALU_DEP_1)
	v_cndmask_b32_e64 v6, 0, 1, s0
	v_add_nc_u32_e32 v6, v1, v6
.LBB39_2822:
	s_or_b32 exec_lo, exec_lo, s6
	s_mov_b32 s0, 0
	s_mov_b32 s6, -1
	global_store_b8 v[4:5], v6, off
.LBB39_2823:
	s_mov_b32 s7, 0
.LBB39_2824:
	s_delay_alu instid0(SALU_CYCLE_1)
	s_and_b32 vcc_lo, exec_lo, s7
	s_cbranch_vccz .LBB39_2827
; %bb.2825:
	s_cmp_eq_u32 s2, 29
	s_mov_b32 s0, -1
	s_cbranch_scc0 .LBB39_2827
; %bb.2826:
	s_wait_xcnt 0x0
	v_bfe_i32 v6, v3, 0, 16
	s_mov_b32 s0, 0
	s_mov_b32 s6, -1
	s_delay_alu instid0(VALU_DEP_1)
	v_ashrrev_i32_e32 v7, 31, v6
	global_store_b64 v[4:5], v[6:7], off
.LBB39_2827:
	s_mov_b32 s7, 0
.LBB39_2828:
	s_delay_alu instid0(SALU_CYCLE_1)
	s_and_b32 vcc_lo, exec_lo, s7
	s_cbranch_vccz .LBB39_2844
; %bb.2829:
	s_cmp_lt_i32 s2, 27
	s_mov_b32 s6, -1
	s_cbranch_scc1 .LBB39_2835
; %bb.2830:
	s_cmp_gt_i32 s2, 27
	s_cbranch_scc0 .LBB39_2832
; %bb.2831:
	s_wait_xcnt 0x0
	v_bfe_i32 v1, v3, 0, 16
	s_mov_b32 s6, 0
	global_store_b32 v[4:5], v1, off
.LBB39_2832:
	s_and_not1_b32 vcc_lo, exec_lo, s6
	s_cbranch_vccnz .LBB39_2834
; %bb.2833:
	global_store_b16 v[4:5], v3, off
.LBB39_2834:
	s_mov_b32 s6, 0
.LBB39_2835:
	s_delay_alu instid0(SALU_CYCLE_1)
	s_and_not1_b32 vcc_lo, exec_lo, s6
	s_cbranch_vccnz .LBB39_2843
; %bb.2836:
	s_wait_xcnt 0x0
	v_bfe_i32 v1, v3, 0, 16
	v_mov_b32_e32 v7, 0x80
	s_mov_b32 s6, exec_lo
	s_delay_alu instid0(VALU_DEP_2) | instskip(NEXT) | instid1(VALU_DEP_1)
	v_cvt_f32_i32_e32 v1, v1
	v_and_b32_e32 v6, 0x7fffffff, v1
	s_delay_alu instid0(VALU_DEP_1)
	v_cmpx_gt_u32_e32 0x43800000, v6
	s_cbranch_execz .LBB39_2842
; %bb.2837:
	v_cmp_lt_u32_e32 vcc_lo, 0x3bffffff, v6
	s_mov_b32 s7, 0
                                        ; implicit-def: $vgpr6
	s_and_saveexec_b32 s11, vcc_lo
	s_delay_alu instid0(SALU_CYCLE_1)
	s_xor_b32 s11, exec_lo, s11
	s_cbranch_execz .LBB39_3133
; %bb.2838:
	v_bfe_u32 v6, v1, 20, 1
	s_mov_b32 s7, exec_lo
	s_delay_alu instid0(VALU_DEP_1) | instskip(NEXT) | instid1(VALU_DEP_1)
	v_add3_u32 v6, v1, v6, 0x487ffff
	v_lshrrev_b32_e32 v6, 20, v6
	s_and_not1_saveexec_b32 s11, s11
	s_cbranch_execnz .LBB39_3134
.LBB39_2839:
	s_or_b32 exec_lo, exec_lo, s11
	v_mov_b32_e32 v7, 0
	s_and_saveexec_b32 s11, s7
.LBB39_2840:
	v_lshrrev_b32_e32 v1, 24, v1
	s_delay_alu instid0(VALU_DEP_1)
	v_and_or_b32 v7, 0x80, v1, v6
.LBB39_2841:
	s_or_b32 exec_lo, exec_lo, s11
.LBB39_2842:
	s_delay_alu instid0(SALU_CYCLE_1)
	s_or_b32 exec_lo, exec_lo, s6
	global_store_b8 v[4:5], v7, off
.LBB39_2843:
	s_mov_b32 s6, -1
.LBB39_2844:
	s_mov_b32 s7, 0
.LBB39_2845:
	s_delay_alu instid0(SALU_CYCLE_1)
	s_and_b32 vcc_lo, exec_lo, s7
	s_cbranch_vccz .LBB39_2885
; %bb.2846:
	s_cmp_gt_i32 s2, 22
	s_mov_b32 s3, -1
	s_cbranch_scc0 .LBB39_2878
; %bb.2847:
	s_cmp_lt_i32 s2, 24
	s_cbranch_scc1 .LBB39_2867
; %bb.2848:
	s_cmp_gt_i32 s2, 24
	s_cbranch_scc0 .LBB39_2856
; %bb.2849:
	s_wait_xcnt 0x0
	v_bfe_i32 v1, v3, 0, 16
	v_mov_b32_e32 v7, 0x80
	s_mov_b32 s3, exec_lo
	s_delay_alu instid0(VALU_DEP_2) | instskip(NEXT) | instid1(VALU_DEP_1)
	v_cvt_f32_i32_e32 v1, v1
	v_and_b32_e32 v6, 0x7fffffff, v1
	s_delay_alu instid0(VALU_DEP_1)
	v_cmpx_gt_u32_e32 0x47800000, v6
	s_cbranch_execz .LBB39_2855
; %bb.2850:
	v_cmp_lt_u32_e32 vcc_lo, 0x37ffffff, v6
	s_mov_b32 s6, 0
                                        ; implicit-def: $vgpr6
	s_and_saveexec_b32 s7, vcc_lo
	s_delay_alu instid0(SALU_CYCLE_1)
	s_xor_b32 s7, exec_lo, s7
	s_cbranch_execz .LBB39_3136
; %bb.2851:
	v_bfe_u32 v6, v1, 21, 1
	s_mov_b32 s6, exec_lo
	s_delay_alu instid0(VALU_DEP_1) | instskip(NEXT) | instid1(VALU_DEP_1)
	v_add3_u32 v6, v1, v6, 0x88fffff
	v_lshrrev_b32_e32 v6, 21, v6
	s_and_not1_saveexec_b32 s7, s7
	s_cbranch_execnz .LBB39_3137
.LBB39_2852:
	s_or_b32 exec_lo, exec_lo, s7
	v_mov_b32_e32 v7, 0
	s_and_saveexec_b32 s7, s6
.LBB39_2853:
	v_lshrrev_b32_e32 v1, 24, v1
	s_delay_alu instid0(VALU_DEP_1)
	v_and_or_b32 v7, 0x80, v1, v6
.LBB39_2854:
	s_or_b32 exec_lo, exec_lo, s7
.LBB39_2855:
	s_delay_alu instid0(SALU_CYCLE_1)
	s_or_b32 exec_lo, exec_lo, s3
	s_mov_b32 s3, 0
	global_store_b8 v[4:5], v7, off
.LBB39_2856:
	s_and_b32 vcc_lo, exec_lo, s3
	s_cbranch_vccz .LBB39_2866
; %bb.2857:
	s_wait_xcnt 0x0
	v_bfe_i32 v1, v3, 0, 16
	s_mov_b32 s3, exec_lo
                                        ; implicit-def: $vgpr6
	s_delay_alu instid0(VALU_DEP_1) | instskip(NEXT) | instid1(VALU_DEP_1)
	v_cvt_f32_i32_e32 v1, v1
	v_and_b32_e32 v7, 0x7fffffff, v1
	s_delay_alu instid0(VALU_DEP_1)
	v_cmpx_gt_u32_e32 0x43f00000, v7
	s_xor_b32 s3, exec_lo, s3
	s_cbranch_execz .LBB39_2863
; %bb.2858:
	s_mov_b32 s6, exec_lo
                                        ; implicit-def: $vgpr6
	v_cmpx_lt_u32_e32 0x3c7fffff, v7
	s_xor_b32 s6, exec_lo, s6
; %bb.2859:
	v_bfe_u32 v6, v1, 20, 1
	s_delay_alu instid0(VALU_DEP_1) | instskip(NEXT) | instid1(VALU_DEP_1)
	v_add3_u32 v6, v1, v6, 0x407ffff
	v_and_b32_e32 v7, 0xff00000, v6
	v_lshrrev_b32_e32 v6, 20, v6
	s_delay_alu instid0(VALU_DEP_2) | instskip(NEXT) | instid1(VALU_DEP_2)
	v_cmp_ne_u32_e32 vcc_lo, 0x7f00000, v7
	v_cndmask_b32_e32 v6, 0x7e, v6, vcc_lo
; %bb.2860:
	s_and_not1_saveexec_b32 s6, s6
; %bb.2861:
	v_add_f32_e64 v6, 0x46800000, |v1|
; %bb.2862:
	s_or_b32 exec_lo, exec_lo, s6
                                        ; implicit-def: $vgpr7
.LBB39_2863:
	s_and_not1_saveexec_b32 s3, s3
; %bb.2864:
	v_mov_b32_e32 v6, 0x7f
	v_cmp_lt_u32_e32 vcc_lo, 0x7f800000, v7
	s_delay_alu instid0(VALU_DEP_2)
	v_cndmask_b32_e32 v6, 0x7e, v6, vcc_lo
; %bb.2865:
	s_or_b32 exec_lo, exec_lo, s3
	v_lshrrev_b32_e32 v1, 24, v1
	s_delay_alu instid0(VALU_DEP_1)
	v_and_or_b32 v1, 0x80, v1, v6
	global_store_b8 v[4:5], v1, off
.LBB39_2866:
	s_mov_b32 s3, 0
.LBB39_2867:
	s_delay_alu instid0(SALU_CYCLE_1)
	s_and_not1_b32 vcc_lo, exec_lo, s3
	s_cbranch_vccnz .LBB39_2877
; %bb.2868:
	s_wait_xcnt 0x0
	v_bfe_i32 v1, v3, 0, 16
	s_mov_b32 s3, exec_lo
                                        ; implicit-def: $vgpr6
	s_delay_alu instid0(VALU_DEP_1) | instskip(NEXT) | instid1(VALU_DEP_1)
	v_cvt_f32_i32_e32 v1, v1
	v_and_b32_e32 v7, 0x7fffffff, v1
	s_delay_alu instid0(VALU_DEP_1)
	v_cmpx_gt_u32_e32 0x47800000, v7
	s_xor_b32 s3, exec_lo, s3
	s_cbranch_execz .LBB39_2874
; %bb.2869:
	s_mov_b32 s6, exec_lo
                                        ; implicit-def: $vgpr6
	v_cmpx_lt_u32_e32 0x387fffff, v7
	s_xor_b32 s6, exec_lo, s6
; %bb.2870:
	v_bfe_u32 v6, v1, 21, 1
	s_delay_alu instid0(VALU_DEP_1) | instskip(NEXT) | instid1(VALU_DEP_1)
	v_add3_u32 v6, v1, v6, 0x80fffff
	v_lshrrev_b32_e32 v6, 21, v6
; %bb.2871:
	s_and_not1_saveexec_b32 s6, s6
; %bb.2872:
	v_add_f32_e64 v6, 0x43000000, |v1|
; %bb.2873:
	s_or_b32 exec_lo, exec_lo, s6
                                        ; implicit-def: $vgpr7
.LBB39_2874:
	s_and_not1_saveexec_b32 s3, s3
; %bb.2875:
	v_mov_b32_e32 v6, 0x7f
	v_cmp_lt_u32_e32 vcc_lo, 0x7f800000, v7
	s_delay_alu instid0(VALU_DEP_2)
	v_cndmask_b32_e32 v6, 0x7c, v6, vcc_lo
; %bb.2876:
	s_or_b32 exec_lo, exec_lo, s3
	v_lshrrev_b32_e32 v1, 24, v1
	s_delay_alu instid0(VALU_DEP_1)
	v_and_or_b32 v1, 0x80, v1, v6
	global_store_b8 v[4:5], v1, off
.LBB39_2877:
	s_mov_b32 s3, 0
	s_mov_b32 s6, -1
.LBB39_2878:
	s_and_not1_b32 vcc_lo, exec_lo, s3
	s_mov_b32 s3, 0
	s_cbranch_vccnz .LBB39_2885
; %bb.2879:
	s_cmp_gt_i32 s2, 14
	s_mov_b32 s3, -1
	s_cbranch_scc0 .LBB39_2883
; %bb.2880:
	s_cmp_eq_u32 s2, 15
	s_mov_b32 s0, -1
	s_cbranch_scc0 .LBB39_2882
; %bb.2881:
	s_wait_xcnt 0x0
	v_bfe_i32 v1, v3, 0, 16
	s_mov_b32 s0, 0
	s_mov_b32 s6, -1
	s_delay_alu instid0(VALU_DEP_1) | instskip(NEXT) | instid1(VALU_DEP_1)
	v_cvt_f32_i32_e32 v1, v1
	v_bfe_u32 v6, v1, 16, 1
	s_delay_alu instid0(VALU_DEP_1)
	v_add3_u32 v1, v1, v6, 0x7fff
	global_store_d16_hi_b16 v[4:5], v1, off
.LBB39_2882:
	s_mov_b32 s3, 0
.LBB39_2883:
	s_delay_alu instid0(SALU_CYCLE_1)
	s_and_b32 vcc_lo, exec_lo, s3
	s_mov_b32 s3, 0
	s_cbranch_vccz .LBB39_2885
; %bb.2884:
	s_cmp_lg_u32 s2, 11
	s_mov_b32 s3, -1
	s_cselect_b32 s0, -1, 0
.LBB39_2885:
	s_delay_alu instid0(SALU_CYCLE_1)
	s_and_b32 vcc_lo, exec_lo, s0
	s_cbranch_vccnz .LBB39_3135
; %bb.2886:
	s_and_not1_b32 vcc_lo, exec_lo, s3
	s_cbranch_vccnz .LBB39_2888
.LBB39_2887:
	v_cmp_ne_u16_e32 vcc_lo, 0, v3
	s_mov_b32 s6, -1
	s_wait_xcnt 0x0
	v_cndmask_b32_e64 v1, 0, 1, vcc_lo
	global_store_b8 v[4:5], v1, off
.LBB39_2888:
	s_mov_b32 s0, 0
	s_branch .LBB39_2890
.LBB39_2889:
	s_mov_b32 s0, -1
	s_mov_b32 s6, 0
.LBB39_2890:
	s_and_b32 vcc_lo, exec_lo, s0
	s_cbranch_vccz .LBB39_2929
; %bb.2891:
	s_cmp_lt_i32 s2, 5
	s_mov_b32 s0, -1
	s_cbranch_scc1 .LBB39_2912
; %bb.2892:
	s_cmp_lt_i32 s2, 8
	s_cbranch_scc1 .LBB39_2902
; %bb.2893:
	s_cmp_lt_i32 s2, 9
	s_cbranch_scc1 .LBB39_2899
; %bb.2894:
	s_cmp_gt_i32 s2, 9
	s_cbranch_scc0 .LBB39_2896
; %bb.2895:
	s_wait_xcnt 0x0
	v_bfe_i32 v1, v3, 0, 16
	v_mov_b32_e32 v8, 0
	s_mov_b32 s0, 0
	s_delay_alu instid0(VALU_DEP_2) | instskip(NEXT) | instid1(VALU_DEP_2)
	v_cvt_f64_i32_e32 v[6:7], v1
	v_mov_b32_e32 v9, v8
	global_store_b128 v[4:5], v[6:9], off
.LBB39_2896:
	s_and_not1_b32 vcc_lo, exec_lo, s0
	s_cbranch_vccnz .LBB39_2898
; %bb.2897:
	s_wait_xcnt 0x0
	v_bfe_i32 v1, v3, 0, 16
	v_mov_b32_e32 v7, 0
	s_delay_alu instid0(VALU_DEP_2)
	v_cvt_f32_i32_e32 v6, v1
	global_store_b64 v[4:5], v[6:7], off
.LBB39_2898:
	s_mov_b32 s0, 0
.LBB39_2899:
	s_delay_alu instid0(SALU_CYCLE_1)
	s_and_not1_b32 vcc_lo, exec_lo, s0
	s_cbranch_vccnz .LBB39_2901
; %bb.2900:
	s_wait_xcnt 0x0
	v_cvt_f16_i16_e32 v1, v3
	s_delay_alu instid0(VALU_DEP_1)
	v_and_b32_e32 v1, 0xffff, v1
	global_store_b32 v[4:5], v1, off
.LBB39_2901:
	s_mov_b32 s0, 0
.LBB39_2902:
	s_delay_alu instid0(SALU_CYCLE_1)
	s_and_not1_b32 vcc_lo, exec_lo, s0
	s_cbranch_vccnz .LBB39_2911
; %bb.2903:
	s_cmp_lt_i32 s2, 6
	s_mov_b32 s0, -1
	s_cbranch_scc1 .LBB39_2909
; %bb.2904:
	s_cmp_gt_i32 s2, 6
	s_cbranch_scc0 .LBB39_2906
; %bb.2905:
	s_wait_xcnt 0x0
	v_bfe_i32 v1, v3, 0, 16
	s_mov_b32 s0, 0
	s_delay_alu instid0(VALU_DEP_1)
	v_cvt_f64_i32_e32 v[6:7], v1
	global_store_b64 v[4:5], v[6:7], off
.LBB39_2906:
	s_and_not1_b32 vcc_lo, exec_lo, s0
	s_cbranch_vccnz .LBB39_2908
; %bb.2907:
	s_wait_xcnt 0x0
	v_bfe_i32 v1, v3, 0, 16
	s_delay_alu instid0(VALU_DEP_1)
	v_cvt_f32_i32_e32 v1, v1
	global_store_b32 v[4:5], v1, off
.LBB39_2908:
	s_mov_b32 s0, 0
.LBB39_2909:
	s_delay_alu instid0(SALU_CYCLE_1)
	s_and_not1_b32 vcc_lo, exec_lo, s0
	s_cbranch_vccnz .LBB39_2911
; %bb.2910:
	s_wait_xcnt 0x0
	v_cvt_f16_i16_e32 v1, v3
	global_store_b16 v[4:5], v1, off
.LBB39_2911:
	s_mov_b32 s0, 0
.LBB39_2912:
	s_delay_alu instid0(SALU_CYCLE_1)
	s_and_not1_b32 vcc_lo, exec_lo, s0
	s_cbranch_vccnz .LBB39_2928
; %bb.2913:
	s_cmp_lt_i32 s2, 2
	s_mov_b32 s0, -1
	s_cbranch_scc1 .LBB39_2923
; %bb.2914:
	s_cmp_lt_i32 s2, 3
	s_cbranch_scc1 .LBB39_2920
; %bb.2915:
	s_cmp_gt_i32 s2, 3
	s_cbranch_scc0 .LBB39_2917
; %bb.2916:
	s_wait_xcnt 0x0
	v_bfe_i32 v6, v3, 0, 16
	s_mov_b32 s0, 0
	s_delay_alu instid0(VALU_DEP_1)
	v_ashrrev_i32_e32 v7, 31, v6
	global_store_b64 v[4:5], v[6:7], off
.LBB39_2917:
	s_and_not1_b32 vcc_lo, exec_lo, s0
	s_cbranch_vccnz .LBB39_2919
; %bb.2918:
	s_wait_xcnt 0x0
	v_bfe_i32 v1, v3, 0, 16
	global_store_b32 v[4:5], v1, off
.LBB39_2919:
	s_mov_b32 s0, 0
.LBB39_2920:
	s_delay_alu instid0(SALU_CYCLE_1)
	s_and_not1_b32 vcc_lo, exec_lo, s0
	s_cbranch_vccnz .LBB39_2922
; %bb.2921:
	global_store_b16 v[4:5], v3, off
.LBB39_2922:
	s_mov_b32 s0, 0
.LBB39_2923:
	s_delay_alu instid0(SALU_CYCLE_1)
	s_and_not1_b32 vcc_lo, exec_lo, s0
	s_cbranch_vccnz .LBB39_2928
; %bb.2924:
	s_cmp_gt_i32 s2, 0
	s_mov_b32 s0, -1
	s_cbranch_scc0 .LBB39_2926
; %bb.2925:
	s_mov_b32 s0, 0
	global_store_b8 v[4:5], v3, off
.LBB39_2926:
	s_and_not1_b32 vcc_lo, exec_lo, s0
	s_cbranch_vccnz .LBB39_2928
; %bb.2927:
	global_store_b8 v[4:5], v3, off
.LBB39_2928:
	s_mov_b32 s6, -1
.LBB39_2929:
	s_delay_alu instid0(SALU_CYCLE_1)
	s_and_not1_b32 vcc_lo, exec_lo, s6
	s_cbranch_vccnz .LBB39_3125
; %bb.2930:
	s_wait_xcnt 0x0
	v_mov_b32_e32 v3, 0
	s_cmp_lt_i32 s2, 11
	s_delay_alu instid0(VALU_DEP_1)
	v_add_nc_u64_e32 v[2:3], s[4:5], v[2:3]
	s_cbranch_scc1 .LBB39_3008
; %bb.2931:
	s_mov_b32 s7, -1
	s_mov_b32 s3, 0
	s_cmp_gt_i32 s2, 25
	s_mov_b32 s6, 0
	s_mov_b32 s0, 0
	s_cbranch_scc0 .LBB39_2964
; %bb.2932:
	s_cmp_gt_i32 s2, 28
	s_cbranch_scc0 .LBB39_2947
; %bb.2933:
	s_cmp_gt_i32 s2, 43
	s_cbranch_scc0 .LBB39_2943
; %bb.2934:
	s_cmp_gt_i32 s2, 45
	s_cbranch_scc0 .LBB39_2937
; %bb.2935:
	s_mov_b32 s0, -1
	s_mov_b32 s7, 0
	s_cmp_eq_u32 s2, 46
	s_cbranch_scc0 .LBB39_2937
; %bb.2936:
	v_bfe_i32 v1, v15, 0, 16
	s_mov_b32 s0, 0
	s_mov_b32 s6, -1
	s_delay_alu instid0(VALU_DEP_1) | instskip(NEXT) | instid1(VALU_DEP_1)
	v_cvt_f32_i32_e32 v1, v1
	v_bfe_u32 v4, v1, 16, 1
	s_delay_alu instid0(VALU_DEP_1) | instskip(NEXT) | instid1(VALU_DEP_1)
	v_add3_u32 v1, v1, v4, 0x7fff
	v_lshrrev_b32_e32 v1, 16, v1
	global_store_b32 v[2:3], v1, off
.LBB39_2937:
	s_and_b32 vcc_lo, exec_lo, s7
	s_cbranch_vccz .LBB39_2942
; %bb.2938:
	s_cmp_eq_u32 s2, 44
	s_mov_b32 s0, -1
	s_cbranch_scc0 .LBB39_2942
; %bb.2939:
	s_wait_xcnt 0x0
	v_bfe_i32 v1, v15, 0, 16
	v_mov_b32_e32 v4, 0xff
	s_mov_b32 s6, exec_lo
	s_delay_alu instid0(VALU_DEP_2) | instskip(NEXT) | instid1(VALU_DEP_1)
	v_cvt_f32_i32_e32 v1, v1
	v_bfe_u32 v5, v1, 23, 8
	s_delay_alu instid0(VALU_DEP_1)
	v_cmpx_ne_u32_e32 0xff, v5
	s_cbranch_execz .LBB39_2941
; %bb.2940:
	v_and_b32_e32 v4, 0x400000, v1
	v_and_or_b32 v5, 0x3fffff, v1, v5
	v_lshrrev_b32_e32 v1, 23, v1
	s_delay_alu instid0(VALU_DEP_3) | instskip(NEXT) | instid1(VALU_DEP_3)
	v_cmp_ne_u32_e32 vcc_lo, 0, v4
	v_cmp_ne_u32_e64 s0, 0, v5
	s_and_b32 s0, vcc_lo, s0
	s_delay_alu instid0(SALU_CYCLE_1) | instskip(NEXT) | instid1(VALU_DEP_1)
	v_cndmask_b32_e64 v4, 0, 1, s0
	v_add_nc_u32_e32 v4, v1, v4
.LBB39_2941:
	s_or_b32 exec_lo, exec_lo, s6
	s_mov_b32 s0, 0
	s_mov_b32 s6, -1
	global_store_b8 v[2:3], v4, off
.LBB39_2942:
	s_mov_b32 s7, 0
.LBB39_2943:
	s_delay_alu instid0(SALU_CYCLE_1)
	s_and_b32 vcc_lo, exec_lo, s7
	s_cbranch_vccz .LBB39_2946
; %bb.2944:
	s_cmp_eq_u32 s2, 29
	s_mov_b32 s0, -1
	s_cbranch_scc0 .LBB39_2946
; %bb.2945:
	s_wait_xcnt 0x0
	v_bfe_i32 v4, v15, 0, 16
	s_mov_b32 s0, 0
	s_mov_b32 s6, -1
	s_delay_alu instid0(VALU_DEP_1)
	v_ashrrev_i32_e32 v5, 31, v4
	global_store_b64 v[2:3], v[4:5], off
.LBB39_2946:
	s_mov_b32 s7, 0
.LBB39_2947:
	s_delay_alu instid0(SALU_CYCLE_1)
	s_and_b32 vcc_lo, exec_lo, s7
	s_cbranch_vccz .LBB39_2963
; %bb.2948:
	s_cmp_lt_i32 s2, 27
	s_mov_b32 s6, -1
	s_cbranch_scc1 .LBB39_2954
; %bb.2949:
	s_cmp_gt_i32 s2, 27
	s_cbranch_scc0 .LBB39_2951
; %bb.2950:
	s_wait_xcnt 0x0
	v_bfe_i32 v1, v15, 0, 16
	s_mov_b32 s6, 0
	global_store_b32 v[2:3], v1, off
.LBB39_2951:
	s_and_not1_b32 vcc_lo, exec_lo, s6
	s_cbranch_vccnz .LBB39_2953
; %bb.2952:
	global_store_b16 v[2:3], v15, off
.LBB39_2953:
	s_mov_b32 s6, 0
.LBB39_2954:
	s_delay_alu instid0(SALU_CYCLE_1)
	s_and_not1_b32 vcc_lo, exec_lo, s6
	s_cbranch_vccnz .LBB39_2962
; %bb.2955:
	s_wait_xcnt 0x0
	v_bfe_i32 v1, v15, 0, 16
	v_mov_b32_e32 v5, 0x80
	s_mov_b32 s6, exec_lo
	s_delay_alu instid0(VALU_DEP_2) | instskip(NEXT) | instid1(VALU_DEP_1)
	v_cvt_f32_i32_e32 v1, v1
	v_and_b32_e32 v4, 0x7fffffff, v1
	s_delay_alu instid0(VALU_DEP_1)
	v_cmpx_gt_u32_e32 0x43800000, v4
	s_cbranch_execz .LBB39_2961
; %bb.2956:
	v_cmp_lt_u32_e32 vcc_lo, 0x3bffffff, v4
	s_mov_b32 s7, 0
                                        ; implicit-def: $vgpr4
	s_and_saveexec_b32 s11, vcc_lo
	s_delay_alu instid0(SALU_CYCLE_1)
	s_xor_b32 s11, exec_lo, s11
	s_cbranch_execz .LBB39_3138
; %bb.2957:
	v_bfe_u32 v4, v1, 20, 1
	s_mov_b32 s7, exec_lo
	s_delay_alu instid0(VALU_DEP_1) | instskip(NEXT) | instid1(VALU_DEP_1)
	v_add3_u32 v4, v1, v4, 0x487ffff
	v_lshrrev_b32_e32 v4, 20, v4
	s_and_not1_saveexec_b32 s11, s11
	s_cbranch_execnz .LBB39_3139
.LBB39_2958:
	s_or_b32 exec_lo, exec_lo, s11
	v_mov_b32_e32 v5, 0
	s_and_saveexec_b32 s11, s7
.LBB39_2959:
	v_lshrrev_b32_e32 v1, 24, v1
	s_delay_alu instid0(VALU_DEP_1)
	v_and_or_b32 v5, 0x80, v1, v4
.LBB39_2960:
	s_or_b32 exec_lo, exec_lo, s11
.LBB39_2961:
	s_delay_alu instid0(SALU_CYCLE_1)
	s_or_b32 exec_lo, exec_lo, s6
	global_store_b8 v[2:3], v5, off
.LBB39_2962:
	s_mov_b32 s6, -1
.LBB39_2963:
	s_mov_b32 s7, 0
.LBB39_2964:
	s_delay_alu instid0(SALU_CYCLE_1)
	s_and_b32 vcc_lo, exec_lo, s7
	s_cbranch_vccz .LBB39_3004
; %bb.2965:
	s_cmp_gt_i32 s2, 22
	s_mov_b32 s3, -1
	s_cbranch_scc0 .LBB39_2997
; %bb.2966:
	s_cmp_lt_i32 s2, 24
	s_cbranch_scc1 .LBB39_2986
; %bb.2967:
	s_cmp_gt_i32 s2, 24
	s_cbranch_scc0 .LBB39_2975
; %bb.2968:
	s_wait_xcnt 0x0
	v_bfe_i32 v1, v15, 0, 16
	v_mov_b32_e32 v5, 0x80
	s_mov_b32 s3, exec_lo
	s_delay_alu instid0(VALU_DEP_2) | instskip(NEXT) | instid1(VALU_DEP_1)
	v_cvt_f32_i32_e32 v1, v1
	v_and_b32_e32 v4, 0x7fffffff, v1
	s_delay_alu instid0(VALU_DEP_1)
	v_cmpx_gt_u32_e32 0x47800000, v4
	s_cbranch_execz .LBB39_2974
; %bb.2969:
	v_cmp_lt_u32_e32 vcc_lo, 0x37ffffff, v4
	s_mov_b32 s6, 0
                                        ; implicit-def: $vgpr4
	s_and_saveexec_b32 s7, vcc_lo
	s_delay_alu instid0(SALU_CYCLE_1)
	s_xor_b32 s7, exec_lo, s7
	s_cbranch_execz .LBB39_3141
; %bb.2970:
	v_bfe_u32 v4, v1, 21, 1
	s_mov_b32 s6, exec_lo
	s_delay_alu instid0(VALU_DEP_1) | instskip(NEXT) | instid1(VALU_DEP_1)
	v_add3_u32 v4, v1, v4, 0x88fffff
	v_lshrrev_b32_e32 v4, 21, v4
	s_and_not1_saveexec_b32 s7, s7
	s_cbranch_execnz .LBB39_3142
.LBB39_2971:
	s_or_b32 exec_lo, exec_lo, s7
	v_mov_b32_e32 v5, 0
	s_and_saveexec_b32 s7, s6
.LBB39_2972:
	v_lshrrev_b32_e32 v1, 24, v1
	s_delay_alu instid0(VALU_DEP_1)
	v_and_or_b32 v5, 0x80, v1, v4
.LBB39_2973:
	s_or_b32 exec_lo, exec_lo, s7
.LBB39_2974:
	s_delay_alu instid0(SALU_CYCLE_1)
	s_or_b32 exec_lo, exec_lo, s3
	s_mov_b32 s3, 0
	global_store_b8 v[2:3], v5, off
.LBB39_2975:
	s_and_b32 vcc_lo, exec_lo, s3
	s_cbranch_vccz .LBB39_2985
; %bb.2976:
	s_wait_xcnt 0x0
	v_bfe_i32 v1, v15, 0, 16
	s_mov_b32 s3, exec_lo
                                        ; implicit-def: $vgpr4
	s_delay_alu instid0(VALU_DEP_1) | instskip(NEXT) | instid1(VALU_DEP_1)
	v_cvt_f32_i32_e32 v1, v1
	v_and_b32_e32 v5, 0x7fffffff, v1
	s_delay_alu instid0(VALU_DEP_1)
	v_cmpx_gt_u32_e32 0x43f00000, v5
	s_xor_b32 s3, exec_lo, s3
	s_cbranch_execz .LBB39_2982
; %bb.2977:
	s_mov_b32 s6, exec_lo
                                        ; implicit-def: $vgpr4
	v_cmpx_lt_u32_e32 0x3c7fffff, v5
	s_xor_b32 s6, exec_lo, s6
; %bb.2978:
	v_bfe_u32 v4, v1, 20, 1
	s_delay_alu instid0(VALU_DEP_1) | instskip(NEXT) | instid1(VALU_DEP_1)
	v_add3_u32 v4, v1, v4, 0x407ffff
	v_and_b32_e32 v5, 0xff00000, v4
	v_lshrrev_b32_e32 v4, 20, v4
	s_delay_alu instid0(VALU_DEP_2) | instskip(NEXT) | instid1(VALU_DEP_2)
	v_cmp_ne_u32_e32 vcc_lo, 0x7f00000, v5
	v_cndmask_b32_e32 v4, 0x7e, v4, vcc_lo
; %bb.2979:
	s_and_not1_saveexec_b32 s6, s6
; %bb.2980:
	v_add_f32_e64 v4, 0x46800000, |v1|
; %bb.2981:
	s_or_b32 exec_lo, exec_lo, s6
                                        ; implicit-def: $vgpr5
.LBB39_2982:
	s_and_not1_saveexec_b32 s3, s3
; %bb.2983:
	v_mov_b32_e32 v4, 0x7f
	v_cmp_lt_u32_e32 vcc_lo, 0x7f800000, v5
	s_delay_alu instid0(VALU_DEP_2)
	v_cndmask_b32_e32 v4, 0x7e, v4, vcc_lo
; %bb.2984:
	s_or_b32 exec_lo, exec_lo, s3
	v_lshrrev_b32_e32 v1, 24, v1
	s_delay_alu instid0(VALU_DEP_1)
	v_and_or_b32 v1, 0x80, v1, v4
	global_store_b8 v[2:3], v1, off
.LBB39_2985:
	s_mov_b32 s3, 0
.LBB39_2986:
	s_delay_alu instid0(SALU_CYCLE_1)
	s_and_not1_b32 vcc_lo, exec_lo, s3
	s_cbranch_vccnz .LBB39_2996
; %bb.2987:
	s_wait_xcnt 0x0
	v_bfe_i32 v1, v15, 0, 16
	s_mov_b32 s3, exec_lo
                                        ; implicit-def: $vgpr4
	s_delay_alu instid0(VALU_DEP_1) | instskip(NEXT) | instid1(VALU_DEP_1)
	v_cvt_f32_i32_e32 v1, v1
	v_and_b32_e32 v5, 0x7fffffff, v1
	s_delay_alu instid0(VALU_DEP_1)
	v_cmpx_gt_u32_e32 0x47800000, v5
	s_xor_b32 s3, exec_lo, s3
	s_cbranch_execz .LBB39_2993
; %bb.2988:
	s_mov_b32 s6, exec_lo
                                        ; implicit-def: $vgpr4
	v_cmpx_lt_u32_e32 0x387fffff, v5
	s_xor_b32 s6, exec_lo, s6
; %bb.2989:
	v_bfe_u32 v4, v1, 21, 1
	s_delay_alu instid0(VALU_DEP_1) | instskip(NEXT) | instid1(VALU_DEP_1)
	v_add3_u32 v4, v1, v4, 0x80fffff
	v_lshrrev_b32_e32 v4, 21, v4
; %bb.2990:
	s_and_not1_saveexec_b32 s6, s6
; %bb.2991:
	v_add_f32_e64 v4, 0x43000000, |v1|
; %bb.2992:
	s_or_b32 exec_lo, exec_lo, s6
                                        ; implicit-def: $vgpr5
.LBB39_2993:
	s_and_not1_saveexec_b32 s3, s3
; %bb.2994:
	v_mov_b32_e32 v4, 0x7f
	v_cmp_lt_u32_e32 vcc_lo, 0x7f800000, v5
	s_delay_alu instid0(VALU_DEP_2)
	v_cndmask_b32_e32 v4, 0x7c, v4, vcc_lo
; %bb.2995:
	s_or_b32 exec_lo, exec_lo, s3
	v_lshrrev_b32_e32 v1, 24, v1
	s_delay_alu instid0(VALU_DEP_1)
	v_and_or_b32 v1, 0x80, v1, v4
	global_store_b8 v[2:3], v1, off
.LBB39_2996:
	s_mov_b32 s3, 0
	s_mov_b32 s6, -1
.LBB39_2997:
	s_and_not1_b32 vcc_lo, exec_lo, s3
	s_mov_b32 s3, 0
	s_cbranch_vccnz .LBB39_3004
; %bb.2998:
	s_cmp_gt_i32 s2, 14
	s_mov_b32 s3, -1
	s_cbranch_scc0 .LBB39_3002
; %bb.2999:
	s_cmp_eq_u32 s2, 15
	s_mov_b32 s0, -1
	s_cbranch_scc0 .LBB39_3001
; %bb.3000:
	s_wait_xcnt 0x0
	v_bfe_i32 v1, v15, 0, 16
	s_mov_b32 s0, 0
	s_mov_b32 s6, -1
	s_delay_alu instid0(VALU_DEP_1) | instskip(NEXT) | instid1(VALU_DEP_1)
	v_cvt_f32_i32_e32 v1, v1
	v_bfe_u32 v4, v1, 16, 1
	s_delay_alu instid0(VALU_DEP_1)
	v_add3_u32 v1, v1, v4, 0x7fff
	global_store_d16_hi_b16 v[2:3], v1, off
.LBB39_3001:
	s_mov_b32 s3, 0
.LBB39_3002:
	s_delay_alu instid0(SALU_CYCLE_1)
	s_and_b32 vcc_lo, exec_lo, s3
	s_mov_b32 s3, 0
	s_cbranch_vccz .LBB39_3004
; %bb.3003:
	s_cmp_lg_u32 s2, 11
	s_mov_b32 s3, -1
	s_cselect_b32 s0, -1, 0
.LBB39_3004:
	s_delay_alu instid0(SALU_CYCLE_1)
	s_and_b32 vcc_lo, exec_lo, s0
	s_cbranch_vccnz .LBB39_3140
; %bb.3005:
	s_and_not1_b32 vcc_lo, exec_lo, s3
	s_cbranch_vccnz .LBB39_3007
.LBB39_3006:
	v_cmp_ne_u16_e32 vcc_lo, 0, v15
	s_mov_b32 s6, -1
	s_wait_xcnt 0x0
	v_cndmask_b32_e64 v1, 0, 1, vcc_lo
	global_store_b8 v[2:3], v1, off
.LBB39_3007:
	s_mov_b32 s0, 0
	s_branch .LBB39_3009
.LBB39_3008:
	s_mov_b32 s0, -1
	s_mov_b32 s6, 0
.LBB39_3009:
	s_and_b32 vcc_lo, exec_lo, s0
	s_cbranch_vccz .LBB39_3048
; %bb.3010:
	s_cmp_lt_i32 s2, 5
	s_mov_b32 s0, -1
	s_cbranch_scc1 .LBB39_3031
; %bb.3011:
	s_cmp_lt_i32 s2, 8
	s_cbranch_scc1 .LBB39_3021
; %bb.3012:
	s_cmp_lt_i32 s2, 9
	s_cbranch_scc1 .LBB39_3018
; %bb.3013:
	s_cmp_gt_i32 s2, 9
	s_cbranch_scc0 .LBB39_3015
; %bb.3014:
	s_wait_xcnt 0x0
	v_bfe_i32 v1, v15, 0, 16
	v_mov_b32_e32 v6, 0
	s_mov_b32 s0, 0
	s_delay_alu instid0(VALU_DEP_2) | instskip(NEXT) | instid1(VALU_DEP_2)
	v_cvt_f64_i32_e32 v[4:5], v1
	v_mov_b32_e32 v7, v6
	global_store_b128 v[2:3], v[4:7], off
.LBB39_3015:
	s_and_not1_b32 vcc_lo, exec_lo, s0
	s_cbranch_vccnz .LBB39_3017
; %bb.3016:
	s_wait_xcnt 0x0
	v_bfe_i32 v1, v15, 0, 16
	v_mov_b32_e32 v5, 0
	s_delay_alu instid0(VALU_DEP_2)
	v_cvt_f32_i32_e32 v4, v1
	global_store_b64 v[2:3], v[4:5], off
.LBB39_3017:
	s_mov_b32 s0, 0
.LBB39_3018:
	s_delay_alu instid0(SALU_CYCLE_1)
	s_and_not1_b32 vcc_lo, exec_lo, s0
	s_cbranch_vccnz .LBB39_3020
; %bb.3019:
	s_wait_xcnt 0x0
	v_cvt_f16_i16_e32 v1, v15
	s_delay_alu instid0(VALU_DEP_1)
	v_and_b32_e32 v1, 0xffff, v1
	global_store_b32 v[2:3], v1, off
.LBB39_3020:
	s_mov_b32 s0, 0
.LBB39_3021:
	s_delay_alu instid0(SALU_CYCLE_1)
	s_and_not1_b32 vcc_lo, exec_lo, s0
	s_cbranch_vccnz .LBB39_3030
; %bb.3022:
	s_cmp_lt_i32 s2, 6
	s_mov_b32 s0, -1
	s_cbranch_scc1 .LBB39_3028
; %bb.3023:
	s_cmp_gt_i32 s2, 6
	s_cbranch_scc0 .LBB39_3025
; %bb.3024:
	s_wait_xcnt 0x0
	v_bfe_i32 v1, v15, 0, 16
	s_mov_b32 s0, 0
	s_delay_alu instid0(VALU_DEP_1)
	v_cvt_f64_i32_e32 v[4:5], v1
	global_store_b64 v[2:3], v[4:5], off
.LBB39_3025:
	s_and_not1_b32 vcc_lo, exec_lo, s0
	s_cbranch_vccnz .LBB39_3027
; %bb.3026:
	s_wait_xcnt 0x0
	v_bfe_i32 v1, v15, 0, 16
	s_delay_alu instid0(VALU_DEP_1)
	v_cvt_f32_i32_e32 v1, v1
	global_store_b32 v[2:3], v1, off
.LBB39_3027:
	s_mov_b32 s0, 0
.LBB39_3028:
	s_delay_alu instid0(SALU_CYCLE_1)
	s_and_not1_b32 vcc_lo, exec_lo, s0
	s_cbranch_vccnz .LBB39_3030
; %bb.3029:
	s_wait_xcnt 0x0
	v_cvt_f16_i16_e32 v1, v15
	global_store_b16 v[2:3], v1, off
.LBB39_3030:
	s_mov_b32 s0, 0
.LBB39_3031:
	s_delay_alu instid0(SALU_CYCLE_1)
	s_and_not1_b32 vcc_lo, exec_lo, s0
	s_cbranch_vccnz .LBB39_3047
; %bb.3032:
	s_cmp_lt_i32 s2, 2
	s_mov_b32 s0, -1
	s_cbranch_scc1 .LBB39_3042
; %bb.3033:
	s_cmp_lt_i32 s2, 3
	s_cbranch_scc1 .LBB39_3039
; %bb.3034:
	s_cmp_gt_i32 s2, 3
	s_cbranch_scc0 .LBB39_3036
; %bb.3035:
	s_wait_xcnt 0x0
	v_bfe_i32 v4, v15, 0, 16
	s_mov_b32 s0, 0
	s_delay_alu instid0(VALU_DEP_1)
	v_ashrrev_i32_e32 v5, 31, v4
	global_store_b64 v[2:3], v[4:5], off
.LBB39_3036:
	s_and_not1_b32 vcc_lo, exec_lo, s0
	s_cbranch_vccnz .LBB39_3038
; %bb.3037:
	s_wait_xcnt 0x0
	v_bfe_i32 v1, v15, 0, 16
	global_store_b32 v[2:3], v1, off
.LBB39_3038:
	s_mov_b32 s0, 0
.LBB39_3039:
	s_delay_alu instid0(SALU_CYCLE_1)
	s_and_not1_b32 vcc_lo, exec_lo, s0
	s_cbranch_vccnz .LBB39_3041
; %bb.3040:
	global_store_b16 v[2:3], v15, off
.LBB39_3041:
	s_mov_b32 s0, 0
.LBB39_3042:
	s_delay_alu instid0(SALU_CYCLE_1)
	s_and_not1_b32 vcc_lo, exec_lo, s0
	s_cbranch_vccnz .LBB39_3047
; %bb.3043:
	s_cmp_gt_i32 s2, 0
	s_mov_b32 s0, -1
	s_cbranch_scc0 .LBB39_3045
; %bb.3044:
	s_mov_b32 s0, 0
	global_store_b8 v[2:3], v15, off
.LBB39_3045:
	s_and_not1_b32 vcc_lo, exec_lo, s0
	s_cbranch_vccnz .LBB39_3047
; %bb.3046:
	global_store_b8 v[2:3], v15, off
.LBB39_3047:
	s_mov_b32 s6, -1
.LBB39_3048:
	s_delay_alu instid0(SALU_CYCLE_1)
	s_and_not1_b32 vcc_lo, exec_lo, s6
	s_cbranch_vccnz .LBB39_3125
; %bb.3049:
	s_wait_xcnt 0x0
	v_mov_b32_e32 v1, 0
	s_cmp_lt_i32 s2, 11
	s_delay_alu instid0(VALU_DEP_1)
	v_add_nc_u64_e32 v[2:3], s[4:5], v[0:1]
	s_cbranch_scc1 .LBB39_3126
; %bb.3050:
	s_mov_b32 s4, -1
	s_mov_b32 s3, 0
	s_cmp_gt_i32 s2, 25
	s_mov_b32 s0, 0
	s_cbranch_scc0 .LBB39_3083
; %bb.3051:
	s_cmp_gt_i32 s2, 28
	s_cbranch_scc0 .LBB39_3067
; %bb.3052:
	s_cmp_gt_i32 s2, 43
	;; [unrolled: 3-line block ×3, first 2 shown]
	s_cbranch_scc0 .LBB39_3057
; %bb.3054:
	s_cmp_eq_u32 s2, 46
	s_mov_b32 s0, -1
	s_cbranch_scc0 .LBB39_3056
; %bb.3055:
	v_bfe_i32 v0, v11, 0, 16
	s_mov_b32 s0, 0
	s_delay_alu instid0(VALU_DEP_1) | instskip(NEXT) | instid1(VALU_DEP_1)
	v_cvt_f32_i32_e32 v0, v0
	v_bfe_u32 v1, v0, 16, 1
	s_delay_alu instid0(VALU_DEP_1) | instskip(NEXT) | instid1(VALU_DEP_1)
	v_add3_u32 v0, v0, v1, 0x7fff
	v_lshrrev_b32_e32 v0, 16, v0
	global_store_b32 v[2:3], v0, off
.LBB39_3056:
	s_mov_b32 s4, 0
.LBB39_3057:
	s_delay_alu instid0(SALU_CYCLE_1)
	s_and_b32 vcc_lo, exec_lo, s4
	s_cbranch_vccz .LBB39_3062
; %bb.3058:
	s_cmp_eq_u32 s2, 44
	s_mov_b32 s0, -1
	s_cbranch_scc0 .LBB39_3062
; %bb.3059:
	s_wait_xcnt 0x0
	v_bfe_i32 v0, v11, 0, 16
	v_mov_b32_e32 v1, 0xff
	s_mov_b32 s4, exec_lo
	s_delay_alu instid0(VALU_DEP_2) | instskip(NEXT) | instid1(VALU_DEP_1)
	v_cvt_f32_i32_e32 v0, v0
	v_bfe_u32 v4, v0, 23, 8
	s_delay_alu instid0(VALU_DEP_1)
	v_cmpx_ne_u32_e32 0xff, v4
	s_cbranch_execz .LBB39_3061
; %bb.3060:
	v_and_b32_e32 v1, 0x400000, v0
	v_and_or_b32 v4, 0x3fffff, v0, v4
	v_lshrrev_b32_e32 v0, 23, v0
	s_delay_alu instid0(VALU_DEP_3) | instskip(NEXT) | instid1(VALU_DEP_3)
	v_cmp_ne_u32_e32 vcc_lo, 0, v1
	v_cmp_ne_u32_e64 s0, 0, v4
	s_and_b32 s0, vcc_lo, s0
	s_delay_alu instid0(SALU_CYCLE_1) | instskip(NEXT) | instid1(VALU_DEP_1)
	v_cndmask_b32_e64 v1, 0, 1, s0
	v_add_nc_u32_e32 v1, v0, v1
.LBB39_3061:
	s_or_b32 exec_lo, exec_lo, s4
	s_mov_b32 s0, 0
	global_store_b8 v[2:3], v1, off
.LBB39_3062:
	s_mov_b32 s4, 0
.LBB39_3063:
	s_delay_alu instid0(SALU_CYCLE_1)
	s_and_b32 vcc_lo, exec_lo, s4
	s_cbranch_vccz .LBB39_3066
; %bb.3064:
	s_cmp_eq_u32 s2, 29
	s_mov_b32 s0, -1
	s_cbranch_scc0 .LBB39_3066
; %bb.3065:
	s_wait_xcnt 0x0
	v_bfe_i32 v0, v11, 0, 16
	s_mov_b32 s0, 0
	s_delay_alu instid0(VALU_DEP_1)
	v_ashrrev_i32_e32 v1, 31, v0
	global_store_b64 v[2:3], v[0:1], off
.LBB39_3066:
	s_mov_b32 s4, 0
.LBB39_3067:
	s_delay_alu instid0(SALU_CYCLE_1)
	s_and_b32 vcc_lo, exec_lo, s4
	s_cbranch_vccz .LBB39_3082
; %bb.3068:
	s_cmp_lt_i32 s2, 27
	s_mov_b32 s4, -1
	s_cbranch_scc1 .LBB39_3074
; %bb.3069:
	s_cmp_gt_i32 s2, 27
	s_cbranch_scc0 .LBB39_3071
; %bb.3070:
	s_wait_xcnt 0x0
	v_bfe_i32 v0, v11, 0, 16
	s_mov_b32 s4, 0
	global_store_b32 v[2:3], v0, off
.LBB39_3071:
	s_and_not1_b32 vcc_lo, exec_lo, s4
	s_cbranch_vccnz .LBB39_3073
; %bb.3072:
	global_store_b16 v[2:3], v11, off
.LBB39_3073:
	s_mov_b32 s4, 0
.LBB39_3074:
	s_delay_alu instid0(SALU_CYCLE_1)
	s_and_not1_b32 vcc_lo, exec_lo, s4
	s_cbranch_vccnz .LBB39_3082
; %bb.3075:
	s_wait_xcnt 0x0
	v_bfe_i32 v0, v11, 0, 16
	v_mov_b32_e32 v4, 0x80
	s_mov_b32 s4, exec_lo
	s_delay_alu instid0(VALU_DEP_2) | instskip(NEXT) | instid1(VALU_DEP_1)
	v_cvt_f32_i32_e32 v0, v0
	v_and_b32_e32 v1, 0x7fffffff, v0
	s_delay_alu instid0(VALU_DEP_1)
	v_cmpx_gt_u32_e32 0x43800000, v1
	s_cbranch_execz .LBB39_3081
; %bb.3076:
	v_cmp_lt_u32_e32 vcc_lo, 0x3bffffff, v1
	s_mov_b32 s5, 0
                                        ; implicit-def: $vgpr1
	s_and_saveexec_b32 s6, vcc_lo
	s_delay_alu instid0(SALU_CYCLE_1)
	s_xor_b32 s6, exec_lo, s6
	s_cbranch_execz .LBB39_3143
; %bb.3077:
	v_bfe_u32 v1, v0, 20, 1
	s_mov_b32 s5, exec_lo
	s_delay_alu instid0(VALU_DEP_1) | instskip(NEXT) | instid1(VALU_DEP_1)
	v_add3_u32 v1, v0, v1, 0x487ffff
	v_lshrrev_b32_e32 v1, 20, v1
	s_and_not1_saveexec_b32 s6, s6
	s_cbranch_execnz .LBB39_3144
.LBB39_3078:
	s_or_b32 exec_lo, exec_lo, s6
	v_mov_b32_e32 v4, 0
	s_and_saveexec_b32 s6, s5
.LBB39_3079:
	v_lshrrev_b32_e32 v0, 24, v0
	s_delay_alu instid0(VALU_DEP_1)
	v_and_or_b32 v4, 0x80, v0, v1
.LBB39_3080:
	s_or_b32 exec_lo, exec_lo, s6
.LBB39_3081:
	s_delay_alu instid0(SALU_CYCLE_1)
	s_or_b32 exec_lo, exec_lo, s4
	global_store_b8 v[2:3], v4, off
.LBB39_3082:
	s_mov_b32 s4, 0
.LBB39_3083:
	s_delay_alu instid0(SALU_CYCLE_1)
	s_and_b32 vcc_lo, exec_lo, s4
	s_cbranch_vccz .LBB39_3123
; %bb.3084:
	s_cmp_gt_i32 s2, 22
	s_mov_b32 s3, -1
	s_cbranch_scc0 .LBB39_3116
; %bb.3085:
	s_cmp_lt_i32 s2, 24
	s_cbranch_scc1 .LBB39_3105
; %bb.3086:
	s_cmp_gt_i32 s2, 24
	s_cbranch_scc0 .LBB39_3094
; %bb.3087:
	s_wait_xcnt 0x0
	v_bfe_i32 v0, v11, 0, 16
	v_mov_b32_e32 v4, 0x80
	s_mov_b32 s3, exec_lo
	s_delay_alu instid0(VALU_DEP_2) | instskip(NEXT) | instid1(VALU_DEP_1)
	v_cvt_f32_i32_e32 v0, v0
	v_and_b32_e32 v1, 0x7fffffff, v0
	s_delay_alu instid0(VALU_DEP_1)
	v_cmpx_gt_u32_e32 0x47800000, v1
	s_cbranch_execz .LBB39_3093
; %bb.3088:
	v_cmp_lt_u32_e32 vcc_lo, 0x37ffffff, v1
	s_mov_b32 s4, 0
                                        ; implicit-def: $vgpr1
	s_and_saveexec_b32 s5, vcc_lo
	s_delay_alu instid0(SALU_CYCLE_1)
	s_xor_b32 s5, exec_lo, s5
	s_cbranch_execz .LBB39_3146
; %bb.3089:
	v_bfe_u32 v1, v0, 21, 1
	s_mov_b32 s4, exec_lo
	s_delay_alu instid0(VALU_DEP_1) | instskip(NEXT) | instid1(VALU_DEP_1)
	v_add3_u32 v1, v0, v1, 0x88fffff
	v_lshrrev_b32_e32 v1, 21, v1
	s_and_not1_saveexec_b32 s5, s5
	s_cbranch_execnz .LBB39_3147
.LBB39_3090:
	s_or_b32 exec_lo, exec_lo, s5
	v_mov_b32_e32 v4, 0
	s_and_saveexec_b32 s5, s4
.LBB39_3091:
	v_lshrrev_b32_e32 v0, 24, v0
	s_delay_alu instid0(VALU_DEP_1)
	v_and_or_b32 v4, 0x80, v0, v1
.LBB39_3092:
	s_or_b32 exec_lo, exec_lo, s5
.LBB39_3093:
	s_delay_alu instid0(SALU_CYCLE_1)
	s_or_b32 exec_lo, exec_lo, s3
	s_mov_b32 s3, 0
	global_store_b8 v[2:3], v4, off
.LBB39_3094:
	s_and_b32 vcc_lo, exec_lo, s3
	s_cbranch_vccz .LBB39_3104
; %bb.3095:
	s_wait_xcnt 0x0
	v_bfe_i32 v0, v11, 0, 16
	s_mov_b32 s3, exec_lo
                                        ; implicit-def: $vgpr1
	s_delay_alu instid0(VALU_DEP_1) | instskip(NEXT) | instid1(VALU_DEP_1)
	v_cvt_f32_i32_e32 v0, v0
	v_and_b32_e32 v4, 0x7fffffff, v0
	s_delay_alu instid0(VALU_DEP_1)
	v_cmpx_gt_u32_e32 0x43f00000, v4
	s_xor_b32 s3, exec_lo, s3
	s_cbranch_execz .LBB39_3101
; %bb.3096:
	s_mov_b32 s4, exec_lo
                                        ; implicit-def: $vgpr1
	v_cmpx_lt_u32_e32 0x3c7fffff, v4
	s_xor_b32 s4, exec_lo, s4
; %bb.3097:
	v_bfe_u32 v1, v0, 20, 1
	s_delay_alu instid0(VALU_DEP_1) | instskip(NEXT) | instid1(VALU_DEP_1)
	v_add3_u32 v1, v0, v1, 0x407ffff
	v_and_b32_e32 v4, 0xff00000, v1
	v_lshrrev_b32_e32 v1, 20, v1
	s_delay_alu instid0(VALU_DEP_2) | instskip(NEXT) | instid1(VALU_DEP_2)
	v_cmp_ne_u32_e32 vcc_lo, 0x7f00000, v4
	v_cndmask_b32_e32 v1, 0x7e, v1, vcc_lo
; %bb.3098:
	s_and_not1_saveexec_b32 s4, s4
; %bb.3099:
	v_add_f32_e64 v1, 0x46800000, |v0|
; %bb.3100:
	s_or_b32 exec_lo, exec_lo, s4
                                        ; implicit-def: $vgpr4
.LBB39_3101:
	s_and_not1_saveexec_b32 s3, s3
; %bb.3102:
	v_mov_b32_e32 v1, 0x7f
	v_cmp_lt_u32_e32 vcc_lo, 0x7f800000, v4
	s_delay_alu instid0(VALU_DEP_2)
	v_cndmask_b32_e32 v1, 0x7e, v1, vcc_lo
; %bb.3103:
	s_or_b32 exec_lo, exec_lo, s3
	v_lshrrev_b32_e32 v0, 24, v0
	s_delay_alu instid0(VALU_DEP_1)
	v_and_or_b32 v0, 0x80, v0, v1
	global_store_b8 v[2:3], v0, off
.LBB39_3104:
	s_mov_b32 s3, 0
.LBB39_3105:
	s_delay_alu instid0(SALU_CYCLE_1)
	s_and_not1_b32 vcc_lo, exec_lo, s3
	s_cbranch_vccnz .LBB39_3115
; %bb.3106:
	s_wait_xcnt 0x0
	v_bfe_i32 v0, v11, 0, 16
	s_mov_b32 s3, exec_lo
                                        ; implicit-def: $vgpr1
	s_delay_alu instid0(VALU_DEP_1) | instskip(NEXT) | instid1(VALU_DEP_1)
	v_cvt_f32_i32_e32 v0, v0
	v_and_b32_e32 v4, 0x7fffffff, v0
	s_delay_alu instid0(VALU_DEP_1)
	v_cmpx_gt_u32_e32 0x47800000, v4
	s_xor_b32 s3, exec_lo, s3
	s_cbranch_execz .LBB39_3112
; %bb.3107:
	s_mov_b32 s4, exec_lo
                                        ; implicit-def: $vgpr1
	v_cmpx_lt_u32_e32 0x387fffff, v4
	s_xor_b32 s4, exec_lo, s4
; %bb.3108:
	v_bfe_u32 v1, v0, 21, 1
	s_delay_alu instid0(VALU_DEP_1) | instskip(NEXT) | instid1(VALU_DEP_1)
	v_add3_u32 v1, v0, v1, 0x80fffff
	v_lshrrev_b32_e32 v1, 21, v1
; %bb.3109:
	s_and_not1_saveexec_b32 s4, s4
; %bb.3110:
	v_add_f32_e64 v1, 0x43000000, |v0|
; %bb.3111:
	s_or_b32 exec_lo, exec_lo, s4
                                        ; implicit-def: $vgpr4
.LBB39_3112:
	s_and_not1_saveexec_b32 s3, s3
; %bb.3113:
	v_mov_b32_e32 v1, 0x7f
	v_cmp_lt_u32_e32 vcc_lo, 0x7f800000, v4
	s_delay_alu instid0(VALU_DEP_2)
	v_cndmask_b32_e32 v1, 0x7c, v1, vcc_lo
; %bb.3114:
	s_or_b32 exec_lo, exec_lo, s3
	v_lshrrev_b32_e32 v0, 24, v0
	s_delay_alu instid0(VALU_DEP_1)
	v_and_or_b32 v0, 0x80, v0, v1
	global_store_b8 v[2:3], v0, off
.LBB39_3115:
	s_mov_b32 s3, 0
.LBB39_3116:
	s_delay_alu instid0(SALU_CYCLE_1)
	s_and_not1_b32 vcc_lo, exec_lo, s3
	s_mov_b32 s3, 0
	s_cbranch_vccnz .LBB39_3123
; %bb.3117:
	s_cmp_gt_i32 s2, 14
	s_mov_b32 s3, -1
	s_cbranch_scc0 .LBB39_3121
; %bb.3118:
	s_cmp_eq_u32 s2, 15
	s_mov_b32 s0, -1
	s_cbranch_scc0 .LBB39_3120
; %bb.3119:
	s_wait_xcnt 0x0
	v_bfe_i32 v0, v11, 0, 16
	s_mov_b32 s0, 0
	s_delay_alu instid0(VALU_DEP_1) | instskip(NEXT) | instid1(VALU_DEP_1)
	v_cvt_f32_i32_e32 v0, v0
	v_bfe_u32 v1, v0, 16, 1
	s_delay_alu instid0(VALU_DEP_1)
	v_add3_u32 v0, v0, v1, 0x7fff
	global_store_d16_hi_b16 v[2:3], v0, off
.LBB39_3120:
	s_mov_b32 s3, 0
.LBB39_3121:
	s_delay_alu instid0(SALU_CYCLE_1)
	s_and_b32 vcc_lo, exec_lo, s3
	s_mov_b32 s3, 0
	s_cbranch_vccz .LBB39_3123
; %bb.3122:
	s_cmp_lg_u32 s2, 11
	s_mov_b32 s3, -1
	s_cselect_b32 s0, -1, 0
.LBB39_3123:
	s_delay_alu instid0(SALU_CYCLE_1)
	s_and_b32 vcc_lo, exec_lo, s0
	s_cbranch_vccnz .LBB39_3145
.LBB39_3124:
	s_mov_b32 s0, 0
	s_branch .LBB39_2726
.LBB39_3125:
	s_mov_b32 s0, 0
	s_mov_b32 s3, 0
                                        ; implicit-def: $vgpr2_vgpr3
                                        ; implicit-def: $sgpr1
	s_branch .LBB39_2726
.LBB39_3126:
	s_mov_b32 s3, 0
	s_mov_b32 s0, -1
	s_branch .LBB39_2726
.LBB39_3127:
	s_or_b32 s10, s10, exec_lo
	s_trap 2
	s_cbranch_execz .LBB39_2591
	s_branch .LBB39_2592
.LBB39_3128:
	s_and_not1_saveexec_b32 s11, s11
	s_cbranch_execz .LBB39_2675
.LBB39_3129:
	v_add_f32_e64 v8, 0x46000000, |v5|
	s_and_not1_b32 s7, s7, exec_lo
	s_delay_alu instid0(VALU_DEP_1) | instskip(NEXT) | instid1(VALU_DEP_1)
	v_and_b32_e32 v8, 0xff, v8
	v_cmp_ne_u32_e32 vcc_lo, 0, v8
	s_and_b32 s12, vcc_lo, exec_lo
	s_delay_alu instid0(SALU_CYCLE_1)
	s_or_b32 s7, s7, s12
	s_or_b32 exec_lo, exec_lo, s11
	v_mov_b32_e32 v9, 0
	s_and_saveexec_b32 s11, s7
	s_cbranch_execnz .LBB39_2676
	s_branch .LBB39_2677
.LBB39_3130:
	s_or_b32 s10, s10, exec_lo
	s_trap 2
	s_cbranch_execz .LBB39_2723
	s_branch .LBB39_2724
.LBB39_3131:
	s_and_not1_saveexec_b32 s7, s7
	s_cbranch_execz .LBB39_2688
.LBB39_3132:
	v_add_f32_e64 v8, 0x42800000, |v5|
	s_and_not1_b32 s6, s6, exec_lo
	s_delay_alu instid0(VALU_DEP_1) | instskip(NEXT) | instid1(VALU_DEP_1)
	v_and_b32_e32 v8, 0xff, v8
	v_cmp_ne_u32_e32 vcc_lo, 0, v8
	s_and_b32 s11, vcc_lo, exec_lo
	s_delay_alu instid0(SALU_CYCLE_1)
	s_or_b32 s6, s6, s11
	s_or_b32 exec_lo, exec_lo, s7
	v_mov_b32_e32 v9, 0
	s_and_saveexec_b32 s7, s6
	s_cbranch_execnz .LBB39_2689
	s_branch .LBB39_2690
.LBB39_3133:
	s_and_not1_saveexec_b32 s11, s11
	s_cbranch_execz .LBB39_2839
.LBB39_3134:
	v_add_f32_e64 v6, 0x46000000, |v1|
	s_and_not1_b32 s7, s7, exec_lo
	s_delay_alu instid0(VALU_DEP_1) | instskip(NEXT) | instid1(VALU_DEP_1)
	v_and_b32_e32 v6, 0xff, v6
	v_cmp_ne_u32_e32 vcc_lo, 0, v6
	s_and_b32 s12, vcc_lo, exec_lo
	s_delay_alu instid0(SALU_CYCLE_1)
	s_or_b32 s7, s7, s12
	s_or_b32 exec_lo, exec_lo, s11
	v_mov_b32_e32 v7, 0
	s_and_saveexec_b32 s11, s7
	s_cbranch_execnz .LBB39_2840
	s_branch .LBB39_2841
.LBB39_3135:
	s_or_b32 s10, s10, exec_lo
	s_trap 2
	s_cbranch_execz .LBB39_2887
	s_branch .LBB39_2888
.LBB39_3136:
	s_and_not1_saveexec_b32 s7, s7
	s_cbranch_execz .LBB39_2852
.LBB39_3137:
	v_add_f32_e64 v6, 0x42800000, |v1|
	s_and_not1_b32 s6, s6, exec_lo
	s_delay_alu instid0(VALU_DEP_1) | instskip(NEXT) | instid1(VALU_DEP_1)
	v_and_b32_e32 v6, 0xff, v6
	v_cmp_ne_u32_e32 vcc_lo, 0, v6
	s_and_b32 s11, vcc_lo, exec_lo
	s_delay_alu instid0(SALU_CYCLE_1)
	s_or_b32 s6, s6, s11
	s_or_b32 exec_lo, exec_lo, s7
	v_mov_b32_e32 v7, 0
	s_and_saveexec_b32 s7, s6
	s_cbranch_execnz .LBB39_2853
	s_branch .LBB39_2854
.LBB39_3138:
	s_and_not1_saveexec_b32 s11, s11
	s_cbranch_execz .LBB39_2958
.LBB39_3139:
	v_add_f32_e64 v4, 0x46000000, |v1|
	s_and_not1_b32 s7, s7, exec_lo
	s_delay_alu instid0(VALU_DEP_1) | instskip(NEXT) | instid1(VALU_DEP_1)
	v_and_b32_e32 v4, 0xff, v4
	v_cmp_ne_u32_e32 vcc_lo, 0, v4
	s_and_b32 s12, vcc_lo, exec_lo
	s_delay_alu instid0(SALU_CYCLE_1)
	s_or_b32 s7, s7, s12
	s_or_b32 exec_lo, exec_lo, s11
	v_mov_b32_e32 v5, 0
	s_and_saveexec_b32 s11, s7
	s_cbranch_execnz .LBB39_2959
	s_branch .LBB39_2960
.LBB39_3140:
	s_or_b32 s10, s10, exec_lo
	s_trap 2
	s_cbranch_execz .LBB39_3006
	s_branch .LBB39_3007
.LBB39_3141:
	s_and_not1_saveexec_b32 s7, s7
	s_cbranch_execz .LBB39_2971
.LBB39_3142:
	v_add_f32_e64 v4, 0x42800000, |v1|
	s_and_not1_b32 s6, s6, exec_lo
	s_delay_alu instid0(VALU_DEP_1) | instskip(NEXT) | instid1(VALU_DEP_1)
	v_and_b32_e32 v4, 0xff, v4
	v_cmp_ne_u32_e32 vcc_lo, 0, v4
	s_and_b32 s11, vcc_lo, exec_lo
	s_delay_alu instid0(SALU_CYCLE_1)
	s_or_b32 s6, s6, s11
	s_or_b32 exec_lo, exec_lo, s7
	v_mov_b32_e32 v5, 0
	s_and_saveexec_b32 s7, s6
	s_cbranch_execnz .LBB39_2972
	s_branch .LBB39_2973
.LBB39_3143:
	s_and_not1_saveexec_b32 s6, s6
	s_cbranch_execz .LBB39_3078
.LBB39_3144:
	v_add_f32_e64 v1, 0x46000000, |v0|
	s_and_not1_b32 s5, s5, exec_lo
	s_delay_alu instid0(VALU_DEP_1) | instskip(NEXT) | instid1(VALU_DEP_1)
	v_and_b32_e32 v1, 0xff, v1
	v_cmp_ne_u32_e32 vcc_lo, 0, v1
	s_and_b32 s7, vcc_lo, exec_lo
	s_delay_alu instid0(SALU_CYCLE_1)
	s_or_b32 s5, s5, s7
	s_or_b32 exec_lo, exec_lo, s6
	v_mov_b32_e32 v4, 0
	s_and_saveexec_b32 s6, s5
	s_cbranch_execnz .LBB39_3079
	s_branch .LBB39_3080
.LBB39_3145:
	s_mov_b32 s3, 0
	s_or_b32 s10, s10, exec_lo
	s_trap 2
	s_branch .LBB39_3124
.LBB39_3146:
	s_and_not1_saveexec_b32 s5, s5
	s_cbranch_execz .LBB39_3090
.LBB39_3147:
	v_add_f32_e64 v1, 0x42800000, |v0|
	s_and_not1_b32 s4, s4, exec_lo
	s_delay_alu instid0(VALU_DEP_1) | instskip(NEXT) | instid1(VALU_DEP_1)
	v_and_b32_e32 v1, 0xff, v1
	v_cmp_ne_u32_e32 vcc_lo, 0, v1
	s_and_b32 s6, vcc_lo, exec_lo
	s_delay_alu instid0(SALU_CYCLE_1)
	s_or_b32 s4, s4, s6
	s_or_b32 exec_lo, exec_lo, s5
	v_mov_b32_e32 v4, 0
	s_and_saveexec_b32 s5, s4
	s_cbranch_execnz .LBB39_3091
	s_branch .LBB39_3092
	.section	.rodata,"a",@progbits
	.p2align	6, 0x0
	.amdhsa_kernel _ZN2at6native32elementwise_kernel_manual_unrollILi128ELi4EZNS0_15gpu_kernel_implIZZZNS0_15gcd_kernel_cudaERNS_18TensorIteratorBaseEENKUlvE_clEvENKUlvE3_clEvEUlssE_EEvS4_RKT_EUlibE0_EEviT1_
		.amdhsa_group_segment_fixed_size 0
		.amdhsa_private_segment_fixed_size 0
		.amdhsa_kernarg_size 432
		.amdhsa_user_sgpr_count 2
		.amdhsa_user_sgpr_dispatch_ptr 0
		.amdhsa_user_sgpr_queue_ptr 0
		.amdhsa_user_sgpr_kernarg_segment_ptr 1
		.amdhsa_user_sgpr_dispatch_id 0
		.amdhsa_user_sgpr_kernarg_preload_length 0
		.amdhsa_user_sgpr_kernarg_preload_offset 0
		.amdhsa_user_sgpr_private_segment_size 0
		.amdhsa_wavefront_size32 1
		.amdhsa_uses_dynamic_stack 0
		.amdhsa_enable_private_segment 0
		.amdhsa_system_sgpr_workgroup_id_x 1
		.amdhsa_system_sgpr_workgroup_id_y 0
		.amdhsa_system_sgpr_workgroup_id_z 0
		.amdhsa_system_sgpr_workgroup_info 0
		.amdhsa_system_vgpr_workitem_id 0
		.amdhsa_next_free_vgpr 26
		.amdhsa_next_free_sgpr 60
		.amdhsa_named_barrier_count 0
		.amdhsa_reserve_vcc 1
		.amdhsa_float_round_mode_32 0
		.amdhsa_float_round_mode_16_64 0
		.amdhsa_float_denorm_mode_32 3
		.amdhsa_float_denorm_mode_16_64 3
		.amdhsa_fp16_overflow 0
		.amdhsa_memory_ordered 1
		.amdhsa_forward_progress 1
		.amdhsa_inst_pref_size 255
		.amdhsa_round_robin_scheduling 0
		.amdhsa_exception_fp_ieee_invalid_op 0
		.amdhsa_exception_fp_denorm_src 0
		.amdhsa_exception_fp_ieee_div_zero 0
		.amdhsa_exception_fp_ieee_overflow 0
		.amdhsa_exception_fp_ieee_underflow 0
		.amdhsa_exception_fp_ieee_inexact 0
		.amdhsa_exception_int_div_zero 0
	.end_amdhsa_kernel
	.section	.text._ZN2at6native32elementwise_kernel_manual_unrollILi128ELi4EZNS0_15gpu_kernel_implIZZZNS0_15gcd_kernel_cudaERNS_18TensorIteratorBaseEENKUlvE_clEvENKUlvE3_clEvEUlssE_EEvS4_RKT_EUlibE0_EEviT1_,"axG",@progbits,_ZN2at6native32elementwise_kernel_manual_unrollILi128ELi4EZNS0_15gpu_kernel_implIZZZNS0_15gcd_kernel_cudaERNS_18TensorIteratorBaseEENKUlvE_clEvENKUlvE3_clEvEUlssE_EEvS4_RKT_EUlibE0_EEviT1_,comdat
.Lfunc_end39:
	.size	_ZN2at6native32elementwise_kernel_manual_unrollILi128ELi4EZNS0_15gpu_kernel_implIZZZNS0_15gcd_kernel_cudaERNS_18TensorIteratorBaseEENKUlvE_clEvENKUlvE3_clEvEUlssE_EEvS4_RKT_EUlibE0_EEviT1_, .Lfunc_end39-_ZN2at6native32elementwise_kernel_manual_unrollILi128ELi4EZNS0_15gpu_kernel_implIZZZNS0_15gcd_kernel_cudaERNS_18TensorIteratorBaseEENKUlvE_clEvENKUlvE3_clEvEUlssE_EEvS4_RKT_EUlibE0_EEviT1_
                                        ; -- End function
	.set _ZN2at6native32elementwise_kernel_manual_unrollILi128ELi4EZNS0_15gpu_kernel_implIZZZNS0_15gcd_kernel_cudaERNS_18TensorIteratorBaseEENKUlvE_clEvENKUlvE3_clEvEUlssE_EEvS4_RKT_EUlibE0_EEviT1_.num_vgpr, 26
	.set _ZN2at6native32elementwise_kernel_manual_unrollILi128ELi4EZNS0_15gpu_kernel_implIZZZNS0_15gcd_kernel_cudaERNS_18TensorIteratorBaseEENKUlvE_clEvENKUlvE3_clEvEUlssE_EEvS4_RKT_EUlibE0_EEviT1_.num_agpr, 0
	.set _ZN2at6native32elementwise_kernel_manual_unrollILi128ELi4EZNS0_15gpu_kernel_implIZZZNS0_15gcd_kernel_cudaERNS_18TensorIteratorBaseEENKUlvE_clEvENKUlvE3_clEvEUlssE_EEvS4_RKT_EUlibE0_EEviT1_.numbered_sgpr, 60
	.set _ZN2at6native32elementwise_kernel_manual_unrollILi128ELi4EZNS0_15gpu_kernel_implIZZZNS0_15gcd_kernel_cudaERNS_18TensorIteratorBaseEENKUlvE_clEvENKUlvE3_clEvEUlssE_EEvS4_RKT_EUlibE0_EEviT1_.num_named_barrier, 0
	.set _ZN2at6native32elementwise_kernel_manual_unrollILi128ELi4EZNS0_15gpu_kernel_implIZZZNS0_15gcd_kernel_cudaERNS_18TensorIteratorBaseEENKUlvE_clEvENKUlvE3_clEvEUlssE_EEvS4_RKT_EUlibE0_EEviT1_.private_seg_size, 0
	.set _ZN2at6native32elementwise_kernel_manual_unrollILi128ELi4EZNS0_15gpu_kernel_implIZZZNS0_15gcd_kernel_cudaERNS_18TensorIteratorBaseEENKUlvE_clEvENKUlvE3_clEvEUlssE_EEvS4_RKT_EUlibE0_EEviT1_.uses_vcc, 1
	.set _ZN2at6native32elementwise_kernel_manual_unrollILi128ELi4EZNS0_15gpu_kernel_implIZZZNS0_15gcd_kernel_cudaERNS_18TensorIteratorBaseEENKUlvE_clEvENKUlvE3_clEvEUlssE_EEvS4_RKT_EUlibE0_EEviT1_.uses_flat_scratch, 0
	.set _ZN2at6native32elementwise_kernel_manual_unrollILi128ELi4EZNS0_15gpu_kernel_implIZZZNS0_15gcd_kernel_cudaERNS_18TensorIteratorBaseEENKUlvE_clEvENKUlvE3_clEvEUlssE_EEvS4_RKT_EUlibE0_EEviT1_.has_dyn_sized_stack, 0
	.set _ZN2at6native32elementwise_kernel_manual_unrollILi128ELi4EZNS0_15gpu_kernel_implIZZZNS0_15gcd_kernel_cudaERNS_18TensorIteratorBaseEENKUlvE_clEvENKUlvE3_clEvEUlssE_EEvS4_RKT_EUlibE0_EEviT1_.has_recursion, 0
	.set _ZN2at6native32elementwise_kernel_manual_unrollILi128ELi4EZNS0_15gpu_kernel_implIZZZNS0_15gcd_kernel_cudaERNS_18TensorIteratorBaseEENKUlvE_clEvENKUlvE3_clEvEUlssE_EEvS4_RKT_EUlibE0_EEviT1_.has_indirect_call, 0
	.section	.AMDGPU.csdata,"",@progbits
; Kernel info:
; codeLenInByte = 58884
; TotalNumSgprs: 62
; NumVgprs: 26
; ScratchSize: 0
; MemoryBound: 1
; FloatMode: 240
; IeeeMode: 1
; LDSByteSize: 0 bytes/workgroup (compile time only)
; SGPRBlocks: 0
; VGPRBlocks: 1
; NumSGPRsForWavesPerEU: 62
; NumVGPRsForWavesPerEU: 26
; NamedBarCnt: 0
; Occupancy: 16
; WaveLimiterHint : 1
; COMPUTE_PGM_RSRC2:SCRATCH_EN: 0
; COMPUTE_PGM_RSRC2:USER_SGPR: 2
; COMPUTE_PGM_RSRC2:TRAP_HANDLER: 0
; COMPUTE_PGM_RSRC2:TGID_X_EN: 1
; COMPUTE_PGM_RSRC2:TGID_Y_EN: 0
; COMPUTE_PGM_RSRC2:TGID_Z_EN: 0
; COMPUTE_PGM_RSRC2:TIDIG_COMP_CNT: 0
	.section	.text._ZN2at6native29vectorized_elementwise_kernelILi16EZZZNS0_15lcm_kernel_cudaERNS_18TensorIteratorBaseEENKUlvE_clEvENKUlvE_clEvEUlhhE_St5arrayIPcLm3EEEEviT0_T1_,"axG",@progbits,_ZN2at6native29vectorized_elementwise_kernelILi16EZZZNS0_15lcm_kernel_cudaERNS_18TensorIteratorBaseEENKUlvE_clEvENKUlvE_clEvEUlhhE_St5arrayIPcLm3EEEEviT0_T1_,comdat
	.globl	_ZN2at6native29vectorized_elementwise_kernelILi16EZZZNS0_15lcm_kernel_cudaERNS_18TensorIteratorBaseEENKUlvE_clEvENKUlvE_clEvEUlhhE_St5arrayIPcLm3EEEEviT0_T1_ ; -- Begin function _ZN2at6native29vectorized_elementwise_kernelILi16EZZZNS0_15lcm_kernel_cudaERNS_18TensorIteratorBaseEENKUlvE_clEvENKUlvE_clEvEUlhhE_St5arrayIPcLm3EEEEviT0_T1_
	.p2align	8
	.type	_ZN2at6native29vectorized_elementwise_kernelILi16EZZZNS0_15lcm_kernel_cudaERNS_18TensorIteratorBaseEENKUlvE_clEvENKUlvE_clEvEUlhhE_St5arrayIPcLm3EEEEviT0_T1_,@function
_ZN2at6native29vectorized_elementwise_kernelILi16EZZZNS0_15lcm_kernel_cudaERNS_18TensorIteratorBaseEENKUlvE_clEvENKUlvE_clEvEUlhhE_St5arrayIPcLm3EEEEviT0_T1_: ; @_ZN2at6native29vectorized_elementwise_kernelILi16EZZZNS0_15lcm_kernel_cudaERNS_18TensorIteratorBaseEENKUlvE_clEvENKUlvE_clEvEUlhhE_St5arrayIPcLm3EEEEviT0_T1_
; %bb.0:
	s_clause 0x2
	s_load_b32 s4, s[0:1], 0x0
	s_load_b128 s[16:19], s[0:1], 0x8
	s_load_b64 s[2:3], s[0:1], 0x18
	s_wait_xcnt 0x0
	s_bfe_u32 s0, ttmp6, 0x4000c
	s_and_b32 s1, ttmp6, 15
	s_add_co_i32 s0, s0, 1
	s_getreg_b32 s5, hwreg(HW_REG_IB_STS2, 6, 4)
	s_mul_i32 s0, ttmp9, s0
	s_delay_alu instid0(SALU_CYCLE_1) | instskip(SKIP_2) | instid1(SALU_CYCLE_1)
	s_add_co_i32 s1, s1, s0
	s_cmp_eq_u32 s5, 0
	s_cselect_b32 s0, ttmp9, s1
	s_lshl_b32 s14, s0, 12
	s_mov_b32 s0, -1
	s_wait_kmcnt 0x0
	s_sub_co_i32 s13, s4, s14
	s_delay_alu instid0(SALU_CYCLE_1)
	s_cmp_gt_i32 s13, 0xfff
	s_cbranch_scc0 .LBB40_98
; %bb.1:
	s_ashr_i32 s15, s14, 31
	s_delay_alu instid0(SALU_CYCLE_1)
	s_add_nc_u64 s[0:1], s[18:19], s[14:15]
	global_load_b128 v[2:5], v0, s[0:1] scale_offset
	s_wait_xcnt 0x0
	s_add_nc_u64 s[0:1], s[2:3], s[14:15]
	global_load_b128 v[6:9], v0, s[0:1] scale_offset
	s_wait_xcnt 0x0
	s_mov_b32 s0, exec_lo
	s_wait_loadcnt 0x1
	v_and_b32_e32 v1, 0xff, v2
	s_wait_loadcnt 0x0
	v_mov_b32_e32 v10, v6
	s_delay_alu instid0(VALU_DEP_2)
	v_cmpx_ne_u16_e32 0, v1
	s_cbranch_execz .LBB40_5
; %bb.2:
	v_dual_mov_b32 v11, v2 :: v_dual_mov_b32 v1, v6
	s_mov_b32 s1, 0
.LBB40_3:                               ; =>This Inner Loop Header: Depth=1
	s_delay_alu instid0(VALU_DEP_1) | instskip(NEXT) | instid1(VALU_DEP_2)
	v_cvt_f32_ubyte0_e32 v13, v1
	v_mov_b32_e32 v10, v11
	s_delay_alu instid0(VALU_DEP_1) | instskip(NEXT) | instid1(VALU_DEP_1)
	v_cvt_f32_ubyte0_e32 v11, v10
	v_rcp_iflag_f32_e32 v12, v11
	v_nop
	s_delay_alu instid0(TRANS32_DEP_1) | instskip(NEXT) | instid1(VALU_DEP_1)
	v_mul_f32_e32 v12, v13, v12
	v_trunc_f32_e32 v12, v12
	s_delay_alu instid0(VALU_DEP_1) | instskip(SKIP_1) | instid1(VALU_DEP_2)
	v_fma_f32 v13, -v12, v11, v13
	v_cvt_u32_f32_e32 v12, v12
	v_cmp_ge_f32_e64 vcc_lo, |v13|, v11
	s_delay_alu instid0(VALU_DEP_1) | instskip(NEXT) | instid1(VALU_DEP_1)
	v_add_co_ci_u32_e64 v11, null, 0, v12, vcc_lo
	v_mul_lo_u32 v11, v11, v10
	s_delay_alu instid0(VALU_DEP_1) | instskip(NEXT) | instid1(VALU_DEP_1)
	v_sub_nc_u32_e32 v1, v1, v11
	v_and_b32_e32 v11, 0xff, v1
	v_mov_b32_e32 v1, v10
	s_delay_alu instid0(VALU_DEP_2) | instskip(SKIP_1) | instid1(SALU_CYCLE_1)
	v_cmp_eq_u16_e32 vcc_lo, 0, v11
	s_or_b32 s1, vcc_lo, s1
	s_and_not1_b32 exec_lo, exec_lo, s1
	s_cbranch_execnz .LBB40_3
; %bb.4:
	s_or_b32 exec_lo, exec_lo, s1
.LBB40_5:
	s_delay_alu instid0(SALU_CYCLE_1) | instskip(NEXT) | instid1(VALU_DEP_2)
	s_or_b32 exec_lo, exec_lo, s0
	v_and_b32_e32 v11, 0xff, v10
	v_mov_b32_e32 v1, 0
	s_mov_b32 s0, exec_lo
	s_delay_alu instid0(VALU_DEP_2)
	v_cmpx_ne_u16_e32 0, v11
	s_cbranch_execz .LBB40_7
; %bb.6:
	v_cvt_f32_ubyte0_e32 v1, v10
	v_cvt_f32_ubyte0_e32 v11, v2
	s_delay_alu instid0(VALU_DEP_2) | instskip(SKIP_1) | instid1(TRANS32_DEP_1)
	v_rcp_iflag_f32_e32 v10, v1
	v_nop
	v_mul_f32_e32 v10, v11, v10
	s_delay_alu instid0(VALU_DEP_1) | instskip(NEXT) | instid1(VALU_DEP_1)
	v_trunc_f32_e32 v10, v10
	v_fma_f32 v11, -v10, v1, v11
	v_cvt_u32_f32_e32 v10, v10
	s_delay_alu instid0(VALU_DEP_2) | instskip(NEXT) | instid1(VALU_DEP_1)
	v_cmp_ge_f32_e64 vcc_lo, |v11|, v1
	v_add_co_ci_u32_e64 v1, null, 0, v10, vcc_lo
	s_delay_alu instid0(VALU_DEP_1)
	v_mul_lo_u16 v1, v1, v6
.LBB40_7:
	s_or_b32 exec_lo, exec_lo, s0
	v_lshrrev_b32_e32 v10, 8, v6
	v_lshrrev_b32_e32 v11, 8, v2
	s_mov_b32 s1, 0
	s_delay_alu instid0(VALU_DEP_1) | instskip(NEXT) | instid1(VALU_DEP_1)
	v_and_b32_e32 v12, 0xff, v11
	v_cmp_ne_u16_e32 vcc_lo, 0, v12
	v_mov_b32_e32 v12, v10
	s_and_saveexec_b32 s0, vcc_lo
	s_cbranch_execz .LBB40_11
; %bb.8:
	v_dual_mov_b32 v14, v11 :: v_dual_mov_b32 v13, v10
.LBB40_9:                               ; =>This Inner Loop Header: Depth=1
	s_delay_alu instid0(VALU_DEP_1) | instskip(NEXT) | instid1(VALU_DEP_2)
	v_cvt_f32_ubyte0_e32 v16, v13
	v_mov_b32_e32 v12, v14
	s_delay_alu instid0(VALU_DEP_1) | instskip(NEXT) | instid1(VALU_DEP_1)
	v_cvt_f32_ubyte0_e32 v14, v12
	v_rcp_iflag_f32_e32 v15, v14
	v_nop
	s_delay_alu instid0(TRANS32_DEP_1) | instskip(NEXT) | instid1(VALU_DEP_1)
	v_mul_f32_e32 v15, v16, v15
	v_trunc_f32_e32 v15, v15
	s_delay_alu instid0(VALU_DEP_1) | instskip(SKIP_1) | instid1(VALU_DEP_2)
	v_fma_f32 v16, -v15, v14, v16
	v_cvt_u32_f32_e32 v15, v15
	v_cmp_ge_f32_e64 vcc_lo, |v16|, v14
	s_delay_alu instid0(VALU_DEP_1) | instskip(NEXT) | instid1(VALU_DEP_1)
	v_add_co_ci_u32_e64 v14, null, 0, v15, vcc_lo
	v_mul_lo_u32 v14, v14, v12
	s_delay_alu instid0(VALU_DEP_1) | instskip(NEXT) | instid1(VALU_DEP_1)
	v_sub_nc_u32_e32 v13, v13, v14
	v_and_b32_e32 v14, 0xff, v13
	v_mov_b32_e32 v13, v12
	s_delay_alu instid0(VALU_DEP_2) | instskip(SKIP_1) | instid1(SALU_CYCLE_1)
	v_cmp_eq_u16_e32 vcc_lo, 0, v14
	s_or_b32 s1, vcc_lo, s1
	s_and_not1_b32 exec_lo, exec_lo, s1
	s_cbranch_execnz .LBB40_9
; %bb.10:
	s_or_b32 exec_lo, exec_lo, s1
.LBB40_11:
	s_delay_alu instid0(SALU_CYCLE_1) | instskip(NEXT) | instid1(VALU_DEP_1)
	s_or_b32 exec_lo, exec_lo, s0
	v_and_b32_e32 v13, 0xff, v12
	v_mov_b32_e32 v14, 0
	s_mov_b32 s0, exec_lo
	s_delay_alu instid0(VALU_DEP_2)
	v_cmpx_ne_u16_e32 0, v13
	s_cbranch_execz .LBB40_13
; %bb.12:
	v_cvt_f32_ubyte0_e32 v12, v12
	v_cvt_f32_ubyte0_e32 v11, v11
	s_delay_alu instid0(VALU_DEP_2) | instskip(SKIP_1) | instid1(TRANS32_DEP_1)
	v_rcp_iflag_f32_e32 v13, v12
	v_nop
	v_mul_f32_e32 v13, v11, v13
	s_delay_alu instid0(VALU_DEP_1) | instskip(NEXT) | instid1(VALU_DEP_1)
	v_trunc_f32_e32 v13, v13
	v_fma_f32 v11, -v13, v12, v11
	v_cvt_u32_f32_e32 v13, v13
	s_delay_alu instid0(VALU_DEP_2) | instskip(NEXT) | instid1(VALU_DEP_1)
	v_cmp_ge_f32_e64 vcc_lo, |v11|, v12
	v_add_co_ci_u32_e64 v11, null, 0, v13, vcc_lo
	s_delay_alu instid0(VALU_DEP_1)
	v_mul_lo_u16 v14, v11, v10
.LBB40_13:
	s_or_b32 exec_lo, exec_lo, s0
	v_lshrrev_b32_e32 v10, 16, v6
	v_lshrrev_b32_e32 v11, 16, v2
	s_mov_b32 s1, 0
	s_delay_alu instid0(VALU_DEP_1) | instskip(NEXT) | instid1(VALU_DEP_1)
	v_and_b32_e32 v12, 0xff, v11
	v_cmp_ne_u16_e32 vcc_lo, 0, v12
	v_mov_b32_e32 v12, v10
	s_and_saveexec_b32 s0, vcc_lo
	s_cbranch_execz .LBB40_17
; %bb.14:
	v_dual_mov_b32 v15, v11 :: v_dual_mov_b32 v13, v10
.LBB40_15:                              ; =>This Inner Loop Header: Depth=1
	s_delay_alu instid0(VALU_DEP_1) | instskip(NEXT) | instid1(VALU_DEP_2)
	v_cvt_f32_ubyte0_e32 v17, v13
	v_mov_b32_e32 v12, v15
	s_delay_alu instid0(VALU_DEP_1) | instskip(NEXT) | instid1(VALU_DEP_1)
	v_cvt_f32_ubyte0_e32 v15, v12
	v_rcp_iflag_f32_e32 v16, v15
	v_nop
	s_delay_alu instid0(TRANS32_DEP_1) | instskip(NEXT) | instid1(VALU_DEP_1)
	v_mul_f32_e32 v16, v17, v16
	v_trunc_f32_e32 v16, v16
	s_delay_alu instid0(VALU_DEP_1) | instskip(SKIP_1) | instid1(VALU_DEP_2)
	v_fma_f32 v17, -v16, v15, v17
	v_cvt_u32_f32_e32 v16, v16
	v_cmp_ge_f32_e64 vcc_lo, |v17|, v15
	s_delay_alu instid0(VALU_DEP_1) | instskip(NEXT) | instid1(VALU_DEP_1)
	v_add_co_ci_u32_e64 v15, null, 0, v16, vcc_lo
	v_mul_lo_u32 v15, v15, v12
	s_delay_alu instid0(VALU_DEP_1) | instskip(NEXT) | instid1(VALU_DEP_1)
	v_sub_nc_u32_e32 v13, v13, v15
	v_and_b32_e32 v15, 0xff, v13
	v_mov_b32_e32 v13, v12
	s_delay_alu instid0(VALU_DEP_2) | instskip(SKIP_1) | instid1(SALU_CYCLE_1)
	v_cmp_eq_u16_e32 vcc_lo, 0, v15
	s_or_b32 s1, vcc_lo, s1
	s_and_not1_b32 exec_lo, exec_lo, s1
	s_cbranch_execnz .LBB40_15
; %bb.16:
	s_or_b32 exec_lo, exec_lo, s1
.LBB40_17:
	s_delay_alu instid0(SALU_CYCLE_1) | instskip(NEXT) | instid1(VALU_DEP_1)
	s_or_b32 exec_lo, exec_lo, s0
	v_and_b32_e32 v13, 0xff, v12
	v_mov_b32_e32 v15, 0
	s_mov_b32 s0, exec_lo
	s_delay_alu instid0(VALU_DEP_2)
	v_cmpx_ne_u16_e32 0, v13
	s_cbranch_execz .LBB40_19
; %bb.18:
	v_cvt_f32_ubyte0_e32 v12, v12
	v_cvt_f32_ubyte0_e32 v11, v11
	s_delay_alu instid0(VALU_DEP_2) | instskip(SKIP_1) | instid1(TRANS32_DEP_1)
	v_rcp_iflag_f32_e32 v13, v12
	v_nop
	v_mul_f32_e32 v13, v11, v13
	s_delay_alu instid0(VALU_DEP_1) | instskip(NEXT) | instid1(VALU_DEP_1)
	v_trunc_f32_e32 v13, v13
	v_fma_f32 v11, -v13, v12, v11
	v_cvt_u32_f32_e32 v13, v13
	s_delay_alu instid0(VALU_DEP_2) | instskip(NEXT) | instid1(VALU_DEP_1)
	v_cmp_ge_f32_e64 vcc_lo, |v11|, v12
	v_add_co_ci_u32_e64 v11, null, 0, v13, vcc_lo
	s_delay_alu instid0(VALU_DEP_1)
	v_mul_lo_u16 v15, v11, v10
.LBB40_19:
	s_or_b32 exec_lo, exec_lo, s0
	v_lshrrev_b64 v[12:13], 24, v[2:3]
	v_lshrrev_b64 v[10:11], 24, v[6:7]
	s_mov_b32 s1, 0
	s_delay_alu instid0(VALU_DEP_2) | instskip(NEXT) | instid1(VALU_DEP_1)
	v_and_b32_e32 v2, 0xff, v12
	v_cmp_ne_u16_e32 vcc_lo, 0, v2
	s_delay_alu instid0(VALU_DEP_3)
	v_mov_b32_e32 v2, v10
	s_and_saveexec_b32 s0, vcc_lo
	s_cbranch_execz .LBB40_23
; %bb.20:
	v_dual_mov_b32 v11, v12 :: v_dual_mov_b32 v6, v10
.LBB40_21:                              ; =>This Inner Loop Header: Depth=1
	s_delay_alu instid0(VALU_DEP_1) | instskip(NEXT) | instid1(VALU_DEP_2)
	v_cvt_f32_ubyte0_e32 v16, v6
	v_mov_b32_e32 v2, v11
	s_delay_alu instid0(VALU_DEP_1) | instskip(NEXT) | instid1(VALU_DEP_1)
	v_cvt_f32_ubyte0_e32 v11, v2
	v_rcp_iflag_f32_e32 v13, v11
	v_nop
	s_delay_alu instid0(TRANS32_DEP_1) | instskip(NEXT) | instid1(VALU_DEP_1)
	v_mul_f32_e32 v13, v16, v13
	v_trunc_f32_e32 v13, v13
	s_delay_alu instid0(VALU_DEP_1) | instskip(SKIP_1) | instid1(VALU_DEP_2)
	v_fma_f32 v16, -v13, v11, v16
	v_cvt_u32_f32_e32 v13, v13
	v_cmp_ge_f32_e64 vcc_lo, |v16|, v11
	s_delay_alu instid0(VALU_DEP_1) | instskip(NEXT) | instid1(VALU_DEP_1)
	v_add_co_ci_u32_e64 v11, null, 0, v13, vcc_lo
	v_mul_lo_u32 v11, v11, v2
	s_delay_alu instid0(VALU_DEP_1) | instskip(NEXT) | instid1(VALU_DEP_1)
	v_sub_nc_u32_e32 v6, v6, v11
	v_and_b32_e32 v11, 0xff, v6
	v_mov_b32_e32 v6, v2
	s_delay_alu instid0(VALU_DEP_2) | instskip(SKIP_1) | instid1(SALU_CYCLE_1)
	v_cmp_eq_u16_e32 vcc_lo, 0, v11
	s_or_b32 s1, vcc_lo, s1
	s_and_not1_b32 exec_lo, exec_lo, s1
	s_cbranch_execnz .LBB40_21
; %bb.22:
	s_or_b32 exec_lo, exec_lo, s1
.LBB40_23:
	s_delay_alu instid0(SALU_CYCLE_1) | instskip(NEXT) | instid1(VALU_DEP_1)
	s_or_b32 exec_lo, exec_lo, s0
	v_and_b32_e32 v6, 0xff, v2
	v_mov_b32_e32 v11, 0
	s_mov_b32 s0, exec_lo
	s_delay_alu instid0(VALU_DEP_2)
	v_cmpx_ne_u16_e32 0, v6
	s_cbranch_execz .LBB40_25
; %bb.24:
	v_cvt_f32_ubyte0_e32 v2, v2
	v_cvt_f32_ubyte0_e32 v11, v12
	s_delay_alu instid0(VALU_DEP_2) | instskip(SKIP_1) | instid1(TRANS32_DEP_1)
	v_rcp_iflag_f32_e32 v6, v2
	v_nop
	v_mul_f32_e32 v6, v11, v6
	s_delay_alu instid0(VALU_DEP_1) | instskip(NEXT) | instid1(VALU_DEP_1)
	v_trunc_f32_e32 v6, v6
	v_fma_f32 v11, -v6, v2, v11
	v_cvt_u32_f32_e32 v6, v6
	s_delay_alu instid0(VALU_DEP_2) | instskip(NEXT) | instid1(VALU_DEP_1)
	v_cmp_ge_f32_e64 vcc_lo, |v11|, v2
	v_add_co_ci_u32_e64 v2, null, 0, v6, vcc_lo
	s_delay_alu instid0(VALU_DEP_1)
	v_mul_lo_u16 v11, v2, v10
.LBB40_25:
	s_or_b32 exec_lo, exec_lo, s0
	v_and_b32_e32 v2, 0xff, v3
	s_mov_b32 s1, 0
	s_delay_alu instid0(VALU_DEP_1)
	v_cmp_ne_u16_e32 vcc_lo, 0, v2
	v_mov_b32_e32 v2, v7
	s_and_saveexec_b32 s0, vcc_lo
	s_cbranch_execz .LBB40_29
; %bb.26:
	v_dual_mov_b32 v10, v3 :: v_dual_mov_b32 v6, v7
.LBB40_27:                              ; =>This Inner Loop Header: Depth=1
	s_delay_alu instid0(VALU_DEP_1) | instskip(NEXT) | instid1(VALU_DEP_2)
	v_cvt_f32_ubyte0_e32 v13, v6
	v_mov_b32_e32 v2, v10
	s_delay_alu instid0(VALU_DEP_1) | instskip(NEXT) | instid1(VALU_DEP_1)
	v_cvt_f32_ubyte0_e32 v10, v2
	v_rcp_iflag_f32_e32 v12, v10
	v_nop
	s_delay_alu instid0(TRANS32_DEP_1) | instskip(NEXT) | instid1(VALU_DEP_1)
	v_mul_f32_e32 v12, v13, v12
	v_trunc_f32_e32 v12, v12
	s_delay_alu instid0(VALU_DEP_1) | instskip(SKIP_1) | instid1(VALU_DEP_2)
	v_fma_f32 v13, -v12, v10, v13
	v_cvt_u32_f32_e32 v12, v12
	v_cmp_ge_f32_e64 vcc_lo, |v13|, v10
	s_delay_alu instid0(VALU_DEP_1) | instskip(NEXT) | instid1(VALU_DEP_1)
	v_add_co_ci_u32_e64 v10, null, 0, v12, vcc_lo
	v_mul_lo_u32 v10, v10, v2
	s_delay_alu instid0(VALU_DEP_1) | instskip(NEXT) | instid1(VALU_DEP_1)
	v_sub_nc_u32_e32 v6, v6, v10
	v_and_b32_e32 v10, 0xff, v6
	v_mov_b32_e32 v6, v2
	s_delay_alu instid0(VALU_DEP_2) | instskip(SKIP_1) | instid1(SALU_CYCLE_1)
	v_cmp_eq_u16_e32 vcc_lo, 0, v10
	s_or_b32 s1, vcc_lo, s1
	s_and_not1_b32 exec_lo, exec_lo, s1
	s_cbranch_execnz .LBB40_27
; %bb.28:
	s_or_b32 exec_lo, exec_lo, s1
.LBB40_29:
	s_delay_alu instid0(SALU_CYCLE_1) | instskip(NEXT) | instid1(VALU_DEP_1)
	s_or_b32 exec_lo, exec_lo, s0
	v_and_b32_e32 v6, 0xff, v2
	v_mov_b32_e32 v10, 0
	s_mov_b32 s0, exec_lo
	s_delay_alu instid0(VALU_DEP_2)
	v_cmpx_ne_u16_e32 0, v6
	s_cbranch_execz .LBB40_31
; %bb.30:
	v_cvt_f32_ubyte0_e32 v2, v2
	v_cvt_f32_ubyte0_e32 v10, v3
	s_delay_alu instid0(VALU_DEP_2) | instskip(SKIP_1) | instid1(TRANS32_DEP_1)
	v_rcp_iflag_f32_e32 v6, v2
	v_nop
	v_mul_f32_e32 v6, v10, v6
	s_delay_alu instid0(VALU_DEP_1) | instskip(NEXT) | instid1(VALU_DEP_1)
	v_trunc_f32_e32 v6, v6
	v_fma_f32 v10, -v6, v2, v10
	v_cvt_u32_f32_e32 v6, v6
	s_delay_alu instid0(VALU_DEP_2) | instskip(NEXT) | instid1(VALU_DEP_1)
	v_cmp_ge_f32_e64 vcc_lo, |v10|, v2
	v_add_co_ci_u32_e64 v2, null, 0, v6, vcc_lo
	s_delay_alu instid0(VALU_DEP_1)
	v_mul_lo_u16 v10, v2, v7
.LBB40_31:
	s_or_b32 exec_lo, exec_lo, s0
	v_lshrrev_b32_e32 v2, 8, v7
	v_lshrrev_b32_e32 v6, 8, v3
	s_mov_b32 s1, 0
	s_mov_b32 s0, exec_lo
	s_delay_alu instid0(VALU_DEP_2) | instskip(NEXT) | instid1(VALU_DEP_2)
	v_mov_b32_e32 v13, v2
	v_and_b32_e32 v12, 0xff, v6
	s_delay_alu instid0(VALU_DEP_1)
	v_cmpx_ne_u16_e32 0, v12
	s_cbranch_execz .LBB40_35
; %bb.32:
	v_dual_mov_b32 v16, v6 :: v_dual_mov_b32 v12, v2
.LBB40_33:                              ; =>This Inner Loop Header: Depth=1
	s_delay_alu instid0(VALU_DEP_1) | instskip(NEXT) | instid1(VALU_DEP_2)
	v_cvt_f32_ubyte0_e32 v18, v12
	v_mov_b32_e32 v13, v16
	s_delay_alu instid0(VALU_DEP_1) | instskip(NEXT) | instid1(VALU_DEP_1)
	v_cvt_f32_ubyte0_e32 v16, v13
	v_rcp_iflag_f32_e32 v17, v16
	v_nop
	s_delay_alu instid0(TRANS32_DEP_1) | instskip(NEXT) | instid1(VALU_DEP_1)
	v_mul_f32_e32 v17, v18, v17
	v_trunc_f32_e32 v17, v17
	s_delay_alu instid0(VALU_DEP_1) | instskip(SKIP_1) | instid1(VALU_DEP_2)
	v_fma_f32 v18, -v17, v16, v18
	v_cvt_u32_f32_e32 v17, v17
	v_cmp_ge_f32_e64 vcc_lo, |v18|, v16
	s_delay_alu instid0(VALU_DEP_1) | instskip(NEXT) | instid1(VALU_DEP_1)
	v_add_co_ci_u32_e64 v16, null, 0, v17, vcc_lo
	v_mul_lo_u32 v16, v16, v13
	s_delay_alu instid0(VALU_DEP_1) | instskip(NEXT) | instid1(VALU_DEP_1)
	v_sub_nc_u32_e32 v12, v12, v16
	v_and_b32_e32 v16, 0xff, v12
	v_mov_b32_e32 v12, v13
	s_delay_alu instid0(VALU_DEP_2) | instskip(SKIP_1) | instid1(SALU_CYCLE_1)
	v_cmp_eq_u16_e32 vcc_lo, 0, v16
	s_or_b32 s1, vcc_lo, s1
	s_and_not1_b32 exec_lo, exec_lo, s1
	s_cbranch_execnz .LBB40_33
; %bb.34:
	s_or_b32 exec_lo, exec_lo, s1
.LBB40_35:
	s_delay_alu instid0(SALU_CYCLE_1) | instskip(SKIP_3) | instid1(VALU_DEP_2)
	s_or_b32 exec_lo, exec_lo, s0
	v_and_b32_e32 v16, 0xff, v13
	v_mov_b32_e32 v12, 0
	s_mov_b32 s0, exec_lo
	v_cmpx_ne_u16_e32 0, v16
	s_cbranch_execz .LBB40_37
; %bb.36:
	v_cvt_f32_ubyte0_e32 v12, v13
	v_cvt_f32_ubyte0_e32 v6, v6
	s_delay_alu instid0(VALU_DEP_2) | instskip(SKIP_1) | instid1(TRANS32_DEP_1)
	v_rcp_iflag_f32_e32 v13, v12
	v_nop
	v_mul_f32_e32 v13, v6, v13
	s_delay_alu instid0(VALU_DEP_1) | instskip(NEXT) | instid1(VALU_DEP_1)
	v_trunc_f32_e32 v13, v13
	v_fma_f32 v6, -v13, v12, v6
	v_cvt_u32_f32_e32 v13, v13
	s_delay_alu instid0(VALU_DEP_2) | instskip(NEXT) | instid1(VALU_DEP_1)
	v_cmp_ge_f32_e64 vcc_lo, |v6|, v12
	v_add_co_ci_u32_e64 v6, null, 0, v13, vcc_lo
	s_delay_alu instid0(VALU_DEP_1)
	v_mul_lo_u16 v12, v6, v2
.LBB40_37:
	s_or_b32 exec_lo, exec_lo, s0
	v_lshrrev_b32_e32 v2, 16, v7
	v_lshrrev_b32_e32 v6, 16, v3
	s_mov_b32 s1, 0
	s_mov_b32 s0, exec_lo
	s_delay_alu instid0(VALU_DEP_2) | instskip(NEXT) | instid1(VALU_DEP_2)
	v_mov_b32_e32 v16, v2
	v_and_b32_e32 v13, 0xff, v6
	s_delay_alu instid0(VALU_DEP_1)
	v_cmpx_ne_u16_e32 0, v13
	s_cbranch_execz .LBB40_41
; %bb.38:
	v_dual_mov_b32 v17, v6 :: v_dual_mov_b32 v13, v2
.LBB40_39:                              ; =>This Inner Loop Header: Depth=1
	s_delay_alu instid0(VALU_DEP_1) | instskip(NEXT) | instid1(VALU_DEP_2)
	v_cvt_f32_ubyte0_e32 v19, v13
	v_mov_b32_e32 v16, v17
	s_delay_alu instid0(VALU_DEP_1) | instskip(NEXT) | instid1(VALU_DEP_1)
	v_cvt_f32_ubyte0_e32 v17, v16
	v_rcp_iflag_f32_e32 v18, v17
	v_nop
	s_delay_alu instid0(TRANS32_DEP_1) | instskip(NEXT) | instid1(VALU_DEP_1)
	v_mul_f32_e32 v18, v19, v18
	v_trunc_f32_e32 v18, v18
	s_delay_alu instid0(VALU_DEP_1) | instskip(SKIP_1) | instid1(VALU_DEP_2)
	v_fma_f32 v19, -v18, v17, v19
	v_cvt_u32_f32_e32 v18, v18
	v_cmp_ge_f32_e64 vcc_lo, |v19|, v17
	s_delay_alu instid0(VALU_DEP_1) | instskip(NEXT) | instid1(VALU_DEP_1)
	v_add_co_ci_u32_e64 v17, null, 0, v18, vcc_lo
	v_mul_lo_u32 v17, v17, v16
	s_delay_alu instid0(VALU_DEP_1) | instskip(NEXT) | instid1(VALU_DEP_1)
	v_sub_nc_u32_e32 v13, v13, v17
	v_and_b32_e32 v17, 0xff, v13
	v_mov_b32_e32 v13, v16
	s_delay_alu instid0(VALU_DEP_2) | instskip(SKIP_1) | instid1(SALU_CYCLE_1)
	v_cmp_eq_u16_e32 vcc_lo, 0, v17
	s_or_b32 s1, vcc_lo, s1
	s_and_not1_b32 exec_lo, exec_lo, s1
	s_cbranch_execnz .LBB40_39
; %bb.40:
	s_or_b32 exec_lo, exec_lo, s1
.LBB40_41:
	s_delay_alu instid0(SALU_CYCLE_1) | instskip(SKIP_3) | instid1(VALU_DEP_2)
	s_or_b32 exec_lo, exec_lo, s0
	v_and_b32_e32 v17, 0xff, v16
	v_mov_b32_e32 v13, 0
	s_mov_b32 s0, exec_lo
	v_cmpx_ne_u16_e32 0, v17
	s_cbranch_execz .LBB40_43
; %bb.42:
	v_cvt_f32_ubyte0_e32 v13, v16
	v_cvt_f32_ubyte0_e32 v6, v6
	s_delay_alu instid0(VALU_DEP_2) | instskip(SKIP_1) | instid1(TRANS32_DEP_1)
	v_rcp_iflag_f32_e32 v16, v13
	v_nop
	v_mul_f32_e32 v16, v6, v16
	s_delay_alu instid0(VALU_DEP_1) | instskip(NEXT) | instid1(VALU_DEP_1)
	v_trunc_f32_e32 v16, v16
	v_fma_f32 v6, -v16, v13, v6
	v_cvt_u32_f32_e32 v16, v16
	s_delay_alu instid0(VALU_DEP_2) | instskip(NEXT) | instid1(VALU_DEP_1)
	v_cmp_ge_f32_e64 vcc_lo, |v6|, v13
	v_add_co_ci_u32_e64 v6, null, 0, v16, vcc_lo
	s_delay_alu instid0(VALU_DEP_1)
	v_mul_lo_u16 v13, v6, v2
.LBB40_43:
	s_or_b32 exec_lo, exec_lo, s0
	v_lshrrev_b32_e32 v2, 24, v7
	v_lshrrev_b32_e32 v3, 24, v3
	s_mov_b32 s1, 0
	s_mov_b32 s0, exec_lo
	s_delay_alu instid0(VALU_DEP_2) | instskip(NEXT) | instid1(VALU_DEP_2)
	v_mov_b32_e32 v6, v2
	v_cmpx_ne_u16_e32 0, v3
	s_cbranch_execz .LBB40_47
; %bb.44:
	v_dual_mov_b32 v16, v3 :: v_dual_mov_b32 v7, v2
.LBB40_45:                              ; =>This Inner Loop Header: Depth=1
	s_delay_alu instid0(VALU_DEP_1) | instskip(NEXT) | instid1(VALU_DEP_2)
	v_cvt_f32_ubyte0_e32 v18, v7
	v_mov_b32_e32 v6, v16
	s_delay_alu instid0(VALU_DEP_1) | instskip(NEXT) | instid1(VALU_DEP_1)
	v_cvt_f32_ubyte0_e32 v16, v6
	v_rcp_iflag_f32_e32 v17, v16
	v_nop
	s_delay_alu instid0(TRANS32_DEP_1) | instskip(NEXT) | instid1(VALU_DEP_1)
	v_mul_f32_e32 v17, v18, v17
	v_trunc_f32_e32 v17, v17
	s_delay_alu instid0(VALU_DEP_1) | instskip(SKIP_1) | instid1(VALU_DEP_2)
	v_fma_f32 v18, -v17, v16, v18
	v_cvt_u32_f32_e32 v17, v17
	v_cmp_ge_f32_e64 vcc_lo, |v18|, v16
	s_delay_alu instid0(VALU_DEP_1) | instskip(NEXT) | instid1(VALU_DEP_1)
	v_add_co_ci_u32_e64 v16, null, 0, v17, vcc_lo
	v_mul_lo_u32 v16, v16, v6
	s_delay_alu instid0(VALU_DEP_1) | instskip(NEXT) | instid1(VALU_DEP_1)
	v_sub_nc_u32_e32 v7, v7, v16
	v_and_b32_e32 v16, 0xff, v7
	v_mov_b32_e32 v7, v6
	s_delay_alu instid0(VALU_DEP_2) | instskip(SKIP_1) | instid1(SALU_CYCLE_1)
	v_cmp_eq_u16_e32 vcc_lo, 0, v16
	s_or_b32 s1, vcc_lo, s1
	s_and_not1_b32 exec_lo, exec_lo, s1
	s_cbranch_execnz .LBB40_45
; %bb.46:
	s_or_b32 exec_lo, exec_lo, s1
.LBB40_47:
	s_delay_alu instid0(SALU_CYCLE_1) | instskip(NEXT) | instid1(VALU_DEP_2)
	s_or_b32 exec_lo, exec_lo, s0
	v_and_b32_e32 v7, 0xff, v6
	v_mov_b32_e32 v16, 0
	s_mov_b32 s0, exec_lo
	s_delay_alu instid0(VALU_DEP_2)
	v_cmpx_ne_u16_e32 0, v7
	s_cbranch_execz .LBB40_49
; %bb.48:
	v_cvt_f32_ubyte0_e32 v6, v6
	v_cvt_f32_ubyte0_e32 v3, v3
	s_delay_alu instid0(VALU_DEP_2) | instskip(SKIP_1) | instid1(TRANS32_DEP_1)
	v_rcp_iflag_f32_e32 v7, v6
	v_nop
	v_mul_f32_e32 v7, v3, v7
	s_delay_alu instid0(VALU_DEP_1) | instskip(NEXT) | instid1(VALU_DEP_1)
	v_trunc_f32_e32 v7, v7
	v_fma_f32 v3, -v7, v6, v3
	v_cvt_u32_f32_e32 v7, v7
	s_delay_alu instid0(VALU_DEP_2) | instskip(NEXT) | instid1(VALU_DEP_1)
	v_cmp_ge_f32_e64 vcc_lo, |v3|, v6
	v_add_co_ci_u32_e64 v3, null, 0, v7, vcc_lo
	s_delay_alu instid0(VALU_DEP_1)
	v_mul_lo_u16 v16, v3, v2
.LBB40_49:
	s_or_b32 exec_lo, exec_lo, s0
	v_and_b32_e32 v2, 0xff, v4
	s_mov_b32 s1, 0
	s_delay_alu instid0(VALU_DEP_1)
	v_cmp_ne_u16_e32 vcc_lo, 0, v2
	v_mov_b32_e32 v2, v8
	s_and_saveexec_b32 s0, vcc_lo
	s_cbranch_execz .LBB40_53
; %bb.50:
	v_dual_mov_b32 v6, v4 :: v_dual_mov_b32 v3, v8
.LBB40_51:                              ; =>This Inner Loop Header: Depth=1
	s_delay_alu instid0(VALU_DEP_1) | instskip(NEXT) | instid1(VALU_DEP_2)
	v_cvt_f32_ubyte0_e32 v17, v3
	v_mov_b32_e32 v2, v6
	s_delay_alu instid0(VALU_DEP_1) | instskip(NEXT) | instid1(VALU_DEP_1)
	v_cvt_f32_ubyte0_e32 v6, v2
	v_rcp_iflag_f32_e32 v7, v6
	v_nop
	s_delay_alu instid0(TRANS32_DEP_1) | instskip(NEXT) | instid1(VALU_DEP_1)
	v_mul_f32_e32 v7, v17, v7
	v_trunc_f32_e32 v7, v7
	s_delay_alu instid0(VALU_DEP_1) | instskip(SKIP_1) | instid1(VALU_DEP_2)
	v_fma_f32 v17, -v7, v6, v17
	v_cvt_u32_f32_e32 v7, v7
	v_cmp_ge_f32_e64 vcc_lo, |v17|, v6
	s_delay_alu instid0(VALU_DEP_1) | instskip(NEXT) | instid1(VALU_DEP_1)
	v_add_co_ci_u32_e64 v6, null, 0, v7, vcc_lo
	v_mul_lo_u32 v6, v6, v2
	s_delay_alu instid0(VALU_DEP_1) | instskip(NEXT) | instid1(VALU_DEP_1)
	v_sub_nc_u32_e32 v3, v3, v6
	v_and_b32_e32 v6, 0xff, v3
	v_mov_b32_e32 v3, v2
	s_delay_alu instid0(VALU_DEP_2) | instskip(SKIP_1) | instid1(SALU_CYCLE_1)
	v_cmp_eq_u16_e32 vcc_lo, 0, v6
	s_or_b32 s1, vcc_lo, s1
	s_and_not1_b32 exec_lo, exec_lo, s1
	s_cbranch_execnz .LBB40_51
; %bb.52:
	s_or_b32 exec_lo, exec_lo, s1
.LBB40_53:
	s_delay_alu instid0(SALU_CYCLE_1) | instskip(NEXT) | instid1(VALU_DEP_1)
	s_or_b32 exec_lo, exec_lo, s0
	v_and_b32_e32 v3, 0xff, v2
	v_mov_b32_e32 v17, 0
	s_mov_b32 s0, exec_lo
	s_delay_alu instid0(VALU_DEP_2)
	v_cmpx_ne_u16_e32 0, v3
	s_cbranch_execz .LBB40_55
; %bb.54:
	v_cvt_f32_ubyte0_e32 v2, v2
	v_cvt_f32_ubyte0_e32 v6, v4
	s_delay_alu instid0(VALU_DEP_2) | instskip(SKIP_1) | instid1(TRANS32_DEP_1)
	v_rcp_iflag_f32_e32 v3, v2
	v_nop
	v_mul_f32_e32 v3, v6, v3
	s_delay_alu instid0(VALU_DEP_1) | instskip(NEXT) | instid1(VALU_DEP_1)
	v_trunc_f32_e32 v3, v3
	v_fma_f32 v6, -v3, v2, v6
	v_cvt_u32_f32_e32 v3, v3
	s_delay_alu instid0(VALU_DEP_2) | instskip(NEXT) | instid1(VALU_DEP_1)
	v_cmp_ge_f32_e64 vcc_lo, |v6|, v2
	v_add_co_ci_u32_e64 v2, null, 0, v3, vcc_lo
	s_delay_alu instid0(VALU_DEP_1)
	v_mul_lo_u16 v17, v2, v8
.LBB40_55:
	s_or_b32 exec_lo, exec_lo, s0
	v_lshrrev_b32_e32 v2, 8, v8
	v_lshrrev_b32_e32 v3, 8, v4
	s_mov_b32 s1, 0
	s_delay_alu instid0(VALU_DEP_1) | instskip(NEXT) | instid1(VALU_DEP_1)
	v_and_b32_e32 v6, 0xff, v3
	v_cmp_ne_u16_e32 vcc_lo, 0, v6
	v_mov_b32_e32 v6, v2
	s_and_saveexec_b32 s0, vcc_lo
	s_cbranch_execz .LBB40_59
; %bb.56:
	v_dual_mov_b32 v18, v3 :: v_dual_mov_b32 v7, v2
.LBB40_57:                              ; =>This Inner Loop Header: Depth=1
	s_delay_alu instid0(VALU_DEP_1) | instskip(NEXT) | instid1(VALU_DEP_2)
	v_cvt_f32_ubyte0_e32 v20, v7
	v_mov_b32_e32 v6, v18
	s_delay_alu instid0(VALU_DEP_1) | instskip(NEXT) | instid1(VALU_DEP_1)
	v_cvt_f32_ubyte0_e32 v18, v6
	v_rcp_iflag_f32_e32 v19, v18
	v_nop
	s_delay_alu instid0(TRANS32_DEP_1) | instskip(NEXT) | instid1(VALU_DEP_1)
	v_mul_f32_e32 v19, v20, v19
	v_trunc_f32_e32 v19, v19
	s_delay_alu instid0(VALU_DEP_1) | instskip(SKIP_1) | instid1(VALU_DEP_2)
	v_fma_f32 v20, -v19, v18, v20
	v_cvt_u32_f32_e32 v19, v19
	v_cmp_ge_f32_e64 vcc_lo, |v20|, v18
	s_delay_alu instid0(VALU_DEP_1) | instskip(NEXT) | instid1(VALU_DEP_1)
	v_add_co_ci_u32_e64 v18, null, 0, v19, vcc_lo
	v_mul_lo_u32 v18, v18, v6
	s_delay_alu instid0(VALU_DEP_1) | instskip(NEXT) | instid1(VALU_DEP_1)
	v_sub_nc_u32_e32 v7, v7, v18
	v_and_b32_e32 v18, 0xff, v7
	v_mov_b32_e32 v7, v6
	s_delay_alu instid0(VALU_DEP_2) | instskip(SKIP_1) | instid1(SALU_CYCLE_1)
	v_cmp_eq_u16_e32 vcc_lo, 0, v18
	s_or_b32 s1, vcc_lo, s1
	s_and_not1_b32 exec_lo, exec_lo, s1
	s_cbranch_execnz .LBB40_57
; %bb.58:
	s_or_b32 exec_lo, exec_lo, s1
.LBB40_59:
	s_delay_alu instid0(SALU_CYCLE_1) | instskip(NEXT) | instid1(VALU_DEP_1)
	s_or_b32 exec_lo, exec_lo, s0
	v_and_b32_e32 v7, 0xff, v6
	v_mov_b32_e32 v18, 0
	s_mov_b32 s0, exec_lo
	s_delay_alu instid0(VALU_DEP_2)
	v_cmpx_ne_u16_e32 0, v7
	s_cbranch_execz .LBB40_61
; %bb.60:
	v_cvt_f32_ubyte0_e32 v6, v6
	v_cvt_f32_ubyte0_e32 v3, v3
	s_delay_alu instid0(VALU_DEP_2) | instskip(SKIP_1) | instid1(TRANS32_DEP_1)
	v_rcp_iflag_f32_e32 v7, v6
	v_nop
	v_mul_f32_e32 v7, v3, v7
	s_delay_alu instid0(VALU_DEP_1) | instskip(NEXT) | instid1(VALU_DEP_1)
	v_trunc_f32_e32 v7, v7
	v_fma_f32 v3, -v7, v6, v3
	v_cvt_u32_f32_e32 v7, v7
	s_delay_alu instid0(VALU_DEP_2) | instskip(NEXT) | instid1(VALU_DEP_1)
	v_cmp_ge_f32_e64 vcc_lo, |v3|, v6
	v_add_co_ci_u32_e64 v3, null, 0, v7, vcc_lo
	s_delay_alu instid0(VALU_DEP_1)
	v_mul_lo_u16 v18, v3, v2
.LBB40_61:
	s_or_b32 exec_lo, exec_lo, s0
	v_lshrrev_b32_e32 v2, 16, v8
	v_lshrrev_b32_e32 v3, 16, v4
	s_mov_b32 s1, 0
	s_delay_alu instid0(VALU_DEP_1) | instskip(NEXT) | instid1(VALU_DEP_1)
	v_and_b32_e32 v6, 0xff, v3
	v_cmp_ne_u16_e32 vcc_lo, 0, v6
	v_mov_b32_e32 v6, v2
	s_and_saveexec_b32 s0, vcc_lo
	s_cbranch_execz .LBB40_65
; %bb.62:
	v_dual_mov_b32 v19, v3 :: v_dual_mov_b32 v7, v2
.LBB40_63:                              ; =>This Inner Loop Header: Depth=1
	s_delay_alu instid0(VALU_DEP_1) | instskip(NEXT) | instid1(VALU_DEP_2)
	v_cvt_f32_ubyte0_e32 v21, v7
	v_mov_b32_e32 v6, v19
	s_delay_alu instid0(VALU_DEP_1) | instskip(NEXT) | instid1(VALU_DEP_1)
	v_cvt_f32_ubyte0_e32 v19, v6
	v_rcp_iflag_f32_e32 v20, v19
	v_nop
	s_delay_alu instid0(TRANS32_DEP_1) | instskip(NEXT) | instid1(VALU_DEP_1)
	v_mul_f32_e32 v20, v21, v20
	v_trunc_f32_e32 v20, v20
	s_delay_alu instid0(VALU_DEP_1) | instskip(SKIP_1) | instid1(VALU_DEP_2)
	v_fma_f32 v21, -v20, v19, v21
	v_cvt_u32_f32_e32 v20, v20
	v_cmp_ge_f32_e64 vcc_lo, |v21|, v19
	s_delay_alu instid0(VALU_DEP_1) | instskip(NEXT) | instid1(VALU_DEP_1)
	v_add_co_ci_u32_e64 v19, null, 0, v20, vcc_lo
	v_mul_lo_u32 v19, v19, v6
	s_delay_alu instid0(VALU_DEP_1) | instskip(NEXT) | instid1(VALU_DEP_1)
	v_sub_nc_u32_e32 v7, v7, v19
	v_and_b32_e32 v19, 0xff, v7
	v_mov_b32_e32 v7, v6
	s_delay_alu instid0(VALU_DEP_2) | instskip(SKIP_1) | instid1(SALU_CYCLE_1)
	v_cmp_eq_u16_e32 vcc_lo, 0, v19
	s_or_b32 s1, vcc_lo, s1
	s_and_not1_b32 exec_lo, exec_lo, s1
	s_cbranch_execnz .LBB40_63
; %bb.64:
	s_or_b32 exec_lo, exec_lo, s1
.LBB40_65:
	s_delay_alu instid0(SALU_CYCLE_1) | instskip(NEXT) | instid1(VALU_DEP_1)
	s_or_b32 exec_lo, exec_lo, s0
	v_and_b32_e32 v7, 0xff, v6
	v_mov_b32_e32 v19, 0
	s_mov_b32 s0, exec_lo
	s_delay_alu instid0(VALU_DEP_2)
	v_cmpx_ne_u16_e32 0, v7
	s_cbranch_execz .LBB40_67
; %bb.66:
	v_cvt_f32_ubyte0_e32 v6, v6
	v_cvt_f32_ubyte0_e32 v3, v3
	s_delay_alu instid0(VALU_DEP_2) | instskip(SKIP_1) | instid1(TRANS32_DEP_1)
	v_rcp_iflag_f32_e32 v7, v6
	v_nop
	v_mul_f32_e32 v7, v3, v7
	s_delay_alu instid0(VALU_DEP_1) | instskip(NEXT) | instid1(VALU_DEP_1)
	v_trunc_f32_e32 v7, v7
	v_fma_f32 v3, -v7, v6, v3
	v_cvt_u32_f32_e32 v7, v7
	s_delay_alu instid0(VALU_DEP_2) | instskip(NEXT) | instid1(VALU_DEP_1)
	v_cmp_ge_f32_e64 vcc_lo, |v3|, v6
	v_add_co_ci_u32_e64 v3, null, 0, v7, vcc_lo
	s_delay_alu instid0(VALU_DEP_1)
	v_mul_lo_u16 v19, v3, v2
.LBB40_67:
	s_or_b32 exec_lo, exec_lo, s0
	v_lshrrev_b64 v[6:7], 24, v[4:5]
	v_lshrrev_b64 v[2:3], 24, v[8:9]
	s_mov_b32 s1, 0
	s_mov_b32 s0, exec_lo
	s_delay_alu instid0(VALU_DEP_2) | instskip(NEXT) | instid1(VALU_DEP_2)
	v_and_b32_e32 v3, 0xff, v6
	v_mov_b32_e32 v4, v2
	s_delay_alu instid0(VALU_DEP_2)
	v_cmpx_ne_u16_e32 0, v3
	s_cbranch_execz .LBB40_71
; %bb.68:
	v_dual_mov_b32 v7, v6 :: v_dual_mov_b32 v3, v2
.LBB40_69:                              ; =>This Inner Loop Header: Depth=1
	s_delay_alu instid0(VALU_DEP_1) | instskip(NEXT) | instid1(VALU_DEP_2)
	v_cvt_f32_ubyte0_e32 v20, v3
	v_mov_b32_e32 v4, v7
	s_delay_alu instid0(VALU_DEP_1) | instskip(NEXT) | instid1(VALU_DEP_1)
	v_cvt_f32_ubyte0_e32 v7, v4
	v_rcp_iflag_f32_e32 v8, v7
	v_nop
	s_delay_alu instid0(TRANS32_DEP_1) | instskip(NEXT) | instid1(VALU_DEP_1)
	v_mul_f32_e32 v8, v20, v8
	v_trunc_f32_e32 v8, v8
	s_delay_alu instid0(VALU_DEP_1) | instskip(SKIP_1) | instid1(VALU_DEP_2)
	v_fma_f32 v20, -v8, v7, v20
	v_cvt_u32_f32_e32 v8, v8
	v_cmp_ge_f32_e64 vcc_lo, |v20|, v7
	s_delay_alu instid0(VALU_DEP_1) | instskip(NEXT) | instid1(VALU_DEP_1)
	v_add_co_ci_u32_e64 v7, null, 0, v8, vcc_lo
	v_mul_lo_u32 v7, v7, v4
	s_delay_alu instid0(VALU_DEP_1) | instskip(NEXT) | instid1(VALU_DEP_1)
	v_sub_nc_u32_e32 v3, v3, v7
	v_and_b32_e32 v7, 0xff, v3
	v_mov_b32_e32 v3, v4
	s_delay_alu instid0(VALU_DEP_2) | instskip(SKIP_1) | instid1(SALU_CYCLE_1)
	v_cmp_eq_u16_e32 vcc_lo, 0, v7
	s_or_b32 s1, vcc_lo, s1
	s_and_not1_b32 exec_lo, exec_lo, s1
	s_cbranch_execnz .LBB40_69
; %bb.70:
	s_or_b32 exec_lo, exec_lo, s1
.LBB40_71:
	s_delay_alu instid0(SALU_CYCLE_1) | instskip(NEXT) | instid1(VALU_DEP_2)
	s_or_b32 exec_lo, exec_lo, s0
	v_and_b32_e32 v7, 0xff, v4
	v_mov_b32_e32 v3, 0
	s_mov_b32 s0, exec_lo
	s_delay_alu instid0(VALU_DEP_2)
	v_cmpx_ne_u16_e32 0, v7
	s_cbranch_execz .LBB40_73
; %bb.72:
	v_cvt_f32_ubyte0_e32 v3, v4
	v_cvt_f32_ubyte0_e32 v6, v6
	s_delay_alu instid0(VALU_DEP_2) | instskip(SKIP_1) | instid1(TRANS32_DEP_1)
	v_rcp_iflag_f32_e32 v4, v3
	v_nop
	v_mul_f32_e32 v4, v6, v4
	s_delay_alu instid0(VALU_DEP_1) | instskip(NEXT) | instid1(VALU_DEP_1)
	v_trunc_f32_e32 v4, v4
	v_fma_f32 v6, -v4, v3, v6
	v_cvt_u32_f32_e32 v4, v4
	s_delay_alu instid0(VALU_DEP_2) | instskip(NEXT) | instid1(VALU_DEP_1)
	v_cmp_ge_f32_e64 vcc_lo, |v6|, v3
	v_add_co_ci_u32_e64 v3, null, 0, v4, vcc_lo
	s_delay_alu instid0(VALU_DEP_1)
	v_mul_lo_u16 v3, v3, v2
.LBB40_73:
	s_or_b32 exec_lo, exec_lo, s0
	v_and_b32_e32 v2, 0xff, v5
	v_mov_b32_e32 v4, v9
	s_mov_b32 s1, 0
	s_mov_b32 s0, exec_lo
	s_delay_alu instid0(VALU_DEP_2)
	v_cmpx_ne_u16_e32 0, v2
	s_cbranch_execz .LBB40_77
; %bb.74:
	v_dual_mov_b32 v6, v5 :: v_dual_mov_b32 v2, v9
.LBB40_75:                              ; =>This Inner Loop Header: Depth=1
	s_delay_alu instid0(VALU_DEP_1) | instskip(NEXT) | instid1(VALU_DEP_2)
	v_cvt_f32_ubyte0_e32 v8, v2
	v_mov_b32_e32 v4, v6
	s_delay_alu instid0(VALU_DEP_1) | instskip(NEXT) | instid1(VALU_DEP_1)
	v_cvt_f32_ubyte0_e32 v6, v4
	v_rcp_iflag_f32_e32 v7, v6
	v_nop
	s_delay_alu instid0(TRANS32_DEP_1) | instskip(NEXT) | instid1(VALU_DEP_1)
	v_mul_f32_e32 v7, v8, v7
	v_trunc_f32_e32 v7, v7
	s_delay_alu instid0(VALU_DEP_1) | instskip(SKIP_1) | instid1(VALU_DEP_2)
	v_fma_f32 v8, -v7, v6, v8
	v_cvt_u32_f32_e32 v7, v7
	v_cmp_ge_f32_e64 vcc_lo, |v8|, v6
	s_delay_alu instid0(VALU_DEP_1) | instskip(NEXT) | instid1(VALU_DEP_1)
	v_add_co_ci_u32_e64 v6, null, 0, v7, vcc_lo
	v_mul_lo_u32 v6, v6, v4
	s_delay_alu instid0(VALU_DEP_1) | instskip(NEXT) | instid1(VALU_DEP_1)
	v_sub_nc_u32_e32 v2, v2, v6
	v_and_b32_e32 v6, 0xff, v2
	v_mov_b32_e32 v2, v4
	s_delay_alu instid0(VALU_DEP_2) | instskip(SKIP_1) | instid1(SALU_CYCLE_1)
	v_cmp_eq_u16_e32 vcc_lo, 0, v6
	s_or_b32 s1, vcc_lo, s1
	s_and_not1_b32 exec_lo, exec_lo, s1
	s_cbranch_execnz .LBB40_75
; %bb.76:
	s_or_b32 exec_lo, exec_lo, s1
.LBB40_77:
	s_delay_alu instid0(SALU_CYCLE_1) | instskip(SKIP_3) | instid1(VALU_DEP_2)
	s_or_b32 exec_lo, exec_lo, s0
	v_and_b32_e32 v6, 0xff, v4
	v_mov_b32_e32 v2, 0
	s_mov_b32 s0, exec_lo
	v_cmpx_ne_u16_e32 0, v6
	s_cbranch_execz .LBB40_79
; %bb.78:
	v_cvt_f32_ubyte0_e32 v2, v4
	v_cvt_f32_ubyte0_e32 v6, v5
	s_delay_alu instid0(VALU_DEP_2) | instskip(SKIP_1) | instid1(TRANS32_DEP_1)
	v_rcp_iflag_f32_e32 v4, v2
	v_nop
	v_mul_f32_e32 v4, v6, v4
	s_delay_alu instid0(VALU_DEP_1) | instskip(NEXT) | instid1(VALU_DEP_1)
	v_trunc_f32_e32 v4, v4
	v_fma_f32 v6, -v4, v2, v6
	v_cvt_u32_f32_e32 v4, v4
	s_delay_alu instid0(VALU_DEP_2) | instskip(NEXT) | instid1(VALU_DEP_1)
	v_cmp_ge_f32_e64 vcc_lo, |v6|, v2
	v_add_co_ci_u32_e64 v2, null, 0, v4, vcc_lo
	s_delay_alu instid0(VALU_DEP_1)
	v_mul_lo_u16 v2, v2, v9
.LBB40_79:
	s_or_b32 exec_lo, exec_lo, s0
	v_lshrrev_b32_e32 v6, 8, v9
	v_lshrrev_b32_e32 v7, 8, v5
	s_mov_b32 s1, 0
	s_mov_b32 s0, exec_lo
	s_delay_alu instid0(VALU_DEP_2) | instskip(NEXT) | instid1(VALU_DEP_2)
	v_mov_b32_e32 v8, v6
	v_and_b32_e32 v4, 0xff, v7
	s_delay_alu instid0(VALU_DEP_1)
	v_cmpx_ne_u16_e32 0, v4
	s_cbranch_execz .LBB40_83
; %bb.80:
	v_dual_mov_b32 v20, v7 :: v_dual_mov_b32 v4, v6
.LBB40_81:                              ; =>This Inner Loop Header: Depth=1
	s_delay_alu instid0(VALU_DEP_1) | instskip(NEXT) | instid1(VALU_DEP_2)
	v_cvt_f32_ubyte0_e32 v22, v4
	v_mov_b32_e32 v8, v20
	s_delay_alu instid0(VALU_DEP_1) | instskip(NEXT) | instid1(VALU_DEP_1)
	v_cvt_f32_ubyte0_e32 v20, v8
	v_rcp_iflag_f32_e32 v21, v20
	v_nop
	s_delay_alu instid0(TRANS32_DEP_1) | instskip(NEXT) | instid1(VALU_DEP_1)
	v_mul_f32_e32 v21, v22, v21
	v_trunc_f32_e32 v21, v21
	s_delay_alu instid0(VALU_DEP_1) | instskip(SKIP_1) | instid1(VALU_DEP_2)
	v_fma_f32 v22, -v21, v20, v22
	v_cvt_u32_f32_e32 v21, v21
	v_cmp_ge_f32_e64 vcc_lo, |v22|, v20
	s_delay_alu instid0(VALU_DEP_1) | instskip(NEXT) | instid1(VALU_DEP_1)
	v_add_co_ci_u32_e64 v20, null, 0, v21, vcc_lo
	v_mul_lo_u32 v20, v20, v8
	s_delay_alu instid0(VALU_DEP_1) | instskip(NEXT) | instid1(VALU_DEP_1)
	v_sub_nc_u32_e32 v4, v4, v20
	v_and_b32_e32 v20, 0xff, v4
	v_mov_b32_e32 v4, v8
	s_delay_alu instid0(VALU_DEP_2) | instskip(SKIP_1) | instid1(SALU_CYCLE_1)
	v_cmp_eq_u16_e32 vcc_lo, 0, v20
	s_or_b32 s1, vcc_lo, s1
	s_and_not1_b32 exec_lo, exec_lo, s1
	s_cbranch_execnz .LBB40_81
; %bb.82:
	s_or_b32 exec_lo, exec_lo, s1
.LBB40_83:
	s_delay_alu instid0(SALU_CYCLE_1) | instskip(SKIP_3) | instid1(VALU_DEP_2)
	s_or_b32 exec_lo, exec_lo, s0
	v_and_b32_e32 v20, 0xff, v8
	v_mov_b32_e32 v4, 0
	s_mov_b32 s0, exec_lo
	v_cmpx_ne_u16_e32 0, v20
	s_cbranch_execz .LBB40_85
; %bb.84:
	v_cvt_f32_ubyte0_e32 v4, v8
	v_cvt_f32_ubyte0_e32 v7, v7
	s_delay_alu instid0(VALU_DEP_2) | instskip(SKIP_1) | instid1(TRANS32_DEP_1)
	v_rcp_iflag_f32_e32 v8, v4
	v_nop
	v_mul_f32_e32 v8, v7, v8
	s_delay_alu instid0(VALU_DEP_1) | instskip(NEXT) | instid1(VALU_DEP_1)
	v_trunc_f32_e32 v8, v8
	v_fma_f32 v7, -v8, v4, v7
	v_cvt_u32_f32_e32 v8, v8
	s_delay_alu instid0(VALU_DEP_2) | instskip(NEXT) | instid1(VALU_DEP_1)
	v_cmp_ge_f32_e64 vcc_lo, |v7|, v4
	v_add_co_ci_u32_e64 v4, null, 0, v8, vcc_lo
	s_delay_alu instid0(VALU_DEP_1)
	v_mul_lo_u16 v4, v4, v6
.LBB40_85:
	s_or_b32 exec_lo, exec_lo, s0
	v_lshrrev_b32_e32 v7, 16, v9
	v_lshrrev_b32_e32 v8, 16, v5
	s_mov_b32 s1, 0
	s_mov_b32 s0, exec_lo
	s_delay_alu instid0(VALU_DEP_2) | instskip(NEXT) | instid1(VALU_DEP_2)
	v_mov_b32_e32 v20, v7
	v_and_b32_e32 v6, 0xff, v8
	s_delay_alu instid0(VALU_DEP_1)
	v_cmpx_ne_u16_e32 0, v6
	s_cbranch_execz .LBB40_89
; %bb.86:
	v_dual_mov_b32 v21, v8 :: v_dual_mov_b32 v6, v7
.LBB40_87:                              ; =>This Inner Loop Header: Depth=1
	s_delay_alu instid0(VALU_DEP_1) | instskip(NEXT) | instid1(VALU_DEP_2)
	v_cvt_f32_ubyte0_e32 v23, v6
	v_mov_b32_e32 v20, v21
	s_delay_alu instid0(VALU_DEP_1) | instskip(NEXT) | instid1(VALU_DEP_1)
	v_cvt_f32_ubyte0_e32 v21, v20
	v_rcp_iflag_f32_e32 v22, v21
	v_nop
	s_delay_alu instid0(TRANS32_DEP_1) | instskip(NEXT) | instid1(VALU_DEP_1)
	v_mul_f32_e32 v22, v23, v22
	v_trunc_f32_e32 v22, v22
	s_delay_alu instid0(VALU_DEP_1) | instskip(SKIP_1) | instid1(VALU_DEP_2)
	v_fma_f32 v23, -v22, v21, v23
	v_cvt_u32_f32_e32 v22, v22
	v_cmp_ge_f32_e64 vcc_lo, |v23|, v21
	s_delay_alu instid0(VALU_DEP_1) | instskip(NEXT) | instid1(VALU_DEP_1)
	v_add_co_ci_u32_e64 v21, null, 0, v22, vcc_lo
	v_mul_lo_u32 v21, v21, v20
	s_delay_alu instid0(VALU_DEP_1) | instskip(NEXT) | instid1(VALU_DEP_1)
	v_sub_nc_u32_e32 v6, v6, v21
	v_and_b32_e32 v21, 0xff, v6
	v_mov_b32_e32 v6, v20
	s_delay_alu instid0(VALU_DEP_2) | instskip(SKIP_1) | instid1(SALU_CYCLE_1)
	v_cmp_eq_u16_e32 vcc_lo, 0, v21
	s_or_b32 s1, vcc_lo, s1
	s_and_not1_b32 exec_lo, exec_lo, s1
	s_cbranch_execnz .LBB40_87
; %bb.88:
	s_or_b32 exec_lo, exec_lo, s1
.LBB40_89:
	s_delay_alu instid0(SALU_CYCLE_1) | instskip(SKIP_3) | instid1(VALU_DEP_2)
	s_or_b32 exec_lo, exec_lo, s0
	v_and_b32_e32 v21, 0xff, v20
	v_mov_b32_e32 v6, 0
	s_mov_b32 s0, exec_lo
	v_cmpx_ne_u16_e32 0, v21
	s_cbranch_execz .LBB40_91
; %bb.90:
	v_cvt_f32_ubyte0_e32 v6, v20
	v_cvt_f32_ubyte0_e32 v8, v8
	s_delay_alu instid0(VALU_DEP_2) | instskip(SKIP_1) | instid1(TRANS32_DEP_1)
	v_rcp_iflag_f32_e32 v20, v6
	v_nop
	v_mul_f32_e32 v20, v8, v20
	s_delay_alu instid0(VALU_DEP_1) | instskip(NEXT) | instid1(VALU_DEP_1)
	v_trunc_f32_e32 v20, v20
	v_fma_f32 v8, -v20, v6, v8
	v_cvt_u32_f32_e32 v20, v20
	s_delay_alu instid0(VALU_DEP_2) | instskip(NEXT) | instid1(VALU_DEP_1)
	v_cmp_ge_f32_e64 vcc_lo, |v8|, v6
	v_add_co_ci_u32_e64 v6, null, 0, v20, vcc_lo
	s_delay_alu instid0(VALU_DEP_1)
	v_mul_lo_u16 v6, v6, v7
.LBB40_91:
	s_or_b32 exec_lo, exec_lo, s0
	v_lshrrev_b32_e32 v7, 24, v5
	v_lshrrev_b32_e32 v5, 24, v9
	s_mov_b32 s1, 0
	s_mov_b32 s0, exec_lo
	s_delay_alu instid0(VALU_DEP_1)
	v_mov_b32_e32 v8, v5
	v_cmpx_ne_u16_e32 0, v7
	s_cbranch_execz .LBB40_95
; %bb.92:
	v_dual_mov_b32 v20, v7 :: v_dual_mov_b32 v9, v5
.LBB40_93:                              ; =>This Inner Loop Header: Depth=1
	s_delay_alu instid0(VALU_DEP_1) | instskip(NEXT) | instid1(VALU_DEP_2)
	v_cvt_f32_ubyte0_e32 v22, v9
	v_mov_b32_e32 v8, v20
	s_delay_alu instid0(VALU_DEP_1) | instskip(NEXT) | instid1(VALU_DEP_1)
	v_cvt_f32_ubyte0_e32 v20, v8
	v_rcp_iflag_f32_e32 v21, v20
	v_nop
	s_delay_alu instid0(TRANS32_DEP_1) | instskip(NEXT) | instid1(VALU_DEP_1)
	v_mul_f32_e32 v21, v22, v21
	v_trunc_f32_e32 v21, v21
	s_delay_alu instid0(VALU_DEP_1) | instskip(SKIP_1) | instid1(VALU_DEP_2)
	v_fma_f32 v22, -v21, v20, v22
	v_cvt_u32_f32_e32 v21, v21
	v_cmp_ge_f32_e64 vcc_lo, |v22|, v20
	s_delay_alu instid0(VALU_DEP_1) | instskip(NEXT) | instid1(VALU_DEP_1)
	v_add_co_ci_u32_e64 v20, null, 0, v21, vcc_lo
	v_mul_lo_u32 v20, v20, v8
	s_delay_alu instid0(VALU_DEP_1) | instskip(NEXT) | instid1(VALU_DEP_1)
	v_sub_nc_u32_e32 v9, v9, v20
	v_and_b32_e32 v20, 0xff, v9
	v_mov_b32_e32 v9, v8
	s_delay_alu instid0(VALU_DEP_2) | instskip(SKIP_1) | instid1(SALU_CYCLE_1)
	v_cmp_eq_u16_e32 vcc_lo, 0, v20
	s_or_b32 s1, vcc_lo, s1
	s_and_not1_b32 exec_lo, exec_lo, s1
	s_cbranch_execnz .LBB40_93
; %bb.94:
	s_or_b32 exec_lo, exec_lo, s1
.LBB40_95:
	s_delay_alu instid0(SALU_CYCLE_1) | instskip(NEXT) | instid1(VALU_DEP_2)
	s_or_b32 exec_lo, exec_lo, s0
	v_and_b32_e32 v20, 0xff, v8
	v_mov_b32_e32 v9, 0
	s_mov_b32 s0, exec_lo
	s_delay_alu instid0(VALU_DEP_2)
	v_cmpx_ne_u16_e32 0, v20
	s_cbranch_execz .LBB40_97
; %bb.96:
	v_cvt_f32_ubyte0_e32 v8, v8
	v_cvt_f32_ubyte0_e32 v7, v7
	s_delay_alu instid0(VALU_DEP_2) | instskip(SKIP_1) | instid1(TRANS32_DEP_1)
	v_rcp_iflag_f32_e32 v9, v8
	v_nop
	v_mul_f32_e32 v9, v7, v9
	s_delay_alu instid0(VALU_DEP_1) | instskip(NEXT) | instid1(VALU_DEP_1)
	v_trunc_f32_e32 v9, v9
	v_fma_f32 v7, -v9, v8, v7
	v_cvt_u32_f32_e32 v9, v9
	s_delay_alu instid0(VALU_DEP_2) | instskip(NEXT) | instid1(VALU_DEP_1)
	v_cmp_ge_f32_e64 vcc_lo, |v7|, v8
	v_add_co_ci_u32_e64 v7, null, 0, v9, vcc_lo
	s_delay_alu instid0(VALU_DEP_1)
	v_mul_lo_u16 v9, v7, v5
.LBB40_97:
	s_or_b32 exec_lo, exec_lo, s0
	v_perm_b32 v2, v2, v4, 0xc0c0004
	s_delay_alu instid0(VALU_DEP_2)
	v_perm_b32 v4, v6, v9, 0xc0c0004
	v_perm_b32 v6, v17, v18, 0xc0c0004
	;; [unrolled: 1-line block ×7, first 2 shown]
	v_lshl_or_b32 v5, v4, 16, v2
	v_lshl_or_b32 v4, v3, 16, v6
	;; [unrolled: 1-line block ×3, first 2 shown]
	s_add_nc_u64 s[4:5], s[16:17], s[14:15]
	v_lshl_or_b32 v2, v9, 16, v1
	s_mov_b32 s0, 0
	global_store_b128 v0, v[2:5], s[4:5] scale_offset
.LBB40_98:
	s_and_b32 vcc_lo, exec_lo, s0
	s_cbranch_vccz .LBB40_276
; %bb.99:
	v_cmp_gt_i32_e32 vcc_lo, s13, v0
	s_wait_xcnt 0x0
	v_dual_mov_b32 v2, 0 :: v_dual_bitop2_b32 v10, s14, v0 bitop3:0x54
	v_or_b32_e32 v39, 0x100, v0
	v_dual_mov_b32 v12, 0 :: v_dual_mov_b32 v11, 0
	v_dual_mov_b32 v14, 0 :: v_dual_mov_b32 v13, 0
	v_dual_mov_b32 v16, 0 :: v_dual_mov_b32 v15, 0
	v_dual_mov_b32 v18, 0 :: v_dual_mov_b32 v17, 0
	v_dual_mov_b32 v20, 0 :: v_dual_mov_b32 v19, 0
	v_dual_mov_b32 v22, 0 :: v_dual_mov_b32 v21, 0
	v_dual_mov_b32 v24, 0 :: v_dual_mov_b32 v23, 0
	v_dual_mov_b32 v26, 0 :: v_dual_mov_b32 v25, 0
	v_dual_mov_b32 v28, 0 :: v_dual_mov_b32 v27, 0
	v_dual_mov_b32 v30, 0 :: v_dual_mov_b32 v29, 0
	v_dual_mov_b32 v32, 0 :: v_dual_mov_b32 v31, 0
	v_dual_mov_b32 v34, 0 :: v_dual_mov_b32 v33, 0
	v_dual_mov_b32 v35, 0 :: v_dual_mov_b32 v6, 0
	v_dual_mov_b32 v36, 0 :: v_dual_mov_b32 v5, 0
	v_dual_mov_b32 v38, 0 :: v_dual_mov_b32 v37, 0
	v_dual_mov_b32 v41, 0 :: v_dual_mov_b32 v40, 0
	s_and_saveexec_b32 s1, vcc_lo
	s_cbranch_execz .LBB40_131
; %bb.100:
	s_clause 0x1
	global_load_u8 v41, v10, s[18:19]
	global_load_u8 v40, v10, s[2:3]
	v_cmp_gt_u32_e64 s0, s13, v39
	v_dual_mov_b32 v37, 0 :: v_dual_mov_b32 v38, 0
	v_dual_mov_b32 v5, 0 :: v_dual_mov_b32 v36, 0
	;; [unrolled: 1-line block ×15, first 2 shown]
	s_wait_xcnt 0x0
	s_and_saveexec_b32 s4, s0
	s_cbranch_execz .LBB40_130
; %bb.101:
	v_dual_mov_b32 v5, 0 :: v_dual_add_nc_u32 v4, s14, v0
	v_or_b32_e32 v1, 0x200, v0
	v_dual_mov_b32 v36, 0 :: v_dual_mov_b32 v6, 0
	s_clause 0x1
	global_load_u8 v38, v4, s[18:19] offset:256
	global_load_u8 v37, v4, s[2:3] offset:256
	v_dual_mov_b32 v35, 0 :: v_dual_mov_b32 v33, 0
	v_cmp_gt_u32_e64 s0, s13, v1
	v_dual_mov_b32 v34, 0 :: v_dual_mov_b32 v31, 0
	v_dual_mov_b32 v32, 0 :: v_dual_mov_b32 v29, 0
	;; [unrolled: 1-line block ×11, first 2 shown]
	v_mov_b32_e32 v12, 0
	s_wait_xcnt 0x0
	s_and_saveexec_b32 s5, s0
	s_cbranch_execz .LBB40_129
; %bb.102:
	v_add_nc_u64_e32 v[6:7], s[18:19], v[4:5]
	v_add_nc_u64_e32 v[8:9], s[2:3], v[4:5]
	v_or_b32_e32 v3, 0x300, v0
	v_dual_mov_b32 v35, 0 :: v_dual_mov_b32 v33, 0
	v_dual_mov_b32 v34, 0 :: v_dual_mov_b32 v31, 0
	global_load_u8 v36, v[6:7], off offset:512
	global_load_u8 v1, v[8:9], off offset:512
	v_cmp_gt_u32_e64 s0, s13, v3
	v_dual_mov_b32 v32, 0 :: v_dual_mov_b32 v29, 0
	v_dual_mov_b32 v30, 0 :: v_dual_mov_b32 v27, 0
	;; [unrolled: 1-line block ×10, first 2 shown]
	v_mov_b32_e32 v12, 0
	s_wait_xcnt 0x0
	s_and_saveexec_b32 s2, s0
	s_cbranch_execz .LBB40_128
; %bb.103:
	global_load_u8 v35, v[6:7], off offset:768
	global_load_u8 v5, v[8:9], off offset:768
	v_or_b32_e32 v3, 0x400, v0
	v_dual_mov_b32 v33, 0 :: v_dual_mov_b32 v34, 0
	v_dual_mov_b32 v31, 0 :: v_dual_mov_b32 v32, 0
	s_delay_alu instid0(VALU_DEP_3)
	v_cmp_gt_u32_e64 s0, s13, v3
	v_dual_mov_b32 v29, 0 :: v_dual_mov_b32 v30, 0
	v_dual_mov_b32 v27, 0 :: v_dual_mov_b32 v28, 0
	;; [unrolled: 1-line block ×10, first 2 shown]
	s_wait_xcnt 0x0
	s_and_saveexec_b32 s3, s0
	s_cbranch_execz .LBB40_127
; %bb.104:
	global_load_u8 v34, v[6:7], off offset:1024
	global_load_u8 v33, v[8:9], off offset:1024
	v_or_b32_e32 v3, 0x500, v0
	v_dual_mov_b32 v31, 0 :: v_dual_mov_b32 v32, 0
	v_dual_mov_b32 v29, 0 :: v_dual_mov_b32 v30, 0
	s_delay_alu instid0(VALU_DEP_3)
	v_cmp_gt_u32_e64 s0, s13, v3
	v_dual_mov_b32 v27, 0 :: v_dual_mov_b32 v28, 0
	v_dual_mov_b32 v25, 0 :: v_dual_mov_b32 v26, 0
	;; [unrolled: 1-line block ×9, first 2 shown]
	s_wait_xcnt 0x0
	s_and_saveexec_b32 s6, s0
	s_cbranch_execz .LBB40_126
; %bb.105:
	global_load_u8 v32, v[6:7], off offset:1280
	global_load_u8 v31, v[8:9], off offset:1280
	v_or_b32_e32 v3, 0x600, v0
	v_dual_mov_b32 v29, 0 :: v_dual_mov_b32 v30, 0
	v_dual_mov_b32 v27, 0 :: v_dual_mov_b32 v28, 0
	s_delay_alu instid0(VALU_DEP_3)
	v_cmp_gt_u32_e64 s0, s13, v3
	v_dual_mov_b32 v25, 0 :: v_dual_mov_b32 v26, 0
	v_dual_mov_b32 v23, 0 :: v_dual_mov_b32 v24, 0
	;; [unrolled: 1-line block ×8, first 2 shown]
	s_wait_xcnt 0x0
	s_and_saveexec_b32 s7, s0
	s_cbranch_execz .LBB40_125
; %bb.106:
	global_load_u8 v30, v[6:7], off offset:1536
	global_load_u8 v29, v[8:9], off offset:1536
	v_or_b32_e32 v3, 0x700, v0
	v_dual_mov_b32 v27, 0 :: v_dual_mov_b32 v28, 0
	v_dual_mov_b32 v25, 0 :: v_dual_mov_b32 v26, 0
	v_dual_mov_b32 v23, 0 :: v_dual_mov_b32 v24, 0
	v_dual_mov_b32 v21, 0 :: v_dual_mov_b32 v22, 0
	v_dual_mov_b32 v19, 0 :: v_dual_mov_b32 v20, 0
	v_dual_mov_b32 v17, 0 :: v_dual_mov_b32 v18, 0
	v_dual_mov_b32 v15, 0 :: v_dual_mov_b32 v16, 0
	v_dual_mov_b32 v13, 0 :: v_dual_mov_b32 v14, 0
	v_dual_mov_b32 v11, 0 :: v_dual_mov_b32 v12, 0
	s_mov_b32 s8, exec_lo
	s_wait_xcnt 0x0
	v_cmpx_gt_u32_e64 s13, v3
	s_cbranch_execz .LBB40_124
; %bb.107:
	global_load_u8 v28, v[6:7], off offset:1792
	global_load_u8 v27, v[8:9], off offset:1792
	v_or_b32_e32 v3, 0x800, v0
	v_dual_mov_b32 v25, 0 :: v_dual_mov_b32 v26, 0
	v_dual_mov_b32 v23, 0 :: v_dual_mov_b32 v24, 0
	;; [unrolled: 1-line block ×8, first 2 shown]
	s_mov_b32 s9, exec_lo
	s_wait_xcnt 0x0
	v_cmpx_gt_u32_e64 s13, v3
	s_cbranch_execz .LBB40_123
; %bb.108:
	global_load_u8 v26, v[6:7], off offset:2048
	global_load_u8 v25, v[8:9], off offset:2048
	v_or_b32_e32 v3, 0x900, v0
	v_dual_mov_b32 v23, 0 :: v_dual_mov_b32 v24, 0
	v_dual_mov_b32 v21, 0 :: v_dual_mov_b32 v22, 0
	;; [unrolled: 1-line block ×7, first 2 shown]
	s_mov_b32 s10, exec_lo
	s_wait_xcnt 0x0
	v_cmpx_gt_u32_e64 s13, v3
	s_cbranch_execz .LBB40_122
; %bb.109:
	global_load_u8 v24, v[6:7], off offset:2304
	global_load_u8 v23, v[8:9], off offset:2304
	v_or_b32_e32 v3, 0xa00, v0
	v_dual_mov_b32 v21, 0 :: v_dual_mov_b32 v22, 0
	v_dual_mov_b32 v19, 0 :: v_dual_mov_b32 v20, 0
	;; [unrolled: 1-line block ×6, first 2 shown]
	s_mov_b32 s11, exec_lo
	s_wait_xcnt 0x0
	v_cmpx_gt_u32_e64 s13, v3
	s_cbranch_execz .LBB40_121
; %bb.110:
	global_load_u8 v22, v[6:7], off offset:2560
	global_load_u8 v21, v[8:9], off offset:2560
	v_or_b32_e32 v3, 0xb00, v0
	v_dual_mov_b32 v19, 0 :: v_dual_mov_b32 v20, 0
	v_dual_mov_b32 v17, 0 :: v_dual_mov_b32 v18, 0
	;; [unrolled: 1-line block ×5, first 2 shown]
	s_mov_b32 s12, exec_lo
	s_wait_xcnt 0x0
	v_cmpx_gt_u32_e64 s13, v3
	s_cbranch_execz .LBB40_120
; %bb.111:
	global_load_u8 v20, v[6:7], off offset:2816
	global_load_u8 v19, v[8:9], off offset:2816
	v_or_b32_e32 v3, 0xc00, v0
	v_dual_mov_b32 v17, 0 :: v_dual_mov_b32 v18, 0
	v_dual_mov_b32 v15, 0 :: v_dual_mov_b32 v16, 0
	;; [unrolled: 1-line block ×4, first 2 shown]
	s_mov_b32 s15, exec_lo
	s_wait_xcnt 0x0
	v_cmpx_gt_u32_e64 s13, v3
	s_cbranch_execz .LBB40_119
; %bb.112:
	global_load_u8 v18, v[6:7], off offset:3072
	global_load_u8 v17, v[8:9], off offset:3072
	v_or_b32_e32 v3, 0xd00, v0
	v_dual_mov_b32 v15, 0 :: v_dual_mov_b32 v16, 0
	v_dual_mov_b32 v13, 0 :: v_dual_mov_b32 v14, 0
	;; [unrolled: 1-line block ×3, first 2 shown]
	s_mov_b32 s18, exec_lo
	s_wait_xcnt 0x0
	v_cmpx_gt_u32_e64 s13, v3
	s_cbranch_execz .LBB40_118
; %bb.113:
	global_load_u8 v16, v[6:7], off offset:3328
	global_load_u8 v15, v[8:9], off offset:3328
	v_or_b32_e32 v3, 0xe00, v0
	v_dual_mov_b32 v13, 0 :: v_dual_mov_b32 v14, 0
	v_dual_mov_b32 v11, 0 :: v_dual_mov_b32 v12, 0
	s_mov_b32 s19, exec_lo
	s_wait_xcnt 0x0
	v_cmpx_gt_u32_e64 s13, v3
	s_cbranch_execz .LBB40_117
; %bb.114:
	global_load_u8 v14, v[6:7], off offset:3584
	global_load_u8 v13, v[8:9], off offset:3584
	v_or_b32_e32 v3, 0xf00, v0
	v_dual_mov_b32 v11, 0 :: v_dual_mov_b32 v12, 0
	s_mov_b32 s20, exec_lo
	s_wait_xcnt 0x0
	s_delay_alu instid0(VALU_DEP_2)
	v_cmpx_gt_u32_e64 s13, v3
	s_cbranch_execz .LBB40_116
; %bb.115:
	global_load_u8 v12, v[6:7], off offset:3840
	global_load_u8 v11, v[8:9], off offset:3840
.LBB40_116:
	s_wait_xcnt 0x0
	s_or_b32 exec_lo, exec_lo, s20
.LBB40_117:
	s_delay_alu instid0(SALU_CYCLE_1)
	s_or_b32 exec_lo, exec_lo, s19
.LBB40_118:
	s_delay_alu instid0(SALU_CYCLE_1)
	s_or_b32 exec_lo, exec_lo, s18
.LBB40_119:
	s_delay_alu instid0(SALU_CYCLE_1)
	s_or_b32 exec_lo, exec_lo, s15
.LBB40_120:
	s_delay_alu instid0(SALU_CYCLE_1)
	s_or_b32 exec_lo, exec_lo, s12
.LBB40_121:
	s_delay_alu instid0(SALU_CYCLE_1)
	s_or_b32 exec_lo, exec_lo, s11
.LBB40_122:
	s_delay_alu instid0(SALU_CYCLE_1)
	s_or_b32 exec_lo, exec_lo, s10
.LBB40_123:
	s_delay_alu instid0(SALU_CYCLE_1)
	s_or_b32 exec_lo, exec_lo, s9
.LBB40_124:
	s_delay_alu instid0(SALU_CYCLE_1)
	s_or_b32 exec_lo, exec_lo, s8
.LBB40_125:
	s_delay_alu instid0(SALU_CYCLE_1)
	s_or_b32 exec_lo, exec_lo, s7
.LBB40_126:
	s_delay_alu instid0(SALU_CYCLE_1)
	s_or_b32 exec_lo, exec_lo, s6
.LBB40_127:
	s_delay_alu instid0(SALU_CYCLE_1)
	s_or_b32 exec_lo, exec_lo, s3
.LBB40_128:
	s_delay_alu instid0(SALU_CYCLE_1)
	s_or_b32 exec_lo, exec_lo, s2
	s_wait_loadcnt 0x0
	v_dual_mov_b32 v6, v5 :: v_dual_mov_b32 v5, v1
.LBB40_129:
	s_or_b32 exec_lo, exec_lo, s5
.LBB40_130:
	s_delay_alu instid0(SALU_CYCLE_1)
	s_or_b32 exec_lo, exec_lo, s4
.LBB40_131:
	s_delay_alu instid0(SALU_CYCLE_1)
	s_or_b32 exec_lo, exec_lo, s1
	v_dual_mov_b32 v1, v2 :: v_dual_mov_b32 v4, v2
	v_mov_b32_e32 v3, v2
	s_and_saveexec_b32 s1, vcc_lo
	s_cbranch_execz .LBB40_139
; %bb.132:
	s_wait_loadcnt 0x1
	v_and_b32_e32 v1, 0xff, v41
	s_wait_loadcnt 0x0
	v_mov_b32_e32 v2, v40
	s_mov_b32 s2, exec_lo
	s_delay_alu instid0(VALU_DEP_2)
	v_cmpx_ne_u16_e32 0, v1
	s_cbranch_execz .LBB40_136
; %bb.133:
	v_dual_mov_b32 v3, v41 :: v_dual_mov_b32 v1, v40
	s_mov_b32 s3, 0
.LBB40_134:                             ; =>This Inner Loop Header: Depth=1
	s_delay_alu instid0(VALU_DEP_1) | instskip(NEXT) | instid1(VALU_DEP_2)
	v_cvt_f32_ubyte0_e32 v7, v1
	v_mov_b32_e32 v2, v3
	s_delay_alu instid0(VALU_DEP_1) | instskip(NEXT) | instid1(VALU_DEP_1)
	v_cvt_f32_ubyte0_e32 v3, v2
	v_rcp_iflag_f32_e32 v4, v3
	v_nop
	s_delay_alu instid0(TRANS32_DEP_1) | instskip(NEXT) | instid1(VALU_DEP_1)
	v_mul_f32_e32 v4, v7, v4
	v_trunc_f32_e32 v4, v4
	s_delay_alu instid0(VALU_DEP_1) | instskip(SKIP_1) | instid1(VALU_DEP_2)
	v_fma_f32 v7, -v4, v3, v7
	v_cvt_u32_f32_e32 v4, v4
	v_cmp_ge_f32_e64 s0, |v7|, v3
	s_delay_alu instid0(VALU_DEP_1) | instskip(NEXT) | instid1(VALU_DEP_1)
	v_add_co_ci_u32_e64 v3, null, 0, v4, s0
	v_mul_lo_u32 v3, v3, v2
	s_delay_alu instid0(VALU_DEP_1) | instskip(NEXT) | instid1(VALU_DEP_1)
	v_sub_nc_u32_e32 v1, v1, v3
	v_and_b32_e32 v3, 0xff, v1
	v_mov_b32_e32 v1, v2
	s_delay_alu instid0(VALU_DEP_2) | instskip(SKIP_1) | instid1(SALU_CYCLE_1)
	v_cmp_eq_u16_e64 s0, 0, v3
	s_or_b32 s3, s0, s3
	s_and_not1_b32 exec_lo, exec_lo, s3
	s_cbranch_execnz .LBB40_134
; %bb.135:
	s_or_b32 exec_lo, exec_lo, s3
.LBB40_136:
	s_delay_alu instid0(SALU_CYCLE_1) | instskip(SKIP_2) | instid1(VALU_DEP_2)
	s_or_b32 exec_lo, exec_lo, s2
	v_and_b32_e32 v3, 0xff, v2
	v_mov_b32_e32 v1, 0
	v_cmp_ne_u16_e64 s0, 0, v3
	v_mov_b32_e32 v3, 0
	s_and_saveexec_b32 s2, s0
	s_cbranch_execz .LBB40_138
; %bb.137:
	v_cvt_f32_ubyte0_e32 v2, v2
	v_cvt_f32_ubyte0_e32 v4, v41
	s_delay_alu instid0(VALU_DEP_2) | instskip(SKIP_1) | instid1(TRANS32_DEP_1)
	v_rcp_iflag_f32_e32 v3, v2
	v_nop
	v_mul_f32_e32 v3, v4, v3
	s_delay_alu instid0(VALU_DEP_1) | instskip(NEXT) | instid1(VALU_DEP_1)
	v_trunc_f32_e32 v3, v3
	v_fma_f32 v4, -v3, v2, v4
	v_cvt_u32_f32_e32 v3, v3
	s_delay_alu instid0(VALU_DEP_2) | instskip(NEXT) | instid1(VALU_DEP_1)
	v_cmp_ge_f32_e64 s0, |v4|, v2
	v_add_co_ci_u32_e64 v2, null, 0, v3, s0
	s_delay_alu instid0(VALU_DEP_1)
	v_mul_lo_u16 v3, v2, v40
.LBB40_138:
	s_or_b32 exec_lo, exec_lo, s2
	s_delay_alu instid0(VALU_DEP_1) | instskip(SKIP_1) | instid1(VALU_DEP_2)
	v_and_b32_e32 v2, 0xff, v3
	v_dual_mov_b32 v4, v1 :: v_dual_mov_b32 v3, v1
	v_and_b32_e32 v2, 0xffff, v2
.LBB40_139:
	s_or_b32 exec_lo, exec_lo, s1
	v_cmp_gt_i32_e64 s0, s13, v39
	s_and_saveexec_b32 s2, s0
	s_cbranch_execz .LBB40_147
; %bb.140:
	s_wait_loadcnt 0x1
	v_and_b32_e32 v7, 0xff, v38
	s_mov_b32 s4, 0
	s_delay_alu instid0(VALU_DEP_1)
	v_cmp_ne_u16_e64 s1, 0, v7
	s_wait_loadcnt 0x0
	v_mov_b32_e32 v7, v37
	s_and_saveexec_b32 s3, s1
	s_cbranch_execz .LBB40_144
; %bb.141:
	v_dual_mov_b32 v9, v38 :: v_dual_mov_b32 v8, v37
.LBB40_142:                             ; =>This Inner Loop Header: Depth=1
	s_delay_alu instid0(VALU_DEP_1) | instskip(NEXT) | instid1(VALU_DEP_2)
	v_cvt_f32_ubyte0_e32 v40, v8
	v_mov_b32_e32 v7, v9
	s_delay_alu instid0(VALU_DEP_1) | instskip(NEXT) | instid1(VALU_DEP_1)
	v_cvt_f32_ubyte0_e32 v9, v7
	v_rcp_iflag_f32_e32 v39, v9
	v_nop
	s_delay_alu instid0(TRANS32_DEP_1) | instskip(NEXT) | instid1(VALU_DEP_1)
	v_mul_f32_e32 v39, v40, v39
	v_trunc_f32_e32 v39, v39
	s_delay_alu instid0(VALU_DEP_1) | instskip(SKIP_1) | instid1(VALU_DEP_2)
	v_fma_f32 v40, -v39, v9, v40
	v_cvt_u32_f32_e32 v39, v39
	v_cmp_ge_f32_e64 s1, |v40|, v9
	s_delay_alu instid0(VALU_DEP_1) | instskip(NEXT) | instid1(VALU_DEP_1)
	v_add_co_ci_u32_e64 v9, null, 0, v39, s1
	v_mul_lo_u32 v9, v9, v7
	s_delay_alu instid0(VALU_DEP_1) | instskip(NEXT) | instid1(VALU_DEP_1)
	v_sub_nc_u32_e32 v8, v8, v9
	v_and_b32_e32 v9, 0xff, v8
	v_mov_b32_e32 v8, v7
	s_delay_alu instid0(VALU_DEP_2) | instskip(SKIP_1) | instid1(SALU_CYCLE_1)
	v_cmp_eq_u16_e64 s1, 0, v9
	s_or_b32 s4, s1, s4
	s_and_not1_b32 exec_lo, exec_lo, s4
	s_cbranch_execnz .LBB40_142
; %bb.143:
	s_or_b32 exec_lo, exec_lo, s4
.LBB40_144:
	s_delay_alu instid0(SALU_CYCLE_1) | instskip(NEXT) | instid1(VALU_DEP_1)
	s_or_b32 exec_lo, exec_lo, s3
	v_and_b32_e32 v9, 0xff, v7
	v_mov_b32_e32 v8, 0
	s_mov_b32 s3, exec_lo
	s_delay_alu instid0(VALU_DEP_2)
	v_cmpx_ne_u16_e32 0, v9
	s_cbranch_execz .LBB40_146
; %bb.145:
	v_cvt_f32_ubyte0_e32 v7, v7
	v_cvt_f32_ubyte0_e32 v9, v38
	s_delay_alu instid0(VALU_DEP_2) | instskip(SKIP_1) | instid1(TRANS32_DEP_1)
	v_rcp_iflag_f32_e32 v8, v7
	v_nop
	v_mul_f32_e32 v8, v9, v8
	s_delay_alu instid0(VALU_DEP_1) | instskip(NEXT) | instid1(VALU_DEP_1)
	v_trunc_f32_e32 v8, v8
	v_fma_f32 v9, -v8, v7, v9
	v_cvt_u32_f32_e32 v8, v8
	s_delay_alu instid0(VALU_DEP_2) | instskip(NEXT) | instid1(VALU_DEP_1)
	v_cmp_ge_f32_e64 s1, |v9|, v7
	v_add_co_ci_u32_e64 v7, null, 0, v8, s1
	s_delay_alu instid0(VALU_DEP_1)
	v_mul_lo_u16 v8, v7, v37
.LBB40_146:
	s_or_b32 exec_lo, exec_lo, s3
	s_delay_alu instid0(VALU_DEP_1)
	v_perm_b32 v2, v2, v8, 0x7060004
.LBB40_147:
	s_or_b32 exec_lo, exec_lo, s2
	v_or_b32_e32 v7, 0x200, v0
	s_delay_alu instid0(VALU_DEP_1)
	v_cmp_gt_i32_e64 s1, s13, v7
	s_and_saveexec_b32 s3, s1
	s_cbranch_execz .LBB40_155
; %bb.148:
	v_and_b32_e32 v7, 0xff, v36
	s_mov_b32 s5, 0
	s_delay_alu instid0(VALU_DEP_1)
	v_cmp_ne_u16_e64 s2, 0, v7
	v_mov_b32_e32 v7, v5
	s_and_saveexec_b32 s4, s2
	s_cbranch_execz .LBB40_152
; %bb.149:
	v_dual_mov_b32 v9, v36 :: v_dual_mov_b32 v8, v5
.LBB40_150:                             ; =>This Inner Loop Header: Depth=1
	s_wait_loadcnt 0x1
	s_delay_alu instid0(VALU_DEP_1) | instskip(NEXT) | instid1(VALU_DEP_2)
	v_cvt_f32_ubyte0_e32 v38, v8
	v_mov_b32_e32 v7, v9
	s_delay_alu instid0(VALU_DEP_1) | instskip(SKIP_1) | instid1(VALU_DEP_1)
	v_cvt_f32_ubyte0_e32 v9, v7
	s_wait_loadcnt 0x0
	v_rcp_iflag_f32_e32 v37, v9
	v_nop
	s_delay_alu instid0(TRANS32_DEP_1) | instskip(NEXT) | instid1(VALU_DEP_1)
	v_mul_f32_e32 v37, v38, v37
	v_trunc_f32_e32 v37, v37
	s_delay_alu instid0(VALU_DEP_1) | instskip(SKIP_1) | instid1(VALU_DEP_2)
	v_fma_f32 v38, -v37, v9, v38
	v_cvt_u32_f32_e32 v37, v37
	v_cmp_ge_f32_e64 s2, |v38|, v9
	s_delay_alu instid0(VALU_DEP_1) | instskip(NEXT) | instid1(VALU_DEP_1)
	v_add_co_ci_u32_e64 v9, null, 0, v37, s2
	v_mul_lo_u32 v9, v9, v7
	s_delay_alu instid0(VALU_DEP_1) | instskip(NEXT) | instid1(VALU_DEP_1)
	v_sub_nc_u32_e32 v8, v8, v9
	v_and_b32_e32 v9, 0xff, v8
	v_mov_b32_e32 v8, v7
	s_delay_alu instid0(VALU_DEP_2) | instskip(SKIP_1) | instid1(SALU_CYCLE_1)
	v_cmp_eq_u16_e64 s2, 0, v9
	s_or_b32 s5, s2, s5
	s_and_not1_b32 exec_lo, exec_lo, s5
	s_cbranch_execnz .LBB40_150
; %bb.151:
	s_or_b32 exec_lo, exec_lo, s5
.LBB40_152:
	s_delay_alu instid0(SALU_CYCLE_1) | instskip(NEXT) | instid1(VALU_DEP_1)
	s_or_b32 exec_lo, exec_lo, s4
	v_and_b32_e32 v9, 0xff, v7
	v_mov_b32_e32 v8, 0
	s_mov_b32 s4, exec_lo
	s_delay_alu instid0(VALU_DEP_2)
	v_cmpx_ne_u16_e32 0, v9
	s_cbranch_execz .LBB40_154
; %bb.153:
	v_cvt_f32_ubyte0_e32 v7, v7
	v_cvt_f32_ubyte0_e32 v9, v36
	s_delay_alu instid0(VALU_DEP_2) | instskip(SKIP_1) | instid1(TRANS32_DEP_1)
	v_rcp_iflag_f32_e32 v8, v7
	v_nop
	v_mul_f32_e32 v8, v9, v8
	s_delay_alu instid0(VALU_DEP_1) | instskip(NEXT) | instid1(VALU_DEP_1)
	v_trunc_f32_e32 v8, v8
	v_fma_f32 v9, -v8, v7, v9
	v_cvt_u32_f32_e32 v8, v8
	s_delay_alu instid0(VALU_DEP_2) | instskip(NEXT) | instid1(VALU_DEP_1)
	v_cmp_ge_f32_e64 s2, |v9|, v7
	v_add_co_ci_u32_e64 v7, null, 0, v8, s2
	s_delay_alu instid0(VALU_DEP_1)
	v_mul_lo_u16 v8, v7, v5
.LBB40_154:
	s_or_b32 exec_lo, exec_lo, s4
	s_delay_alu instid0(VALU_DEP_1)
	v_perm_b32 v2, v2, v8, 0x7000504
.LBB40_155:
	s_or_b32 exec_lo, exec_lo, s3
	v_or_b32_e32 v5, 0x300, v0
	s_delay_alu instid0(VALU_DEP_1)
	v_cmp_gt_i32_e64 s2, s13, v5
	s_and_saveexec_b32 s4, s2
	s_cbranch_execz .LBB40_163
; %bb.156:
	v_and_b32_e32 v5, 0xff, v35
	s_mov_b32 s6, 0
	s_delay_alu instid0(VALU_DEP_1)
	v_cmp_ne_u16_e64 s3, 0, v5
	v_mov_b32_e32 v5, v6
	s_and_saveexec_b32 s5, s3
	s_cbranch_execz .LBB40_160
; %bb.157:
	v_dual_mov_b32 v8, v35 :: v_dual_mov_b32 v7, v6
.LBB40_158:                             ; =>This Inner Loop Header: Depth=1
	s_delay_alu instid0(VALU_DEP_1) | instskip(NEXT) | instid1(VALU_DEP_2)
	v_cvt_f32_ubyte0_e32 v36, v7
	v_mov_b32_e32 v5, v8
	s_delay_alu instid0(VALU_DEP_1) | instskip(NEXT) | instid1(VALU_DEP_1)
	v_cvt_f32_ubyte0_e32 v8, v5
	v_rcp_iflag_f32_e32 v9, v8
	v_nop
	s_delay_alu instid0(TRANS32_DEP_1) | instskip(NEXT) | instid1(VALU_DEP_1)
	v_mul_f32_e32 v9, v36, v9
	v_trunc_f32_e32 v9, v9
	s_delay_alu instid0(VALU_DEP_1) | instskip(SKIP_1) | instid1(VALU_DEP_2)
	v_fma_f32 v36, -v9, v8, v36
	v_cvt_u32_f32_e32 v9, v9
	v_cmp_ge_f32_e64 s3, |v36|, v8
	s_delay_alu instid0(VALU_DEP_1) | instskip(NEXT) | instid1(VALU_DEP_1)
	v_add_co_ci_u32_e64 v8, null, 0, v9, s3
	v_mul_lo_u32 v8, v8, v5
	s_delay_alu instid0(VALU_DEP_1) | instskip(NEXT) | instid1(VALU_DEP_1)
	v_sub_nc_u32_e32 v7, v7, v8
	v_and_b32_e32 v8, 0xff, v7
	v_mov_b32_e32 v7, v5
	s_delay_alu instid0(VALU_DEP_2) | instskip(SKIP_1) | instid1(SALU_CYCLE_1)
	v_cmp_eq_u16_e64 s3, 0, v8
	s_or_b32 s6, s3, s6
	s_and_not1_b32 exec_lo, exec_lo, s6
	s_cbranch_execnz .LBB40_158
; %bb.159:
	s_or_b32 exec_lo, exec_lo, s6
.LBB40_160:
	s_delay_alu instid0(SALU_CYCLE_1) | instskip(NEXT) | instid1(VALU_DEP_1)
	s_or_b32 exec_lo, exec_lo, s5
	v_and_b32_e32 v8, 0xff, v5
	v_mov_b32_e32 v7, 0
	s_mov_b32 s5, exec_lo
	s_delay_alu instid0(VALU_DEP_2)
	v_cmpx_ne_u16_e32 0, v8
	s_cbranch_execz .LBB40_162
; %bb.161:
	v_cvt_f32_ubyte0_e32 v5, v5
	v_cvt_f32_ubyte0_e32 v8, v35
	s_delay_alu instid0(VALU_DEP_2) | instskip(SKIP_1) | instid1(TRANS32_DEP_1)
	v_rcp_iflag_f32_e32 v7, v5
	v_nop
	v_mul_f32_e32 v7, v8, v7
	s_delay_alu instid0(VALU_DEP_1) | instskip(NEXT) | instid1(VALU_DEP_1)
	v_trunc_f32_e32 v7, v7
	v_fma_f32 v8, -v7, v5, v8
	v_cvt_u32_f32_e32 v7, v7
	s_delay_alu instid0(VALU_DEP_2) | instskip(NEXT) | instid1(VALU_DEP_1)
	v_cmp_ge_f32_e64 s3, |v8|, v5
	v_add_co_ci_u32_e64 v5, null, 0, v7, s3
	s_delay_alu instid0(VALU_DEP_1)
	v_mul_lo_u16 v7, v5, v6
.LBB40_162:
	s_or_b32 exec_lo, exec_lo, s5
	s_delay_alu instid0(VALU_DEP_1)
	v_perm_b32 v2, v2, v7, 0x60504
.LBB40_163:
	s_or_b32 exec_lo, exec_lo, s4
	v_or_b32_e32 v5, 0x400, v0
	s_mov_b32 s4, exec_lo
	s_delay_alu instid0(VALU_DEP_1)
	v_cmpx_gt_i32_e64 s13, v5
	s_cbranch_execz .LBB40_171
; %bb.164:
	v_and_b32_e32 v6, 0xff, v34
	s_mov_b32 s6, 0
	s_delay_alu instid0(VALU_DEP_1)
	v_cmp_ne_u16_e64 s3, 0, v6
	v_mov_b32_e32 v6, v33
	s_and_saveexec_b32 s5, s3
	s_cbranch_execz .LBB40_168
; %bb.165:
	v_dual_mov_b32 v8, v34 :: v_dual_mov_b32 v7, v33
.LBB40_166:                             ; =>This Inner Loop Header: Depth=1
	s_delay_alu instid0(VALU_DEP_1) | instskip(NEXT) | instid1(VALU_DEP_2)
	v_cvt_f32_ubyte0_e32 v35, v7
	v_mov_b32_e32 v6, v8
	s_delay_alu instid0(VALU_DEP_1) | instskip(NEXT) | instid1(VALU_DEP_1)
	v_cvt_f32_ubyte0_e32 v8, v6
	v_rcp_iflag_f32_e32 v9, v8
	v_nop
	s_delay_alu instid0(TRANS32_DEP_1) | instskip(NEXT) | instid1(VALU_DEP_1)
	v_mul_f32_e32 v9, v35, v9
	v_trunc_f32_e32 v9, v9
	s_delay_alu instid0(VALU_DEP_1) | instskip(SKIP_1) | instid1(VALU_DEP_2)
	v_fma_f32 v35, -v9, v8, v35
	v_cvt_u32_f32_e32 v9, v9
	v_cmp_ge_f32_e64 s3, |v35|, v8
	s_delay_alu instid0(VALU_DEP_1) | instskip(NEXT) | instid1(VALU_DEP_1)
	v_add_co_ci_u32_e64 v8, null, 0, v9, s3
	v_mul_lo_u32 v8, v8, v6
	s_delay_alu instid0(VALU_DEP_1) | instskip(NEXT) | instid1(VALU_DEP_1)
	v_sub_nc_u32_e32 v7, v7, v8
	v_and_b32_e32 v8, 0xff, v7
	v_mov_b32_e32 v7, v6
	s_delay_alu instid0(VALU_DEP_2) | instskip(SKIP_1) | instid1(SALU_CYCLE_1)
	v_cmp_eq_u16_e64 s3, 0, v8
	s_or_b32 s6, s3, s6
	s_and_not1_b32 exec_lo, exec_lo, s6
	s_cbranch_execnz .LBB40_166
; %bb.167:
	s_or_b32 exec_lo, exec_lo, s6
.LBB40_168:
	s_delay_alu instid0(SALU_CYCLE_1) | instskip(NEXT) | instid1(VALU_DEP_1)
	s_or_b32 exec_lo, exec_lo, s5
	v_and_b32_e32 v8, 0xff, v6
	v_mov_b32_e32 v7, 0
	s_mov_b32 s5, exec_lo
	s_delay_alu instid0(VALU_DEP_2)
	v_cmpx_ne_u16_e32 0, v8
	s_cbranch_execz .LBB40_170
; %bb.169:
	v_cvt_f32_ubyte0_e32 v6, v6
	v_cvt_f32_ubyte0_e32 v8, v34
	s_delay_alu instid0(VALU_DEP_2) | instskip(SKIP_1) | instid1(TRANS32_DEP_1)
	v_rcp_iflag_f32_e32 v7, v6
	v_nop
	v_mul_f32_e32 v7, v8, v7
	s_delay_alu instid0(VALU_DEP_1) | instskip(NEXT) | instid1(VALU_DEP_1)
	v_trunc_f32_e32 v7, v7
	v_fma_f32 v8, -v7, v6, v8
	v_cvt_u32_f32_e32 v7, v7
	s_delay_alu instid0(VALU_DEP_2) | instskip(NEXT) | instid1(VALU_DEP_1)
	v_cmp_ge_f32_e64 s3, |v8|, v6
	v_add_co_ci_u32_e64 v6, null, 0, v7, s3
	s_delay_alu instid0(VALU_DEP_1)
	v_mul_lo_u16 v7, v6, v33
.LBB40_170:
	s_or_b32 exec_lo, exec_lo, s5
	s_delay_alu instid0(VALU_DEP_1)
	v_perm_b32 v1, v7, v1, 0x3020104
.LBB40_171:
	s_or_b32 exec_lo, exec_lo, s4
	v_or_b32_e32 v6, 0x500, v0
	s_delay_alu instid0(VALU_DEP_1)
	v_cmp_gt_i32_e64 s3, s13, v6
	s_and_saveexec_b32 s5, s3
	s_cbranch_execz .LBB40_179
; %bb.172:
	v_and_b32_e32 v6, 0xff, v32
	s_mov_b32 s7, 0
	s_delay_alu instid0(VALU_DEP_1)
	v_cmp_ne_u16_e64 s4, 0, v6
	v_mov_b32_e32 v6, v31
	s_and_saveexec_b32 s6, s4
	s_cbranch_execz .LBB40_176
; %bb.173:
	v_dual_mov_b32 v8, v32 :: v_dual_mov_b32 v7, v31
.LBB40_174:                             ; =>This Inner Loop Header: Depth=1
	s_delay_alu instid0(VALU_DEP_1) | instskip(NEXT) | instid1(VALU_DEP_2)
	v_cvt_f32_ubyte0_e32 v33, v7
	v_mov_b32_e32 v6, v8
	s_delay_alu instid0(VALU_DEP_1) | instskip(NEXT) | instid1(VALU_DEP_1)
	v_cvt_f32_ubyte0_e32 v8, v6
	v_rcp_iflag_f32_e32 v9, v8
	v_nop
	s_delay_alu instid0(TRANS32_DEP_1) | instskip(NEXT) | instid1(VALU_DEP_1)
	v_mul_f32_e32 v9, v33, v9
	v_trunc_f32_e32 v9, v9
	s_delay_alu instid0(VALU_DEP_1) | instskip(SKIP_1) | instid1(VALU_DEP_2)
	v_fma_f32 v33, -v9, v8, v33
	v_cvt_u32_f32_e32 v9, v9
	v_cmp_ge_f32_e64 s4, |v33|, v8
	s_delay_alu instid0(VALU_DEP_1) | instskip(NEXT) | instid1(VALU_DEP_1)
	v_add_co_ci_u32_e64 v8, null, 0, v9, s4
	v_mul_lo_u32 v8, v8, v6
	s_delay_alu instid0(VALU_DEP_1) | instskip(NEXT) | instid1(VALU_DEP_1)
	v_sub_nc_u32_e32 v7, v7, v8
	v_and_b32_e32 v8, 0xff, v7
	v_mov_b32_e32 v7, v6
	s_delay_alu instid0(VALU_DEP_2) | instskip(SKIP_1) | instid1(SALU_CYCLE_1)
	v_cmp_eq_u16_e64 s4, 0, v8
	s_or_b32 s7, s4, s7
	s_and_not1_b32 exec_lo, exec_lo, s7
	s_cbranch_execnz .LBB40_174
; %bb.175:
	s_or_b32 exec_lo, exec_lo, s7
.LBB40_176:
	s_delay_alu instid0(SALU_CYCLE_1) | instskip(NEXT) | instid1(VALU_DEP_1)
	s_or_b32 exec_lo, exec_lo, s6
	v_and_b32_e32 v8, 0xff, v6
	v_mov_b32_e32 v7, 0
	s_mov_b32 s6, exec_lo
	s_delay_alu instid0(VALU_DEP_2)
	v_cmpx_ne_u16_e32 0, v8
	s_cbranch_execz .LBB40_178
; %bb.177:
	v_cvt_f32_ubyte0_e32 v6, v6
	v_cvt_f32_ubyte0_e32 v8, v32
	s_delay_alu instid0(VALU_DEP_2) | instskip(SKIP_1) | instid1(TRANS32_DEP_1)
	v_rcp_iflag_f32_e32 v7, v6
	v_nop
	v_mul_f32_e32 v7, v8, v7
	s_delay_alu instid0(VALU_DEP_1) | instskip(NEXT) | instid1(VALU_DEP_1)
	v_trunc_f32_e32 v7, v7
	v_fma_f32 v8, -v7, v6, v8
	v_cvt_u32_f32_e32 v7, v7
	s_delay_alu instid0(VALU_DEP_2) | instskip(NEXT) | instid1(VALU_DEP_1)
	v_cmp_ge_f32_e64 s4, |v8|, v6
	v_add_co_ci_u32_e64 v6, null, 0, v7, s4
	s_delay_alu instid0(VALU_DEP_1)
	v_mul_lo_u16 v7, v6, v31
.LBB40_178:
	s_or_b32 exec_lo, exec_lo, s6
	s_delay_alu instid0(VALU_DEP_1)
	v_perm_b32 v1, v1, v7, 0x7060004
.LBB40_179:
	s_or_b32 exec_lo, exec_lo, s5
	v_or_b32_e32 v6, 0x600, v0
	s_delay_alu instid0(VALU_DEP_1)
	v_cmp_gt_i32_e64 s4, s13, v6
	s_and_saveexec_b32 s6, s4
	s_cbranch_execz .LBB40_187
; %bb.180:
	v_and_b32_e32 v6, 0xff, v30
	s_mov_b32 s8, 0
	s_delay_alu instid0(VALU_DEP_1)
	v_cmp_ne_u16_e64 s5, 0, v6
	v_mov_b32_e32 v6, v29
	s_and_saveexec_b32 s7, s5
	s_cbranch_execz .LBB40_184
; %bb.181:
	v_dual_mov_b32 v8, v30 :: v_dual_mov_b32 v7, v29
.LBB40_182:                             ; =>This Inner Loop Header: Depth=1
	s_delay_alu instid0(VALU_DEP_1) | instskip(NEXT) | instid1(VALU_DEP_2)
	v_cvt_f32_ubyte0_e32 v31, v7
	v_mov_b32_e32 v6, v8
	s_delay_alu instid0(VALU_DEP_1) | instskip(NEXT) | instid1(VALU_DEP_1)
	v_cvt_f32_ubyte0_e32 v8, v6
	v_rcp_iflag_f32_e32 v9, v8
	v_nop
	s_delay_alu instid0(TRANS32_DEP_1) | instskip(NEXT) | instid1(VALU_DEP_1)
	v_mul_f32_e32 v9, v31, v9
	v_trunc_f32_e32 v9, v9
	s_delay_alu instid0(VALU_DEP_1) | instskip(SKIP_1) | instid1(VALU_DEP_2)
	v_fma_f32 v31, -v9, v8, v31
	v_cvt_u32_f32_e32 v9, v9
	v_cmp_ge_f32_e64 s5, |v31|, v8
	s_delay_alu instid0(VALU_DEP_1) | instskip(NEXT) | instid1(VALU_DEP_1)
	v_add_co_ci_u32_e64 v8, null, 0, v9, s5
	v_mul_lo_u32 v8, v8, v6
	s_delay_alu instid0(VALU_DEP_1) | instskip(NEXT) | instid1(VALU_DEP_1)
	v_sub_nc_u32_e32 v7, v7, v8
	v_and_b32_e32 v8, 0xff, v7
	v_mov_b32_e32 v7, v6
	s_delay_alu instid0(VALU_DEP_2) | instskip(SKIP_1) | instid1(SALU_CYCLE_1)
	v_cmp_eq_u16_e64 s5, 0, v8
	s_or_b32 s8, s5, s8
	s_and_not1_b32 exec_lo, exec_lo, s8
	s_cbranch_execnz .LBB40_182
; %bb.183:
	s_or_b32 exec_lo, exec_lo, s8
.LBB40_184:
	s_delay_alu instid0(SALU_CYCLE_1) | instskip(NEXT) | instid1(VALU_DEP_1)
	s_or_b32 exec_lo, exec_lo, s7
	v_and_b32_e32 v8, 0xff, v6
	v_mov_b32_e32 v7, 0
	s_mov_b32 s7, exec_lo
	s_delay_alu instid0(VALU_DEP_2)
	v_cmpx_ne_u16_e32 0, v8
	s_cbranch_execz .LBB40_186
; %bb.185:
	v_cvt_f32_ubyte0_e32 v6, v6
	v_cvt_f32_ubyte0_e32 v8, v30
	s_delay_alu instid0(VALU_DEP_2) | instskip(SKIP_1) | instid1(TRANS32_DEP_1)
	v_rcp_iflag_f32_e32 v7, v6
	v_nop
	v_mul_f32_e32 v7, v8, v7
	s_delay_alu instid0(VALU_DEP_1) | instskip(NEXT) | instid1(VALU_DEP_1)
	v_trunc_f32_e32 v7, v7
	v_fma_f32 v8, -v7, v6, v8
	v_cvt_u32_f32_e32 v7, v7
	s_delay_alu instid0(VALU_DEP_2) | instskip(NEXT) | instid1(VALU_DEP_1)
	v_cmp_ge_f32_e64 s5, |v8|, v6
	v_add_co_ci_u32_e64 v6, null, 0, v7, s5
	s_delay_alu instid0(VALU_DEP_1)
	v_mul_lo_u16 v7, v6, v29
.LBB40_186:
	s_or_b32 exec_lo, exec_lo, s7
	s_delay_alu instid0(VALU_DEP_1)
	v_perm_b32 v1, v1, v7, 0x7000504
.LBB40_187:
	s_or_b32 exec_lo, exec_lo, s6
	v_or_b32_e32 v6, 0x700, v0
	s_delay_alu instid0(VALU_DEP_1)
	v_cmp_gt_i32_e64 s5, s13, v6
	s_and_saveexec_b32 s7, s5
	s_cbranch_execz .LBB40_195
; %bb.188:
	v_and_b32_e32 v6, 0xff, v28
	s_mov_b32 s9, 0
	s_delay_alu instid0(VALU_DEP_1)
	v_cmp_ne_u16_e64 s6, 0, v6
	v_mov_b32_e32 v6, v27
	s_and_saveexec_b32 s8, s6
	s_cbranch_execz .LBB40_192
; %bb.189:
	v_dual_mov_b32 v8, v28 :: v_dual_mov_b32 v7, v27
.LBB40_190:                             ; =>This Inner Loop Header: Depth=1
	s_delay_alu instid0(VALU_DEP_1) | instskip(NEXT) | instid1(VALU_DEP_2)
	v_cvt_f32_ubyte0_e32 v29, v7
	v_mov_b32_e32 v6, v8
	s_delay_alu instid0(VALU_DEP_1) | instskip(NEXT) | instid1(VALU_DEP_1)
	v_cvt_f32_ubyte0_e32 v8, v6
	v_rcp_iflag_f32_e32 v9, v8
	v_nop
	s_delay_alu instid0(TRANS32_DEP_1) | instskip(NEXT) | instid1(VALU_DEP_1)
	v_mul_f32_e32 v9, v29, v9
	v_trunc_f32_e32 v9, v9
	s_delay_alu instid0(VALU_DEP_1) | instskip(SKIP_1) | instid1(VALU_DEP_2)
	v_fma_f32 v29, -v9, v8, v29
	v_cvt_u32_f32_e32 v9, v9
	v_cmp_ge_f32_e64 s6, |v29|, v8
	s_delay_alu instid0(VALU_DEP_1) | instskip(NEXT) | instid1(VALU_DEP_1)
	v_add_co_ci_u32_e64 v8, null, 0, v9, s6
	v_mul_lo_u32 v8, v8, v6
	s_delay_alu instid0(VALU_DEP_1) | instskip(NEXT) | instid1(VALU_DEP_1)
	v_sub_nc_u32_e32 v7, v7, v8
	v_and_b32_e32 v8, 0xff, v7
	v_mov_b32_e32 v7, v6
	s_delay_alu instid0(VALU_DEP_2) | instskip(SKIP_1) | instid1(SALU_CYCLE_1)
	v_cmp_eq_u16_e64 s6, 0, v8
	s_or_b32 s9, s6, s9
	s_and_not1_b32 exec_lo, exec_lo, s9
	s_cbranch_execnz .LBB40_190
; %bb.191:
	s_or_b32 exec_lo, exec_lo, s9
.LBB40_192:
	s_delay_alu instid0(SALU_CYCLE_1) | instskip(NEXT) | instid1(VALU_DEP_1)
	s_or_b32 exec_lo, exec_lo, s8
	v_and_b32_e32 v8, 0xff, v6
	v_mov_b32_e32 v7, 0
	s_mov_b32 s8, exec_lo
	s_delay_alu instid0(VALU_DEP_2)
	v_cmpx_ne_u16_e32 0, v8
	s_cbranch_execz .LBB40_194
; %bb.193:
	v_cvt_f32_ubyte0_e32 v6, v6
	v_cvt_f32_ubyte0_e32 v8, v28
	s_delay_alu instid0(VALU_DEP_2) | instskip(SKIP_1) | instid1(TRANS32_DEP_1)
	v_rcp_iflag_f32_e32 v7, v6
	v_nop
	v_mul_f32_e32 v7, v8, v7
	s_delay_alu instid0(VALU_DEP_1) | instskip(NEXT) | instid1(VALU_DEP_1)
	v_trunc_f32_e32 v7, v7
	v_fma_f32 v8, -v7, v6, v8
	v_cvt_u32_f32_e32 v7, v7
	s_delay_alu instid0(VALU_DEP_2) | instskip(NEXT) | instid1(VALU_DEP_1)
	v_cmp_ge_f32_e64 s6, |v8|, v6
	v_add_co_ci_u32_e64 v6, null, 0, v7, s6
	s_delay_alu instid0(VALU_DEP_1)
	v_mul_lo_u16 v7, v6, v27
.LBB40_194:
	s_or_b32 exec_lo, exec_lo, s8
	s_delay_alu instid0(VALU_DEP_1)
	v_perm_b32 v1, v1, v7, 0x60504
.LBB40_195:
	s_or_b32 exec_lo, exec_lo, s7
	v_or_b32_e32 v8, 0x800, v0
	s_mov_b32 s7, exec_lo
	s_delay_alu instid0(VALU_DEP_1)
	v_cmpx_gt_i32_e64 s13, v8
	s_cbranch_execz .LBB40_203
; %bb.196:
	v_and_b32_e32 v6, 0xff, v26
	s_mov_b32 s9, 0
	s_delay_alu instid0(VALU_DEP_1)
	v_cmp_ne_u16_e64 s6, 0, v6
	v_mov_b32_e32 v6, v25
	s_and_saveexec_b32 s8, s6
	s_cbranch_execz .LBB40_200
; %bb.197:
	v_dual_mov_b32 v9, v26 :: v_dual_mov_b32 v7, v25
.LBB40_198:                             ; =>This Inner Loop Header: Depth=1
	s_delay_alu instid0(VALU_DEP_1) | instskip(NEXT) | instid1(VALU_DEP_2)
	v_cvt_f32_ubyte0_e32 v28, v7
	v_mov_b32_e32 v6, v9
	s_delay_alu instid0(VALU_DEP_1) | instskip(NEXT) | instid1(VALU_DEP_1)
	v_cvt_f32_ubyte0_e32 v9, v6
	v_rcp_iflag_f32_e32 v27, v9
	v_nop
	s_delay_alu instid0(TRANS32_DEP_1) | instskip(NEXT) | instid1(VALU_DEP_1)
	v_mul_f32_e32 v27, v28, v27
	v_trunc_f32_e32 v27, v27
	s_delay_alu instid0(VALU_DEP_1) | instskip(SKIP_1) | instid1(VALU_DEP_2)
	v_fma_f32 v28, -v27, v9, v28
	v_cvt_u32_f32_e32 v27, v27
	v_cmp_ge_f32_e64 s6, |v28|, v9
	s_delay_alu instid0(VALU_DEP_1) | instskip(NEXT) | instid1(VALU_DEP_1)
	v_add_co_ci_u32_e64 v9, null, 0, v27, s6
	v_mul_lo_u32 v9, v9, v6
	s_delay_alu instid0(VALU_DEP_1) | instskip(NEXT) | instid1(VALU_DEP_1)
	v_sub_nc_u32_e32 v7, v7, v9
	v_and_b32_e32 v9, 0xff, v7
	v_mov_b32_e32 v7, v6
	s_delay_alu instid0(VALU_DEP_2) | instskip(SKIP_1) | instid1(SALU_CYCLE_1)
	v_cmp_eq_u16_e64 s6, 0, v9
	s_or_b32 s9, s6, s9
	s_and_not1_b32 exec_lo, exec_lo, s9
	s_cbranch_execnz .LBB40_198
; %bb.199:
	s_or_b32 exec_lo, exec_lo, s9
.LBB40_200:
	s_delay_alu instid0(SALU_CYCLE_1) | instskip(NEXT) | instid1(VALU_DEP_1)
	s_or_b32 exec_lo, exec_lo, s8
	v_and_b32_e32 v9, 0xff, v6
	v_mov_b32_e32 v7, 0
	s_mov_b32 s8, exec_lo
	s_delay_alu instid0(VALU_DEP_2)
	v_cmpx_ne_u16_e32 0, v9
	s_cbranch_execz .LBB40_202
; %bb.201:
	v_cvt_f32_ubyte0_e32 v6, v6
	v_cvt_f32_ubyte0_e32 v9, v26
	s_delay_alu instid0(VALU_DEP_2) | instskip(SKIP_1) | instid1(TRANS32_DEP_1)
	v_rcp_iflag_f32_e32 v7, v6
	v_nop
	v_mul_f32_e32 v7, v9, v7
	s_delay_alu instid0(VALU_DEP_1) | instskip(NEXT) | instid1(VALU_DEP_1)
	v_trunc_f32_e32 v7, v7
	v_fma_f32 v9, -v7, v6, v9
	v_cvt_u32_f32_e32 v7, v7
	s_delay_alu instid0(VALU_DEP_2) | instskip(NEXT) | instid1(VALU_DEP_1)
	v_cmp_ge_f32_e64 s6, |v9|, v6
	v_add_co_ci_u32_e64 v6, null, 0, v7, s6
	s_delay_alu instid0(VALU_DEP_1)
	v_mul_lo_u16 v7, v6, v25
.LBB40_202:
	s_or_b32 exec_lo, exec_lo, s8
	s_delay_alu instid0(VALU_DEP_1)
	v_perm_b32 v4, v7, v4, 0x3020104
.LBB40_203:
	s_or_b32 exec_lo, exec_lo, s7
	v_or_b32_e32 v6, 0x900, v0
	s_delay_alu instid0(VALU_DEP_1)
	v_cmp_gt_i32_e64 s6, s13, v6
	s_and_saveexec_b32 s8, s6
	s_cbranch_execz .LBB40_211
; %bb.204:
	v_and_b32_e32 v6, 0xff, v24
	s_mov_b32 s10, 0
	s_delay_alu instid0(VALU_DEP_1)
	v_cmp_ne_u16_e64 s7, 0, v6
	v_mov_b32_e32 v6, v23
	s_and_saveexec_b32 s9, s7
	s_cbranch_execz .LBB40_208
; %bb.205:
	v_dual_mov_b32 v9, v24 :: v_dual_mov_b32 v7, v23
.LBB40_206:                             ; =>This Inner Loop Header: Depth=1
	s_delay_alu instid0(VALU_DEP_1) | instskip(NEXT) | instid1(VALU_DEP_2)
	v_cvt_f32_ubyte0_e32 v26, v7
	v_mov_b32_e32 v6, v9
	s_delay_alu instid0(VALU_DEP_1) | instskip(NEXT) | instid1(VALU_DEP_1)
	v_cvt_f32_ubyte0_e32 v9, v6
	v_rcp_iflag_f32_e32 v25, v9
	v_nop
	s_delay_alu instid0(TRANS32_DEP_1) | instskip(NEXT) | instid1(VALU_DEP_1)
	v_mul_f32_e32 v25, v26, v25
	v_trunc_f32_e32 v25, v25
	s_delay_alu instid0(VALU_DEP_1) | instskip(SKIP_1) | instid1(VALU_DEP_2)
	v_fma_f32 v26, -v25, v9, v26
	v_cvt_u32_f32_e32 v25, v25
	v_cmp_ge_f32_e64 s7, |v26|, v9
	s_delay_alu instid0(VALU_DEP_1) | instskip(NEXT) | instid1(VALU_DEP_1)
	v_add_co_ci_u32_e64 v9, null, 0, v25, s7
	v_mul_lo_u32 v9, v9, v6
	s_delay_alu instid0(VALU_DEP_1) | instskip(NEXT) | instid1(VALU_DEP_1)
	v_sub_nc_u32_e32 v7, v7, v9
	v_and_b32_e32 v9, 0xff, v7
	v_mov_b32_e32 v7, v6
	s_delay_alu instid0(VALU_DEP_2) | instskip(SKIP_1) | instid1(SALU_CYCLE_1)
	v_cmp_eq_u16_e64 s7, 0, v9
	s_or_b32 s10, s7, s10
	s_and_not1_b32 exec_lo, exec_lo, s10
	s_cbranch_execnz .LBB40_206
; %bb.207:
	s_or_b32 exec_lo, exec_lo, s10
.LBB40_208:
	s_delay_alu instid0(SALU_CYCLE_1) | instskip(NEXT) | instid1(VALU_DEP_1)
	s_or_b32 exec_lo, exec_lo, s9
	v_and_b32_e32 v9, 0xff, v6
	v_mov_b32_e32 v7, 0
	s_mov_b32 s9, exec_lo
	s_delay_alu instid0(VALU_DEP_2)
	v_cmpx_ne_u16_e32 0, v9
	s_cbranch_execz .LBB40_210
; %bb.209:
	v_cvt_f32_ubyte0_e32 v6, v6
	v_cvt_f32_ubyte0_e32 v9, v24
	s_delay_alu instid0(VALU_DEP_2) | instskip(SKIP_1) | instid1(TRANS32_DEP_1)
	v_rcp_iflag_f32_e32 v7, v6
	v_nop
	v_mul_f32_e32 v7, v9, v7
	s_delay_alu instid0(VALU_DEP_1) | instskip(NEXT) | instid1(VALU_DEP_1)
	v_trunc_f32_e32 v7, v7
	v_fma_f32 v9, -v7, v6, v9
	v_cvt_u32_f32_e32 v7, v7
	s_delay_alu instid0(VALU_DEP_2) | instskip(NEXT) | instid1(VALU_DEP_1)
	v_cmp_ge_f32_e64 s7, |v9|, v6
	v_add_co_ci_u32_e64 v6, null, 0, v7, s7
	s_delay_alu instid0(VALU_DEP_1)
	v_mul_lo_u16 v7, v6, v23
.LBB40_210:
	s_or_b32 exec_lo, exec_lo, s9
	s_delay_alu instid0(VALU_DEP_1)
	v_perm_b32 v4, v4, v7, 0x7060004
.LBB40_211:
	s_or_b32 exec_lo, exec_lo, s8
	v_or_b32_e32 v6, 0xa00, v0
	s_delay_alu instid0(VALU_DEP_1)
	v_cmp_gt_i32_e64 s7, s13, v6
	s_and_saveexec_b32 s9, s7
	s_cbranch_execz .LBB40_219
; %bb.212:
	v_and_b32_e32 v6, 0xff, v22
	s_mov_b32 s11, 0
	s_delay_alu instid0(VALU_DEP_1)
	v_cmp_ne_u16_e64 s8, 0, v6
	v_mov_b32_e32 v6, v21
	s_and_saveexec_b32 s10, s8
	s_cbranch_execz .LBB40_216
; %bb.213:
	v_dual_mov_b32 v9, v22 :: v_dual_mov_b32 v7, v21
.LBB40_214:                             ; =>This Inner Loop Header: Depth=1
	s_delay_alu instid0(VALU_DEP_1) | instskip(NEXT) | instid1(VALU_DEP_2)
	v_cvt_f32_ubyte0_e32 v24, v7
	v_mov_b32_e32 v6, v9
	s_delay_alu instid0(VALU_DEP_1) | instskip(NEXT) | instid1(VALU_DEP_1)
	v_cvt_f32_ubyte0_e32 v9, v6
	v_rcp_iflag_f32_e32 v23, v9
	v_nop
	s_delay_alu instid0(TRANS32_DEP_1) | instskip(NEXT) | instid1(VALU_DEP_1)
	v_mul_f32_e32 v23, v24, v23
	v_trunc_f32_e32 v23, v23
	s_delay_alu instid0(VALU_DEP_1) | instskip(SKIP_1) | instid1(VALU_DEP_2)
	v_fma_f32 v24, -v23, v9, v24
	v_cvt_u32_f32_e32 v23, v23
	v_cmp_ge_f32_e64 s8, |v24|, v9
	s_delay_alu instid0(VALU_DEP_1) | instskip(NEXT) | instid1(VALU_DEP_1)
	v_add_co_ci_u32_e64 v9, null, 0, v23, s8
	v_mul_lo_u32 v9, v9, v6
	s_delay_alu instid0(VALU_DEP_1) | instskip(NEXT) | instid1(VALU_DEP_1)
	v_sub_nc_u32_e32 v7, v7, v9
	v_and_b32_e32 v9, 0xff, v7
	v_mov_b32_e32 v7, v6
	s_delay_alu instid0(VALU_DEP_2) | instskip(SKIP_1) | instid1(SALU_CYCLE_1)
	v_cmp_eq_u16_e64 s8, 0, v9
	s_or_b32 s11, s8, s11
	s_and_not1_b32 exec_lo, exec_lo, s11
	s_cbranch_execnz .LBB40_214
; %bb.215:
	s_or_b32 exec_lo, exec_lo, s11
.LBB40_216:
	s_delay_alu instid0(SALU_CYCLE_1) | instskip(NEXT) | instid1(VALU_DEP_1)
	s_or_b32 exec_lo, exec_lo, s10
	v_and_b32_e32 v9, 0xff, v6
	v_mov_b32_e32 v7, 0
	s_mov_b32 s10, exec_lo
	s_delay_alu instid0(VALU_DEP_2)
	v_cmpx_ne_u16_e32 0, v9
	s_cbranch_execz .LBB40_218
; %bb.217:
	v_cvt_f32_ubyte0_e32 v6, v6
	v_cvt_f32_ubyte0_e32 v9, v22
	s_delay_alu instid0(VALU_DEP_2) | instskip(SKIP_1) | instid1(TRANS32_DEP_1)
	v_rcp_iflag_f32_e32 v7, v6
	v_nop
	v_mul_f32_e32 v7, v9, v7
	s_delay_alu instid0(VALU_DEP_1) | instskip(NEXT) | instid1(VALU_DEP_1)
	v_trunc_f32_e32 v7, v7
	v_fma_f32 v9, -v7, v6, v9
	v_cvt_u32_f32_e32 v7, v7
	s_delay_alu instid0(VALU_DEP_2) | instskip(NEXT) | instid1(VALU_DEP_1)
	v_cmp_ge_f32_e64 s8, |v9|, v6
	v_add_co_ci_u32_e64 v6, null, 0, v7, s8
	s_delay_alu instid0(VALU_DEP_1)
	v_mul_lo_u16 v7, v6, v21
.LBB40_218:
	s_or_b32 exec_lo, exec_lo, s10
	s_delay_alu instid0(VALU_DEP_1)
	v_perm_b32 v4, v4, v7, 0x7000504
.LBB40_219:
	s_or_b32 exec_lo, exec_lo, s9
	v_or_b32_e32 v6, 0xb00, v0
	s_delay_alu instid0(VALU_DEP_1)
	v_cmp_gt_i32_e64 s8, s13, v6
	s_and_saveexec_b32 s10, s8
	s_cbranch_execz .LBB40_227
; %bb.220:
	v_and_b32_e32 v6, 0xff, v20
	s_mov_b32 s12, 0
	s_delay_alu instid0(VALU_DEP_1)
	v_cmp_ne_u16_e64 s9, 0, v6
	v_mov_b32_e32 v6, v19
	s_and_saveexec_b32 s11, s9
	s_cbranch_execz .LBB40_224
; %bb.221:
	v_dual_mov_b32 v9, v20 :: v_dual_mov_b32 v7, v19
.LBB40_222:                             ; =>This Inner Loop Header: Depth=1
	s_delay_alu instid0(VALU_DEP_1) | instskip(NEXT) | instid1(VALU_DEP_2)
	v_cvt_f32_ubyte0_e32 v22, v7
	v_mov_b32_e32 v6, v9
	s_delay_alu instid0(VALU_DEP_1) | instskip(NEXT) | instid1(VALU_DEP_1)
	v_cvt_f32_ubyte0_e32 v9, v6
	v_rcp_iflag_f32_e32 v21, v9
	v_nop
	s_delay_alu instid0(TRANS32_DEP_1) | instskip(NEXT) | instid1(VALU_DEP_1)
	v_mul_f32_e32 v21, v22, v21
	v_trunc_f32_e32 v21, v21
	s_delay_alu instid0(VALU_DEP_1) | instskip(SKIP_1) | instid1(VALU_DEP_2)
	v_fma_f32 v22, -v21, v9, v22
	v_cvt_u32_f32_e32 v21, v21
	v_cmp_ge_f32_e64 s9, |v22|, v9
	s_delay_alu instid0(VALU_DEP_1) | instskip(NEXT) | instid1(VALU_DEP_1)
	v_add_co_ci_u32_e64 v9, null, 0, v21, s9
	v_mul_lo_u32 v9, v9, v6
	s_delay_alu instid0(VALU_DEP_1) | instskip(NEXT) | instid1(VALU_DEP_1)
	v_sub_nc_u32_e32 v7, v7, v9
	v_and_b32_e32 v9, 0xff, v7
	v_mov_b32_e32 v7, v6
	s_delay_alu instid0(VALU_DEP_2) | instskip(SKIP_1) | instid1(SALU_CYCLE_1)
	v_cmp_eq_u16_e64 s9, 0, v9
	s_or_b32 s12, s9, s12
	s_and_not1_b32 exec_lo, exec_lo, s12
	s_cbranch_execnz .LBB40_222
; %bb.223:
	s_or_b32 exec_lo, exec_lo, s12
.LBB40_224:
	s_delay_alu instid0(SALU_CYCLE_1) | instskip(NEXT) | instid1(VALU_DEP_1)
	s_or_b32 exec_lo, exec_lo, s11
	v_and_b32_e32 v9, 0xff, v6
	v_mov_b32_e32 v7, 0
	s_mov_b32 s11, exec_lo
	s_delay_alu instid0(VALU_DEP_2)
	v_cmpx_ne_u16_e32 0, v9
	s_cbranch_execz .LBB40_226
; %bb.225:
	v_cvt_f32_ubyte0_e32 v6, v6
	v_cvt_f32_ubyte0_e32 v9, v20
	s_delay_alu instid0(VALU_DEP_2) | instskip(SKIP_1) | instid1(TRANS32_DEP_1)
	v_rcp_iflag_f32_e32 v7, v6
	v_nop
	v_mul_f32_e32 v7, v9, v7
	s_delay_alu instid0(VALU_DEP_1) | instskip(NEXT) | instid1(VALU_DEP_1)
	v_trunc_f32_e32 v7, v7
	v_fma_f32 v9, -v7, v6, v9
	v_cvt_u32_f32_e32 v7, v7
	s_delay_alu instid0(VALU_DEP_2) | instskip(NEXT) | instid1(VALU_DEP_1)
	v_cmp_ge_f32_e64 s9, |v9|, v6
	v_add_co_ci_u32_e64 v6, null, 0, v7, s9
	s_delay_alu instid0(VALU_DEP_1)
	v_mul_lo_u16 v7, v6, v19
.LBB40_226:
	s_or_b32 exec_lo, exec_lo, s11
	s_delay_alu instid0(VALU_DEP_1)
	v_perm_b32 v4, v4, v7, 0x60504
.LBB40_227:
	s_or_b32 exec_lo, exec_lo, s10
	v_or_b32_e32 v9, 0xc00, v0
	s_mov_b32 s10, exec_lo
	s_delay_alu instid0(VALU_DEP_1)
	v_cmpx_gt_i32_e64 s13, v9
	s_cbranch_execz .LBB40_235
; %bb.228:
	v_and_b32_e32 v6, 0xff, v18
	s_mov_b32 s12, 0
	s_delay_alu instid0(VALU_DEP_1)
	v_cmp_ne_u16_e64 s9, 0, v6
	v_mov_b32_e32 v6, v17
	s_and_saveexec_b32 s11, s9
	s_cbranch_execz .LBB40_232
; %bb.229:
	v_dual_mov_b32 v19, v18 :: v_dual_mov_b32 v7, v17
.LBB40_230:                             ; =>This Inner Loop Header: Depth=1
	s_delay_alu instid0(VALU_DEP_1) | instskip(NEXT) | instid1(VALU_DEP_2)
	v_cvt_f32_ubyte0_e32 v21, v7
	v_mov_b32_e32 v6, v19
	s_delay_alu instid0(VALU_DEP_1) | instskip(NEXT) | instid1(VALU_DEP_1)
	v_cvt_f32_ubyte0_e32 v19, v6
	v_rcp_iflag_f32_e32 v20, v19
	v_nop
	s_delay_alu instid0(TRANS32_DEP_1) | instskip(NEXT) | instid1(VALU_DEP_1)
	v_mul_f32_e32 v20, v21, v20
	v_trunc_f32_e32 v20, v20
	s_delay_alu instid0(VALU_DEP_1) | instskip(SKIP_1) | instid1(VALU_DEP_2)
	v_fma_f32 v21, -v20, v19, v21
	v_cvt_u32_f32_e32 v20, v20
	v_cmp_ge_f32_e64 s9, |v21|, v19
	s_delay_alu instid0(VALU_DEP_1) | instskip(NEXT) | instid1(VALU_DEP_1)
	v_add_co_ci_u32_e64 v19, null, 0, v20, s9
	v_mul_lo_u32 v19, v19, v6
	s_delay_alu instid0(VALU_DEP_1) | instskip(NEXT) | instid1(VALU_DEP_1)
	v_sub_nc_u32_e32 v7, v7, v19
	v_and_b32_e32 v19, 0xff, v7
	v_mov_b32_e32 v7, v6
	s_delay_alu instid0(VALU_DEP_2) | instskip(SKIP_1) | instid1(SALU_CYCLE_1)
	v_cmp_eq_u16_e64 s9, 0, v19
	s_or_b32 s12, s9, s12
	s_and_not1_b32 exec_lo, exec_lo, s12
	s_cbranch_execnz .LBB40_230
; %bb.231:
	s_or_b32 exec_lo, exec_lo, s12
.LBB40_232:
	s_delay_alu instid0(SALU_CYCLE_1) | instskip(NEXT) | instid1(VALU_DEP_1)
	s_or_b32 exec_lo, exec_lo, s11
	v_and_b32_e32 v19, 0xff, v6
	v_mov_b32_e32 v7, 0
	s_mov_b32 s11, exec_lo
	s_delay_alu instid0(VALU_DEP_2)
	v_cmpx_ne_u16_e32 0, v19
	s_cbranch_execz .LBB40_234
; %bb.233:
	v_cvt_f32_ubyte0_e32 v6, v6
	v_cvt_f32_ubyte0_e32 v18, v18
	s_delay_alu instid0(VALU_DEP_2) | instskip(SKIP_1) | instid1(TRANS32_DEP_1)
	v_rcp_iflag_f32_e32 v7, v6
	v_nop
	v_mul_f32_e32 v7, v18, v7
	s_delay_alu instid0(VALU_DEP_1) | instskip(NEXT) | instid1(VALU_DEP_1)
	v_trunc_f32_e32 v7, v7
	v_fma_f32 v18, -v7, v6, v18
	v_cvt_u32_f32_e32 v7, v7
	s_delay_alu instid0(VALU_DEP_2) | instskip(NEXT) | instid1(VALU_DEP_1)
	v_cmp_ge_f32_e64 s9, |v18|, v6
	v_add_co_ci_u32_e64 v6, null, 0, v7, s9
	s_delay_alu instid0(VALU_DEP_1)
	v_mul_lo_u16 v7, v6, v17
.LBB40_234:
	s_or_b32 exec_lo, exec_lo, s11
	s_delay_alu instid0(VALU_DEP_1)
	v_perm_b32 v3, v7, v3, 0x3020104
.LBB40_235:
	s_or_b32 exec_lo, exec_lo, s10
	v_or_b32_e32 v6, 0xd00, v0
	s_delay_alu instid0(VALU_DEP_1)
	v_cmp_gt_i32_e64 s9, s13, v6
	s_and_saveexec_b32 s11, s9
	s_cbranch_execz .LBB40_243
; %bb.236:
	v_and_b32_e32 v6, 0xff, v16
	s_mov_b32 s15, 0
	s_delay_alu instid0(VALU_DEP_1)
	v_cmp_ne_u16_e64 s10, 0, v6
	v_mov_b32_e32 v6, v15
	s_and_saveexec_b32 s12, s10
	s_cbranch_execz .LBB40_240
; %bb.237:
	v_dual_mov_b32 v17, v16 :: v_dual_mov_b32 v7, v15
.LBB40_238:                             ; =>This Inner Loop Header: Depth=1
	s_delay_alu instid0(VALU_DEP_1) | instskip(NEXT) | instid1(VALU_DEP_2)
	v_cvt_f32_ubyte0_e32 v19, v7
	v_mov_b32_e32 v6, v17
	s_delay_alu instid0(VALU_DEP_1) | instskip(NEXT) | instid1(VALU_DEP_1)
	v_cvt_f32_ubyte0_e32 v17, v6
	v_rcp_iflag_f32_e32 v18, v17
	v_nop
	s_delay_alu instid0(TRANS32_DEP_1) | instskip(NEXT) | instid1(VALU_DEP_1)
	v_mul_f32_e32 v18, v19, v18
	v_trunc_f32_e32 v18, v18
	s_delay_alu instid0(VALU_DEP_1) | instskip(SKIP_1) | instid1(VALU_DEP_2)
	v_fma_f32 v19, -v18, v17, v19
	v_cvt_u32_f32_e32 v18, v18
	v_cmp_ge_f32_e64 s10, |v19|, v17
	s_delay_alu instid0(VALU_DEP_1) | instskip(NEXT) | instid1(VALU_DEP_1)
	v_add_co_ci_u32_e64 v17, null, 0, v18, s10
	v_mul_lo_u32 v17, v17, v6
	s_delay_alu instid0(VALU_DEP_1) | instskip(NEXT) | instid1(VALU_DEP_1)
	v_sub_nc_u32_e32 v7, v7, v17
	v_and_b32_e32 v17, 0xff, v7
	v_mov_b32_e32 v7, v6
	s_delay_alu instid0(VALU_DEP_2) | instskip(SKIP_1) | instid1(SALU_CYCLE_1)
	v_cmp_eq_u16_e64 s10, 0, v17
	s_or_b32 s15, s10, s15
	s_and_not1_b32 exec_lo, exec_lo, s15
	s_cbranch_execnz .LBB40_238
; %bb.239:
	s_or_b32 exec_lo, exec_lo, s15
.LBB40_240:
	s_delay_alu instid0(SALU_CYCLE_1) | instskip(NEXT) | instid1(VALU_DEP_1)
	s_or_b32 exec_lo, exec_lo, s12
	v_and_b32_e32 v17, 0xff, v6
	v_mov_b32_e32 v7, 0
	s_mov_b32 s12, exec_lo
	s_delay_alu instid0(VALU_DEP_2)
	v_cmpx_ne_u16_e32 0, v17
	s_cbranch_execz .LBB40_242
; %bb.241:
	v_cvt_f32_ubyte0_e32 v6, v6
	v_cvt_f32_ubyte0_e32 v16, v16
	s_delay_alu instid0(VALU_DEP_2) | instskip(SKIP_1) | instid1(TRANS32_DEP_1)
	v_rcp_iflag_f32_e32 v7, v6
	v_nop
	v_mul_f32_e32 v7, v16, v7
	s_delay_alu instid0(VALU_DEP_1) | instskip(NEXT) | instid1(VALU_DEP_1)
	v_trunc_f32_e32 v7, v7
	v_fma_f32 v16, -v7, v6, v16
	v_cvt_u32_f32_e32 v7, v7
	s_delay_alu instid0(VALU_DEP_2) | instskip(NEXT) | instid1(VALU_DEP_1)
	v_cmp_ge_f32_e64 s10, |v16|, v6
	v_add_co_ci_u32_e64 v6, null, 0, v7, s10
	s_delay_alu instid0(VALU_DEP_1)
	v_mul_lo_u16 v7, v6, v15
.LBB40_242:
	s_or_b32 exec_lo, exec_lo, s12
	s_delay_alu instid0(VALU_DEP_1)
	v_perm_b32 v3, v3, v7, 0x7060004
.LBB40_243:
	s_or_b32 exec_lo, exec_lo, s11
	v_or_b32_e32 v6, 0xe00, v0
	s_delay_alu instid0(VALU_DEP_1)
	v_cmp_gt_i32_e64 s10, s13, v6
	s_and_saveexec_b32 s12, s10
	s_cbranch_execz .LBB40_251
; %bb.244:
	v_and_b32_e32 v6, 0xff, v14
	s_mov_b32 s18, 0
	s_delay_alu instid0(VALU_DEP_1)
	v_cmp_ne_u16_e64 s11, 0, v6
	v_mov_b32_e32 v6, v13
	s_and_saveexec_b32 s15, s11
	s_cbranch_execz .LBB40_248
; %bb.245:
	v_dual_mov_b32 v15, v14 :: v_dual_mov_b32 v7, v13
.LBB40_246:                             ; =>This Inner Loop Header: Depth=1
	s_delay_alu instid0(VALU_DEP_1) | instskip(NEXT) | instid1(VALU_DEP_2)
	v_cvt_f32_ubyte0_e32 v17, v7
	v_mov_b32_e32 v6, v15
	s_delay_alu instid0(VALU_DEP_1) | instskip(NEXT) | instid1(VALU_DEP_1)
	v_cvt_f32_ubyte0_e32 v15, v6
	v_rcp_iflag_f32_e32 v16, v15
	v_nop
	s_delay_alu instid0(TRANS32_DEP_1) | instskip(NEXT) | instid1(VALU_DEP_1)
	v_mul_f32_e32 v16, v17, v16
	v_trunc_f32_e32 v16, v16
	s_delay_alu instid0(VALU_DEP_1) | instskip(SKIP_1) | instid1(VALU_DEP_2)
	v_fma_f32 v17, -v16, v15, v17
	v_cvt_u32_f32_e32 v16, v16
	v_cmp_ge_f32_e64 s11, |v17|, v15
	s_delay_alu instid0(VALU_DEP_1) | instskip(NEXT) | instid1(VALU_DEP_1)
	v_add_co_ci_u32_e64 v15, null, 0, v16, s11
	v_mul_lo_u32 v15, v15, v6
	s_delay_alu instid0(VALU_DEP_1) | instskip(NEXT) | instid1(VALU_DEP_1)
	v_sub_nc_u32_e32 v7, v7, v15
	v_and_b32_e32 v15, 0xff, v7
	v_mov_b32_e32 v7, v6
	s_delay_alu instid0(VALU_DEP_2) | instskip(SKIP_1) | instid1(SALU_CYCLE_1)
	v_cmp_eq_u16_e64 s11, 0, v15
	s_or_b32 s18, s11, s18
	s_and_not1_b32 exec_lo, exec_lo, s18
	s_cbranch_execnz .LBB40_246
; %bb.247:
	s_or_b32 exec_lo, exec_lo, s18
.LBB40_248:
	s_delay_alu instid0(SALU_CYCLE_1) | instskip(NEXT) | instid1(VALU_DEP_1)
	s_or_b32 exec_lo, exec_lo, s15
	v_and_b32_e32 v15, 0xff, v6
	v_mov_b32_e32 v7, 0
	s_mov_b32 s15, exec_lo
	s_delay_alu instid0(VALU_DEP_2)
	v_cmpx_ne_u16_e32 0, v15
	s_cbranch_execz .LBB40_250
; %bb.249:
	v_cvt_f32_ubyte0_e32 v6, v6
	v_cvt_f32_ubyte0_e32 v14, v14
	s_delay_alu instid0(VALU_DEP_2) | instskip(SKIP_1) | instid1(TRANS32_DEP_1)
	v_rcp_iflag_f32_e32 v7, v6
	v_nop
	v_mul_f32_e32 v7, v14, v7
	s_delay_alu instid0(VALU_DEP_1) | instskip(NEXT) | instid1(VALU_DEP_1)
	v_trunc_f32_e32 v7, v7
	v_fma_f32 v14, -v7, v6, v14
	v_cvt_u32_f32_e32 v7, v7
	s_delay_alu instid0(VALU_DEP_2) | instskip(NEXT) | instid1(VALU_DEP_1)
	v_cmp_ge_f32_e64 s11, |v14|, v6
	v_add_co_ci_u32_e64 v6, null, 0, v7, s11
	s_delay_alu instid0(VALU_DEP_1)
	v_mul_lo_u16 v7, v6, v13
.LBB40_250:
	s_or_b32 exec_lo, exec_lo, s15
	s_delay_alu instid0(VALU_DEP_1)
	v_perm_b32 v3, v3, v7, 0x7000504
.LBB40_251:
	s_or_b32 exec_lo, exec_lo, s12
	v_or_b32_e32 v6, 0xf00, v0
	s_delay_alu instid0(VALU_DEP_1)
	v_cmp_gt_i32_e64 s11, s13, v6
	s_and_saveexec_b32 s15, s11
	s_cbranch_execz .LBB40_259
; %bb.252:
	v_and_b32_e32 v6, 0xff, v12
	s_mov_b32 s19, 0
	s_delay_alu instid0(VALU_DEP_1)
	v_cmp_ne_u16_e64 s12, 0, v6
	v_mov_b32_e32 v6, v11
	s_and_saveexec_b32 s18, s12
	s_cbranch_execz .LBB40_256
; %bb.253:
	v_dual_mov_b32 v13, v12 :: v_dual_mov_b32 v7, v11
.LBB40_254:                             ; =>This Inner Loop Header: Depth=1
	s_delay_alu instid0(VALU_DEP_1) | instskip(NEXT) | instid1(VALU_DEP_2)
	v_cvt_f32_ubyte0_e32 v15, v7
	v_mov_b32_e32 v6, v13
	s_delay_alu instid0(VALU_DEP_1) | instskip(NEXT) | instid1(VALU_DEP_1)
	v_cvt_f32_ubyte0_e32 v13, v6
	v_rcp_iflag_f32_e32 v14, v13
	v_nop
	s_delay_alu instid0(TRANS32_DEP_1) | instskip(NEXT) | instid1(VALU_DEP_1)
	v_mul_f32_e32 v14, v15, v14
	v_trunc_f32_e32 v14, v14
	s_delay_alu instid0(VALU_DEP_1) | instskip(SKIP_1) | instid1(VALU_DEP_2)
	v_fma_f32 v15, -v14, v13, v15
	v_cvt_u32_f32_e32 v14, v14
	v_cmp_ge_f32_e64 s12, |v15|, v13
	s_delay_alu instid0(VALU_DEP_1) | instskip(NEXT) | instid1(VALU_DEP_1)
	v_add_co_ci_u32_e64 v13, null, 0, v14, s12
	v_mul_lo_u32 v13, v13, v6
	s_delay_alu instid0(VALU_DEP_1) | instskip(NEXT) | instid1(VALU_DEP_1)
	v_sub_nc_u32_e32 v7, v7, v13
	v_and_b32_e32 v13, 0xff, v7
	v_mov_b32_e32 v7, v6
	s_delay_alu instid0(VALU_DEP_2) | instskip(SKIP_1) | instid1(SALU_CYCLE_1)
	v_cmp_eq_u16_e64 s12, 0, v13
	s_or_b32 s19, s12, s19
	s_and_not1_b32 exec_lo, exec_lo, s19
	s_cbranch_execnz .LBB40_254
; %bb.255:
	s_or_b32 exec_lo, exec_lo, s19
.LBB40_256:
	s_delay_alu instid0(SALU_CYCLE_1) | instskip(NEXT) | instid1(VALU_DEP_1)
	s_or_b32 exec_lo, exec_lo, s18
	v_and_b32_e32 v13, 0xff, v6
	v_mov_b32_e32 v7, 0
	s_mov_b32 s18, exec_lo
	s_delay_alu instid0(VALU_DEP_2)
	v_cmpx_ne_u16_e32 0, v13
	s_cbranch_execz .LBB40_258
; %bb.257:
	v_cvt_f32_ubyte0_e32 v6, v6
	v_cvt_f32_ubyte0_e32 v12, v12
	s_delay_alu instid0(VALU_DEP_2) | instskip(SKIP_1) | instid1(TRANS32_DEP_1)
	v_rcp_iflag_f32_e32 v7, v6
	v_nop
	v_mul_f32_e32 v7, v12, v7
	s_delay_alu instid0(VALU_DEP_1) | instskip(NEXT) | instid1(VALU_DEP_1)
	v_trunc_f32_e32 v7, v7
	v_fma_f32 v12, -v7, v6, v12
	v_cvt_u32_f32_e32 v7, v7
	s_delay_alu instid0(VALU_DEP_2) | instskip(NEXT) | instid1(VALU_DEP_1)
	v_cmp_ge_f32_e64 s12, |v12|, v6
	v_add_co_ci_u32_e64 v6, null, 0, v7, s12
	s_delay_alu instid0(VALU_DEP_1)
	v_mul_lo_u16 v7, v6, v11
.LBB40_258:
	s_or_b32 exec_lo, exec_lo, s18
	s_delay_alu instid0(VALU_DEP_1)
	v_perm_b32 v3, v3, v7, 0x60504
.LBB40_259:
	s_or_b32 exec_lo, exec_lo, s15
	s_and_saveexec_b32 s12, vcc_lo
	s_cbranch_execz .LBB40_276
; %bb.260:
	global_store_b8 v10, v2, s[16:17]
	s_wait_xcnt 0x0
	s_and_b32 exec_lo, exec_lo, s0
	s_cbranch_execz .LBB40_276
; %bb.261:
	v_dual_lshrrev_b32 v7, 8, v2 :: v_dual_add_nc_u32 v6, s14, v0
	global_store_b8 v6, v7, s[16:17] offset:256
	s_wait_xcnt 0x0
	s_and_b32 exec_lo, exec_lo, s1
	s_cbranch_execz .LBB40_276
; %bb.262:
	v_mov_b32_e32 v7, 0
	s_delay_alu instid0(VALU_DEP_1)
	v_add_nc_u64_e32 v[6:7], s[16:17], v[6:7]
	global_store_d16_hi_b8 v[6:7], v2, off offset:512
	s_wait_xcnt 0x0
	s_and_b32 exec_lo, exec_lo, s2
	s_cbranch_execz .LBB40_276
; %bb.263:
	v_lshrrev_b32_e32 v0, 24, v2
	v_cmp_gt_u32_e32 vcc_lo, s13, v5
	global_store_b8 v[6:7], v0, off offset:768
	s_wait_xcnt 0x0
	s_and_b32 exec_lo, exec_lo, vcc_lo
	s_cbranch_execz .LBB40_276
; %bb.264:
	global_store_b8 v[6:7], v1, off offset:1024
	s_wait_xcnt 0x0
	s_and_b32 exec_lo, exec_lo, s3
	s_cbranch_execz .LBB40_276
; %bb.265:
	v_lshrrev_b32_e32 v0, 8, v1
	global_store_b8 v[6:7], v0, off offset:1280
	s_wait_xcnt 0x0
	s_and_b32 exec_lo, exec_lo, s4
	s_cbranch_execz .LBB40_276
; %bb.266:
	global_store_d16_hi_b8 v[6:7], v1, off offset:1536
	s_wait_xcnt 0x0
	s_and_b32 exec_lo, exec_lo, s5
	s_cbranch_execz .LBB40_276
; %bb.267:
	v_lshrrev_b32_e32 v0, 24, v1
	v_cmp_gt_u32_e32 vcc_lo, s13, v8
	global_store_b8 v[6:7], v0, off offset:1792
	s_wait_xcnt 0x0
	s_and_b32 exec_lo, exec_lo, vcc_lo
	s_cbranch_execz .LBB40_276
; %bb.268:
	global_store_b8 v[6:7], v4, off offset:2048
	s_wait_xcnt 0x0
	s_and_b32 exec_lo, exec_lo, s6
	s_cbranch_execz .LBB40_276
; %bb.269:
	v_lshrrev_b32_e32 v0, 8, v4
	global_store_b8 v[6:7], v0, off offset:2304
	s_wait_xcnt 0x0
	s_and_b32 exec_lo, exec_lo, s7
	s_cbranch_execz .LBB40_276
; %bb.270:
	;; [unrolled: 23-line block ×3, first 2 shown]
	global_store_d16_hi_b8 v[6:7], v3, off offset:3584
	s_wait_xcnt 0x0
	s_and_b32 exec_lo, exec_lo, s11
	s_cbranch_execz .LBB40_276
; %bb.275:
	v_lshrrev_b32_e32 v0, 24, v3
	global_store_b8 v[6:7], v0, off offset:3840
.LBB40_276:
	s_endpgm
	.section	.rodata,"a",@progbits
	.p2align	6, 0x0
	.amdhsa_kernel _ZN2at6native29vectorized_elementwise_kernelILi16EZZZNS0_15lcm_kernel_cudaERNS_18TensorIteratorBaseEENKUlvE_clEvENKUlvE_clEvEUlhhE_St5arrayIPcLm3EEEEviT0_T1_
		.amdhsa_group_segment_fixed_size 0
		.amdhsa_private_segment_fixed_size 0
		.amdhsa_kernarg_size 32
		.amdhsa_user_sgpr_count 2
		.amdhsa_user_sgpr_dispatch_ptr 0
		.amdhsa_user_sgpr_queue_ptr 0
		.amdhsa_user_sgpr_kernarg_segment_ptr 1
		.amdhsa_user_sgpr_dispatch_id 0
		.amdhsa_user_sgpr_kernarg_preload_length 0
		.amdhsa_user_sgpr_kernarg_preload_offset 0
		.amdhsa_user_sgpr_private_segment_size 0
		.amdhsa_wavefront_size32 1
		.amdhsa_uses_dynamic_stack 0
		.amdhsa_enable_private_segment 0
		.amdhsa_system_sgpr_workgroup_id_x 1
		.amdhsa_system_sgpr_workgroup_id_y 0
		.amdhsa_system_sgpr_workgroup_id_z 0
		.amdhsa_system_sgpr_workgroup_info 0
		.amdhsa_system_vgpr_workitem_id 0
		.amdhsa_next_free_vgpr 42
		.amdhsa_next_free_sgpr 21
		.amdhsa_named_barrier_count 0
		.amdhsa_reserve_vcc 1
		.amdhsa_float_round_mode_32 0
		.amdhsa_float_round_mode_16_64 0
		.amdhsa_float_denorm_mode_32 3
		.amdhsa_float_denorm_mode_16_64 3
		.amdhsa_fp16_overflow 0
		.amdhsa_memory_ordered 1
		.amdhsa_forward_progress 1
		.amdhsa_inst_pref_size 102
		.amdhsa_round_robin_scheduling 0
		.amdhsa_exception_fp_ieee_invalid_op 0
		.amdhsa_exception_fp_denorm_src 0
		.amdhsa_exception_fp_ieee_div_zero 0
		.amdhsa_exception_fp_ieee_overflow 0
		.amdhsa_exception_fp_ieee_underflow 0
		.amdhsa_exception_fp_ieee_inexact 0
		.amdhsa_exception_int_div_zero 0
	.end_amdhsa_kernel
	.section	.text._ZN2at6native29vectorized_elementwise_kernelILi16EZZZNS0_15lcm_kernel_cudaERNS_18TensorIteratorBaseEENKUlvE_clEvENKUlvE_clEvEUlhhE_St5arrayIPcLm3EEEEviT0_T1_,"axG",@progbits,_ZN2at6native29vectorized_elementwise_kernelILi16EZZZNS0_15lcm_kernel_cudaERNS_18TensorIteratorBaseEENKUlvE_clEvENKUlvE_clEvEUlhhE_St5arrayIPcLm3EEEEviT0_T1_,comdat
.Lfunc_end40:
	.size	_ZN2at6native29vectorized_elementwise_kernelILi16EZZZNS0_15lcm_kernel_cudaERNS_18TensorIteratorBaseEENKUlvE_clEvENKUlvE_clEvEUlhhE_St5arrayIPcLm3EEEEviT0_T1_, .Lfunc_end40-_ZN2at6native29vectorized_elementwise_kernelILi16EZZZNS0_15lcm_kernel_cudaERNS_18TensorIteratorBaseEENKUlvE_clEvENKUlvE_clEvEUlhhE_St5arrayIPcLm3EEEEviT0_T1_
                                        ; -- End function
	.set _ZN2at6native29vectorized_elementwise_kernelILi16EZZZNS0_15lcm_kernel_cudaERNS_18TensorIteratorBaseEENKUlvE_clEvENKUlvE_clEvEUlhhE_St5arrayIPcLm3EEEEviT0_T1_.num_vgpr, 42
	.set _ZN2at6native29vectorized_elementwise_kernelILi16EZZZNS0_15lcm_kernel_cudaERNS_18TensorIteratorBaseEENKUlvE_clEvENKUlvE_clEvEUlhhE_St5arrayIPcLm3EEEEviT0_T1_.num_agpr, 0
	.set _ZN2at6native29vectorized_elementwise_kernelILi16EZZZNS0_15lcm_kernel_cudaERNS_18TensorIteratorBaseEENKUlvE_clEvENKUlvE_clEvEUlhhE_St5arrayIPcLm3EEEEviT0_T1_.numbered_sgpr, 21
	.set _ZN2at6native29vectorized_elementwise_kernelILi16EZZZNS0_15lcm_kernel_cudaERNS_18TensorIteratorBaseEENKUlvE_clEvENKUlvE_clEvEUlhhE_St5arrayIPcLm3EEEEviT0_T1_.num_named_barrier, 0
	.set _ZN2at6native29vectorized_elementwise_kernelILi16EZZZNS0_15lcm_kernel_cudaERNS_18TensorIteratorBaseEENKUlvE_clEvENKUlvE_clEvEUlhhE_St5arrayIPcLm3EEEEviT0_T1_.private_seg_size, 0
	.set _ZN2at6native29vectorized_elementwise_kernelILi16EZZZNS0_15lcm_kernel_cudaERNS_18TensorIteratorBaseEENKUlvE_clEvENKUlvE_clEvEUlhhE_St5arrayIPcLm3EEEEviT0_T1_.uses_vcc, 1
	.set _ZN2at6native29vectorized_elementwise_kernelILi16EZZZNS0_15lcm_kernel_cudaERNS_18TensorIteratorBaseEENKUlvE_clEvENKUlvE_clEvEUlhhE_St5arrayIPcLm3EEEEviT0_T1_.uses_flat_scratch, 0
	.set _ZN2at6native29vectorized_elementwise_kernelILi16EZZZNS0_15lcm_kernel_cudaERNS_18TensorIteratorBaseEENKUlvE_clEvENKUlvE_clEvEUlhhE_St5arrayIPcLm3EEEEviT0_T1_.has_dyn_sized_stack, 0
	.set _ZN2at6native29vectorized_elementwise_kernelILi16EZZZNS0_15lcm_kernel_cudaERNS_18TensorIteratorBaseEENKUlvE_clEvENKUlvE_clEvEUlhhE_St5arrayIPcLm3EEEEviT0_T1_.has_recursion, 0
	.set _ZN2at6native29vectorized_elementwise_kernelILi16EZZZNS0_15lcm_kernel_cudaERNS_18TensorIteratorBaseEENKUlvE_clEvENKUlvE_clEvEUlhhE_St5arrayIPcLm3EEEEviT0_T1_.has_indirect_call, 0
	.section	.AMDGPU.csdata,"",@progbits
; Kernel info:
; codeLenInByte = 13040
; TotalNumSgprs: 23
; NumVgprs: 42
; ScratchSize: 0
; MemoryBound: 0
; FloatMode: 240
; IeeeMode: 1
; LDSByteSize: 0 bytes/workgroup (compile time only)
; SGPRBlocks: 0
; VGPRBlocks: 2
; NumSGPRsForWavesPerEU: 23
; NumVGPRsForWavesPerEU: 42
; NamedBarCnt: 0
; Occupancy: 16
; WaveLimiterHint : 0
; COMPUTE_PGM_RSRC2:SCRATCH_EN: 0
; COMPUTE_PGM_RSRC2:USER_SGPR: 2
; COMPUTE_PGM_RSRC2:TRAP_HANDLER: 0
; COMPUTE_PGM_RSRC2:TGID_X_EN: 1
; COMPUTE_PGM_RSRC2:TGID_Y_EN: 0
; COMPUTE_PGM_RSRC2:TGID_Z_EN: 0
; COMPUTE_PGM_RSRC2:TIDIG_COMP_CNT: 0
	.section	.text._ZN2at6native29vectorized_elementwise_kernelILi8EZZZNS0_15lcm_kernel_cudaERNS_18TensorIteratorBaseEENKUlvE_clEvENKUlvE_clEvEUlhhE_St5arrayIPcLm3EEEEviT0_T1_,"axG",@progbits,_ZN2at6native29vectorized_elementwise_kernelILi8EZZZNS0_15lcm_kernel_cudaERNS_18TensorIteratorBaseEENKUlvE_clEvENKUlvE_clEvEUlhhE_St5arrayIPcLm3EEEEviT0_T1_,comdat
	.globl	_ZN2at6native29vectorized_elementwise_kernelILi8EZZZNS0_15lcm_kernel_cudaERNS_18TensorIteratorBaseEENKUlvE_clEvENKUlvE_clEvEUlhhE_St5arrayIPcLm3EEEEviT0_T1_ ; -- Begin function _ZN2at6native29vectorized_elementwise_kernelILi8EZZZNS0_15lcm_kernel_cudaERNS_18TensorIteratorBaseEENKUlvE_clEvENKUlvE_clEvEUlhhE_St5arrayIPcLm3EEEEviT0_T1_
	.p2align	8
	.type	_ZN2at6native29vectorized_elementwise_kernelILi8EZZZNS0_15lcm_kernel_cudaERNS_18TensorIteratorBaseEENKUlvE_clEvENKUlvE_clEvEUlhhE_St5arrayIPcLm3EEEEviT0_T1_,@function
_ZN2at6native29vectorized_elementwise_kernelILi8EZZZNS0_15lcm_kernel_cudaERNS_18TensorIteratorBaseEENKUlvE_clEvENKUlvE_clEvEUlhhE_St5arrayIPcLm3EEEEviT0_T1_: ; @_ZN2at6native29vectorized_elementwise_kernelILi8EZZZNS0_15lcm_kernel_cudaERNS_18TensorIteratorBaseEENKUlvE_clEvENKUlvE_clEvEUlhhE_St5arrayIPcLm3EEEEviT0_T1_
; %bb.0:
	s_clause 0x2
	s_load_b32 s4, s[0:1], 0x0
	s_load_b128 s[16:19], s[0:1], 0x8
	s_load_b64 s[2:3], s[0:1], 0x18
	s_wait_xcnt 0x0
	s_bfe_u32 s0, ttmp6, 0x4000c
	s_and_b32 s1, ttmp6, 15
	s_add_co_i32 s0, s0, 1
	s_getreg_b32 s5, hwreg(HW_REG_IB_STS2, 6, 4)
	s_mul_i32 s0, ttmp9, s0
	s_delay_alu instid0(SALU_CYCLE_1) | instskip(SKIP_2) | instid1(SALU_CYCLE_1)
	s_add_co_i32 s1, s1, s0
	s_cmp_eq_u32 s5, 0
	s_cselect_b32 s0, ttmp9, s1
	s_lshl_b32 s14, s0, 12
	s_mov_b32 s0, -1
	s_wait_kmcnt 0x0
	s_sub_co_i32 s13, s4, s14
	s_delay_alu instid0(SALU_CYCLE_1)
	s_cmp_gt_i32 s13, 0xfff
	s_cbranch_scc0 .LBB41_98
; %bb.1:
	s_ashr_i32 s15, s14, 31
	s_delay_alu instid0(SALU_CYCLE_1)
	s_add_nc_u64 s[0:1], s[18:19], s[14:15]
	s_add_nc_u64 s[4:5], s[2:3], s[14:15]
	s_clause 0x3
	global_load_b64 v[8:9], v0, s[0:1] scale_offset
	global_load_b64 v[6:7], v0, s[4:5] scale_offset
	global_load_b64 v[4:5], v0, s[0:1] offset:2048 scale_offset
	global_load_b64 v[2:3], v0, s[4:5] offset:2048 scale_offset
	s_wait_xcnt 0x1
	s_mov_b32 s0, exec_lo
	s_wait_loadcnt 0x2
	v_mov_b32_e32 v10, v6
	v_and_b32_e32 v1, 0xff, v8
	s_wait_xcnt 0x0
	s_delay_alu instid0(VALU_DEP_1)
	v_cmpx_ne_u16_e32 0, v1
	s_cbranch_execz .LBB41_5
; %bb.2:
	v_dual_mov_b32 v11, v8 :: v_dual_mov_b32 v1, v6
	s_mov_b32 s1, 0
.LBB41_3:                               ; =>This Inner Loop Header: Depth=1
	s_delay_alu instid0(VALU_DEP_1) | instskip(NEXT) | instid1(VALU_DEP_2)
	v_cvt_f32_ubyte0_e32 v13, v1
	v_mov_b32_e32 v10, v11
	s_delay_alu instid0(VALU_DEP_1) | instskip(NEXT) | instid1(VALU_DEP_1)
	v_cvt_f32_ubyte0_e32 v11, v10
	v_rcp_iflag_f32_e32 v12, v11
	v_nop
	s_delay_alu instid0(TRANS32_DEP_1) | instskip(NEXT) | instid1(VALU_DEP_1)
	v_mul_f32_e32 v12, v13, v12
	v_trunc_f32_e32 v12, v12
	s_delay_alu instid0(VALU_DEP_1) | instskip(SKIP_1) | instid1(VALU_DEP_2)
	v_fma_f32 v13, -v12, v11, v13
	v_cvt_u32_f32_e32 v12, v12
	v_cmp_ge_f32_e64 vcc_lo, |v13|, v11
	s_delay_alu instid0(VALU_DEP_1) | instskip(NEXT) | instid1(VALU_DEP_1)
	v_add_co_ci_u32_e64 v11, null, 0, v12, vcc_lo
	v_mul_lo_u32 v11, v11, v10
	s_delay_alu instid0(VALU_DEP_1) | instskip(NEXT) | instid1(VALU_DEP_1)
	v_sub_nc_u32_e32 v1, v1, v11
	v_and_b32_e32 v11, 0xff, v1
	v_mov_b32_e32 v1, v10
	s_delay_alu instid0(VALU_DEP_2) | instskip(SKIP_1) | instid1(SALU_CYCLE_1)
	v_cmp_eq_u16_e32 vcc_lo, 0, v11
	s_or_b32 s1, vcc_lo, s1
	s_and_not1_b32 exec_lo, exec_lo, s1
	s_cbranch_execnz .LBB41_3
; %bb.4:
	s_or_b32 exec_lo, exec_lo, s1
.LBB41_5:
	s_delay_alu instid0(SALU_CYCLE_1) | instskip(SKIP_3) | instid1(VALU_DEP_2)
	s_or_b32 exec_lo, exec_lo, s0
	v_and_b32_e32 v11, 0xff, v10
	v_mov_b32_e32 v1, 0
	s_mov_b32 s0, exec_lo
	v_cmpx_ne_u16_e32 0, v11
	s_cbranch_execz .LBB41_7
; %bb.6:
	v_cvt_f32_ubyte0_e32 v1, v10
	v_cvt_f32_ubyte0_e32 v11, v8
	s_delay_alu instid0(VALU_DEP_2) | instskip(SKIP_1) | instid1(TRANS32_DEP_1)
	v_rcp_iflag_f32_e32 v10, v1
	v_nop
	v_mul_f32_e32 v10, v11, v10
	s_delay_alu instid0(VALU_DEP_1) | instskip(NEXT) | instid1(VALU_DEP_1)
	v_trunc_f32_e32 v10, v10
	v_fma_f32 v11, -v10, v1, v11
	v_cvt_u32_f32_e32 v10, v10
	s_delay_alu instid0(VALU_DEP_2) | instskip(NEXT) | instid1(VALU_DEP_1)
	v_cmp_ge_f32_e64 vcc_lo, |v11|, v1
	v_add_co_ci_u32_e64 v1, null, 0, v10, vcc_lo
	s_delay_alu instid0(VALU_DEP_1)
	v_mul_lo_u16 v1, v1, v6
.LBB41_7:
	s_or_b32 exec_lo, exec_lo, s0
	v_dual_lshrrev_b32 v11, 8, v8 :: v_dual_lshrrev_b32 v12, 8, v6
	s_mov_b32 s1, 0
	s_mov_b32 s0, exec_lo
	s_delay_alu instid0(VALU_DEP_1) | instskip(NEXT) | instid1(VALU_DEP_1)
	v_and_b32_e32 v10, 0xff, v11
	v_cmpx_ne_u16_e32 0, v10
	s_cbranch_execz .LBB41_11
; %bb.8:
	v_mov_b32_e32 v13, v11
.LBB41_9:                               ; =>This Inner Loop Header: Depth=1
	v_cvt_f32_ubyte0_e32 v15, v12
	s_delay_alu instid0(VALU_DEP_2) | instskip(NEXT) | instid1(VALU_DEP_1)
	v_mov_b32_e32 v10, v13
	v_cvt_f32_ubyte0_e32 v13, v10
	s_delay_alu instid0(VALU_DEP_1) | instskip(SKIP_1) | instid1(TRANS32_DEP_1)
	v_rcp_iflag_f32_e32 v14, v13
	v_nop
	v_mul_f32_e32 v14, v15, v14
	s_delay_alu instid0(VALU_DEP_1) | instskip(NEXT) | instid1(VALU_DEP_1)
	v_trunc_f32_e32 v14, v14
	v_fma_f32 v15, -v14, v13, v15
	v_cvt_u32_f32_e32 v14, v14
	s_delay_alu instid0(VALU_DEP_2) | instskip(NEXT) | instid1(VALU_DEP_1)
	v_cmp_ge_f32_e64 vcc_lo, |v15|, v13
	v_add_co_ci_u32_e64 v13, null, 0, v14, vcc_lo
	s_delay_alu instid0(VALU_DEP_1) | instskip(NEXT) | instid1(VALU_DEP_1)
	v_mul_lo_u32 v13, v13, v10
	v_sub_nc_u32_e32 v12, v12, v13
	s_delay_alu instid0(VALU_DEP_1) | instskip(SKIP_1) | instid1(VALU_DEP_2)
	v_and_b32_e32 v13, 0xff, v12
	v_mov_b32_e32 v12, v10
	v_cmp_eq_u16_e32 vcc_lo, 0, v13
	s_or_b32 s1, vcc_lo, s1
	s_delay_alu instid0(SALU_CYCLE_1)
	s_and_not1_b32 exec_lo, exec_lo, s1
	s_cbranch_execnz .LBB41_9
; %bb.10:
	s_or_b32 exec_lo, exec_lo, s1
	v_mov_b32_e32 v12, v10
.LBB41_11:
	s_or_b32 exec_lo, exec_lo, s0
	s_delay_alu instid0(VALU_DEP_1) | instskip(SKIP_2) | instid1(VALU_DEP_2)
	v_and_b32_e32 v13, 0xff, v12
	v_mov_b32_e32 v10, 0
	s_mov_b32 s0, exec_lo
	v_cmpx_ne_u16_e32 0, v13
	s_cbranch_execz .LBB41_13
; %bb.12:
	v_cvt_f32_ubyte0_e32 v10, v12
	v_cvt_f32_ubyte0_e32 v11, v11
	v_lshrrev_b32_e32 v13, 8, v6
	s_delay_alu instid0(VALU_DEP_3) | instskip(SKIP_1) | instid1(TRANS32_DEP_1)
	v_rcp_iflag_f32_e32 v12, v10
	v_nop
	v_mul_f32_e32 v12, v11, v12
	s_delay_alu instid0(VALU_DEP_1) | instskip(NEXT) | instid1(VALU_DEP_1)
	v_trunc_f32_e32 v12, v12
	v_fma_f32 v11, -v12, v10, v11
	v_cvt_u32_f32_e32 v12, v12
	s_delay_alu instid0(VALU_DEP_2) | instskip(NEXT) | instid1(VALU_DEP_1)
	v_cmp_ge_f32_e64 vcc_lo, |v11|, v10
	v_add_co_ci_u32_e64 v10, null, 0, v12, vcc_lo
	s_delay_alu instid0(VALU_DEP_1)
	v_mul_lo_u16 v10, v10, v13
.LBB41_13:
	s_or_b32 exec_lo, exec_lo, s0
	v_dual_lshrrev_b32 v12, 16, v8 :: v_dual_lshrrev_b32 v13, 16, v6
	s_mov_b32 s1, 0
	s_mov_b32 s0, exec_lo
	s_delay_alu instid0(VALU_DEP_1) | instskip(NEXT) | instid1(VALU_DEP_1)
	v_and_b32_e32 v11, 0xff, v12
	v_cmpx_ne_u16_e32 0, v11
	s_cbranch_execz .LBB41_17
; %bb.14:
	v_mov_b32_e32 v14, v12
.LBB41_15:                              ; =>This Inner Loop Header: Depth=1
	v_cvt_f32_ubyte0_e32 v16, v13
	s_delay_alu instid0(VALU_DEP_2) | instskip(NEXT) | instid1(VALU_DEP_1)
	v_mov_b32_e32 v11, v14
	v_cvt_f32_ubyte0_e32 v14, v11
	s_delay_alu instid0(VALU_DEP_1) | instskip(SKIP_1) | instid1(TRANS32_DEP_1)
	v_rcp_iflag_f32_e32 v15, v14
	v_nop
	v_mul_f32_e32 v15, v16, v15
	s_delay_alu instid0(VALU_DEP_1) | instskip(NEXT) | instid1(VALU_DEP_1)
	v_trunc_f32_e32 v15, v15
	v_fma_f32 v16, -v15, v14, v16
	v_cvt_u32_f32_e32 v15, v15
	s_delay_alu instid0(VALU_DEP_2) | instskip(NEXT) | instid1(VALU_DEP_1)
	v_cmp_ge_f32_e64 vcc_lo, |v16|, v14
	v_add_co_ci_u32_e64 v14, null, 0, v15, vcc_lo
	s_delay_alu instid0(VALU_DEP_1) | instskip(NEXT) | instid1(VALU_DEP_1)
	v_mul_lo_u32 v14, v14, v11
	v_sub_nc_u32_e32 v13, v13, v14
	s_delay_alu instid0(VALU_DEP_1) | instskip(SKIP_1) | instid1(VALU_DEP_2)
	v_and_b32_e32 v14, 0xff, v13
	v_mov_b32_e32 v13, v11
	v_cmp_eq_u16_e32 vcc_lo, 0, v14
	s_or_b32 s1, vcc_lo, s1
	s_delay_alu instid0(SALU_CYCLE_1)
	s_and_not1_b32 exec_lo, exec_lo, s1
	s_cbranch_execnz .LBB41_15
; %bb.16:
	s_or_b32 exec_lo, exec_lo, s1
	v_mov_b32_e32 v13, v11
.LBB41_17:
	s_or_b32 exec_lo, exec_lo, s0
	s_delay_alu instid0(VALU_DEP_1) | instskip(SKIP_2) | instid1(VALU_DEP_2)
	v_and_b32_e32 v14, 0xff, v13
	v_mov_b32_e32 v11, 0
	s_mov_b32 s0, exec_lo
	v_cmpx_ne_u16_e32 0, v14
	s_cbranch_execz .LBB41_19
; %bb.18:
	v_cvt_f32_ubyte0_e32 v11, v13
	v_cvt_f32_ubyte0_e32 v12, v12
	v_lshrrev_b32_e32 v14, 16, v6
	s_delay_alu instid0(VALU_DEP_3) | instskip(SKIP_1) | instid1(TRANS32_DEP_1)
	v_rcp_iflag_f32_e32 v13, v11
	v_nop
	v_mul_f32_e32 v13, v12, v13
	s_delay_alu instid0(VALU_DEP_1) | instskip(NEXT) | instid1(VALU_DEP_1)
	v_trunc_f32_e32 v13, v13
	v_fma_f32 v12, -v13, v11, v12
	v_cvt_u32_f32_e32 v13, v13
	s_delay_alu instid0(VALU_DEP_2) | instskip(NEXT) | instid1(VALU_DEP_1)
	v_cmp_ge_f32_e64 vcc_lo, |v12|, v11
	v_add_co_ci_u32_e64 v11, null, 0, v13, vcc_lo
	s_delay_alu instid0(VALU_DEP_1)
	v_mul_lo_u16 v11, v11, v14
.LBB41_19:
	s_or_b32 exec_lo, exec_lo, s0
	v_dual_lshrrev_b32 v12, 24, v8 :: v_dual_lshrrev_b32 v13, 24, v6
	s_mov_b32 s0, exec_lo
	v_cmpx_lt_u32_e32 0xffffff, v8
	s_cbranch_execz .LBB41_23
; %bb.20:
	s_delay_alu instid0(VALU_DEP_2)
	v_mov_b32_e32 v14, v12
	s_mov_b32 s1, 0
.LBB41_21:                              ; =>This Inner Loop Header: Depth=1
	v_cvt_f32_ubyte0_e32 v16, v13
	s_delay_alu instid0(VALU_DEP_2) | instskip(NEXT) | instid1(VALU_DEP_1)
	v_mov_b32_e32 v8, v14
	v_cvt_f32_ubyte0_e32 v14, v8
	s_delay_alu instid0(VALU_DEP_1) | instskip(SKIP_1) | instid1(TRANS32_DEP_1)
	v_rcp_iflag_f32_e32 v15, v14
	v_nop
	v_mul_f32_e32 v15, v16, v15
	s_delay_alu instid0(VALU_DEP_1) | instskip(NEXT) | instid1(VALU_DEP_1)
	v_trunc_f32_e32 v15, v15
	v_fma_f32 v16, -v15, v14, v16
	v_cvt_u32_f32_e32 v15, v15
	s_delay_alu instid0(VALU_DEP_2) | instskip(NEXT) | instid1(VALU_DEP_1)
	v_cmp_ge_f32_e64 vcc_lo, |v16|, v14
	v_add_co_ci_u32_e64 v14, null, 0, v15, vcc_lo
	s_delay_alu instid0(VALU_DEP_1) | instskip(NEXT) | instid1(VALU_DEP_1)
	v_mul_lo_u32 v14, v14, v8
	v_sub_nc_u32_e32 v13, v13, v14
	s_delay_alu instid0(VALU_DEP_1) | instskip(SKIP_1) | instid1(VALU_DEP_2)
	v_and_b32_e32 v14, 0xff, v13
	v_mov_b32_e32 v13, v8
	v_cmp_eq_u16_e32 vcc_lo, 0, v14
	s_or_b32 s1, vcc_lo, s1
	s_delay_alu instid0(SALU_CYCLE_1)
	s_and_not1_b32 exec_lo, exec_lo, s1
	s_cbranch_execnz .LBB41_21
; %bb.22:
	s_or_b32 exec_lo, exec_lo, s1
	v_mov_b32_e32 v13, v8
.LBB41_23:
	s_or_b32 exec_lo, exec_lo, s0
	s_delay_alu instid0(VALU_DEP_1) | instskip(SKIP_2) | instid1(VALU_DEP_2)
	v_and_b32_e32 v14, 0xff, v13
	v_mov_b32_e32 v8, 0
	s_mov_b32 s0, exec_lo
	v_cmpx_ne_u16_e32 0, v14
	s_cbranch_execz .LBB41_25
; %bb.24:
	v_cvt_f32_ubyte0_e32 v8, v13
	v_cvt_f32_ubyte0_e32 v12, v12
	v_lshrrev_b32_e32 v6, 24, v6
	s_delay_alu instid0(VALU_DEP_3) | instskip(SKIP_1) | instid1(TRANS32_DEP_1)
	v_rcp_iflag_f32_e32 v13, v8
	v_nop
	v_mul_f32_e32 v13, v12, v13
	s_delay_alu instid0(VALU_DEP_1) | instskip(NEXT) | instid1(VALU_DEP_1)
	v_trunc_f32_e32 v13, v13
	v_fma_f32 v12, -v13, v8, v12
	v_cvt_u32_f32_e32 v13, v13
	s_delay_alu instid0(VALU_DEP_2) | instskip(NEXT) | instid1(VALU_DEP_1)
	v_cmp_ge_f32_e64 vcc_lo, |v12|, v8
	v_add_co_ci_u32_e64 v8, null, 0, v13, vcc_lo
	s_delay_alu instid0(VALU_DEP_1)
	v_mul_lo_u16 v8, v8, v6
.LBB41_25:
	s_or_b32 exec_lo, exec_lo, s0
	v_and_b32_e32 v6, 0xff, v9
	v_mov_b32_e32 v12, v7
	s_mov_b32 s1, 0
	s_mov_b32 s0, exec_lo
	s_delay_alu instid0(VALU_DEP_2)
	v_cmpx_ne_u16_e32 0, v6
	s_cbranch_execz .LBB41_29
; %bb.26:
	v_dual_mov_b32 v13, v9 :: v_dual_mov_b32 v6, v7
.LBB41_27:                              ; =>This Inner Loop Header: Depth=1
	s_delay_alu instid0(VALU_DEP_1) | instskip(NEXT) | instid1(VALU_DEP_2)
	v_cvt_f32_ubyte0_e32 v15, v6
	v_mov_b32_e32 v12, v13
	s_delay_alu instid0(VALU_DEP_1) | instskip(NEXT) | instid1(VALU_DEP_1)
	v_cvt_f32_ubyte0_e32 v13, v12
	v_rcp_iflag_f32_e32 v14, v13
	v_nop
	s_delay_alu instid0(TRANS32_DEP_1) | instskip(NEXT) | instid1(VALU_DEP_1)
	v_mul_f32_e32 v14, v15, v14
	v_trunc_f32_e32 v14, v14
	s_delay_alu instid0(VALU_DEP_1) | instskip(SKIP_1) | instid1(VALU_DEP_2)
	v_fma_f32 v15, -v14, v13, v15
	v_cvt_u32_f32_e32 v14, v14
	v_cmp_ge_f32_e64 vcc_lo, |v15|, v13
	s_delay_alu instid0(VALU_DEP_1) | instskip(NEXT) | instid1(VALU_DEP_1)
	v_add_co_ci_u32_e64 v13, null, 0, v14, vcc_lo
	v_mul_lo_u32 v13, v13, v12
	s_delay_alu instid0(VALU_DEP_1) | instskip(NEXT) | instid1(VALU_DEP_1)
	v_sub_nc_u32_e32 v6, v6, v13
	v_and_b32_e32 v13, 0xff, v6
	v_mov_b32_e32 v6, v12
	s_delay_alu instid0(VALU_DEP_2) | instskip(SKIP_1) | instid1(SALU_CYCLE_1)
	v_cmp_eq_u16_e32 vcc_lo, 0, v13
	s_or_b32 s1, vcc_lo, s1
	s_and_not1_b32 exec_lo, exec_lo, s1
	s_cbranch_execnz .LBB41_27
; %bb.28:
	s_or_b32 exec_lo, exec_lo, s1
.LBB41_29:
	s_delay_alu instid0(SALU_CYCLE_1) | instskip(SKIP_3) | instid1(VALU_DEP_2)
	s_or_b32 exec_lo, exec_lo, s0
	v_and_b32_e32 v13, 0xff, v12
	v_mov_b32_e32 v6, 0
	s_mov_b32 s0, exec_lo
	v_cmpx_ne_u16_e32 0, v13
	s_cbranch_execz .LBB41_31
; %bb.30:
	v_cvt_f32_ubyte0_e32 v6, v12
	v_cvt_f32_ubyte0_e32 v13, v9
	s_delay_alu instid0(VALU_DEP_2) | instskip(SKIP_1) | instid1(TRANS32_DEP_1)
	v_rcp_iflag_f32_e32 v12, v6
	v_nop
	v_mul_f32_e32 v12, v13, v12
	s_delay_alu instid0(VALU_DEP_1) | instskip(NEXT) | instid1(VALU_DEP_1)
	v_trunc_f32_e32 v12, v12
	v_fma_f32 v13, -v12, v6, v13
	v_cvt_u32_f32_e32 v12, v12
	s_delay_alu instid0(VALU_DEP_2) | instskip(NEXT) | instid1(VALU_DEP_1)
	v_cmp_ge_f32_e64 vcc_lo, |v13|, v6
	v_add_co_ci_u32_e64 v6, null, 0, v12, vcc_lo
	s_delay_alu instid0(VALU_DEP_1)
	v_mul_lo_u16 v6, v6, v7
.LBB41_31:
	s_or_b32 exec_lo, exec_lo, s0
	v_dual_lshrrev_b32 v13, 8, v9 :: v_dual_lshrrev_b32 v14, 8, v7
	s_mov_b32 s1, 0
	s_mov_b32 s0, exec_lo
	s_delay_alu instid0(VALU_DEP_1) | instskip(NEXT) | instid1(VALU_DEP_1)
	v_and_b32_e32 v12, 0xff, v13
	v_cmpx_ne_u16_e32 0, v12
	s_cbranch_execz .LBB41_35
; %bb.32:
	v_mov_b32_e32 v15, v13
.LBB41_33:                              ; =>This Inner Loop Header: Depth=1
	v_cvt_f32_ubyte0_e32 v17, v14
	s_delay_alu instid0(VALU_DEP_2) | instskip(NEXT) | instid1(VALU_DEP_1)
	v_mov_b32_e32 v12, v15
	v_cvt_f32_ubyte0_e32 v15, v12
	s_delay_alu instid0(VALU_DEP_1) | instskip(SKIP_1) | instid1(TRANS32_DEP_1)
	v_rcp_iflag_f32_e32 v16, v15
	v_nop
	v_mul_f32_e32 v16, v17, v16
	s_delay_alu instid0(VALU_DEP_1) | instskip(NEXT) | instid1(VALU_DEP_1)
	v_trunc_f32_e32 v16, v16
	v_fma_f32 v17, -v16, v15, v17
	v_cvt_u32_f32_e32 v16, v16
	s_delay_alu instid0(VALU_DEP_2) | instskip(NEXT) | instid1(VALU_DEP_1)
	v_cmp_ge_f32_e64 vcc_lo, |v17|, v15
	v_add_co_ci_u32_e64 v15, null, 0, v16, vcc_lo
	s_delay_alu instid0(VALU_DEP_1) | instskip(NEXT) | instid1(VALU_DEP_1)
	v_mul_lo_u32 v15, v15, v12
	v_sub_nc_u32_e32 v14, v14, v15
	s_delay_alu instid0(VALU_DEP_1) | instskip(SKIP_1) | instid1(VALU_DEP_2)
	v_and_b32_e32 v15, 0xff, v14
	v_mov_b32_e32 v14, v12
	v_cmp_eq_u16_e32 vcc_lo, 0, v15
	s_or_b32 s1, vcc_lo, s1
	s_delay_alu instid0(SALU_CYCLE_1)
	s_and_not1_b32 exec_lo, exec_lo, s1
	s_cbranch_execnz .LBB41_33
; %bb.34:
	s_or_b32 exec_lo, exec_lo, s1
	v_mov_b32_e32 v14, v12
.LBB41_35:
	s_or_b32 exec_lo, exec_lo, s0
	s_delay_alu instid0(VALU_DEP_1) | instskip(SKIP_2) | instid1(VALU_DEP_2)
	v_and_b32_e32 v15, 0xff, v14
	v_mov_b32_e32 v12, 0
	s_mov_b32 s0, exec_lo
	v_cmpx_ne_u16_e32 0, v15
	s_cbranch_execz .LBB41_37
; %bb.36:
	v_cvt_f32_ubyte0_e32 v12, v14
	v_cvt_f32_ubyte0_e32 v13, v13
	v_lshrrev_b32_e32 v15, 8, v7
	s_delay_alu instid0(VALU_DEP_3) | instskip(SKIP_1) | instid1(TRANS32_DEP_1)
	v_rcp_iflag_f32_e32 v14, v12
	v_nop
	v_mul_f32_e32 v14, v13, v14
	s_delay_alu instid0(VALU_DEP_1) | instskip(NEXT) | instid1(VALU_DEP_1)
	v_trunc_f32_e32 v14, v14
	v_fma_f32 v13, -v14, v12, v13
	v_cvt_u32_f32_e32 v14, v14
	s_delay_alu instid0(VALU_DEP_2) | instskip(NEXT) | instid1(VALU_DEP_1)
	v_cmp_ge_f32_e64 vcc_lo, |v13|, v12
	v_add_co_ci_u32_e64 v12, null, 0, v14, vcc_lo
	s_delay_alu instid0(VALU_DEP_1)
	v_mul_lo_u16 v12, v12, v15
.LBB41_37:
	s_or_b32 exec_lo, exec_lo, s0
	v_dual_lshrrev_b32 v14, 16, v9 :: v_dual_lshrrev_b32 v15, 16, v7
	s_mov_b32 s1, 0
	s_mov_b32 s0, exec_lo
	s_delay_alu instid0(VALU_DEP_1) | instskip(NEXT) | instid1(VALU_DEP_1)
	v_and_b32_e32 v13, 0xff, v14
	v_cmpx_ne_u16_e32 0, v13
	s_cbranch_execz .LBB41_41
; %bb.38:
	v_mov_b32_e32 v16, v14
.LBB41_39:                              ; =>This Inner Loop Header: Depth=1
	v_cvt_f32_ubyte0_e32 v18, v15
	s_delay_alu instid0(VALU_DEP_2) | instskip(NEXT) | instid1(VALU_DEP_1)
	v_mov_b32_e32 v13, v16
	v_cvt_f32_ubyte0_e32 v16, v13
	s_delay_alu instid0(VALU_DEP_1) | instskip(SKIP_1) | instid1(TRANS32_DEP_1)
	v_rcp_iflag_f32_e32 v17, v16
	v_nop
	v_mul_f32_e32 v17, v18, v17
	s_delay_alu instid0(VALU_DEP_1) | instskip(NEXT) | instid1(VALU_DEP_1)
	v_trunc_f32_e32 v17, v17
	v_fma_f32 v18, -v17, v16, v18
	v_cvt_u32_f32_e32 v17, v17
	s_delay_alu instid0(VALU_DEP_2) | instskip(NEXT) | instid1(VALU_DEP_1)
	v_cmp_ge_f32_e64 vcc_lo, |v18|, v16
	v_add_co_ci_u32_e64 v16, null, 0, v17, vcc_lo
	s_delay_alu instid0(VALU_DEP_1) | instskip(NEXT) | instid1(VALU_DEP_1)
	v_mul_lo_u32 v16, v16, v13
	v_sub_nc_u32_e32 v15, v15, v16
	s_delay_alu instid0(VALU_DEP_1) | instskip(SKIP_1) | instid1(VALU_DEP_2)
	v_and_b32_e32 v16, 0xff, v15
	v_mov_b32_e32 v15, v13
	v_cmp_eq_u16_e32 vcc_lo, 0, v16
	s_or_b32 s1, vcc_lo, s1
	s_delay_alu instid0(SALU_CYCLE_1)
	s_and_not1_b32 exec_lo, exec_lo, s1
	s_cbranch_execnz .LBB41_39
; %bb.40:
	s_or_b32 exec_lo, exec_lo, s1
	v_mov_b32_e32 v15, v13
.LBB41_41:
	s_or_b32 exec_lo, exec_lo, s0
	s_delay_alu instid0(VALU_DEP_1) | instskip(SKIP_2) | instid1(VALU_DEP_2)
	v_and_b32_e32 v16, 0xff, v15
	v_mov_b32_e32 v13, 0
	s_mov_b32 s0, exec_lo
	v_cmpx_ne_u16_e32 0, v16
	s_cbranch_execz .LBB41_43
; %bb.42:
	v_cvt_f32_ubyte0_e32 v13, v15
	v_cvt_f32_ubyte0_e32 v14, v14
	v_lshrrev_b32_e32 v16, 16, v7
	s_delay_alu instid0(VALU_DEP_3) | instskip(SKIP_1) | instid1(TRANS32_DEP_1)
	v_rcp_iflag_f32_e32 v15, v13
	v_nop
	v_mul_f32_e32 v15, v14, v15
	s_delay_alu instid0(VALU_DEP_1) | instskip(NEXT) | instid1(VALU_DEP_1)
	v_trunc_f32_e32 v15, v15
	v_fma_f32 v14, -v15, v13, v14
	v_cvt_u32_f32_e32 v15, v15
	s_delay_alu instid0(VALU_DEP_2) | instskip(NEXT) | instid1(VALU_DEP_1)
	v_cmp_ge_f32_e64 vcc_lo, |v14|, v13
	v_add_co_ci_u32_e64 v13, null, 0, v15, vcc_lo
	s_delay_alu instid0(VALU_DEP_1)
	v_mul_lo_u16 v13, v13, v16
.LBB41_43:
	s_or_b32 exec_lo, exec_lo, s0
	v_dual_lshrrev_b32 v14, 24, v9 :: v_dual_lshrrev_b32 v15, 24, v7
	s_mov_b32 s0, exec_lo
	v_cmpx_lt_u32_e32 0xffffff, v9
	s_cbranch_execz .LBB41_47
; %bb.44:
	s_delay_alu instid0(VALU_DEP_2)
	v_mov_b32_e32 v16, v14
	s_mov_b32 s1, 0
.LBB41_45:                              ; =>This Inner Loop Header: Depth=1
	v_cvt_f32_ubyte0_e32 v18, v15
	s_delay_alu instid0(VALU_DEP_2) | instskip(NEXT) | instid1(VALU_DEP_1)
	v_mov_b32_e32 v9, v16
	v_cvt_f32_ubyte0_e32 v16, v9
	s_delay_alu instid0(VALU_DEP_1) | instskip(SKIP_1) | instid1(TRANS32_DEP_1)
	v_rcp_iflag_f32_e32 v17, v16
	v_nop
	v_mul_f32_e32 v17, v18, v17
	s_delay_alu instid0(VALU_DEP_1) | instskip(NEXT) | instid1(VALU_DEP_1)
	v_trunc_f32_e32 v17, v17
	v_fma_f32 v18, -v17, v16, v18
	v_cvt_u32_f32_e32 v17, v17
	s_delay_alu instid0(VALU_DEP_2) | instskip(NEXT) | instid1(VALU_DEP_1)
	v_cmp_ge_f32_e64 vcc_lo, |v18|, v16
	v_add_co_ci_u32_e64 v16, null, 0, v17, vcc_lo
	s_delay_alu instid0(VALU_DEP_1) | instskip(NEXT) | instid1(VALU_DEP_1)
	v_mul_lo_u32 v16, v16, v9
	v_sub_nc_u32_e32 v15, v15, v16
	s_delay_alu instid0(VALU_DEP_1) | instskip(SKIP_1) | instid1(VALU_DEP_2)
	v_and_b32_e32 v16, 0xff, v15
	v_mov_b32_e32 v15, v9
	v_cmp_eq_u16_e32 vcc_lo, 0, v16
	s_or_b32 s1, vcc_lo, s1
	s_delay_alu instid0(SALU_CYCLE_1)
	s_and_not1_b32 exec_lo, exec_lo, s1
	s_cbranch_execnz .LBB41_45
; %bb.46:
	s_or_b32 exec_lo, exec_lo, s1
	v_mov_b32_e32 v15, v9
.LBB41_47:
	s_or_b32 exec_lo, exec_lo, s0
	s_delay_alu instid0(VALU_DEP_1) | instskip(SKIP_2) | instid1(VALU_DEP_2)
	v_and_b32_e32 v16, 0xff, v15
	v_mov_b32_e32 v9, 0
	s_mov_b32 s0, exec_lo
	v_cmpx_ne_u16_e32 0, v16
	s_cbranch_execz .LBB41_49
; %bb.48:
	v_cvt_f32_ubyte0_e32 v9, v15
	v_cvt_f32_ubyte0_e32 v14, v14
	v_lshrrev_b32_e32 v7, 24, v7
	s_delay_alu instid0(VALU_DEP_3) | instskip(SKIP_1) | instid1(TRANS32_DEP_1)
	v_rcp_iflag_f32_e32 v15, v9
	v_nop
	v_mul_f32_e32 v15, v14, v15
	s_delay_alu instid0(VALU_DEP_1) | instskip(NEXT) | instid1(VALU_DEP_1)
	v_trunc_f32_e32 v15, v15
	v_fma_f32 v14, -v15, v9, v14
	v_cvt_u32_f32_e32 v15, v15
	s_delay_alu instid0(VALU_DEP_2) | instskip(NEXT) | instid1(VALU_DEP_1)
	v_cmp_ge_f32_e64 vcc_lo, |v14|, v9
	v_add_co_ci_u32_e64 v9, null, 0, v15, vcc_lo
	s_delay_alu instid0(VALU_DEP_1)
	v_mul_lo_u16 v9, v9, v7
.LBB41_49:
	s_or_b32 exec_lo, exec_lo, s0
	s_wait_loadcnt 0x1
	v_and_b32_e32 v7, 0xff, v4
	s_wait_loadcnt 0x0
	v_mov_b32_e32 v14, v2
	s_mov_b32 s1, 0
	s_mov_b32 s0, exec_lo
	v_cmpx_ne_u16_e32 0, v7
	s_cbranch_execz .LBB41_53
; %bb.50:
	v_dual_mov_b32 v15, v4 :: v_dual_mov_b32 v7, v2
.LBB41_51:                              ; =>This Inner Loop Header: Depth=1
	s_delay_alu instid0(VALU_DEP_1) | instskip(NEXT) | instid1(VALU_DEP_2)
	v_cvt_f32_ubyte0_e32 v17, v7
	v_mov_b32_e32 v14, v15
	s_delay_alu instid0(VALU_DEP_1) | instskip(NEXT) | instid1(VALU_DEP_1)
	v_cvt_f32_ubyte0_e32 v15, v14
	v_rcp_iflag_f32_e32 v16, v15
	v_nop
	s_delay_alu instid0(TRANS32_DEP_1) | instskip(NEXT) | instid1(VALU_DEP_1)
	v_mul_f32_e32 v16, v17, v16
	v_trunc_f32_e32 v16, v16
	s_delay_alu instid0(VALU_DEP_1) | instskip(SKIP_1) | instid1(VALU_DEP_2)
	v_fma_f32 v17, -v16, v15, v17
	v_cvt_u32_f32_e32 v16, v16
	v_cmp_ge_f32_e64 vcc_lo, |v17|, v15
	s_delay_alu instid0(VALU_DEP_1) | instskip(NEXT) | instid1(VALU_DEP_1)
	v_add_co_ci_u32_e64 v15, null, 0, v16, vcc_lo
	v_mul_lo_u32 v15, v15, v14
	s_delay_alu instid0(VALU_DEP_1) | instskip(NEXT) | instid1(VALU_DEP_1)
	v_sub_nc_u32_e32 v7, v7, v15
	v_and_b32_e32 v15, 0xff, v7
	v_mov_b32_e32 v7, v14
	s_delay_alu instid0(VALU_DEP_2) | instskip(SKIP_1) | instid1(SALU_CYCLE_1)
	v_cmp_eq_u16_e32 vcc_lo, 0, v15
	s_or_b32 s1, vcc_lo, s1
	s_and_not1_b32 exec_lo, exec_lo, s1
	s_cbranch_execnz .LBB41_51
; %bb.52:
	s_or_b32 exec_lo, exec_lo, s1
.LBB41_53:
	s_delay_alu instid0(SALU_CYCLE_1) | instskip(SKIP_3) | instid1(VALU_DEP_2)
	s_or_b32 exec_lo, exec_lo, s0
	v_and_b32_e32 v15, 0xff, v14
	v_mov_b32_e32 v7, 0
	s_mov_b32 s0, exec_lo
	v_cmpx_ne_u16_e32 0, v15
	s_cbranch_execz .LBB41_55
; %bb.54:
	v_cvt_f32_ubyte0_e32 v7, v14
	v_cvt_f32_ubyte0_e32 v15, v4
	s_delay_alu instid0(VALU_DEP_2) | instskip(SKIP_1) | instid1(TRANS32_DEP_1)
	v_rcp_iflag_f32_e32 v14, v7
	v_nop
	v_mul_f32_e32 v14, v15, v14
	s_delay_alu instid0(VALU_DEP_1) | instskip(NEXT) | instid1(VALU_DEP_1)
	v_trunc_f32_e32 v14, v14
	v_fma_f32 v15, -v14, v7, v15
	v_cvt_u32_f32_e32 v14, v14
	s_delay_alu instid0(VALU_DEP_2) | instskip(NEXT) | instid1(VALU_DEP_1)
	v_cmp_ge_f32_e64 vcc_lo, |v15|, v7
	v_add_co_ci_u32_e64 v7, null, 0, v14, vcc_lo
	s_delay_alu instid0(VALU_DEP_1)
	v_mul_lo_u16 v7, v7, v2
.LBB41_55:
	s_or_b32 exec_lo, exec_lo, s0
	v_dual_lshrrev_b32 v15, 8, v4 :: v_dual_lshrrev_b32 v16, 8, v2
	s_mov_b32 s1, 0
	s_mov_b32 s0, exec_lo
	s_delay_alu instid0(VALU_DEP_1) | instskip(NEXT) | instid1(VALU_DEP_1)
	v_and_b32_e32 v14, 0xff, v15
	v_cmpx_ne_u16_e32 0, v14
	s_cbranch_execz .LBB41_59
; %bb.56:
	v_mov_b32_e32 v17, v15
.LBB41_57:                              ; =>This Inner Loop Header: Depth=1
	v_cvt_f32_ubyte0_e32 v19, v16
	s_delay_alu instid0(VALU_DEP_2) | instskip(NEXT) | instid1(VALU_DEP_1)
	v_mov_b32_e32 v14, v17
	v_cvt_f32_ubyte0_e32 v17, v14
	s_delay_alu instid0(VALU_DEP_1) | instskip(SKIP_1) | instid1(TRANS32_DEP_1)
	v_rcp_iflag_f32_e32 v18, v17
	v_nop
	v_mul_f32_e32 v18, v19, v18
	s_delay_alu instid0(VALU_DEP_1) | instskip(NEXT) | instid1(VALU_DEP_1)
	v_trunc_f32_e32 v18, v18
	v_fma_f32 v19, -v18, v17, v19
	v_cvt_u32_f32_e32 v18, v18
	s_delay_alu instid0(VALU_DEP_2) | instskip(NEXT) | instid1(VALU_DEP_1)
	v_cmp_ge_f32_e64 vcc_lo, |v19|, v17
	v_add_co_ci_u32_e64 v17, null, 0, v18, vcc_lo
	s_delay_alu instid0(VALU_DEP_1) | instskip(NEXT) | instid1(VALU_DEP_1)
	v_mul_lo_u32 v17, v17, v14
	v_sub_nc_u32_e32 v16, v16, v17
	s_delay_alu instid0(VALU_DEP_1) | instskip(SKIP_1) | instid1(VALU_DEP_2)
	v_and_b32_e32 v17, 0xff, v16
	v_mov_b32_e32 v16, v14
	v_cmp_eq_u16_e32 vcc_lo, 0, v17
	s_or_b32 s1, vcc_lo, s1
	s_delay_alu instid0(SALU_CYCLE_1)
	s_and_not1_b32 exec_lo, exec_lo, s1
	s_cbranch_execnz .LBB41_57
; %bb.58:
	s_or_b32 exec_lo, exec_lo, s1
	v_mov_b32_e32 v16, v14
.LBB41_59:
	s_or_b32 exec_lo, exec_lo, s0
	s_delay_alu instid0(VALU_DEP_1) | instskip(SKIP_2) | instid1(VALU_DEP_2)
	v_and_b32_e32 v17, 0xff, v16
	v_mov_b32_e32 v14, 0
	s_mov_b32 s0, exec_lo
	v_cmpx_ne_u16_e32 0, v17
	s_cbranch_execz .LBB41_61
; %bb.60:
	v_cvt_f32_ubyte0_e32 v14, v16
	v_cvt_f32_ubyte0_e32 v15, v15
	v_lshrrev_b32_e32 v17, 8, v2
	s_delay_alu instid0(VALU_DEP_3) | instskip(SKIP_1) | instid1(TRANS32_DEP_1)
	v_rcp_iflag_f32_e32 v16, v14
	v_nop
	v_mul_f32_e32 v16, v15, v16
	s_delay_alu instid0(VALU_DEP_1) | instskip(NEXT) | instid1(VALU_DEP_1)
	v_trunc_f32_e32 v16, v16
	v_fma_f32 v15, -v16, v14, v15
	v_cvt_u32_f32_e32 v16, v16
	s_delay_alu instid0(VALU_DEP_2) | instskip(NEXT) | instid1(VALU_DEP_1)
	v_cmp_ge_f32_e64 vcc_lo, |v15|, v14
	v_add_co_ci_u32_e64 v14, null, 0, v16, vcc_lo
	s_delay_alu instid0(VALU_DEP_1)
	v_mul_lo_u16 v14, v14, v17
.LBB41_61:
	s_or_b32 exec_lo, exec_lo, s0
	v_dual_lshrrev_b32 v16, 16, v4 :: v_dual_lshrrev_b32 v17, 16, v2
	s_mov_b32 s1, 0
	s_mov_b32 s0, exec_lo
	s_delay_alu instid0(VALU_DEP_1) | instskip(NEXT) | instid1(VALU_DEP_1)
	v_and_b32_e32 v15, 0xff, v16
	v_cmpx_ne_u16_e32 0, v15
	s_cbranch_execz .LBB41_65
; %bb.62:
	v_mov_b32_e32 v18, v16
.LBB41_63:                              ; =>This Inner Loop Header: Depth=1
	v_cvt_f32_ubyte0_e32 v20, v17
	s_delay_alu instid0(VALU_DEP_2) | instskip(NEXT) | instid1(VALU_DEP_1)
	v_mov_b32_e32 v15, v18
	v_cvt_f32_ubyte0_e32 v18, v15
	s_delay_alu instid0(VALU_DEP_1) | instskip(SKIP_1) | instid1(TRANS32_DEP_1)
	v_rcp_iflag_f32_e32 v19, v18
	v_nop
	v_mul_f32_e32 v19, v20, v19
	s_delay_alu instid0(VALU_DEP_1) | instskip(NEXT) | instid1(VALU_DEP_1)
	v_trunc_f32_e32 v19, v19
	v_fma_f32 v20, -v19, v18, v20
	v_cvt_u32_f32_e32 v19, v19
	s_delay_alu instid0(VALU_DEP_2) | instskip(NEXT) | instid1(VALU_DEP_1)
	v_cmp_ge_f32_e64 vcc_lo, |v20|, v18
	v_add_co_ci_u32_e64 v18, null, 0, v19, vcc_lo
	s_delay_alu instid0(VALU_DEP_1) | instskip(NEXT) | instid1(VALU_DEP_1)
	v_mul_lo_u32 v18, v18, v15
	v_sub_nc_u32_e32 v17, v17, v18
	s_delay_alu instid0(VALU_DEP_1) | instskip(SKIP_1) | instid1(VALU_DEP_2)
	v_and_b32_e32 v18, 0xff, v17
	v_mov_b32_e32 v17, v15
	v_cmp_eq_u16_e32 vcc_lo, 0, v18
	s_or_b32 s1, vcc_lo, s1
	s_delay_alu instid0(SALU_CYCLE_1)
	s_and_not1_b32 exec_lo, exec_lo, s1
	s_cbranch_execnz .LBB41_63
; %bb.64:
	s_or_b32 exec_lo, exec_lo, s1
	v_mov_b32_e32 v17, v15
.LBB41_65:
	s_or_b32 exec_lo, exec_lo, s0
	s_delay_alu instid0(VALU_DEP_1) | instskip(SKIP_2) | instid1(VALU_DEP_2)
	v_and_b32_e32 v18, 0xff, v17
	v_mov_b32_e32 v15, 0
	s_mov_b32 s0, exec_lo
	v_cmpx_ne_u16_e32 0, v18
	s_cbranch_execz .LBB41_67
; %bb.66:
	v_cvt_f32_ubyte0_e32 v15, v17
	v_cvt_f32_ubyte0_e32 v16, v16
	v_lshrrev_b32_e32 v18, 16, v2
	s_delay_alu instid0(VALU_DEP_3) | instskip(SKIP_1) | instid1(TRANS32_DEP_1)
	v_rcp_iflag_f32_e32 v17, v15
	v_nop
	v_mul_f32_e32 v17, v16, v17
	s_delay_alu instid0(VALU_DEP_1) | instskip(NEXT) | instid1(VALU_DEP_1)
	v_trunc_f32_e32 v17, v17
	v_fma_f32 v16, -v17, v15, v16
	v_cvt_u32_f32_e32 v17, v17
	s_delay_alu instid0(VALU_DEP_2) | instskip(NEXT) | instid1(VALU_DEP_1)
	v_cmp_ge_f32_e64 vcc_lo, |v16|, v15
	v_add_co_ci_u32_e64 v15, null, 0, v17, vcc_lo
	s_delay_alu instid0(VALU_DEP_1)
	v_mul_lo_u16 v15, v15, v18
.LBB41_67:
	s_or_b32 exec_lo, exec_lo, s0
	v_dual_lshrrev_b32 v16, 24, v4 :: v_dual_lshrrev_b32 v17, 24, v2
	s_mov_b32 s0, exec_lo
	v_cmpx_lt_u32_e32 0xffffff, v4
	s_cbranch_execz .LBB41_71
; %bb.68:
	s_delay_alu instid0(VALU_DEP_2)
	v_mov_b32_e32 v18, v16
	s_mov_b32 s1, 0
.LBB41_69:                              ; =>This Inner Loop Header: Depth=1
	v_cvt_f32_ubyte0_e32 v20, v17
	s_delay_alu instid0(VALU_DEP_2) | instskip(NEXT) | instid1(VALU_DEP_1)
	v_mov_b32_e32 v4, v18
	v_cvt_f32_ubyte0_e32 v18, v4
	s_delay_alu instid0(VALU_DEP_1) | instskip(SKIP_1) | instid1(TRANS32_DEP_1)
	v_rcp_iflag_f32_e32 v19, v18
	v_nop
	v_mul_f32_e32 v19, v20, v19
	s_delay_alu instid0(VALU_DEP_1) | instskip(NEXT) | instid1(VALU_DEP_1)
	v_trunc_f32_e32 v19, v19
	v_fma_f32 v20, -v19, v18, v20
	v_cvt_u32_f32_e32 v19, v19
	s_delay_alu instid0(VALU_DEP_2) | instskip(NEXT) | instid1(VALU_DEP_1)
	v_cmp_ge_f32_e64 vcc_lo, |v20|, v18
	v_add_co_ci_u32_e64 v18, null, 0, v19, vcc_lo
	s_delay_alu instid0(VALU_DEP_1) | instskip(NEXT) | instid1(VALU_DEP_1)
	v_mul_lo_u32 v18, v18, v4
	v_sub_nc_u32_e32 v17, v17, v18
	s_delay_alu instid0(VALU_DEP_1) | instskip(SKIP_1) | instid1(VALU_DEP_2)
	v_and_b32_e32 v18, 0xff, v17
	v_mov_b32_e32 v17, v4
	v_cmp_eq_u16_e32 vcc_lo, 0, v18
	s_or_b32 s1, vcc_lo, s1
	s_delay_alu instid0(SALU_CYCLE_1)
	s_and_not1_b32 exec_lo, exec_lo, s1
	s_cbranch_execnz .LBB41_69
; %bb.70:
	s_or_b32 exec_lo, exec_lo, s1
	v_mov_b32_e32 v17, v4
.LBB41_71:
	s_or_b32 exec_lo, exec_lo, s0
	s_delay_alu instid0(VALU_DEP_1) | instskip(SKIP_2) | instid1(VALU_DEP_2)
	v_and_b32_e32 v18, 0xff, v17
	v_mov_b32_e32 v4, 0
	s_mov_b32 s0, exec_lo
	v_cmpx_ne_u16_e32 0, v18
	s_cbranch_execz .LBB41_73
; %bb.72:
	v_cvt_f32_ubyte0_e32 v4, v17
	v_cvt_f32_ubyte0_e32 v16, v16
	v_lshrrev_b32_e32 v2, 24, v2
	s_delay_alu instid0(VALU_DEP_3) | instskip(SKIP_1) | instid1(TRANS32_DEP_1)
	v_rcp_iflag_f32_e32 v17, v4
	v_nop
	v_mul_f32_e32 v17, v16, v17
	s_delay_alu instid0(VALU_DEP_1) | instskip(NEXT) | instid1(VALU_DEP_1)
	v_trunc_f32_e32 v17, v17
	v_fma_f32 v16, -v17, v4, v16
	v_cvt_u32_f32_e32 v17, v17
	s_delay_alu instid0(VALU_DEP_2) | instskip(NEXT) | instid1(VALU_DEP_1)
	v_cmp_ge_f32_e64 vcc_lo, |v16|, v4
	v_add_co_ci_u32_e64 v4, null, 0, v17, vcc_lo
	s_delay_alu instid0(VALU_DEP_1)
	v_mul_lo_u16 v4, v4, v2
.LBB41_73:
	s_or_b32 exec_lo, exec_lo, s0
	v_and_b32_e32 v2, 0xff, v5
	v_mov_b32_e32 v16, v3
	s_mov_b32 s1, 0
	s_mov_b32 s0, exec_lo
	s_delay_alu instid0(VALU_DEP_2)
	v_cmpx_ne_u16_e32 0, v2
	s_cbranch_execz .LBB41_77
; %bb.74:
	v_dual_mov_b32 v17, v5 :: v_dual_mov_b32 v2, v3
.LBB41_75:                              ; =>This Inner Loop Header: Depth=1
	s_delay_alu instid0(VALU_DEP_1) | instskip(NEXT) | instid1(VALU_DEP_2)
	v_cvt_f32_ubyte0_e32 v19, v2
	v_mov_b32_e32 v16, v17
	s_delay_alu instid0(VALU_DEP_1) | instskip(NEXT) | instid1(VALU_DEP_1)
	v_cvt_f32_ubyte0_e32 v17, v16
	v_rcp_iflag_f32_e32 v18, v17
	v_nop
	s_delay_alu instid0(TRANS32_DEP_1) | instskip(NEXT) | instid1(VALU_DEP_1)
	v_mul_f32_e32 v18, v19, v18
	v_trunc_f32_e32 v18, v18
	s_delay_alu instid0(VALU_DEP_1) | instskip(SKIP_1) | instid1(VALU_DEP_2)
	v_fma_f32 v19, -v18, v17, v19
	v_cvt_u32_f32_e32 v18, v18
	v_cmp_ge_f32_e64 vcc_lo, |v19|, v17
	s_delay_alu instid0(VALU_DEP_1) | instskip(NEXT) | instid1(VALU_DEP_1)
	v_add_co_ci_u32_e64 v17, null, 0, v18, vcc_lo
	v_mul_lo_u32 v17, v17, v16
	s_delay_alu instid0(VALU_DEP_1) | instskip(NEXT) | instid1(VALU_DEP_1)
	v_sub_nc_u32_e32 v2, v2, v17
	v_and_b32_e32 v17, 0xff, v2
	v_mov_b32_e32 v2, v16
	s_delay_alu instid0(VALU_DEP_2) | instskip(SKIP_1) | instid1(SALU_CYCLE_1)
	v_cmp_eq_u16_e32 vcc_lo, 0, v17
	s_or_b32 s1, vcc_lo, s1
	s_and_not1_b32 exec_lo, exec_lo, s1
	s_cbranch_execnz .LBB41_75
; %bb.76:
	s_or_b32 exec_lo, exec_lo, s1
.LBB41_77:
	s_delay_alu instid0(SALU_CYCLE_1) | instskip(SKIP_3) | instid1(VALU_DEP_2)
	s_or_b32 exec_lo, exec_lo, s0
	v_and_b32_e32 v17, 0xff, v16
	v_mov_b32_e32 v2, 0
	s_mov_b32 s0, exec_lo
	v_cmpx_ne_u16_e32 0, v17
	s_cbranch_execz .LBB41_79
; %bb.78:
	v_cvt_f32_ubyte0_e32 v2, v16
	v_cvt_f32_ubyte0_e32 v17, v5
	s_delay_alu instid0(VALU_DEP_2) | instskip(SKIP_1) | instid1(TRANS32_DEP_1)
	v_rcp_iflag_f32_e32 v16, v2
	v_nop
	v_mul_f32_e32 v16, v17, v16
	s_delay_alu instid0(VALU_DEP_1) | instskip(NEXT) | instid1(VALU_DEP_1)
	v_trunc_f32_e32 v16, v16
	v_fma_f32 v17, -v16, v2, v17
	v_cvt_u32_f32_e32 v16, v16
	s_delay_alu instid0(VALU_DEP_2) | instskip(NEXT) | instid1(VALU_DEP_1)
	v_cmp_ge_f32_e64 vcc_lo, |v17|, v2
	v_add_co_ci_u32_e64 v2, null, 0, v16, vcc_lo
	s_delay_alu instid0(VALU_DEP_1)
	v_mul_lo_u16 v2, v2, v3
.LBB41_79:
	s_or_b32 exec_lo, exec_lo, s0
	v_dual_lshrrev_b32 v17, 8, v5 :: v_dual_lshrrev_b32 v18, 8, v3
	s_mov_b32 s1, 0
	s_mov_b32 s0, exec_lo
	s_delay_alu instid0(VALU_DEP_1) | instskip(NEXT) | instid1(VALU_DEP_1)
	v_and_b32_e32 v16, 0xff, v17
	v_cmpx_ne_u16_e32 0, v16
	s_cbranch_execz .LBB41_83
; %bb.80:
	v_mov_b32_e32 v19, v17
.LBB41_81:                              ; =>This Inner Loop Header: Depth=1
	v_cvt_f32_ubyte0_e32 v21, v18
	s_delay_alu instid0(VALU_DEP_2) | instskip(NEXT) | instid1(VALU_DEP_1)
	v_mov_b32_e32 v16, v19
	v_cvt_f32_ubyte0_e32 v19, v16
	s_delay_alu instid0(VALU_DEP_1) | instskip(SKIP_1) | instid1(TRANS32_DEP_1)
	v_rcp_iflag_f32_e32 v20, v19
	v_nop
	v_mul_f32_e32 v20, v21, v20
	s_delay_alu instid0(VALU_DEP_1) | instskip(NEXT) | instid1(VALU_DEP_1)
	v_trunc_f32_e32 v20, v20
	v_fma_f32 v21, -v20, v19, v21
	v_cvt_u32_f32_e32 v20, v20
	s_delay_alu instid0(VALU_DEP_2) | instskip(NEXT) | instid1(VALU_DEP_1)
	v_cmp_ge_f32_e64 vcc_lo, |v21|, v19
	v_add_co_ci_u32_e64 v19, null, 0, v20, vcc_lo
	s_delay_alu instid0(VALU_DEP_1) | instskip(NEXT) | instid1(VALU_DEP_1)
	v_mul_lo_u32 v19, v19, v16
	v_sub_nc_u32_e32 v18, v18, v19
	s_delay_alu instid0(VALU_DEP_1) | instskip(SKIP_1) | instid1(VALU_DEP_2)
	v_and_b32_e32 v19, 0xff, v18
	v_mov_b32_e32 v18, v16
	v_cmp_eq_u16_e32 vcc_lo, 0, v19
	s_or_b32 s1, vcc_lo, s1
	s_delay_alu instid0(SALU_CYCLE_1)
	s_and_not1_b32 exec_lo, exec_lo, s1
	s_cbranch_execnz .LBB41_81
; %bb.82:
	s_or_b32 exec_lo, exec_lo, s1
	v_mov_b32_e32 v18, v16
.LBB41_83:
	s_or_b32 exec_lo, exec_lo, s0
	s_delay_alu instid0(VALU_DEP_1) | instskip(SKIP_2) | instid1(VALU_DEP_2)
	v_and_b32_e32 v19, 0xff, v18
	v_mov_b32_e32 v16, 0
	s_mov_b32 s0, exec_lo
	v_cmpx_ne_u16_e32 0, v19
	s_cbranch_execz .LBB41_85
; %bb.84:
	v_cvt_f32_ubyte0_e32 v16, v18
	v_cvt_f32_ubyte0_e32 v17, v17
	v_lshrrev_b32_e32 v19, 8, v3
	s_delay_alu instid0(VALU_DEP_3) | instskip(SKIP_1) | instid1(TRANS32_DEP_1)
	v_rcp_iflag_f32_e32 v18, v16
	v_nop
	v_mul_f32_e32 v18, v17, v18
	s_delay_alu instid0(VALU_DEP_1) | instskip(NEXT) | instid1(VALU_DEP_1)
	v_trunc_f32_e32 v18, v18
	v_fma_f32 v17, -v18, v16, v17
	v_cvt_u32_f32_e32 v18, v18
	s_delay_alu instid0(VALU_DEP_2) | instskip(NEXT) | instid1(VALU_DEP_1)
	v_cmp_ge_f32_e64 vcc_lo, |v17|, v16
	v_add_co_ci_u32_e64 v16, null, 0, v18, vcc_lo
	s_delay_alu instid0(VALU_DEP_1)
	v_mul_lo_u16 v16, v16, v19
.LBB41_85:
	s_or_b32 exec_lo, exec_lo, s0
	v_dual_lshrrev_b32 v18, 16, v5 :: v_dual_lshrrev_b32 v19, 16, v3
	s_mov_b32 s1, 0
	s_mov_b32 s0, exec_lo
	s_delay_alu instid0(VALU_DEP_1) | instskip(NEXT) | instid1(VALU_DEP_1)
	v_and_b32_e32 v17, 0xff, v18
	v_cmpx_ne_u16_e32 0, v17
	s_cbranch_execz .LBB41_89
; %bb.86:
	v_mov_b32_e32 v20, v18
.LBB41_87:                              ; =>This Inner Loop Header: Depth=1
	v_cvt_f32_ubyte0_e32 v22, v19
	s_delay_alu instid0(VALU_DEP_2) | instskip(NEXT) | instid1(VALU_DEP_1)
	v_mov_b32_e32 v17, v20
	v_cvt_f32_ubyte0_e32 v20, v17
	s_delay_alu instid0(VALU_DEP_1) | instskip(SKIP_1) | instid1(TRANS32_DEP_1)
	v_rcp_iflag_f32_e32 v21, v20
	v_nop
	v_mul_f32_e32 v21, v22, v21
	s_delay_alu instid0(VALU_DEP_1) | instskip(NEXT) | instid1(VALU_DEP_1)
	v_trunc_f32_e32 v21, v21
	v_fma_f32 v22, -v21, v20, v22
	v_cvt_u32_f32_e32 v21, v21
	s_delay_alu instid0(VALU_DEP_2) | instskip(NEXT) | instid1(VALU_DEP_1)
	v_cmp_ge_f32_e64 vcc_lo, |v22|, v20
	v_add_co_ci_u32_e64 v20, null, 0, v21, vcc_lo
	s_delay_alu instid0(VALU_DEP_1) | instskip(NEXT) | instid1(VALU_DEP_1)
	v_mul_lo_u32 v20, v20, v17
	v_sub_nc_u32_e32 v19, v19, v20
	s_delay_alu instid0(VALU_DEP_1) | instskip(SKIP_1) | instid1(VALU_DEP_2)
	v_and_b32_e32 v20, 0xff, v19
	v_mov_b32_e32 v19, v17
	v_cmp_eq_u16_e32 vcc_lo, 0, v20
	s_or_b32 s1, vcc_lo, s1
	s_delay_alu instid0(SALU_CYCLE_1)
	s_and_not1_b32 exec_lo, exec_lo, s1
	s_cbranch_execnz .LBB41_87
; %bb.88:
	s_or_b32 exec_lo, exec_lo, s1
	v_mov_b32_e32 v19, v17
.LBB41_89:
	s_or_b32 exec_lo, exec_lo, s0
	s_delay_alu instid0(VALU_DEP_1) | instskip(SKIP_2) | instid1(VALU_DEP_2)
	v_and_b32_e32 v20, 0xff, v19
	v_mov_b32_e32 v17, 0
	s_mov_b32 s0, exec_lo
	v_cmpx_ne_u16_e32 0, v20
	s_cbranch_execz .LBB41_91
; %bb.90:
	v_cvt_f32_ubyte0_e32 v17, v19
	v_cvt_f32_ubyte0_e32 v18, v18
	v_lshrrev_b32_e32 v20, 16, v3
	s_delay_alu instid0(VALU_DEP_3) | instskip(SKIP_1) | instid1(TRANS32_DEP_1)
	v_rcp_iflag_f32_e32 v19, v17
	v_nop
	v_mul_f32_e32 v19, v18, v19
	s_delay_alu instid0(VALU_DEP_1) | instskip(NEXT) | instid1(VALU_DEP_1)
	v_trunc_f32_e32 v19, v19
	v_fma_f32 v18, -v19, v17, v18
	v_cvt_u32_f32_e32 v19, v19
	s_delay_alu instid0(VALU_DEP_2) | instskip(NEXT) | instid1(VALU_DEP_1)
	v_cmp_ge_f32_e64 vcc_lo, |v18|, v17
	v_add_co_ci_u32_e64 v17, null, 0, v19, vcc_lo
	s_delay_alu instid0(VALU_DEP_1)
	v_mul_lo_u16 v17, v17, v20
.LBB41_91:
	s_or_b32 exec_lo, exec_lo, s0
	v_dual_lshrrev_b32 v18, 24, v5 :: v_dual_lshrrev_b32 v19, 24, v3
	s_mov_b32 s0, exec_lo
	v_cmpx_lt_u32_e32 0xffffff, v5
	s_cbranch_execz .LBB41_95
; %bb.92:
	s_delay_alu instid0(VALU_DEP_2)
	v_mov_b32_e32 v20, v18
	s_mov_b32 s1, 0
.LBB41_93:                              ; =>This Inner Loop Header: Depth=1
	v_cvt_f32_ubyte0_e32 v22, v19
	s_delay_alu instid0(VALU_DEP_2) | instskip(NEXT) | instid1(VALU_DEP_1)
	v_mov_b32_e32 v5, v20
	v_cvt_f32_ubyte0_e32 v20, v5
	s_delay_alu instid0(VALU_DEP_1) | instskip(SKIP_1) | instid1(TRANS32_DEP_1)
	v_rcp_iflag_f32_e32 v21, v20
	v_nop
	v_mul_f32_e32 v21, v22, v21
	s_delay_alu instid0(VALU_DEP_1) | instskip(NEXT) | instid1(VALU_DEP_1)
	v_trunc_f32_e32 v21, v21
	v_fma_f32 v22, -v21, v20, v22
	v_cvt_u32_f32_e32 v21, v21
	s_delay_alu instid0(VALU_DEP_2) | instskip(NEXT) | instid1(VALU_DEP_1)
	v_cmp_ge_f32_e64 vcc_lo, |v22|, v20
	v_add_co_ci_u32_e64 v20, null, 0, v21, vcc_lo
	s_delay_alu instid0(VALU_DEP_1) | instskip(NEXT) | instid1(VALU_DEP_1)
	v_mul_lo_u32 v20, v20, v5
	v_sub_nc_u32_e32 v19, v19, v20
	s_delay_alu instid0(VALU_DEP_1) | instskip(SKIP_1) | instid1(VALU_DEP_2)
	v_and_b32_e32 v20, 0xff, v19
	v_mov_b32_e32 v19, v5
	v_cmp_eq_u16_e32 vcc_lo, 0, v20
	s_or_b32 s1, vcc_lo, s1
	s_delay_alu instid0(SALU_CYCLE_1)
	s_and_not1_b32 exec_lo, exec_lo, s1
	s_cbranch_execnz .LBB41_93
; %bb.94:
	s_or_b32 exec_lo, exec_lo, s1
	v_mov_b32_e32 v19, v5
.LBB41_95:
	s_or_b32 exec_lo, exec_lo, s0
	s_delay_alu instid0(VALU_DEP_1) | instskip(SKIP_2) | instid1(VALU_DEP_2)
	v_and_b32_e32 v20, 0xff, v19
	v_mov_b32_e32 v5, 0
	s_mov_b32 s0, exec_lo
	v_cmpx_ne_u16_e32 0, v20
	s_cbranch_execz .LBB41_97
; %bb.96:
	v_cvt_f32_ubyte0_e32 v5, v19
	v_cvt_f32_ubyte0_e32 v18, v18
	v_lshrrev_b32_e32 v3, 24, v3
	s_delay_alu instid0(VALU_DEP_3) | instskip(SKIP_1) | instid1(TRANS32_DEP_1)
	v_rcp_iflag_f32_e32 v19, v5
	v_nop
	v_mul_f32_e32 v19, v18, v19
	s_delay_alu instid0(VALU_DEP_1) | instskip(NEXT) | instid1(VALU_DEP_1)
	v_trunc_f32_e32 v19, v19
	v_fma_f32 v18, -v19, v5, v18
	v_cvt_u32_f32_e32 v19, v19
	s_delay_alu instid0(VALU_DEP_2) | instskip(NEXT) | instid1(VALU_DEP_1)
	v_cmp_ge_f32_e64 vcc_lo, |v18|, v5
	v_add_co_ci_u32_e64 v5, null, 0, v19, vcc_lo
	s_delay_alu instid0(VALU_DEP_1)
	v_mul_lo_u16 v5, v5, v3
.LBB41_97:
	s_or_b32 exec_lo, exec_lo, s0
	s_delay_alu instid0(VALU_DEP_1)
	v_perm_b32 v3, v17, v5, 0xc0c0004
	v_perm_b32 v5, v6, v12, 0xc0c0004
	;; [unrolled: 1-line block ×8, first 2 shown]
	v_lshl_or_b32 v5, v6, 16, v5
	v_lshl_or_b32 v4, v8, 16, v1
	;; [unrolled: 1-line block ×3, first 2 shown]
	s_add_nc_u64 s[4:5], s[16:17], s[14:15]
	v_lshl_or_b32 v2, v9, 16, v7
	s_mov_b32 s0, 0
	s_clause 0x1
	global_store_b64 v0, v[4:5], s[4:5] scale_offset
	global_store_b64 v0, v[2:3], s[4:5] offset:2048 scale_offset
.LBB41_98:
	s_and_b32 vcc_lo, exec_lo, s0
	s_cbranch_vccz .LBB41_276
; %bb.99:
	v_cmp_gt_i32_e32 vcc_lo, s13, v0
	s_wait_xcnt 0x0
	v_dual_mov_b32 v2, 0 :: v_dual_bitop2_b32 v10, s14, v0 bitop3:0x54
	v_or_b32_e32 v39, 0x100, v0
	v_dual_mov_b32 v12, 0 :: v_dual_mov_b32 v11, 0
	v_dual_mov_b32 v14, 0 :: v_dual_mov_b32 v13, 0
	;; [unrolled: 1-line block ×16, first 2 shown]
	s_and_saveexec_b32 s1, vcc_lo
	s_cbranch_execz .LBB41_131
; %bb.100:
	s_clause 0x1
	global_load_u8 v41, v10, s[18:19]
	global_load_u8 v40, v10, s[2:3]
	v_cmp_gt_u32_e64 s0, s13, v39
	v_dual_mov_b32 v37, 0 :: v_dual_mov_b32 v38, 0
	v_dual_mov_b32 v5, 0 :: v_dual_mov_b32 v36, 0
	;; [unrolled: 1-line block ×15, first 2 shown]
	s_wait_xcnt 0x0
	s_and_saveexec_b32 s4, s0
	s_cbranch_execz .LBB41_130
; %bb.101:
	v_dual_mov_b32 v5, 0 :: v_dual_add_nc_u32 v4, s14, v0
	v_or_b32_e32 v1, 0x200, v0
	v_dual_mov_b32 v36, 0 :: v_dual_mov_b32 v6, 0
	s_clause 0x1
	global_load_u8 v38, v4, s[18:19] offset:256
	global_load_u8 v37, v4, s[2:3] offset:256
	v_dual_mov_b32 v35, 0 :: v_dual_mov_b32 v33, 0
	v_cmp_gt_u32_e64 s0, s13, v1
	v_dual_mov_b32 v34, 0 :: v_dual_mov_b32 v31, 0
	v_dual_mov_b32 v32, 0 :: v_dual_mov_b32 v29, 0
	v_dual_mov_b32 v30, 0 :: v_dual_mov_b32 v27, 0
	v_dual_mov_b32 v28, 0 :: v_dual_mov_b32 v25, 0
	v_dual_mov_b32 v26, 0 :: v_dual_mov_b32 v23, 0
	v_dual_mov_b32 v24, 0 :: v_dual_mov_b32 v21, 0
	v_dual_mov_b32 v22, 0 :: v_dual_mov_b32 v19, 0
	v_dual_mov_b32 v20, 0 :: v_dual_mov_b32 v17, 0
	v_dual_mov_b32 v18, 0 :: v_dual_mov_b32 v15, 0
	v_dual_mov_b32 v16, 0 :: v_dual_mov_b32 v13, 0
	v_dual_mov_b32 v14, 0 :: v_dual_mov_b32 v11, 0
	v_mov_b32_e32 v12, 0
	s_wait_xcnt 0x0
	s_and_saveexec_b32 s5, s0
	s_cbranch_execz .LBB41_129
; %bb.102:
	v_add_nc_u64_e32 v[6:7], s[18:19], v[4:5]
	v_add_nc_u64_e32 v[8:9], s[2:3], v[4:5]
	v_or_b32_e32 v3, 0x300, v0
	v_dual_mov_b32 v35, 0 :: v_dual_mov_b32 v33, 0
	v_dual_mov_b32 v34, 0 :: v_dual_mov_b32 v31, 0
	global_load_u8 v36, v[6:7], off offset:512
	global_load_u8 v1, v[8:9], off offset:512
	v_cmp_gt_u32_e64 s0, s13, v3
	v_dual_mov_b32 v32, 0 :: v_dual_mov_b32 v29, 0
	v_dual_mov_b32 v30, 0 :: v_dual_mov_b32 v27, 0
	;; [unrolled: 1-line block ×10, first 2 shown]
	v_mov_b32_e32 v12, 0
	s_wait_xcnt 0x0
	s_and_saveexec_b32 s2, s0
	s_cbranch_execz .LBB41_128
; %bb.103:
	global_load_u8 v35, v[6:7], off offset:768
	global_load_u8 v5, v[8:9], off offset:768
	v_or_b32_e32 v3, 0x400, v0
	v_dual_mov_b32 v33, 0 :: v_dual_mov_b32 v34, 0
	v_dual_mov_b32 v31, 0 :: v_dual_mov_b32 v32, 0
	s_delay_alu instid0(VALU_DEP_3)
	v_cmp_gt_u32_e64 s0, s13, v3
	v_dual_mov_b32 v29, 0 :: v_dual_mov_b32 v30, 0
	v_dual_mov_b32 v27, 0 :: v_dual_mov_b32 v28, 0
	;; [unrolled: 1-line block ×10, first 2 shown]
	s_wait_xcnt 0x0
	s_and_saveexec_b32 s3, s0
	s_cbranch_execz .LBB41_127
; %bb.104:
	global_load_u8 v34, v[6:7], off offset:1024
	global_load_u8 v33, v[8:9], off offset:1024
	v_or_b32_e32 v3, 0x500, v0
	v_dual_mov_b32 v31, 0 :: v_dual_mov_b32 v32, 0
	v_dual_mov_b32 v29, 0 :: v_dual_mov_b32 v30, 0
	s_delay_alu instid0(VALU_DEP_3)
	v_cmp_gt_u32_e64 s0, s13, v3
	v_dual_mov_b32 v27, 0 :: v_dual_mov_b32 v28, 0
	v_dual_mov_b32 v25, 0 :: v_dual_mov_b32 v26, 0
	;; [unrolled: 1-line block ×9, first 2 shown]
	s_wait_xcnt 0x0
	s_and_saveexec_b32 s6, s0
	s_cbranch_execz .LBB41_126
; %bb.105:
	global_load_u8 v32, v[6:7], off offset:1280
	global_load_u8 v31, v[8:9], off offset:1280
	v_or_b32_e32 v3, 0x600, v0
	v_dual_mov_b32 v29, 0 :: v_dual_mov_b32 v30, 0
	v_dual_mov_b32 v27, 0 :: v_dual_mov_b32 v28, 0
	s_delay_alu instid0(VALU_DEP_3)
	v_cmp_gt_u32_e64 s0, s13, v3
	v_dual_mov_b32 v25, 0 :: v_dual_mov_b32 v26, 0
	v_dual_mov_b32 v23, 0 :: v_dual_mov_b32 v24, 0
	;; [unrolled: 1-line block ×8, first 2 shown]
	s_wait_xcnt 0x0
	s_and_saveexec_b32 s7, s0
	s_cbranch_execz .LBB41_125
; %bb.106:
	global_load_u8 v30, v[6:7], off offset:1536
	global_load_u8 v29, v[8:9], off offset:1536
	v_or_b32_e32 v3, 0x700, v0
	v_dual_mov_b32 v27, 0 :: v_dual_mov_b32 v28, 0
	v_dual_mov_b32 v25, 0 :: v_dual_mov_b32 v26, 0
	;; [unrolled: 1-line block ×9, first 2 shown]
	s_mov_b32 s8, exec_lo
	s_wait_xcnt 0x0
	v_cmpx_gt_u32_e64 s13, v3
	s_cbranch_execz .LBB41_124
; %bb.107:
	global_load_u8 v28, v[6:7], off offset:1792
	global_load_u8 v27, v[8:9], off offset:1792
	v_or_b32_e32 v3, 0x800, v0
	v_dual_mov_b32 v25, 0 :: v_dual_mov_b32 v26, 0
	v_dual_mov_b32 v23, 0 :: v_dual_mov_b32 v24, 0
	;; [unrolled: 1-line block ×8, first 2 shown]
	s_mov_b32 s9, exec_lo
	s_wait_xcnt 0x0
	v_cmpx_gt_u32_e64 s13, v3
	s_cbranch_execz .LBB41_123
; %bb.108:
	global_load_u8 v26, v[6:7], off offset:2048
	global_load_u8 v25, v[8:9], off offset:2048
	v_or_b32_e32 v3, 0x900, v0
	v_dual_mov_b32 v23, 0 :: v_dual_mov_b32 v24, 0
	v_dual_mov_b32 v21, 0 :: v_dual_mov_b32 v22, 0
	v_dual_mov_b32 v19, 0 :: v_dual_mov_b32 v20, 0
	v_dual_mov_b32 v17, 0 :: v_dual_mov_b32 v18, 0
	v_dual_mov_b32 v15, 0 :: v_dual_mov_b32 v16, 0
	v_dual_mov_b32 v13, 0 :: v_dual_mov_b32 v14, 0
	v_dual_mov_b32 v11, 0 :: v_dual_mov_b32 v12, 0
	s_mov_b32 s10, exec_lo
	s_wait_xcnt 0x0
	v_cmpx_gt_u32_e64 s13, v3
	s_cbranch_execz .LBB41_122
; %bb.109:
	global_load_u8 v24, v[6:7], off offset:2304
	global_load_u8 v23, v[8:9], off offset:2304
	v_or_b32_e32 v3, 0xa00, v0
	v_dual_mov_b32 v21, 0 :: v_dual_mov_b32 v22, 0
	v_dual_mov_b32 v19, 0 :: v_dual_mov_b32 v20, 0
	;; [unrolled: 1-line block ×6, first 2 shown]
	s_mov_b32 s11, exec_lo
	s_wait_xcnt 0x0
	v_cmpx_gt_u32_e64 s13, v3
	s_cbranch_execz .LBB41_121
; %bb.110:
	global_load_u8 v22, v[6:7], off offset:2560
	global_load_u8 v21, v[8:9], off offset:2560
	v_or_b32_e32 v3, 0xb00, v0
	v_dual_mov_b32 v19, 0 :: v_dual_mov_b32 v20, 0
	v_dual_mov_b32 v17, 0 :: v_dual_mov_b32 v18, 0
	;; [unrolled: 1-line block ×5, first 2 shown]
	s_mov_b32 s12, exec_lo
	s_wait_xcnt 0x0
	v_cmpx_gt_u32_e64 s13, v3
	s_cbranch_execz .LBB41_120
; %bb.111:
	global_load_u8 v20, v[6:7], off offset:2816
	global_load_u8 v19, v[8:9], off offset:2816
	v_or_b32_e32 v3, 0xc00, v0
	v_dual_mov_b32 v17, 0 :: v_dual_mov_b32 v18, 0
	v_dual_mov_b32 v15, 0 :: v_dual_mov_b32 v16, 0
	;; [unrolled: 1-line block ×4, first 2 shown]
	s_mov_b32 s15, exec_lo
	s_wait_xcnt 0x0
	v_cmpx_gt_u32_e64 s13, v3
	s_cbranch_execz .LBB41_119
; %bb.112:
	global_load_u8 v18, v[6:7], off offset:3072
	global_load_u8 v17, v[8:9], off offset:3072
	v_or_b32_e32 v3, 0xd00, v0
	v_dual_mov_b32 v15, 0 :: v_dual_mov_b32 v16, 0
	v_dual_mov_b32 v13, 0 :: v_dual_mov_b32 v14, 0
	;; [unrolled: 1-line block ×3, first 2 shown]
	s_mov_b32 s18, exec_lo
	s_wait_xcnt 0x0
	v_cmpx_gt_u32_e64 s13, v3
	s_cbranch_execz .LBB41_118
; %bb.113:
	global_load_u8 v16, v[6:7], off offset:3328
	global_load_u8 v15, v[8:9], off offset:3328
	v_or_b32_e32 v3, 0xe00, v0
	v_dual_mov_b32 v13, 0 :: v_dual_mov_b32 v14, 0
	v_dual_mov_b32 v11, 0 :: v_dual_mov_b32 v12, 0
	s_mov_b32 s19, exec_lo
	s_wait_xcnt 0x0
	v_cmpx_gt_u32_e64 s13, v3
	s_cbranch_execz .LBB41_117
; %bb.114:
	global_load_u8 v14, v[6:7], off offset:3584
	global_load_u8 v13, v[8:9], off offset:3584
	v_or_b32_e32 v3, 0xf00, v0
	v_dual_mov_b32 v11, 0 :: v_dual_mov_b32 v12, 0
	s_mov_b32 s20, exec_lo
	s_wait_xcnt 0x0
	s_delay_alu instid0(VALU_DEP_2)
	v_cmpx_gt_u32_e64 s13, v3
	s_cbranch_execz .LBB41_116
; %bb.115:
	global_load_u8 v12, v[6:7], off offset:3840
	global_load_u8 v11, v[8:9], off offset:3840
.LBB41_116:
	s_wait_xcnt 0x0
	s_or_b32 exec_lo, exec_lo, s20
.LBB41_117:
	s_delay_alu instid0(SALU_CYCLE_1)
	s_or_b32 exec_lo, exec_lo, s19
.LBB41_118:
	s_delay_alu instid0(SALU_CYCLE_1)
	s_or_b32 exec_lo, exec_lo, s18
.LBB41_119:
	s_delay_alu instid0(SALU_CYCLE_1)
	s_or_b32 exec_lo, exec_lo, s15
.LBB41_120:
	s_delay_alu instid0(SALU_CYCLE_1)
	s_or_b32 exec_lo, exec_lo, s12
.LBB41_121:
	s_delay_alu instid0(SALU_CYCLE_1)
	s_or_b32 exec_lo, exec_lo, s11
.LBB41_122:
	s_delay_alu instid0(SALU_CYCLE_1)
	s_or_b32 exec_lo, exec_lo, s10
.LBB41_123:
	s_delay_alu instid0(SALU_CYCLE_1)
	s_or_b32 exec_lo, exec_lo, s9
.LBB41_124:
	s_delay_alu instid0(SALU_CYCLE_1)
	s_or_b32 exec_lo, exec_lo, s8
.LBB41_125:
	s_delay_alu instid0(SALU_CYCLE_1)
	s_or_b32 exec_lo, exec_lo, s7
.LBB41_126:
	s_delay_alu instid0(SALU_CYCLE_1)
	s_or_b32 exec_lo, exec_lo, s6
.LBB41_127:
	s_delay_alu instid0(SALU_CYCLE_1)
	s_or_b32 exec_lo, exec_lo, s3
.LBB41_128:
	s_delay_alu instid0(SALU_CYCLE_1)
	s_or_b32 exec_lo, exec_lo, s2
	s_wait_loadcnt 0x0
	v_dual_mov_b32 v6, v5 :: v_dual_mov_b32 v5, v1
.LBB41_129:
	s_or_b32 exec_lo, exec_lo, s5
.LBB41_130:
	s_delay_alu instid0(SALU_CYCLE_1)
	s_or_b32 exec_lo, exec_lo, s4
.LBB41_131:
	s_delay_alu instid0(SALU_CYCLE_1)
	s_or_b32 exec_lo, exec_lo, s1
	v_dual_mov_b32 v1, v2 :: v_dual_mov_b32 v4, v2
	v_mov_b32_e32 v3, v2
	s_and_saveexec_b32 s1, vcc_lo
	s_cbranch_execz .LBB41_139
; %bb.132:
	s_wait_loadcnt 0x1
	v_and_b32_e32 v1, 0xff, v41
	s_wait_loadcnt 0x0
	v_mov_b32_e32 v2, v40
	s_mov_b32 s2, exec_lo
	s_delay_alu instid0(VALU_DEP_2)
	v_cmpx_ne_u16_e32 0, v1
	s_cbranch_execz .LBB41_136
; %bb.133:
	v_dual_mov_b32 v3, v41 :: v_dual_mov_b32 v1, v40
	s_mov_b32 s3, 0
.LBB41_134:                             ; =>This Inner Loop Header: Depth=1
	s_delay_alu instid0(VALU_DEP_1) | instskip(NEXT) | instid1(VALU_DEP_2)
	v_cvt_f32_ubyte0_e32 v7, v1
	v_mov_b32_e32 v2, v3
	s_delay_alu instid0(VALU_DEP_1) | instskip(NEXT) | instid1(VALU_DEP_1)
	v_cvt_f32_ubyte0_e32 v3, v2
	v_rcp_iflag_f32_e32 v4, v3
	v_nop
	s_delay_alu instid0(TRANS32_DEP_1) | instskip(NEXT) | instid1(VALU_DEP_1)
	v_mul_f32_e32 v4, v7, v4
	v_trunc_f32_e32 v4, v4
	s_delay_alu instid0(VALU_DEP_1) | instskip(SKIP_1) | instid1(VALU_DEP_2)
	v_fma_f32 v7, -v4, v3, v7
	v_cvt_u32_f32_e32 v4, v4
	v_cmp_ge_f32_e64 s0, |v7|, v3
	s_delay_alu instid0(VALU_DEP_1) | instskip(NEXT) | instid1(VALU_DEP_1)
	v_add_co_ci_u32_e64 v3, null, 0, v4, s0
	v_mul_lo_u32 v3, v3, v2
	s_delay_alu instid0(VALU_DEP_1) | instskip(NEXT) | instid1(VALU_DEP_1)
	v_sub_nc_u32_e32 v1, v1, v3
	v_and_b32_e32 v3, 0xff, v1
	v_mov_b32_e32 v1, v2
	s_delay_alu instid0(VALU_DEP_2) | instskip(SKIP_1) | instid1(SALU_CYCLE_1)
	v_cmp_eq_u16_e64 s0, 0, v3
	s_or_b32 s3, s0, s3
	s_and_not1_b32 exec_lo, exec_lo, s3
	s_cbranch_execnz .LBB41_134
; %bb.135:
	s_or_b32 exec_lo, exec_lo, s3
.LBB41_136:
	s_delay_alu instid0(SALU_CYCLE_1) | instskip(SKIP_2) | instid1(VALU_DEP_2)
	s_or_b32 exec_lo, exec_lo, s2
	v_and_b32_e32 v3, 0xff, v2
	v_mov_b32_e32 v1, 0
	v_cmp_ne_u16_e64 s0, 0, v3
	v_mov_b32_e32 v3, 0
	s_and_saveexec_b32 s2, s0
	s_cbranch_execz .LBB41_138
; %bb.137:
	v_cvt_f32_ubyte0_e32 v2, v2
	v_cvt_f32_ubyte0_e32 v4, v41
	s_delay_alu instid0(VALU_DEP_2) | instskip(SKIP_1) | instid1(TRANS32_DEP_1)
	v_rcp_iflag_f32_e32 v3, v2
	v_nop
	v_mul_f32_e32 v3, v4, v3
	s_delay_alu instid0(VALU_DEP_1) | instskip(NEXT) | instid1(VALU_DEP_1)
	v_trunc_f32_e32 v3, v3
	v_fma_f32 v4, -v3, v2, v4
	v_cvt_u32_f32_e32 v3, v3
	s_delay_alu instid0(VALU_DEP_2) | instskip(NEXT) | instid1(VALU_DEP_1)
	v_cmp_ge_f32_e64 s0, |v4|, v2
	v_add_co_ci_u32_e64 v2, null, 0, v3, s0
	s_delay_alu instid0(VALU_DEP_1)
	v_mul_lo_u16 v3, v2, v40
.LBB41_138:
	s_or_b32 exec_lo, exec_lo, s2
	s_delay_alu instid0(VALU_DEP_1) | instskip(SKIP_1) | instid1(VALU_DEP_2)
	v_and_b32_e32 v2, 0xff, v3
	v_dual_mov_b32 v4, v1 :: v_dual_mov_b32 v3, v1
	v_and_b32_e32 v2, 0xffff, v2
.LBB41_139:
	s_or_b32 exec_lo, exec_lo, s1
	v_cmp_gt_i32_e64 s0, s13, v39
	s_and_saveexec_b32 s2, s0
	s_cbranch_execz .LBB41_147
; %bb.140:
	s_wait_loadcnt 0x1
	v_and_b32_e32 v7, 0xff, v38
	s_mov_b32 s4, 0
	s_delay_alu instid0(VALU_DEP_1)
	v_cmp_ne_u16_e64 s1, 0, v7
	s_wait_loadcnt 0x0
	v_mov_b32_e32 v7, v37
	s_and_saveexec_b32 s3, s1
	s_cbranch_execz .LBB41_144
; %bb.141:
	v_dual_mov_b32 v9, v38 :: v_dual_mov_b32 v8, v37
.LBB41_142:                             ; =>This Inner Loop Header: Depth=1
	s_delay_alu instid0(VALU_DEP_1) | instskip(NEXT) | instid1(VALU_DEP_2)
	v_cvt_f32_ubyte0_e32 v40, v8
	v_mov_b32_e32 v7, v9
	s_delay_alu instid0(VALU_DEP_1) | instskip(NEXT) | instid1(VALU_DEP_1)
	v_cvt_f32_ubyte0_e32 v9, v7
	v_rcp_iflag_f32_e32 v39, v9
	v_nop
	s_delay_alu instid0(TRANS32_DEP_1) | instskip(NEXT) | instid1(VALU_DEP_1)
	v_mul_f32_e32 v39, v40, v39
	v_trunc_f32_e32 v39, v39
	s_delay_alu instid0(VALU_DEP_1) | instskip(SKIP_1) | instid1(VALU_DEP_2)
	v_fma_f32 v40, -v39, v9, v40
	v_cvt_u32_f32_e32 v39, v39
	v_cmp_ge_f32_e64 s1, |v40|, v9
	s_delay_alu instid0(VALU_DEP_1) | instskip(NEXT) | instid1(VALU_DEP_1)
	v_add_co_ci_u32_e64 v9, null, 0, v39, s1
	v_mul_lo_u32 v9, v9, v7
	s_delay_alu instid0(VALU_DEP_1) | instskip(NEXT) | instid1(VALU_DEP_1)
	v_sub_nc_u32_e32 v8, v8, v9
	v_and_b32_e32 v9, 0xff, v8
	v_mov_b32_e32 v8, v7
	s_delay_alu instid0(VALU_DEP_2) | instskip(SKIP_1) | instid1(SALU_CYCLE_1)
	v_cmp_eq_u16_e64 s1, 0, v9
	s_or_b32 s4, s1, s4
	s_and_not1_b32 exec_lo, exec_lo, s4
	s_cbranch_execnz .LBB41_142
; %bb.143:
	s_or_b32 exec_lo, exec_lo, s4
.LBB41_144:
	s_delay_alu instid0(SALU_CYCLE_1) | instskip(NEXT) | instid1(VALU_DEP_1)
	s_or_b32 exec_lo, exec_lo, s3
	v_and_b32_e32 v9, 0xff, v7
	v_mov_b32_e32 v8, 0
	s_mov_b32 s3, exec_lo
	s_delay_alu instid0(VALU_DEP_2)
	v_cmpx_ne_u16_e32 0, v9
	s_cbranch_execz .LBB41_146
; %bb.145:
	v_cvt_f32_ubyte0_e32 v7, v7
	v_cvt_f32_ubyte0_e32 v9, v38
	s_delay_alu instid0(VALU_DEP_2) | instskip(SKIP_1) | instid1(TRANS32_DEP_1)
	v_rcp_iflag_f32_e32 v8, v7
	v_nop
	v_mul_f32_e32 v8, v9, v8
	s_delay_alu instid0(VALU_DEP_1) | instskip(NEXT) | instid1(VALU_DEP_1)
	v_trunc_f32_e32 v8, v8
	v_fma_f32 v9, -v8, v7, v9
	v_cvt_u32_f32_e32 v8, v8
	s_delay_alu instid0(VALU_DEP_2) | instskip(NEXT) | instid1(VALU_DEP_1)
	v_cmp_ge_f32_e64 s1, |v9|, v7
	v_add_co_ci_u32_e64 v7, null, 0, v8, s1
	s_delay_alu instid0(VALU_DEP_1)
	v_mul_lo_u16 v8, v7, v37
.LBB41_146:
	s_or_b32 exec_lo, exec_lo, s3
	s_delay_alu instid0(VALU_DEP_1)
	v_perm_b32 v2, v2, v8, 0x7060004
.LBB41_147:
	s_or_b32 exec_lo, exec_lo, s2
	v_or_b32_e32 v7, 0x200, v0
	s_delay_alu instid0(VALU_DEP_1)
	v_cmp_gt_i32_e64 s1, s13, v7
	s_and_saveexec_b32 s3, s1
	s_cbranch_execz .LBB41_155
; %bb.148:
	v_and_b32_e32 v7, 0xff, v36
	s_mov_b32 s5, 0
	s_delay_alu instid0(VALU_DEP_1)
	v_cmp_ne_u16_e64 s2, 0, v7
	v_mov_b32_e32 v7, v5
	s_and_saveexec_b32 s4, s2
	s_cbranch_execz .LBB41_152
; %bb.149:
	v_dual_mov_b32 v9, v36 :: v_dual_mov_b32 v8, v5
.LBB41_150:                             ; =>This Inner Loop Header: Depth=1
	s_wait_loadcnt 0x1
	s_delay_alu instid0(VALU_DEP_1) | instskip(NEXT) | instid1(VALU_DEP_2)
	v_cvt_f32_ubyte0_e32 v38, v8
	v_mov_b32_e32 v7, v9
	s_delay_alu instid0(VALU_DEP_1) | instskip(SKIP_1) | instid1(VALU_DEP_1)
	v_cvt_f32_ubyte0_e32 v9, v7
	s_wait_loadcnt 0x0
	v_rcp_iflag_f32_e32 v37, v9
	v_nop
	s_delay_alu instid0(TRANS32_DEP_1) | instskip(NEXT) | instid1(VALU_DEP_1)
	v_mul_f32_e32 v37, v38, v37
	v_trunc_f32_e32 v37, v37
	s_delay_alu instid0(VALU_DEP_1) | instskip(SKIP_1) | instid1(VALU_DEP_2)
	v_fma_f32 v38, -v37, v9, v38
	v_cvt_u32_f32_e32 v37, v37
	v_cmp_ge_f32_e64 s2, |v38|, v9
	s_delay_alu instid0(VALU_DEP_1) | instskip(NEXT) | instid1(VALU_DEP_1)
	v_add_co_ci_u32_e64 v9, null, 0, v37, s2
	v_mul_lo_u32 v9, v9, v7
	s_delay_alu instid0(VALU_DEP_1) | instskip(NEXT) | instid1(VALU_DEP_1)
	v_sub_nc_u32_e32 v8, v8, v9
	v_and_b32_e32 v9, 0xff, v8
	v_mov_b32_e32 v8, v7
	s_delay_alu instid0(VALU_DEP_2) | instskip(SKIP_1) | instid1(SALU_CYCLE_1)
	v_cmp_eq_u16_e64 s2, 0, v9
	s_or_b32 s5, s2, s5
	s_and_not1_b32 exec_lo, exec_lo, s5
	s_cbranch_execnz .LBB41_150
; %bb.151:
	s_or_b32 exec_lo, exec_lo, s5
.LBB41_152:
	s_delay_alu instid0(SALU_CYCLE_1) | instskip(NEXT) | instid1(VALU_DEP_1)
	s_or_b32 exec_lo, exec_lo, s4
	v_and_b32_e32 v9, 0xff, v7
	v_mov_b32_e32 v8, 0
	s_mov_b32 s4, exec_lo
	s_delay_alu instid0(VALU_DEP_2)
	v_cmpx_ne_u16_e32 0, v9
	s_cbranch_execz .LBB41_154
; %bb.153:
	v_cvt_f32_ubyte0_e32 v7, v7
	v_cvt_f32_ubyte0_e32 v9, v36
	s_delay_alu instid0(VALU_DEP_2) | instskip(SKIP_1) | instid1(TRANS32_DEP_1)
	v_rcp_iflag_f32_e32 v8, v7
	v_nop
	v_mul_f32_e32 v8, v9, v8
	s_delay_alu instid0(VALU_DEP_1) | instskip(NEXT) | instid1(VALU_DEP_1)
	v_trunc_f32_e32 v8, v8
	v_fma_f32 v9, -v8, v7, v9
	v_cvt_u32_f32_e32 v8, v8
	s_delay_alu instid0(VALU_DEP_2) | instskip(NEXT) | instid1(VALU_DEP_1)
	v_cmp_ge_f32_e64 s2, |v9|, v7
	v_add_co_ci_u32_e64 v7, null, 0, v8, s2
	s_delay_alu instid0(VALU_DEP_1)
	v_mul_lo_u16 v8, v7, v5
.LBB41_154:
	s_or_b32 exec_lo, exec_lo, s4
	s_delay_alu instid0(VALU_DEP_1)
	v_perm_b32 v2, v2, v8, 0x7000504
.LBB41_155:
	s_or_b32 exec_lo, exec_lo, s3
	v_or_b32_e32 v5, 0x300, v0
	s_delay_alu instid0(VALU_DEP_1)
	v_cmp_gt_i32_e64 s2, s13, v5
	s_and_saveexec_b32 s4, s2
	s_cbranch_execz .LBB41_163
; %bb.156:
	v_and_b32_e32 v5, 0xff, v35
	s_mov_b32 s6, 0
	s_delay_alu instid0(VALU_DEP_1)
	v_cmp_ne_u16_e64 s3, 0, v5
	v_mov_b32_e32 v5, v6
	s_and_saveexec_b32 s5, s3
	s_cbranch_execz .LBB41_160
; %bb.157:
	v_dual_mov_b32 v8, v35 :: v_dual_mov_b32 v7, v6
.LBB41_158:                             ; =>This Inner Loop Header: Depth=1
	s_delay_alu instid0(VALU_DEP_1) | instskip(NEXT) | instid1(VALU_DEP_2)
	v_cvt_f32_ubyte0_e32 v36, v7
	v_mov_b32_e32 v5, v8
	s_delay_alu instid0(VALU_DEP_1) | instskip(NEXT) | instid1(VALU_DEP_1)
	v_cvt_f32_ubyte0_e32 v8, v5
	v_rcp_iflag_f32_e32 v9, v8
	v_nop
	s_delay_alu instid0(TRANS32_DEP_1) | instskip(NEXT) | instid1(VALU_DEP_1)
	v_mul_f32_e32 v9, v36, v9
	v_trunc_f32_e32 v9, v9
	s_delay_alu instid0(VALU_DEP_1) | instskip(SKIP_1) | instid1(VALU_DEP_2)
	v_fma_f32 v36, -v9, v8, v36
	v_cvt_u32_f32_e32 v9, v9
	v_cmp_ge_f32_e64 s3, |v36|, v8
	s_delay_alu instid0(VALU_DEP_1) | instskip(NEXT) | instid1(VALU_DEP_1)
	v_add_co_ci_u32_e64 v8, null, 0, v9, s3
	v_mul_lo_u32 v8, v8, v5
	s_delay_alu instid0(VALU_DEP_1) | instskip(NEXT) | instid1(VALU_DEP_1)
	v_sub_nc_u32_e32 v7, v7, v8
	v_and_b32_e32 v8, 0xff, v7
	v_mov_b32_e32 v7, v5
	s_delay_alu instid0(VALU_DEP_2) | instskip(SKIP_1) | instid1(SALU_CYCLE_1)
	v_cmp_eq_u16_e64 s3, 0, v8
	s_or_b32 s6, s3, s6
	s_and_not1_b32 exec_lo, exec_lo, s6
	s_cbranch_execnz .LBB41_158
; %bb.159:
	s_or_b32 exec_lo, exec_lo, s6
.LBB41_160:
	s_delay_alu instid0(SALU_CYCLE_1) | instskip(NEXT) | instid1(VALU_DEP_1)
	s_or_b32 exec_lo, exec_lo, s5
	v_and_b32_e32 v8, 0xff, v5
	v_mov_b32_e32 v7, 0
	s_mov_b32 s5, exec_lo
	s_delay_alu instid0(VALU_DEP_2)
	v_cmpx_ne_u16_e32 0, v8
	s_cbranch_execz .LBB41_162
; %bb.161:
	v_cvt_f32_ubyte0_e32 v5, v5
	v_cvt_f32_ubyte0_e32 v8, v35
	s_delay_alu instid0(VALU_DEP_2) | instskip(SKIP_1) | instid1(TRANS32_DEP_1)
	v_rcp_iflag_f32_e32 v7, v5
	v_nop
	v_mul_f32_e32 v7, v8, v7
	s_delay_alu instid0(VALU_DEP_1) | instskip(NEXT) | instid1(VALU_DEP_1)
	v_trunc_f32_e32 v7, v7
	v_fma_f32 v8, -v7, v5, v8
	v_cvt_u32_f32_e32 v7, v7
	s_delay_alu instid0(VALU_DEP_2) | instskip(NEXT) | instid1(VALU_DEP_1)
	v_cmp_ge_f32_e64 s3, |v8|, v5
	v_add_co_ci_u32_e64 v5, null, 0, v7, s3
	s_delay_alu instid0(VALU_DEP_1)
	v_mul_lo_u16 v7, v5, v6
.LBB41_162:
	s_or_b32 exec_lo, exec_lo, s5
	s_delay_alu instid0(VALU_DEP_1)
	v_perm_b32 v2, v2, v7, 0x60504
.LBB41_163:
	s_or_b32 exec_lo, exec_lo, s4
	v_or_b32_e32 v5, 0x400, v0
	s_mov_b32 s4, exec_lo
	s_delay_alu instid0(VALU_DEP_1)
	v_cmpx_gt_i32_e64 s13, v5
	s_cbranch_execz .LBB41_171
; %bb.164:
	v_and_b32_e32 v6, 0xff, v34
	s_mov_b32 s6, 0
	s_delay_alu instid0(VALU_DEP_1)
	v_cmp_ne_u16_e64 s3, 0, v6
	v_mov_b32_e32 v6, v33
	s_and_saveexec_b32 s5, s3
	s_cbranch_execz .LBB41_168
; %bb.165:
	v_dual_mov_b32 v8, v34 :: v_dual_mov_b32 v7, v33
.LBB41_166:                             ; =>This Inner Loop Header: Depth=1
	s_delay_alu instid0(VALU_DEP_1) | instskip(NEXT) | instid1(VALU_DEP_2)
	v_cvt_f32_ubyte0_e32 v35, v7
	v_mov_b32_e32 v6, v8
	s_delay_alu instid0(VALU_DEP_1) | instskip(NEXT) | instid1(VALU_DEP_1)
	v_cvt_f32_ubyte0_e32 v8, v6
	v_rcp_iflag_f32_e32 v9, v8
	v_nop
	s_delay_alu instid0(TRANS32_DEP_1) | instskip(NEXT) | instid1(VALU_DEP_1)
	v_mul_f32_e32 v9, v35, v9
	v_trunc_f32_e32 v9, v9
	s_delay_alu instid0(VALU_DEP_1) | instskip(SKIP_1) | instid1(VALU_DEP_2)
	v_fma_f32 v35, -v9, v8, v35
	v_cvt_u32_f32_e32 v9, v9
	v_cmp_ge_f32_e64 s3, |v35|, v8
	s_delay_alu instid0(VALU_DEP_1) | instskip(NEXT) | instid1(VALU_DEP_1)
	v_add_co_ci_u32_e64 v8, null, 0, v9, s3
	v_mul_lo_u32 v8, v8, v6
	s_delay_alu instid0(VALU_DEP_1) | instskip(NEXT) | instid1(VALU_DEP_1)
	v_sub_nc_u32_e32 v7, v7, v8
	v_and_b32_e32 v8, 0xff, v7
	v_mov_b32_e32 v7, v6
	s_delay_alu instid0(VALU_DEP_2) | instskip(SKIP_1) | instid1(SALU_CYCLE_1)
	v_cmp_eq_u16_e64 s3, 0, v8
	s_or_b32 s6, s3, s6
	s_and_not1_b32 exec_lo, exec_lo, s6
	s_cbranch_execnz .LBB41_166
; %bb.167:
	s_or_b32 exec_lo, exec_lo, s6
.LBB41_168:
	s_delay_alu instid0(SALU_CYCLE_1) | instskip(NEXT) | instid1(VALU_DEP_1)
	s_or_b32 exec_lo, exec_lo, s5
	v_and_b32_e32 v8, 0xff, v6
	v_mov_b32_e32 v7, 0
	s_mov_b32 s5, exec_lo
	s_delay_alu instid0(VALU_DEP_2)
	v_cmpx_ne_u16_e32 0, v8
	s_cbranch_execz .LBB41_170
; %bb.169:
	v_cvt_f32_ubyte0_e32 v6, v6
	v_cvt_f32_ubyte0_e32 v8, v34
	s_delay_alu instid0(VALU_DEP_2) | instskip(SKIP_1) | instid1(TRANS32_DEP_1)
	v_rcp_iflag_f32_e32 v7, v6
	v_nop
	v_mul_f32_e32 v7, v8, v7
	s_delay_alu instid0(VALU_DEP_1) | instskip(NEXT) | instid1(VALU_DEP_1)
	v_trunc_f32_e32 v7, v7
	v_fma_f32 v8, -v7, v6, v8
	v_cvt_u32_f32_e32 v7, v7
	s_delay_alu instid0(VALU_DEP_2) | instskip(NEXT) | instid1(VALU_DEP_1)
	v_cmp_ge_f32_e64 s3, |v8|, v6
	v_add_co_ci_u32_e64 v6, null, 0, v7, s3
	s_delay_alu instid0(VALU_DEP_1)
	v_mul_lo_u16 v7, v6, v33
.LBB41_170:
	s_or_b32 exec_lo, exec_lo, s5
	s_delay_alu instid0(VALU_DEP_1)
	v_perm_b32 v1, v7, v1, 0x3020104
.LBB41_171:
	s_or_b32 exec_lo, exec_lo, s4
	v_or_b32_e32 v6, 0x500, v0
	s_delay_alu instid0(VALU_DEP_1)
	v_cmp_gt_i32_e64 s3, s13, v6
	s_and_saveexec_b32 s5, s3
	s_cbranch_execz .LBB41_179
; %bb.172:
	v_and_b32_e32 v6, 0xff, v32
	s_mov_b32 s7, 0
	s_delay_alu instid0(VALU_DEP_1)
	v_cmp_ne_u16_e64 s4, 0, v6
	v_mov_b32_e32 v6, v31
	s_and_saveexec_b32 s6, s4
	s_cbranch_execz .LBB41_176
; %bb.173:
	v_dual_mov_b32 v8, v32 :: v_dual_mov_b32 v7, v31
.LBB41_174:                             ; =>This Inner Loop Header: Depth=1
	s_delay_alu instid0(VALU_DEP_1) | instskip(NEXT) | instid1(VALU_DEP_2)
	v_cvt_f32_ubyte0_e32 v33, v7
	v_mov_b32_e32 v6, v8
	s_delay_alu instid0(VALU_DEP_1) | instskip(NEXT) | instid1(VALU_DEP_1)
	v_cvt_f32_ubyte0_e32 v8, v6
	v_rcp_iflag_f32_e32 v9, v8
	v_nop
	s_delay_alu instid0(TRANS32_DEP_1) | instskip(NEXT) | instid1(VALU_DEP_1)
	v_mul_f32_e32 v9, v33, v9
	v_trunc_f32_e32 v9, v9
	s_delay_alu instid0(VALU_DEP_1) | instskip(SKIP_1) | instid1(VALU_DEP_2)
	v_fma_f32 v33, -v9, v8, v33
	v_cvt_u32_f32_e32 v9, v9
	v_cmp_ge_f32_e64 s4, |v33|, v8
	s_delay_alu instid0(VALU_DEP_1) | instskip(NEXT) | instid1(VALU_DEP_1)
	v_add_co_ci_u32_e64 v8, null, 0, v9, s4
	v_mul_lo_u32 v8, v8, v6
	s_delay_alu instid0(VALU_DEP_1) | instskip(NEXT) | instid1(VALU_DEP_1)
	v_sub_nc_u32_e32 v7, v7, v8
	v_and_b32_e32 v8, 0xff, v7
	v_mov_b32_e32 v7, v6
	s_delay_alu instid0(VALU_DEP_2) | instskip(SKIP_1) | instid1(SALU_CYCLE_1)
	v_cmp_eq_u16_e64 s4, 0, v8
	s_or_b32 s7, s4, s7
	s_and_not1_b32 exec_lo, exec_lo, s7
	s_cbranch_execnz .LBB41_174
; %bb.175:
	s_or_b32 exec_lo, exec_lo, s7
.LBB41_176:
	s_delay_alu instid0(SALU_CYCLE_1) | instskip(NEXT) | instid1(VALU_DEP_1)
	s_or_b32 exec_lo, exec_lo, s6
	v_and_b32_e32 v8, 0xff, v6
	v_mov_b32_e32 v7, 0
	s_mov_b32 s6, exec_lo
	s_delay_alu instid0(VALU_DEP_2)
	v_cmpx_ne_u16_e32 0, v8
	s_cbranch_execz .LBB41_178
; %bb.177:
	v_cvt_f32_ubyte0_e32 v6, v6
	v_cvt_f32_ubyte0_e32 v8, v32
	s_delay_alu instid0(VALU_DEP_2) | instskip(SKIP_1) | instid1(TRANS32_DEP_1)
	v_rcp_iflag_f32_e32 v7, v6
	v_nop
	v_mul_f32_e32 v7, v8, v7
	s_delay_alu instid0(VALU_DEP_1) | instskip(NEXT) | instid1(VALU_DEP_1)
	v_trunc_f32_e32 v7, v7
	v_fma_f32 v8, -v7, v6, v8
	v_cvt_u32_f32_e32 v7, v7
	s_delay_alu instid0(VALU_DEP_2) | instskip(NEXT) | instid1(VALU_DEP_1)
	v_cmp_ge_f32_e64 s4, |v8|, v6
	v_add_co_ci_u32_e64 v6, null, 0, v7, s4
	s_delay_alu instid0(VALU_DEP_1)
	v_mul_lo_u16 v7, v6, v31
.LBB41_178:
	s_or_b32 exec_lo, exec_lo, s6
	s_delay_alu instid0(VALU_DEP_1)
	v_perm_b32 v1, v1, v7, 0x7060004
.LBB41_179:
	s_or_b32 exec_lo, exec_lo, s5
	v_or_b32_e32 v6, 0x600, v0
	s_delay_alu instid0(VALU_DEP_1)
	v_cmp_gt_i32_e64 s4, s13, v6
	s_and_saveexec_b32 s6, s4
	s_cbranch_execz .LBB41_187
; %bb.180:
	v_and_b32_e32 v6, 0xff, v30
	s_mov_b32 s8, 0
	s_delay_alu instid0(VALU_DEP_1)
	v_cmp_ne_u16_e64 s5, 0, v6
	v_mov_b32_e32 v6, v29
	s_and_saveexec_b32 s7, s5
	s_cbranch_execz .LBB41_184
; %bb.181:
	v_dual_mov_b32 v8, v30 :: v_dual_mov_b32 v7, v29
.LBB41_182:                             ; =>This Inner Loop Header: Depth=1
	s_delay_alu instid0(VALU_DEP_1) | instskip(NEXT) | instid1(VALU_DEP_2)
	v_cvt_f32_ubyte0_e32 v31, v7
	v_mov_b32_e32 v6, v8
	s_delay_alu instid0(VALU_DEP_1) | instskip(NEXT) | instid1(VALU_DEP_1)
	v_cvt_f32_ubyte0_e32 v8, v6
	v_rcp_iflag_f32_e32 v9, v8
	v_nop
	s_delay_alu instid0(TRANS32_DEP_1) | instskip(NEXT) | instid1(VALU_DEP_1)
	v_mul_f32_e32 v9, v31, v9
	v_trunc_f32_e32 v9, v9
	s_delay_alu instid0(VALU_DEP_1) | instskip(SKIP_1) | instid1(VALU_DEP_2)
	v_fma_f32 v31, -v9, v8, v31
	v_cvt_u32_f32_e32 v9, v9
	v_cmp_ge_f32_e64 s5, |v31|, v8
	s_delay_alu instid0(VALU_DEP_1) | instskip(NEXT) | instid1(VALU_DEP_1)
	v_add_co_ci_u32_e64 v8, null, 0, v9, s5
	v_mul_lo_u32 v8, v8, v6
	s_delay_alu instid0(VALU_DEP_1) | instskip(NEXT) | instid1(VALU_DEP_1)
	v_sub_nc_u32_e32 v7, v7, v8
	v_and_b32_e32 v8, 0xff, v7
	v_mov_b32_e32 v7, v6
	s_delay_alu instid0(VALU_DEP_2) | instskip(SKIP_1) | instid1(SALU_CYCLE_1)
	v_cmp_eq_u16_e64 s5, 0, v8
	s_or_b32 s8, s5, s8
	s_and_not1_b32 exec_lo, exec_lo, s8
	s_cbranch_execnz .LBB41_182
; %bb.183:
	s_or_b32 exec_lo, exec_lo, s8
.LBB41_184:
	s_delay_alu instid0(SALU_CYCLE_1) | instskip(NEXT) | instid1(VALU_DEP_1)
	s_or_b32 exec_lo, exec_lo, s7
	v_and_b32_e32 v8, 0xff, v6
	v_mov_b32_e32 v7, 0
	s_mov_b32 s7, exec_lo
	s_delay_alu instid0(VALU_DEP_2)
	v_cmpx_ne_u16_e32 0, v8
	s_cbranch_execz .LBB41_186
; %bb.185:
	v_cvt_f32_ubyte0_e32 v6, v6
	v_cvt_f32_ubyte0_e32 v8, v30
	s_delay_alu instid0(VALU_DEP_2) | instskip(SKIP_1) | instid1(TRANS32_DEP_1)
	v_rcp_iflag_f32_e32 v7, v6
	v_nop
	v_mul_f32_e32 v7, v8, v7
	s_delay_alu instid0(VALU_DEP_1) | instskip(NEXT) | instid1(VALU_DEP_1)
	v_trunc_f32_e32 v7, v7
	v_fma_f32 v8, -v7, v6, v8
	v_cvt_u32_f32_e32 v7, v7
	s_delay_alu instid0(VALU_DEP_2) | instskip(NEXT) | instid1(VALU_DEP_1)
	v_cmp_ge_f32_e64 s5, |v8|, v6
	v_add_co_ci_u32_e64 v6, null, 0, v7, s5
	s_delay_alu instid0(VALU_DEP_1)
	v_mul_lo_u16 v7, v6, v29
.LBB41_186:
	s_or_b32 exec_lo, exec_lo, s7
	s_delay_alu instid0(VALU_DEP_1)
	v_perm_b32 v1, v1, v7, 0x7000504
.LBB41_187:
	s_or_b32 exec_lo, exec_lo, s6
	v_or_b32_e32 v6, 0x700, v0
	s_delay_alu instid0(VALU_DEP_1)
	v_cmp_gt_i32_e64 s5, s13, v6
	s_and_saveexec_b32 s7, s5
	s_cbranch_execz .LBB41_195
; %bb.188:
	v_and_b32_e32 v6, 0xff, v28
	s_mov_b32 s9, 0
	s_delay_alu instid0(VALU_DEP_1)
	v_cmp_ne_u16_e64 s6, 0, v6
	v_mov_b32_e32 v6, v27
	s_and_saveexec_b32 s8, s6
	s_cbranch_execz .LBB41_192
; %bb.189:
	v_dual_mov_b32 v8, v28 :: v_dual_mov_b32 v7, v27
.LBB41_190:                             ; =>This Inner Loop Header: Depth=1
	s_delay_alu instid0(VALU_DEP_1) | instskip(NEXT) | instid1(VALU_DEP_2)
	v_cvt_f32_ubyte0_e32 v29, v7
	v_mov_b32_e32 v6, v8
	s_delay_alu instid0(VALU_DEP_1) | instskip(NEXT) | instid1(VALU_DEP_1)
	v_cvt_f32_ubyte0_e32 v8, v6
	v_rcp_iflag_f32_e32 v9, v8
	v_nop
	s_delay_alu instid0(TRANS32_DEP_1) | instskip(NEXT) | instid1(VALU_DEP_1)
	v_mul_f32_e32 v9, v29, v9
	v_trunc_f32_e32 v9, v9
	s_delay_alu instid0(VALU_DEP_1) | instskip(SKIP_1) | instid1(VALU_DEP_2)
	v_fma_f32 v29, -v9, v8, v29
	v_cvt_u32_f32_e32 v9, v9
	v_cmp_ge_f32_e64 s6, |v29|, v8
	s_delay_alu instid0(VALU_DEP_1) | instskip(NEXT) | instid1(VALU_DEP_1)
	v_add_co_ci_u32_e64 v8, null, 0, v9, s6
	v_mul_lo_u32 v8, v8, v6
	s_delay_alu instid0(VALU_DEP_1) | instskip(NEXT) | instid1(VALU_DEP_1)
	v_sub_nc_u32_e32 v7, v7, v8
	v_and_b32_e32 v8, 0xff, v7
	v_mov_b32_e32 v7, v6
	s_delay_alu instid0(VALU_DEP_2) | instskip(SKIP_1) | instid1(SALU_CYCLE_1)
	v_cmp_eq_u16_e64 s6, 0, v8
	s_or_b32 s9, s6, s9
	s_and_not1_b32 exec_lo, exec_lo, s9
	s_cbranch_execnz .LBB41_190
; %bb.191:
	s_or_b32 exec_lo, exec_lo, s9
.LBB41_192:
	s_delay_alu instid0(SALU_CYCLE_1) | instskip(NEXT) | instid1(VALU_DEP_1)
	s_or_b32 exec_lo, exec_lo, s8
	v_and_b32_e32 v8, 0xff, v6
	v_mov_b32_e32 v7, 0
	s_mov_b32 s8, exec_lo
	s_delay_alu instid0(VALU_DEP_2)
	v_cmpx_ne_u16_e32 0, v8
	s_cbranch_execz .LBB41_194
; %bb.193:
	v_cvt_f32_ubyte0_e32 v6, v6
	v_cvt_f32_ubyte0_e32 v8, v28
	s_delay_alu instid0(VALU_DEP_2) | instskip(SKIP_1) | instid1(TRANS32_DEP_1)
	v_rcp_iflag_f32_e32 v7, v6
	v_nop
	v_mul_f32_e32 v7, v8, v7
	s_delay_alu instid0(VALU_DEP_1) | instskip(NEXT) | instid1(VALU_DEP_1)
	v_trunc_f32_e32 v7, v7
	v_fma_f32 v8, -v7, v6, v8
	v_cvt_u32_f32_e32 v7, v7
	s_delay_alu instid0(VALU_DEP_2) | instskip(NEXT) | instid1(VALU_DEP_1)
	v_cmp_ge_f32_e64 s6, |v8|, v6
	v_add_co_ci_u32_e64 v6, null, 0, v7, s6
	s_delay_alu instid0(VALU_DEP_1)
	v_mul_lo_u16 v7, v6, v27
.LBB41_194:
	s_or_b32 exec_lo, exec_lo, s8
	s_delay_alu instid0(VALU_DEP_1)
	v_perm_b32 v1, v1, v7, 0x60504
.LBB41_195:
	s_or_b32 exec_lo, exec_lo, s7
	v_or_b32_e32 v8, 0x800, v0
	s_mov_b32 s7, exec_lo
	s_delay_alu instid0(VALU_DEP_1)
	v_cmpx_gt_i32_e64 s13, v8
	s_cbranch_execz .LBB41_203
; %bb.196:
	v_and_b32_e32 v6, 0xff, v26
	s_mov_b32 s9, 0
	s_delay_alu instid0(VALU_DEP_1)
	v_cmp_ne_u16_e64 s6, 0, v6
	v_mov_b32_e32 v6, v25
	s_and_saveexec_b32 s8, s6
	s_cbranch_execz .LBB41_200
; %bb.197:
	v_dual_mov_b32 v9, v26 :: v_dual_mov_b32 v7, v25
.LBB41_198:                             ; =>This Inner Loop Header: Depth=1
	s_delay_alu instid0(VALU_DEP_1) | instskip(NEXT) | instid1(VALU_DEP_2)
	v_cvt_f32_ubyte0_e32 v28, v7
	v_mov_b32_e32 v6, v9
	s_delay_alu instid0(VALU_DEP_1) | instskip(NEXT) | instid1(VALU_DEP_1)
	v_cvt_f32_ubyte0_e32 v9, v6
	v_rcp_iflag_f32_e32 v27, v9
	v_nop
	s_delay_alu instid0(TRANS32_DEP_1) | instskip(NEXT) | instid1(VALU_DEP_1)
	v_mul_f32_e32 v27, v28, v27
	v_trunc_f32_e32 v27, v27
	s_delay_alu instid0(VALU_DEP_1) | instskip(SKIP_1) | instid1(VALU_DEP_2)
	v_fma_f32 v28, -v27, v9, v28
	v_cvt_u32_f32_e32 v27, v27
	v_cmp_ge_f32_e64 s6, |v28|, v9
	s_delay_alu instid0(VALU_DEP_1) | instskip(NEXT) | instid1(VALU_DEP_1)
	v_add_co_ci_u32_e64 v9, null, 0, v27, s6
	v_mul_lo_u32 v9, v9, v6
	s_delay_alu instid0(VALU_DEP_1) | instskip(NEXT) | instid1(VALU_DEP_1)
	v_sub_nc_u32_e32 v7, v7, v9
	v_and_b32_e32 v9, 0xff, v7
	v_mov_b32_e32 v7, v6
	s_delay_alu instid0(VALU_DEP_2) | instskip(SKIP_1) | instid1(SALU_CYCLE_1)
	v_cmp_eq_u16_e64 s6, 0, v9
	s_or_b32 s9, s6, s9
	s_and_not1_b32 exec_lo, exec_lo, s9
	s_cbranch_execnz .LBB41_198
; %bb.199:
	s_or_b32 exec_lo, exec_lo, s9
.LBB41_200:
	s_delay_alu instid0(SALU_CYCLE_1) | instskip(NEXT) | instid1(VALU_DEP_1)
	s_or_b32 exec_lo, exec_lo, s8
	v_and_b32_e32 v9, 0xff, v6
	v_mov_b32_e32 v7, 0
	s_mov_b32 s8, exec_lo
	s_delay_alu instid0(VALU_DEP_2)
	v_cmpx_ne_u16_e32 0, v9
	s_cbranch_execz .LBB41_202
; %bb.201:
	v_cvt_f32_ubyte0_e32 v6, v6
	v_cvt_f32_ubyte0_e32 v9, v26
	s_delay_alu instid0(VALU_DEP_2) | instskip(SKIP_1) | instid1(TRANS32_DEP_1)
	v_rcp_iflag_f32_e32 v7, v6
	v_nop
	v_mul_f32_e32 v7, v9, v7
	s_delay_alu instid0(VALU_DEP_1) | instskip(NEXT) | instid1(VALU_DEP_1)
	v_trunc_f32_e32 v7, v7
	v_fma_f32 v9, -v7, v6, v9
	v_cvt_u32_f32_e32 v7, v7
	s_delay_alu instid0(VALU_DEP_2) | instskip(NEXT) | instid1(VALU_DEP_1)
	v_cmp_ge_f32_e64 s6, |v9|, v6
	v_add_co_ci_u32_e64 v6, null, 0, v7, s6
	s_delay_alu instid0(VALU_DEP_1)
	v_mul_lo_u16 v7, v6, v25
.LBB41_202:
	s_or_b32 exec_lo, exec_lo, s8
	s_delay_alu instid0(VALU_DEP_1)
	v_perm_b32 v4, v7, v4, 0x3020104
.LBB41_203:
	s_or_b32 exec_lo, exec_lo, s7
	v_or_b32_e32 v6, 0x900, v0
	s_delay_alu instid0(VALU_DEP_1)
	v_cmp_gt_i32_e64 s6, s13, v6
	s_and_saveexec_b32 s8, s6
	s_cbranch_execz .LBB41_211
; %bb.204:
	v_and_b32_e32 v6, 0xff, v24
	s_mov_b32 s10, 0
	s_delay_alu instid0(VALU_DEP_1)
	v_cmp_ne_u16_e64 s7, 0, v6
	v_mov_b32_e32 v6, v23
	s_and_saveexec_b32 s9, s7
	s_cbranch_execz .LBB41_208
; %bb.205:
	v_dual_mov_b32 v9, v24 :: v_dual_mov_b32 v7, v23
.LBB41_206:                             ; =>This Inner Loop Header: Depth=1
	s_delay_alu instid0(VALU_DEP_1) | instskip(NEXT) | instid1(VALU_DEP_2)
	v_cvt_f32_ubyte0_e32 v26, v7
	v_mov_b32_e32 v6, v9
	s_delay_alu instid0(VALU_DEP_1) | instskip(NEXT) | instid1(VALU_DEP_1)
	v_cvt_f32_ubyte0_e32 v9, v6
	v_rcp_iflag_f32_e32 v25, v9
	v_nop
	s_delay_alu instid0(TRANS32_DEP_1) | instskip(NEXT) | instid1(VALU_DEP_1)
	v_mul_f32_e32 v25, v26, v25
	v_trunc_f32_e32 v25, v25
	s_delay_alu instid0(VALU_DEP_1) | instskip(SKIP_1) | instid1(VALU_DEP_2)
	v_fma_f32 v26, -v25, v9, v26
	v_cvt_u32_f32_e32 v25, v25
	v_cmp_ge_f32_e64 s7, |v26|, v9
	s_delay_alu instid0(VALU_DEP_1) | instskip(NEXT) | instid1(VALU_DEP_1)
	v_add_co_ci_u32_e64 v9, null, 0, v25, s7
	v_mul_lo_u32 v9, v9, v6
	s_delay_alu instid0(VALU_DEP_1) | instskip(NEXT) | instid1(VALU_DEP_1)
	v_sub_nc_u32_e32 v7, v7, v9
	v_and_b32_e32 v9, 0xff, v7
	v_mov_b32_e32 v7, v6
	s_delay_alu instid0(VALU_DEP_2) | instskip(SKIP_1) | instid1(SALU_CYCLE_1)
	v_cmp_eq_u16_e64 s7, 0, v9
	s_or_b32 s10, s7, s10
	s_and_not1_b32 exec_lo, exec_lo, s10
	s_cbranch_execnz .LBB41_206
; %bb.207:
	s_or_b32 exec_lo, exec_lo, s10
.LBB41_208:
	s_delay_alu instid0(SALU_CYCLE_1) | instskip(NEXT) | instid1(VALU_DEP_1)
	s_or_b32 exec_lo, exec_lo, s9
	v_and_b32_e32 v9, 0xff, v6
	v_mov_b32_e32 v7, 0
	s_mov_b32 s9, exec_lo
	s_delay_alu instid0(VALU_DEP_2)
	v_cmpx_ne_u16_e32 0, v9
	s_cbranch_execz .LBB41_210
; %bb.209:
	v_cvt_f32_ubyte0_e32 v6, v6
	v_cvt_f32_ubyte0_e32 v9, v24
	s_delay_alu instid0(VALU_DEP_2) | instskip(SKIP_1) | instid1(TRANS32_DEP_1)
	v_rcp_iflag_f32_e32 v7, v6
	v_nop
	v_mul_f32_e32 v7, v9, v7
	s_delay_alu instid0(VALU_DEP_1) | instskip(NEXT) | instid1(VALU_DEP_1)
	v_trunc_f32_e32 v7, v7
	v_fma_f32 v9, -v7, v6, v9
	v_cvt_u32_f32_e32 v7, v7
	s_delay_alu instid0(VALU_DEP_2) | instskip(NEXT) | instid1(VALU_DEP_1)
	v_cmp_ge_f32_e64 s7, |v9|, v6
	v_add_co_ci_u32_e64 v6, null, 0, v7, s7
	s_delay_alu instid0(VALU_DEP_1)
	v_mul_lo_u16 v7, v6, v23
.LBB41_210:
	s_or_b32 exec_lo, exec_lo, s9
	s_delay_alu instid0(VALU_DEP_1)
	v_perm_b32 v4, v4, v7, 0x7060004
.LBB41_211:
	s_or_b32 exec_lo, exec_lo, s8
	v_or_b32_e32 v6, 0xa00, v0
	s_delay_alu instid0(VALU_DEP_1)
	v_cmp_gt_i32_e64 s7, s13, v6
	s_and_saveexec_b32 s9, s7
	s_cbranch_execz .LBB41_219
; %bb.212:
	v_and_b32_e32 v6, 0xff, v22
	s_mov_b32 s11, 0
	s_delay_alu instid0(VALU_DEP_1)
	v_cmp_ne_u16_e64 s8, 0, v6
	v_mov_b32_e32 v6, v21
	s_and_saveexec_b32 s10, s8
	s_cbranch_execz .LBB41_216
; %bb.213:
	v_dual_mov_b32 v9, v22 :: v_dual_mov_b32 v7, v21
.LBB41_214:                             ; =>This Inner Loop Header: Depth=1
	s_delay_alu instid0(VALU_DEP_1) | instskip(NEXT) | instid1(VALU_DEP_2)
	v_cvt_f32_ubyte0_e32 v24, v7
	v_mov_b32_e32 v6, v9
	s_delay_alu instid0(VALU_DEP_1) | instskip(NEXT) | instid1(VALU_DEP_1)
	v_cvt_f32_ubyte0_e32 v9, v6
	v_rcp_iflag_f32_e32 v23, v9
	v_nop
	s_delay_alu instid0(TRANS32_DEP_1) | instskip(NEXT) | instid1(VALU_DEP_1)
	v_mul_f32_e32 v23, v24, v23
	v_trunc_f32_e32 v23, v23
	s_delay_alu instid0(VALU_DEP_1) | instskip(SKIP_1) | instid1(VALU_DEP_2)
	v_fma_f32 v24, -v23, v9, v24
	v_cvt_u32_f32_e32 v23, v23
	v_cmp_ge_f32_e64 s8, |v24|, v9
	s_delay_alu instid0(VALU_DEP_1) | instskip(NEXT) | instid1(VALU_DEP_1)
	v_add_co_ci_u32_e64 v9, null, 0, v23, s8
	v_mul_lo_u32 v9, v9, v6
	s_delay_alu instid0(VALU_DEP_1) | instskip(NEXT) | instid1(VALU_DEP_1)
	v_sub_nc_u32_e32 v7, v7, v9
	v_and_b32_e32 v9, 0xff, v7
	v_mov_b32_e32 v7, v6
	s_delay_alu instid0(VALU_DEP_2) | instskip(SKIP_1) | instid1(SALU_CYCLE_1)
	v_cmp_eq_u16_e64 s8, 0, v9
	s_or_b32 s11, s8, s11
	s_and_not1_b32 exec_lo, exec_lo, s11
	s_cbranch_execnz .LBB41_214
; %bb.215:
	s_or_b32 exec_lo, exec_lo, s11
.LBB41_216:
	s_delay_alu instid0(SALU_CYCLE_1) | instskip(NEXT) | instid1(VALU_DEP_1)
	s_or_b32 exec_lo, exec_lo, s10
	v_and_b32_e32 v9, 0xff, v6
	v_mov_b32_e32 v7, 0
	s_mov_b32 s10, exec_lo
	s_delay_alu instid0(VALU_DEP_2)
	v_cmpx_ne_u16_e32 0, v9
	s_cbranch_execz .LBB41_218
; %bb.217:
	v_cvt_f32_ubyte0_e32 v6, v6
	v_cvt_f32_ubyte0_e32 v9, v22
	s_delay_alu instid0(VALU_DEP_2) | instskip(SKIP_1) | instid1(TRANS32_DEP_1)
	v_rcp_iflag_f32_e32 v7, v6
	v_nop
	v_mul_f32_e32 v7, v9, v7
	s_delay_alu instid0(VALU_DEP_1) | instskip(NEXT) | instid1(VALU_DEP_1)
	v_trunc_f32_e32 v7, v7
	v_fma_f32 v9, -v7, v6, v9
	v_cvt_u32_f32_e32 v7, v7
	s_delay_alu instid0(VALU_DEP_2) | instskip(NEXT) | instid1(VALU_DEP_1)
	v_cmp_ge_f32_e64 s8, |v9|, v6
	v_add_co_ci_u32_e64 v6, null, 0, v7, s8
	s_delay_alu instid0(VALU_DEP_1)
	v_mul_lo_u16 v7, v6, v21
.LBB41_218:
	s_or_b32 exec_lo, exec_lo, s10
	s_delay_alu instid0(VALU_DEP_1)
	v_perm_b32 v4, v4, v7, 0x7000504
.LBB41_219:
	s_or_b32 exec_lo, exec_lo, s9
	v_or_b32_e32 v6, 0xb00, v0
	s_delay_alu instid0(VALU_DEP_1)
	v_cmp_gt_i32_e64 s8, s13, v6
	s_and_saveexec_b32 s10, s8
	s_cbranch_execz .LBB41_227
; %bb.220:
	v_and_b32_e32 v6, 0xff, v20
	s_mov_b32 s12, 0
	s_delay_alu instid0(VALU_DEP_1)
	v_cmp_ne_u16_e64 s9, 0, v6
	v_mov_b32_e32 v6, v19
	s_and_saveexec_b32 s11, s9
	s_cbranch_execz .LBB41_224
; %bb.221:
	v_dual_mov_b32 v9, v20 :: v_dual_mov_b32 v7, v19
.LBB41_222:                             ; =>This Inner Loop Header: Depth=1
	s_delay_alu instid0(VALU_DEP_1) | instskip(NEXT) | instid1(VALU_DEP_2)
	v_cvt_f32_ubyte0_e32 v22, v7
	v_mov_b32_e32 v6, v9
	s_delay_alu instid0(VALU_DEP_1) | instskip(NEXT) | instid1(VALU_DEP_1)
	v_cvt_f32_ubyte0_e32 v9, v6
	v_rcp_iflag_f32_e32 v21, v9
	v_nop
	s_delay_alu instid0(TRANS32_DEP_1) | instskip(NEXT) | instid1(VALU_DEP_1)
	v_mul_f32_e32 v21, v22, v21
	v_trunc_f32_e32 v21, v21
	s_delay_alu instid0(VALU_DEP_1) | instskip(SKIP_1) | instid1(VALU_DEP_2)
	v_fma_f32 v22, -v21, v9, v22
	v_cvt_u32_f32_e32 v21, v21
	v_cmp_ge_f32_e64 s9, |v22|, v9
	s_delay_alu instid0(VALU_DEP_1) | instskip(NEXT) | instid1(VALU_DEP_1)
	v_add_co_ci_u32_e64 v9, null, 0, v21, s9
	v_mul_lo_u32 v9, v9, v6
	s_delay_alu instid0(VALU_DEP_1) | instskip(NEXT) | instid1(VALU_DEP_1)
	v_sub_nc_u32_e32 v7, v7, v9
	v_and_b32_e32 v9, 0xff, v7
	v_mov_b32_e32 v7, v6
	s_delay_alu instid0(VALU_DEP_2) | instskip(SKIP_1) | instid1(SALU_CYCLE_1)
	v_cmp_eq_u16_e64 s9, 0, v9
	s_or_b32 s12, s9, s12
	s_and_not1_b32 exec_lo, exec_lo, s12
	s_cbranch_execnz .LBB41_222
; %bb.223:
	s_or_b32 exec_lo, exec_lo, s12
.LBB41_224:
	s_delay_alu instid0(SALU_CYCLE_1) | instskip(NEXT) | instid1(VALU_DEP_1)
	s_or_b32 exec_lo, exec_lo, s11
	v_and_b32_e32 v9, 0xff, v6
	v_mov_b32_e32 v7, 0
	s_mov_b32 s11, exec_lo
	s_delay_alu instid0(VALU_DEP_2)
	v_cmpx_ne_u16_e32 0, v9
	s_cbranch_execz .LBB41_226
; %bb.225:
	v_cvt_f32_ubyte0_e32 v6, v6
	v_cvt_f32_ubyte0_e32 v9, v20
	s_delay_alu instid0(VALU_DEP_2) | instskip(SKIP_1) | instid1(TRANS32_DEP_1)
	v_rcp_iflag_f32_e32 v7, v6
	v_nop
	v_mul_f32_e32 v7, v9, v7
	s_delay_alu instid0(VALU_DEP_1) | instskip(NEXT) | instid1(VALU_DEP_1)
	v_trunc_f32_e32 v7, v7
	v_fma_f32 v9, -v7, v6, v9
	v_cvt_u32_f32_e32 v7, v7
	s_delay_alu instid0(VALU_DEP_2) | instskip(NEXT) | instid1(VALU_DEP_1)
	v_cmp_ge_f32_e64 s9, |v9|, v6
	v_add_co_ci_u32_e64 v6, null, 0, v7, s9
	s_delay_alu instid0(VALU_DEP_1)
	v_mul_lo_u16 v7, v6, v19
.LBB41_226:
	s_or_b32 exec_lo, exec_lo, s11
	s_delay_alu instid0(VALU_DEP_1)
	v_perm_b32 v4, v4, v7, 0x60504
.LBB41_227:
	s_or_b32 exec_lo, exec_lo, s10
	v_or_b32_e32 v9, 0xc00, v0
	s_mov_b32 s10, exec_lo
	s_delay_alu instid0(VALU_DEP_1)
	v_cmpx_gt_i32_e64 s13, v9
	s_cbranch_execz .LBB41_235
; %bb.228:
	v_and_b32_e32 v6, 0xff, v18
	s_mov_b32 s12, 0
	s_delay_alu instid0(VALU_DEP_1)
	v_cmp_ne_u16_e64 s9, 0, v6
	v_mov_b32_e32 v6, v17
	s_and_saveexec_b32 s11, s9
	s_cbranch_execz .LBB41_232
; %bb.229:
	v_dual_mov_b32 v19, v18 :: v_dual_mov_b32 v7, v17
.LBB41_230:                             ; =>This Inner Loop Header: Depth=1
	s_delay_alu instid0(VALU_DEP_1) | instskip(NEXT) | instid1(VALU_DEP_2)
	v_cvt_f32_ubyte0_e32 v21, v7
	v_mov_b32_e32 v6, v19
	s_delay_alu instid0(VALU_DEP_1) | instskip(NEXT) | instid1(VALU_DEP_1)
	v_cvt_f32_ubyte0_e32 v19, v6
	v_rcp_iflag_f32_e32 v20, v19
	v_nop
	s_delay_alu instid0(TRANS32_DEP_1) | instskip(NEXT) | instid1(VALU_DEP_1)
	v_mul_f32_e32 v20, v21, v20
	v_trunc_f32_e32 v20, v20
	s_delay_alu instid0(VALU_DEP_1) | instskip(SKIP_1) | instid1(VALU_DEP_2)
	v_fma_f32 v21, -v20, v19, v21
	v_cvt_u32_f32_e32 v20, v20
	v_cmp_ge_f32_e64 s9, |v21|, v19
	s_delay_alu instid0(VALU_DEP_1) | instskip(NEXT) | instid1(VALU_DEP_1)
	v_add_co_ci_u32_e64 v19, null, 0, v20, s9
	v_mul_lo_u32 v19, v19, v6
	s_delay_alu instid0(VALU_DEP_1) | instskip(NEXT) | instid1(VALU_DEP_1)
	v_sub_nc_u32_e32 v7, v7, v19
	v_and_b32_e32 v19, 0xff, v7
	v_mov_b32_e32 v7, v6
	s_delay_alu instid0(VALU_DEP_2) | instskip(SKIP_1) | instid1(SALU_CYCLE_1)
	v_cmp_eq_u16_e64 s9, 0, v19
	s_or_b32 s12, s9, s12
	s_and_not1_b32 exec_lo, exec_lo, s12
	s_cbranch_execnz .LBB41_230
; %bb.231:
	s_or_b32 exec_lo, exec_lo, s12
.LBB41_232:
	s_delay_alu instid0(SALU_CYCLE_1) | instskip(NEXT) | instid1(VALU_DEP_1)
	s_or_b32 exec_lo, exec_lo, s11
	v_and_b32_e32 v19, 0xff, v6
	v_mov_b32_e32 v7, 0
	s_mov_b32 s11, exec_lo
	s_delay_alu instid0(VALU_DEP_2)
	v_cmpx_ne_u16_e32 0, v19
	s_cbranch_execz .LBB41_234
; %bb.233:
	v_cvt_f32_ubyte0_e32 v6, v6
	v_cvt_f32_ubyte0_e32 v18, v18
	s_delay_alu instid0(VALU_DEP_2) | instskip(SKIP_1) | instid1(TRANS32_DEP_1)
	v_rcp_iflag_f32_e32 v7, v6
	v_nop
	v_mul_f32_e32 v7, v18, v7
	s_delay_alu instid0(VALU_DEP_1) | instskip(NEXT) | instid1(VALU_DEP_1)
	v_trunc_f32_e32 v7, v7
	v_fma_f32 v18, -v7, v6, v18
	v_cvt_u32_f32_e32 v7, v7
	s_delay_alu instid0(VALU_DEP_2) | instskip(NEXT) | instid1(VALU_DEP_1)
	v_cmp_ge_f32_e64 s9, |v18|, v6
	v_add_co_ci_u32_e64 v6, null, 0, v7, s9
	s_delay_alu instid0(VALU_DEP_1)
	v_mul_lo_u16 v7, v6, v17
.LBB41_234:
	s_or_b32 exec_lo, exec_lo, s11
	s_delay_alu instid0(VALU_DEP_1)
	v_perm_b32 v3, v7, v3, 0x3020104
.LBB41_235:
	s_or_b32 exec_lo, exec_lo, s10
	v_or_b32_e32 v6, 0xd00, v0
	s_delay_alu instid0(VALU_DEP_1)
	v_cmp_gt_i32_e64 s9, s13, v6
	s_and_saveexec_b32 s11, s9
	s_cbranch_execz .LBB41_243
; %bb.236:
	v_and_b32_e32 v6, 0xff, v16
	s_mov_b32 s15, 0
	s_delay_alu instid0(VALU_DEP_1)
	v_cmp_ne_u16_e64 s10, 0, v6
	v_mov_b32_e32 v6, v15
	s_and_saveexec_b32 s12, s10
	s_cbranch_execz .LBB41_240
; %bb.237:
	v_dual_mov_b32 v17, v16 :: v_dual_mov_b32 v7, v15
.LBB41_238:                             ; =>This Inner Loop Header: Depth=1
	s_delay_alu instid0(VALU_DEP_1) | instskip(NEXT) | instid1(VALU_DEP_2)
	v_cvt_f32_ubyte0_e32 v19, v7
	v_mov_b32_e32 v6, v17
	s_delay_alu instid0(VALU_DEP_1) | instskip(NEXT) | instid1(VALU_DEP_1)
	v_cvt_f32_ubyte0_e32 v17, v6
	v_rcp_iflag_f32_e32 v18, v17
	v_nop
	s_delay_alu instid0(TRANS32_DEP_1) | instskip(NEXT) | instid1(VALU_DEP_1)
	v_mul_f32_e32 v18, v19, v18
	v_trunc_f32_e32 v18, v18
	s_delay_alu instid0(VALU_DEP_1) | instskip(SKIP_1) | instid1(VALU_DEP_2)
	v_fma_f32 v19, -v18, v17, v19
	v_cvt_u32_f32_e32 v18, v18
	v_cmp_ge_f32_e64 s10, |v19|, v17
	s_delay_alu instid0(VALU_DEP_1) | instskip(NEXT) | instid1(VALU_DEP_1)
	v_add_co_ci_u32_e64 v17, null, 0, v18, s10
	v_mul_lo_u32 v17, v17, v6
	s_delay_alu instid0(VALU_DEP_1) | instskip(NEXT) | instid1(VALU_DEP_1)
	v_sub_nc_u32_e32 v7, v7, v17
	v_and_b32_e32 v17, 0xff, v7
	v_mov_b32_e32 v7, v6
	s_delay_alu instid0(VALU_DEP_2) | instskip(SKIP_1) | instid1(SALU_CYCLE_1)
	v_cmp_eq_u16_e64 s10, 0, v17
	s_or_b32 s15, s10, s15
	s_and_not1_b32 exec_lo, exec_lo, s15
	s_cbranch_execnz .LBB41_238
; %bb.239:
	s_or_b32 exec_lo, exec_lo, s15
.LBB41_240:
	s_delay_alu instid0(SALU_CYCLE_1) | instskip(NEXT) | instid1(VALU_DEP_1)
	s_or_b32 exec_lo, exec_lo, s12
	v_and_b32_e32 v17, 0xff, v6
	v_mov_b32_e32 v7, 0
	s_mov_b32 s12, exec_lo
	s_delay_alu instid0(VALU_DEP_2)
	v_cmpx_ne_u16_e32 0, v17
	s_cbranch_execz .LBB41_242
; %bb.241:
	v_cvt_f32_ubyte0_e32 v6, v6
	v_cvt_f32_ubyte0_e32 v16, v16
	s_delay_alu instid0(VALU_DEP_2) | instskip(SKIP_1) | instid1(TRANS32_DEP_1)
	v_rcp_iflag_f32_e32 v7, v6
	v_nop
	v_mul_f32_e32 v7, v16, v7
	s_delay_alu instid0(VALU_DEP_1) | instskip(NEXT) | instid1(VALU_DEP_1)
	v_trunc_f32_e32 v7, v7
	v_fma_f32 v16, -v7, v6, v16
	v_cvt_u32_f32_e32 v7, v7
	s_delay_alu instid0(VALU_DEP_2) | instskip(NEXT) | instid1(VALU_DEP_1)
	v_cmp_ge_f32_e64 s10, |v16|, v6
	v_add_co_ci_u32_e64 v6, null, 0, v7, s10
	s_delay_alu instid0(VALU_DEP_1)
	v_mul_lo_u16 v7, v6, v15
.LBB41_242:
	s_or_b32 exec_lo, exec_lo, s12
	s_delay_alu instid0(VALU_DEP_1)
	v_perm_b32 v3, v3, v7, 0x7060004
.LBB41_243:
	s_or_b32 exec_lo, exec_lo, s11
	v_or_b32_e32 v6, 0xe00, v0
	s_delay_alu instid0(VALU_DEP_1)
	v_cmp_gt_i32_e64 s10, s13, v6
	s_and_saveexec_b32 s12, s10
	s_cbranch_execz .LBB41_251
; %bb.244:
	v_and_b32_e32 v6, 0xff, v14
	s_mov_b32 s18, 0
	s_delay_alu instid0(VALU_DEP_1)
	v_cmp_ne_u16_e64 s11, 0, v6
	v_mov_b32_e32 v6, v13
	s_and_saveexec_b32 s15, s11
	s_cbranch_execz .LBB41_248
; %bb.245:
	v_dual_mov_b32 v15, v14 :: v_dual_mov_b32 v7, v13
.LBB41_246:                             ; =>This Inner Loop Header: Depth=1
	s_delay_alu instid0(VALU_DEP_1) | instskip(NEXT) | instid1(VALU_DEP_2)
	v_cvt_f32_ubyte0_e32 v17, v7
	v_mov_b32_e32 v6, v15
	s_delay_alu instid0(VALU_DEP_1) | instskip(NEXT) | instid1(VALU_DEP_1)
	v_cvt_f32_ubyte0_e32 v15, v6
	v_rcp_iflag_f32_e32 v16, v15
	v_nop
	s_delay_alu instid0(TRANS32_DEP_1) | instskip(NEXT) | instid1(VALU_DEP_1)
	v_mul_f32_e32 v16, v17, v16
	v_trunc_f32_e32 v16, v16
	s_delay_alu instid0(VALU_DEP_1) | instskip(SKIP_1) | instid1(VALU_DEP_2)
	v_fma_f32 v17, -v16, v15, v17
	v_cvt_u32_f32_e32 v16, v16
	v_cmp_ge_f32_e64 s11, |v17|, v15
	s_delay_alu instid0(VALU_DEP_1) | instskip(NEXT) | instid1(VALU_DEP_1)
	v_add_co_ci_u32_e64 v15, null, 0, v16, s11
	v_mul_lo_u32 v15, v15, v6
	s_delay_alu instid0(VALU_DEP_1) | instskip(NEXT) | instid1(VALU_DEP_1)
	v_sub_nc_u32_e32 v7, v7, v15
	v_and_b32_e32 v15, 0xff, v7
	v_mov_b32_e32 v7, v6
	s_delay_alu instid0(VALU_DEP_2) | instskip(SKIP_1) | instid1(SALU_CYCLE_1)
	v_cmp_eq_u16_e64 s11, 0, v15
	s_or_b32 s18, s11, s18
	s_and_not1_b32 exec_lo, exec_lo, s18
	s_cbranch_execnz .LBB41_246
; %bb.247:
	s_or_b32 exec_lo, exec_lo, s18
.LBB41_248:
	s_delay_alu instid0(SALU_CYCLE_1) | instskip(NEXT) | instid1(VALU_DEP_1)
	s_or_b32 exec_lo, exec_lo, s15
	v_and_b32_e32 v15, 0xff, v6
	v_mov_b32_e32 v7, 0
	s_mov_b32 s15, exec_lo
	s_delay_alu instid0(VALU_DEP_2)
	v_cmpx_ne_u16_e32 0, v15
	s_cbranch_execz .LBB41_250
; %bb.249:
	v_cvt_f32_ubyte0_e32 v6, v6
	v_cvt_f32_ubyte0_e32 v14, v14
	s_delay_alu instid0(VALU_DEP_2) | instskip(SKIP_1) | instid1(TRANS32_DEP_1)
	v_rcp_iflag_f32_e32 v7, v6
	v_nop
	v_mul_f32_e32 v7, v14, v7
	s_delay_alu instid0(VALU_DEP_1) | instskip(NEXT) | instid1(VALU_DEP_1)
	v_trunc_f32_e32 v7, v7
	v_fma_f32 v14, -v7, v6, v14
	v_cvt_u32_f32_e32 v7, v7
	s_delay_alu instid0(VALU_DEP_2) | instskip(NEXT) | instid1(VALU_DEP_1)
	v_cmp_ge_f32_e64 s11, |v14|, v6
	v_add_co_ci_u32_e64 v6, null, 0, v7, s11
	s_delay_alu instid0(VALU_DEP_1)
	v_mul_lo_u16 v7, v6, v13
.LBB41_250:
	s_or_b32 exec_lo, exec_lo, s15
	s_delay_alu instid0(VALU_DEP_1)
	v_perm_b32 v3, v3, v7, 0x7000504
.LBB41_251:
	s_or_b32 exec_lo, exec_lo, s12
	v_or_b32_e32 v6, 0xf00, v0
	s_delay_alu instid0(VALU_DEP_1)
	v_cmp_gt_i32_e64 s11, s13, v6
	s_and_saveexec_b32 s15, s11
	s_cbranch_execz .LBB41_259
; %bb.252:
	v_and_b32_e32 v6, 0xff, v12
	s_mov_b32 s19, 0
	s_delay_alu instid0(VALU_DEP_1)
	v_cmp_ne_u16_e64 s12, 0, v6
	v_mov_b32_e32 v6, v11
	s_and_saveexec_b32 s18, s12
	s_cbranch_execz .LBB41_256
; %bb.253:
	v_dual_mov_b32 v13, v12 :: v_dual_mov_b32 v7, v11
.LBB41_254:                             ; =>This Inner Loop Header: Depth=1
	s_delay_alu instid0(VALU_DEP_1) | instskip(NEXT) | instid1(VALU_DEP_2)
	v_cvt_f32_ubyte0_e32 v15, v7
	v_mov_b32_e32 v6, v13
	s_delay_alu instid0(VALU_DEP_1) | instskip(NEXT) | instid1(VALU_DEP_1)
	v_cvt_f32_ubyte0_e32 v13, v6
	v_rcp_iflag_f32_e32 v14, v13
	v_nop
	s_delay_alu instid0(TRANS32_DEP_1) | instskip(NEXT) | instid1(VALU_DEP_1)
	v_mul_f32_e32 v14, v15, v14
	v_trunc_f32_e32 v14, v14
	s_delay_alu instid0(VALU_DEP_1) | instskip(SKIP_1) | instid1(VALU_DEP_2)
	v_fma_f32 v15, -v14, v13, v15
	v_cvt_u32_f32_e32 v14, v14
	v_cmp_ge_f32_e64 s12, |v15|, v13
	s_delay_alu instid0(VALU_DEP_1) | instskip(NEXT) | instid1(VALU_DEP_1)
	v_add_co_ci_u32_e64 v13, null, 0, v14, s12
	v_mul_lo_u32 v13, v13, v6
	s_delay_alu instid0(VALU_DEP_1) | instskip(NEXT) | instid1(VALU_DEP_1)
	v_sub_nc_u32_e32 v7, v7, v13
	v_and_b32_e32 v13, 0xff, v7
	v_mov_b32_e32 v7, v6
	s_delay_alu instid0(VALU_DEP_2) | instskip(SKIP_1) | instid1(SALU_CYCLE_1)
	v_cmp_eq_u16_e64 s12, 0, v13
	s_or_b32 s19, s12, s19
	s_and_not1_b32 exec_lo, exec_lo, s19
	s_cbranch_execnz .LBB41_254
; %bb.255:
	s_or_b32 exec_lo, exec_lo, s19
.LBB41_256:
	s_delay_alu instid0(SALU_CYCLE_1) | instskip(NEXT) | instid1(VALU_DEP_1)
	s_or_b32 exec_lo, exec_lo, s18
	v_and_b32_e32 v13, 0xff, v6
	v_mov_b32_e32 v7, 0
	s_mov_b32 s18, exec_lo
	s_delay_alu instid0(VALU_DEP_2)
	v_cmpx_ne_u16_e32 0, v13
	s_cbranch_execz .LBB41_258
; %bb.257:
	v_cvt_f32_ubyte0_e32 v6, v6
	v_cvt_f32_ubyte0_e32 v12, v12
	s_delay_alu instid0(VALU_DEP_2) | instskip(SKIP_1) | instid1(TRANS32_DEP_1)
	v_rcp_iflag_f32_e32 v7, v6
	v_nop
	v_mul_f32_e32 v7, v12, v7
	s_delay_alu instid0(VALU_DEP_1) | instskip(NEXT) | instid1(VALU_DEP_1)
	v_trunc_f32_e32 v7, v7
	v_fma_f32 v12, -v7, v6, v12
	v_cvt_u32_f32_e32 v7, v7
	s_delay_alu instid0(VALU_DEP_2) | instskip(NEXT) | instid1(VALU_DEP_1)
	v_cmp_ge_f32_e64 s12, |v12|, v6
	v_add_co_ci_u32_e64 v6, null, 0, v7, s12
	s_delay_alu instid0(VALU_DEP_1)
	v_mul_lo_u16 v7, v6, v11
.LBB41_258:
	s_or_b32 exec_lo, exec_lo, s18
	s_delay_alu instid0(VALU_DEP_1)
	v_perm_b32 v3, v3, v7, 0x60504
.LBB41_259:
	s_or_b32 exec_lo, exec_lo, s15
	s_and_saveexec_b32 s12, vcc_lo
	s_cbranch_execz .LBB41_276
; %bb.260:
	global_store_b8 v10, v2, s[16:17]
	s_wait_xcnt 0x0
	s_and_b32 exec_lo, exec_lo, s0
	s_cbranch_execz .LBB41_276
; %bb.261:
	v_dual_lshrrev_b32 v7, 8, v2 :: v_dual_add_nc_u32 v6, s14, v0
	global_store_b8 v6, v7, s[16:17] offset:256
	s_wait_xcnt 0x0
	s_and_b32 exec_lo, exec_lo, s1
	s_cbranch_execz .LBB41_276
; %bb.262:
	v_mov_b32_e32 v7, 0
	s_delay_alu instid0(VALU_DEP_1)
	v_add_nc_u64_e32 v[6:7], s[16:17], v[6:7]
	global_store_d16_hi_b8 v[6:7], v2, off offset:512
	s_wait_xcnt 0x0
	s_and_b32 exec_lo, exec_lo, s2
	s_cbranch_execz .LBB41_276
; %bb.263:
	v_lshrrev_b32_e32 v0, 24, v2
	v_cmp_gt_u32_e32 vcc_lo, s13, v5
	global_store_b8 v[6:7], v0, off offset:768
	s_wait_xcnt 0x0
	s_and_b32 exec_lo, exec_lo, vcc_lo
	s_cbranch_execz .LBB41_276
; %bb.264:
	global_store_b8 v[6:7], v1, off offset:1024
	s_wait_xcnt 0x0
	s_and_b32 exec_lo, exec_lo, s3
	s_cbranch_execz .LBB41_276
; %bb.265:
	v_lshrrev_b32_e32 v0, 8, v1
	global_store_b8 v[6:7], v0, off offset:1280
	s_wait_xcnt 0x0
	s_and_b32 exec_lo, exec_lo, s4
	s_cbranch_execz .LBB41_276
; %bb.266:
	global_store_d16_hi_b8 v[6:7], v1, off offset:1536
	s_wait_xcnt 0x0
	s_and_b32 exec_lo, exec_lo, s5
	s_cbranch_execz .LBB41_276
; %bb.267:
	v_lshrrev_b32_e32 v0, 24, v1
	v_cmp_gt_u32_e32 vcc_lo, s13, v8
	global_store_b8 v[6:7], v0, off offset:1792
	s_wait_xcnt 0x0
	s_and_b32 exec_lo, exec_lo, vcc_lo
	s_cbranch_execz .LBB41_276
; %bb.268:
	global_store_b8 v[6:7], v4, off offset:2048
	s_wait_xcnt 0x0
	s_and_b32 exec_lo, exec_lo, s6
	s_cbranch_execz .LBB41_276
; %bb.269:
	v_lshrrev_b32_e32 v0, 8, v4
	global_store_b8 v[6:7], v0, off offset:2304
	s_wait_xcnt 0x0
	s_and_b32 exec_lo, exec_lo, s7
	s_cbranch_execz .LBB41_276
; %bb.270:
	;; [unrolled: 23-line block ×3, first 2 shown]
	global_store_d16_hi_b8 v[6:7], v3, off offset:3584
	s_wait_xcnt 0x0
	s_and_b32 exec_lo, exec_lo, s11
	s_cbranch_execz .LBB41_276
; %bb.275:
	v_lshrrev_b32_e32 v0, 24, v3
	global_store_b8 v[6:7], v0, off offset:3840
.LBB41_276:
	s_endpgm
	.section	.rodata,"a",@progbits
	.p2align	6, 0x0
	.amdhsa_kernel _ZN2at6native29vectorized_elementwise_kernelILi8EZZZNS0_15lcm_kernel_cudaERNS_18TensorIteratorBaseEENKUlvE_clEvENKUlvE_clEvEUlhhE_St5arrayIPcLm3EEEEviT0_T1_
		.amdhsa_group_segment_fixed_size 0
		.amdhsa_private_segment_fixed_size 0
		.amdhsa_kernarg_size 32
		.amdhsa_user_sgpr_count 2
		.amdhsa_user_sgpr_dispatch_ptr 0
		.amdhsa_user_sgpr_queue_ptr 0
		.amdhsa_user_sgpr_kernarg_segment_ptr 1
		.amdhsa_user_sgpr_dispatch_id 0
		.amdhsa_user_sgpr_kernarg_preload_length 0
		.amdhsa_user_sgpr_kernarg_preload_offset 0
		.amdhsa_user_sgpr_private_segment_size 0
		.amdhsa_wavefront_size32 1
		.amdhsa_uses_dynamic_stack 0
		.amdhsa_enable_private_segment 0
		.amdhsa_system_sgpr_workgroup_id_x 1
		.amdhsa_system_sgpr_workgroup_id_y 0
		.amdhsa_system_sgpr_workgroup_id_z 0
		.amdhsa_system_sgpr_workgroup_info 0
		.amdhsa_system_vgpr_workitem_id 0
		.amdhsa_next_free_vgpr 42
		.amdhsa_next_free_sgpr 21
		.amdhsa_named_barrier_count 0
		.amdhsa_reserve_vcc 1
		.amdhsa_float_round_mode_32 0
		.amdhsa_float_round_mode_16_64 0
		.amdhsa_float_denorm_mode_32 3
		.amdhsa_float_denorm_mode_16_64 3
		.amdhsa_fp16_overflow 0
		.amdhsa_memory_ordered 1
		.amdhsa_forward_progress 1
		.amdhsa_inst_pref_size 102
		.amdhsa_round_robin_scheduling 0
		.amdhsa_exception_fp_ieee_invalid_op 0
		.amdhsa_exception_fp_denorm_src 0
		.amdhsa_exception_fp_ieee_div_zero 0
		.amdhsa_exception_fp_ieee_overflow 0
		.amdhsa_exception_fp_ieee_underflow 0
		.amdhsa_exception_fp_ieee_inexact 0
		.amdhsa_exception_int_div_zero 0
	.end_amdhsa_kernel
	.section	.text._ZN2at6native29vectorized_elementwise_kernelILi8EZZZNS0_15lcm_kernel_cudaERNS_18TensorIteratorBaseEENKUlvE_clEvENKUlvE_clEvEUlhhE_St5arrayIPcLm3EEEEviT0_T1_,"axG",@progbits,_ZN2at6native29vectorized_elementwise_kernelILi8EZZZNS0_15lcm_kernel_cudaERNS_18TensorIteratorBaseEENKUlvE_clEvENKUlvE_clEvEUlhhE_St5arrayIPcLm3EEEEviT0_T1_,comdat
.Lfunc_end41:
	.size	_ZN2at6native29vectorized_elementwise_kernelILi8EZZZNS0_15lcm_kernel_cudaERNS_18TensorIteratorBaseEENKUlvE_clEvENKUlvE_clEvEUlhhE_St5arrayIPcLm3EEEEviT0_T1_, .Lfunc_end41-_ZN2at6native29vectorized_elementwise_kernelILi8EZZZNS0_15lcm_kernel_cudaERNS_18TensorIteratorBaseEENKUlvE_clEvENKUlvE_clEvEUlhhE_St5arrayIPcLm3EEEEviT0_T1_
                                        ; -- End function
	.set _ZN2at6native29vectorized_elementwise_kernelILi8EZZZNS0_15lcm_kernel_cudaERNS_18TensorIteratorBaseEENKUlvE_clEvENKUlvE_clEvEUlhhE_St5arrayIPcLm3EEEEviT0_T1_.num_vgpr, 42
	.set _ZN2at6native29vectorized_elementwise_kernelILi8EZZZNS0_15lcm_kernel_cudaERNS_18TensorIteratorBaseEENKUlvE_clEvENKUlvE_clEvEUlhhE_St5arrayIPcLm3EEEEviT0_T1_.num_agpr, 0
	.set _ZN2at6native29vectorized_elementwise_kernelILi8EZZZNS0_15lcm_kernel_cudaERNS_18TensorIteratorBaseEENKUlvE_clEvENKUlvE_clEvEUlhhE_St5arrayIPcLm3EEEEviT0_T1_.numbered_sgpr, 21
	.set _ZN2at6native29vectorized_elementwise_kernelILi8EZZZNS0_15lcm_kernel_cudaERNS_18TensorIteratorBaseEENKUlvE_clEvENKUlvE_clEvEUlhhE_St5arrayIPcLm3EEEEviT0_T1_.num_named_barrier, 0
	.set _ZN2at6native29vectorized_elementwise_kernelILi8EZZZNS0_15lcm_kernel_cudaERNS_18TensorIteratorBaseEENKUlvE_clEvENKUlvE_clEvEUlhhE_St5arrayIPcLm3EEEEviT0_T1_.private_seg_size, 0
	.set _ZN2at6native29vectorized_elementwise_kernelILi8EZZZNS0_15lcm_kernel_cudaERNS_18TensorIteratorBaseEENKUlvE_clEvENKUlvE_clEvEUlhhE_St5arrayIPcLm3EEEEviT0_T1_.uses_vcc, 1
	.set _ZN2at6native29vectorized_elementwise_kernelILi8EZZZNS0_15lcm_kernel_cudaERNS_18TensorIteratorBaseEENKUlvE_clEvENKUlvE_clEvEUlhhE_St5arrayIPcLm3EEEEviT0_T1_.uses_flat_scratch, 0
	.set _ZN2at6native29vectorized_elementwise_kernelILi8EZZZNS0_15lcm_kernel_cudaERNS_18TensorIteratorBaseEENKUlvE_clEvENKUlvE_clEvEUlhhE_St5arrayIPcLm3EEEEviT0_T1_.has_dyn_sized_stack, 0
	.set _ZN2at6native29vectorized_elementwise_kernelILi8EZZZNS0_15lcm_kernel_cudaERNS_18TensorIteratorBaseEENKUlvE_clEvENKUlvE_clEvEUlhhE_St5arrayIPcLm3EEEEviT0_T1_.has_recursion, 0
	.set _ZN2at6native29vectorized_elementwise_kernelILi8EZZZNS0_15lcm_kernel_cudaERNS_18TensorIteratorBaseEENKUlvE_clEvENKUlvE_clEvEUlhhE_St5arrayIPcLm3EEEEviT0_T1_.has_indirect_call, 0
	.section	.AMDGPU.csdata,"",@progbits
; Kernel info:
; codeLenInByte = 13020
; TotalNumSgprs: 23
; NumVgprs: 42
; ScratchSize: 0
; MemoryBound: 0
; FloatMode: 240
; IeeeMode: 1
; LDSByteSize: 0 bytes/workgroup (compile time only)
; SGPRBlocks: 0
; VGPRBlocks: 2
; NumSGPRsForWavesPerEU: 23
; NumVGPRsForWavesPerEU: 42
; NamedBarCnt: 0
; Occupancy: 16
; WaveLimiterHint : 1
; COMPUTE_PGM_RSRC2:SCRATCH_EN: 0
; COMPUTE_PGM_RSRC2:USER_SGPR: 2
; COMPUTE_PGM_RSRC2:TRAP_HANDLER: 0
; COMPUTE_PGM_RSRC2:TGID_X_EN: 1
; COMPUTE_PGM_RSRC2:TGID_Y_EN: 0
; COMPUTE_PGM_RSRC2:TGID_Z_EN: 0
; COMPUTE_PGM_RSRC2:TIDIG_COMP_CNT: 0
	.section	.text._ZN2at6native29vectorized_elementwise_kernelILi4EZZZNS0_15lcm_kernel_cudaERNS_18TensorIteratorBaseEENKUlvE_clEvENKUlvE_clEvEUlhhE_St5arrayIPcLm3EEEEviT0_T1_,"axG",@progbits,_ZN2at6native29vectorized_elementwise_kernelILi4EZZZNS0_15lcm_kernel_cudaERNS_18TensorIteratorBaseEENKUlvE_clEvENKUlvE_clEvEUlhhE_St5arrayIPcLm3EEEEviT0_T1_,comdat
	.globl	_ZN2at6native29vectorized_elementwise_kernelILi4EZZZNS0_15lcm_kernel_cudaERNS_18TensorIteratorBaseEENKUlvE_clEvENKUlvE_clEvEUlhhE_St5arrayIPcLm3EEEEviT0_T1_ ; -- Begin function _ZN2at6native29vectorized_elementwise_kernelILi4EZZZNS0_15lcm_kernel_cudaERNS_18TensorIteratorBaseEENKUlvE_clEvENKUlvE_clEvEUlhhE_St5arrayIPcLm3EEEEviT0_T1_
	.p2align	8
	.type	_ZN2at6native29vectorized_elementwise_kernelILi4EZZZNS0_15lcm_kernel_cudaERNS_18TensorIteratorBaseEENKUlvE_clEvENKUlvE_clEvEUlhhE_St5arrayIPcLm3EEEEviT0_T1_,@function
_ZN2at6native29vectorized_elementwise_kernelILi4EZZZNS0_15lcm_kernel_cudaERNS_18TensorIteratorBaseEENKUlvE_clEvENKUlvE_clEvEUlhhE_St5arrayIPcLm3EEEEviT0_T1_: ; @_ZN2at6native29vectorized_elementwise_kernelILi4EZZZNS0_15lcm_kernel_cudaERNS_18TensorIteratorBaseEENKUlvE_clEvENKUlvE_clEvEUlhhE_St5arrayIPcLm3EEEEviT0_T1_
; %bb.0:
	s_clause 0x2
	s_load_b32 s4, s[0:1], 0x0
	s_load_b128 s[16:19], s[0:1], 0x8
	s_load_b64 s[2:3], s[0:1], 0x18
	s_wait_xcnt 0x0
	s_bfe_u32 s0, ttmp6, 0x4000c
	s_and_b32 s1, ttmp6, 15
	s_add_co_i32 s0, s0, 1
	s_getreg_b32 s5, hwreg(HW_REG_IB_STS2, 6, 4)
	s_mul_i32 s0, ttmp9, s0
	s_delay_alu instid0(SALU_CYCLE_1) | instskip(SKIP_2) | instid1(SALU_CYCLE_1)
	s_add_co_i32 s1, s1, s0
	s_cmp_eq_u32 s5, 0
	s_cselect_b32 s0, ttmp9, s1
	s_lshl_b32 s14, s0, 12
	s_mov_b32 s0, -1
	s_wait_kmcnt 0x0
	s_sub_co_i32 s13, s4, s14
	s_delay_alu instid0(SALU_CYCLE_1)
	s_cmp_gt_i32 s13, 0xfff
	s_cbranch_scc0 .LBB42_98
; %bb.1:
	s_ashr_i32 s15, s14, 31
	s_delay_alu instid0(SALU_CYCLE_1)
	s_add_nc_u64 s[0:1], s[18:19], s[14:15]
	s_add_nc_u64 s[4:5], s[2:3], s[14:15]
	s_clause 0x7
	global_load_b32 v6, v0, s[0:1] scale_offset
	global_load_b32 v12, v0, s[0:1] offset:1024 scale_offset
	global_load_b32 v8, v0, s[4:5] scale_offset
	global_load_b32 v9, v0, s[0:1] offset:2048 scale_offset
	global_load_b32 v3, v0, s[0:1] offset:3072 scale_offset
	;; [unrolled: 1-line block ×5, first 2 shown]
	s_wait_xcnt 0x3
	s_mov_b32 s0, exec_lo
	s_wait_loadcnt 0x5
	v_mov_b32_e32 v4, v8
	v_and_b32_e32 v2, 0xff, v6
	s_wait_xcnt 0x0
	s_delay_alu instid0(VALU_DEP_1)
	v_cmpx_ne_u16_e32 0, v2
	s_cbranch_execz .LBB42_5
; %bb.2:
	v_dual_mov_b32 v5, v6 :: v_dual_mov_b32 v2, v8
	s_mov_b32 s1, 0
.LBB42_3:                               ; =>This Inner Loop Header: Depth=1
	s_delay_alu instid0(VALU_DEP_1) | instskip(NEXT) | instid1(VALU_DEP_2)
	v_cvt_f32_ubyte0_e32 v11, v2
	v_mov_b32_e32 v4, v5
	s_delay_alu instid0(VALU_DEP_1) | instskip(NEXT) | instid1(VALU_DEP_1)
	v_cvt_f32_ubyte0_e32 v5, v4
	v_rcp_iflag_f32_e32 v10, v5
	v_nop
	s_delay_alu instid0(TRANS32_DEP_1) | instskip(NEXT) | instid1(VALU_DEP_1)
	v_mul_f32_e32 v10, v11, v10
	v_trunc_f32_e32 v10, v10
	s_delay_alu instid0(VALU_DEP_1) | instskip(SKIP_1) | instid1(VALU_DEP_2)
	v_fma_f32 v11, -v10, v5, v11
	v_cvt_u32_f32_e32 v10, v10
	v_cmp_ge_f32_e64 vcc_lo, |v11|, v5
	s_delay_alu instid0(VALU_DEP_1) | instskip(NEXT) | instid1(VALU_DEP_1)
	v_add_co_ci_u32_e64 v5, null, 0, v10, vcc_lo
	v_mul_lo_u32 v5, v5, v4
	s_delay_alu instid0(VALU_DEP_1) | instskip(NEXT) | instid1(VALU_DEP_1)
	v_sub_nc_u32_e32 v2, v2, v5
	v_and_b32_e32 v5, 0xff, v2
	v_mov_b32_e32 v2, v4
	s_delay_alu instid0(VALU_DEP_2) | instskip(SKIP_1) | instid1(SALU_CYCLE_1)
	v_cmp_eq_u16_e32 vcc_lo, 0, v5
	s_or_b32 s1, vcc_lo, s1
	s_and_not1_b32 exec_lo, exec_lo, s1
	s_cbranch_execnz .LBB42_3
; %bb.4:
	s_or_b32 exec_lo, exec_lo, s1
.LBB42_5:
	s_delay_alu instid0(SALU_CYCLE_1) | instskip(SKIP_3) | instid1(VALU_DEP_2)
	s_or_b32 exec_lo, exec_lo, s0
	v_and_b32_e32 v5, 0xff, v4
	v_mov_b32_e32 v2, 0
	s_mov_b32 s0, exec_lo
	v_cmpx_ne_u16_e32 0, v5
	s_cbranch_execz .LBB42_7
; %bb.6:
	v_cvt_f32_ubyte0_e32 v2, v4
	v_cvt_f32_ubyte0_e32 v5, v6
	s_delay_alu instid0(VALU_DEP_2) | instskip(SKIP_1) | instid1(TRANS32_DEP_1)
	v_rcp_iflag_f32_e32 v4, v2
	v_nop
	v_mul_f32_e32 v4, v5, v4
	s_delay_alu instid0(VALU_DEP_1) | instskip(NEXT) | instid1(VALU_DEP_1)
	v_trunc_f32_e32 v4, v4
	v_fma_f32 v5, -v4, v2, v5
	v_cvt_u32_f32_e32 v4, v4
	s_delay_alu instid0(VALU_DEP_2) | instskip(NEXT) | instid1(VALU_DEP_1)
	v_cmp_ge_f32_e64 vcc_lo, |v5|, v2
	v_add_co_ci_u32_e64 v2, null, 0, v4, vcc_lo
	s_delay_alu instid0(VALU_DEP_1)
	v_mul_lo_u16 v2, v2, v8
.LBB42_7:
	s_or_b32 exec_lo, exec_lo, s0
	v_dual_lshrrev_b32 v5, 8, v6 :: v_dual_lshrrev_b32 v10, 8, v8
	s_mov_b32 s1, 0
	s_mov_b32 s0, exec_lo
	s_delay_alu instid0(VALU_DEP_1) | instskip(NEXT) | instid1(VALU_DEP_1)
	v_and_b32_e32 v4, 0xff, v5
	v_cmpx_ne_u16_e32 0, v4
	s_cbranch_execz .LBB42_11
; %bb.8:
	v_mov_b32_e32 v11, v5
.LBB42_9:                               ; =>This Inner Loop Header: Depth=1
	v_cvt_f32_ubyte0_e32 v15, v10
	s_delay_alu instid0(VALU_DEP_2) | instskip(NEXT) | instid1(VALU_DEP_1)
	v_mov_b32_e32 v4, v11
	v_cvt_f32_ubyte0_e32 v11, v4
	s_delay_alu instid0(VALU_DEP_1) | instskip(SKIP_1) | instid1(TRANS32_DEP_1)
	v_rcp_iflag_f32_e32 v14, v11
	v_nop
	v_mul_f32_e32 v14, v15, v14
	s_delay_alu instid0(VALU_DEP_1) | instskip(NEXT) | instid1(VALU_DEP_1)
	v_trunc_f32_e32 v14, v14
	v_fma_f32 v15, -v14, v11, v15
	v_cvt_u32_f32_e32 v14, v14
	s_delay_alu instid0(VALU_DEP_2) | instskip(NEXT) | instid1(VALU_DEP_1)
	v_cmp_ge_f32_e64 vcc_lo, |v15|, v11
	v_add_co_ci_u32_e64 v11, null, 0, v14, vcc_lo
	s_delay_alu instid0(VALU_DEP_1) | instskip(NEXT) | instid1(VALU_DEP_1)
	v_mul_lo_u32 v11, v11, v4
	v_sub_nc_u32_e32 v10, v10, v11
	s_delay_alu instid0(VALU_DEP_1) | instskip(SKIP_1) | instid1(VALU_DEP_2)
	v_and_b32_e32 v11, 0xff, v10
	v_mov_b32_e32 v10, v4
	v_cmp_eq_u16_e32 vcc_lo, 0, v11
	s_or_b32 s1, vcc_lo, s1
	s_delay_alu instid0(SALU_CYCLE_1)
	s_and_not1_b32 exec_lo, exec_lo, s1
	s_cbranch_execnz .LBB42_9
; %bb.10:
	s_or_b32 exec_lo, exec_lo, s1
	v_mov_b32_e32 v10, v4
.LBB42_11:
	s_or_b32 exec_lo, exec_lo, s0
	s_delay_alu instid0(VALU_DEP_1) | instskip(SKIP_2) | instid1(VALU_DEP_2)
	v_and_b32_e32 v11, 0xff, v10
	v_mov_b32_e32 v4, 0
	s_mov_b32 s0, exec_lo
	v_cmpx_ne_u16_e32 0, v11
	s_cbranch_execz .LBB42_13
; %bb.12:
	v_cvt_f32_ubyte0_e32 v4, v10
	v_cvt_f32_ubyte0_e32 v5, v5
	v_lshrrev_b32_e32 v11, 8, v8
	s_delay_alu instid0(VALU_DEP_3) | instskip(SKIP_1) | instid1(TRANS32_DEP_1)
	v_rcp_iflag_f32_e32 v10, v4
	v_nop
	v_mul_f32_e32 v10, v5, v10
	s_delay_alu instid0(VALU_DEP_1) | instskip(NEXT) | instid1(VALU_DEP_1)
	v_trunc_f32_e32 v10, v10
	v_fma_f32 v5, -v10, v4, v5
	v_cvt_u32_f32_e32 v10, v10
	s_delay_alu instid0(VALU_DEP_2) | instskip(NEXT) | instid1(VALU_DEP_1)
	v_cmp_ge_f32_e64 vcc_lo, |v5|, v4
	v_add_co_ci_u32_e64 v4, null, 0, v10, vcc_lo
	s_delay_alu instid0(VALU_DEP_1)
	v_mul_lo_u16 v4, v4, v11
.LBB42_13:
	s_or_b32 exec_lo, exec_lo, s0
	v_dual_lshrrev_b32 v10, 16, v6 :: v_dual_lshrrev_b32 v11, 16, v8
	s_mov_b32 s1, 0
	s_mov_b32 s0, exec_lo
	s_delay_alu instid0(VALU_DEP_1) | instskip(NEXT) | instid1(VALU_DEP_1)
	v_and_b32_e32 v5, 0xff, v10
	v_cmpx_ne_u16_e32 0, v5
	s_cbranch_execz .LBB42_17
; %bb.14:
	v_mov_b32_e32 v14, v10
.LBB42_15:                              ; =>This Inner Loop Header: Depth=1
	v_cvt_f32_ubyte0_e32 v16, v11
	s_delay_alu instid0(VALU_DEP_2) | instskip(NEXT) | instid1(VALU_DEP_1)
	v_mov_b32_e32 v5, v14
	v_cvt_f32_ubyte0_e32 v14, v5
	s_delay_alu instid0(VALU_DEP_1) | instskip(SKIP_1) | instid1(TRANS32_DEP_1)
	v_rcp_iflag_f32_e32 v15, v14
	v_nop
	v_mul_f32_e32 v15, v16, v15
	s_delay_alu instid0(VALU_DEP_1) | instskip(NEXT) | instid1(VALU_DEP_1)
	v_trunc_f32_e32 v15, v15
	v_fma_f32 v16, -v15, v14, v16
	v_cvt_u32_f32_e32 v15, v15
	s_delay_alu instid0(VALU_DEP_2) | instskip(NEXT) | instid1(VALU_DEP_1)
	v_cmp_ge_f32_e64 vcc_lo, |v16|, v14
	v_add_co_ci_u32_e64 v14, null, 0, v15, vcc_lo
	s_delay_alu instid0(VALU_DEP_1) | instskip(NEXT) | instid1(VALU_DEP_1)
	v_mul_lo_u32 v14, v14, v5
	v_sub_nc_u32_e32 v11, v11, v14
	s_delay_alu instid0(VALU_DEP_1) | instskip(SKIP_1) | instid1(VALU_DEP_2)
	v_and_b32_e32 v14, 0xff, v11
	v_mov_b32_e32 v11, v5
	v_cmp_eq_u16_e32 vcc_lo, 0, v14
	s_or_b32 s1, vcc_lo, s1
	s_delay_alu instid0(SALU_CYCLE_1)
	s_and_not1_b32 exec_lo, exec_lo, s1
	s_cbranch_execnz .LBB42_15
; %bb.16:
	s_or_b32 exec_lo, exec_lo, s1
	v_mov_b32_e32 v11, v5
.LBB42_17:
	s_or_b32 exec_lo, exec_lo, s0
	s_delay_alu instid0(VALU_DEP_1) | instskip(SKIP_2) | instid1(VALU_DEP_2)
	v_and_b32_e32 v14, 0xff, v11
	v_mov_b32_e32 v5, 0
	s_mov_b32 s0, exec_lo
	v_cmpx_ne_u16_e32 0, v14
	s_cbranch_execz .LBB42_19
; %bb.18:
	v_cvt_f32_ubyte0_e32 v5, v11
	v_cvt_f32_ubyte0_e32 v10, v10
	v_lshrrev_b32_e32 v14, 16, v8
	s_delay_alu instid0(VALU_DEP_3) | instskip(SKIP_1) | instid1(TRANS32_DEP_1)
	v_rcp_iflag_f32_e32 v11, v5
	v_nop
	v_mul_f32_e32 v11, v10, v11
	s_delay_alu instid0(VALU_DEP_1) | instskip(NEXT) | instid1(VALU_DEP_1)
	v_trunc_f32_e32 v11, v11
	v_fma_f32 v10, -v11, v5, v10
	v_cvt_u32_f32_e32 v11, v11
	s_delay_alu instid0(VALU_DEP_2) | instskip(NEXT) | instid1(VALU_DEP_1)
	v_cmp_ge_f32_e64 vcc_lo, |v10|, v5
	v_add_co_ci_u32_e64 v5, null, 0, v11, vcc_lo
	s_delay_alu instid0(VALU_DEP_1)
	v_mul_lo_u16 v5, v5, v14
.LBB42_19:
	s_or_b32 exec_lo, exec_lo, s0
	v_dual_lshrrev_b32 v10, 24, v6 :: v_dual_lshrrev_b32 v11, 24, v8
	s_mov_b32 s0, exec_lo
	v_cmpx_lt_u32_e32 0xffffff, v6
	s_cbranch_execz .LBB42_23
; %bb.20:
	s_delay_alu instid0(VALU_DEP_2)
	v_mov_b32_e32 v14, v10
	s_mov_b32 s1, 0
.LBB42_21:                              ; =>This Inner Loop Header: Depth=1
	v_cvt_f32_ubyte0_e32 v16, v11
	s_delay_alu instid0(VALU_DEP_2) | instskip(NEXT) | instid1(VALU_DEP_1)
	v_mov_b32_e32 v6, v14
	v_cvt_f32_ubyte0_e32 v14, v6
	s_delay_alu instid0(VALU_DEP_1) | instskip(SKIP_1) | instid1(TRANS32_DEP_1)
	v_rcp_iflag_f32_e32 v15, v14
	v_nop
	v_mul_f32_e32 v15, v16, v15
	s_delay_alu instid0(VALU_DEP_1) | instskip(NEXT) | instid1(VALU_DEP_1)
	v_trunc_f32_e32 v15, v15
	v_fma_f32 v16, -v15, v14, v16
	v_cvt_u32_f32_e32 v15, v15
	s_delay_alu instid0(VALU_DEP_2) | instskip(NEXT) | instid1(VALU_DEP_1)
	v_cmp_ge_f32_e64 vcc_lo, |v16|, v14
	v_add_co_ci_u32_e64 v14, null, 0, v15, vcc_lo
	s_delay_alu instid0(VALU_DEP_1) | instskip(NEXT) | instid1(VALU_DEP_1)
	v_mul_lo_u32 v14, v14, v6
	v_sub_nc_u32_e32 v11, v11, v14
	s_delay_alu instid0(VALU_DEP_1) | instskip(SKIP_1) | instid1(VALU_DEP_2)
	v_and_b32_e32 v14, 0xff, v11
	v_mov_b32_e32 v11, v6
	v_cmp_eq_u16_e32 vcc_lo, 0, v14
	s_or_b32 s1, vcc_lo, s1
	s_delay_alu instid0(SALU_CYCLE_1)
	s_and_not1_b32 exec_lo, exec_lo, s1
	s_cbranch_execnz .LBB42_21
; %bb.22:
	s_or_b32 exec_lo, exec_lo, s1
	v_mov_b32_e32 v11, v6
.LBB42_23:
	s_or_b32 exec_lo, exec_lo, s0
	s_delay_alu instid0(VALU_DEP_1) | instskip(SKIP_2) | instid1(VALU_DEP_2)
	v_and_b32_e32 v14, 0xff, v11
	v_mov_b32_e32 v6, 0
	s_mov_b32 s0, exec_lo
	v_cmpx_ne_u16_e32 0, v14
	s_cbranch_execz .LBB42_25
; %bb.24:
	v_cvt_f32_ubyte0_e32 v6, v11
	v_cvt_f32_ubyte0_e32 v10, v10
	v_lshrrev_b32_e32 v8, 24, v8
	s_delay_alu instid0(VALU_DEP_3) | instskip(SKIP_1) | instid1(TRANS32_DEP_1)
	v_rcp_iflag_f32_e32 v11, v6
	v_nop
	v_mul_f32_e32 v11, v10, v11
	s_delay_alu instid0(VALU_DEP_1) | instskip(NEXT) | instid1(VALU_DEP_1)
	v_trunc_f32_e32 v11, v11
	v_fma_f32 v10, -v11, v6, v10
	v_cvt_u32_f32_e32 v11, v11
	s_delay_alu instid0(VALU_DEP_2) | instskip(NEXT) | instid1(VALU_DEP_1)
	v_cmp_ge_f32_e64 vcc_lo, |v10|, v6
	v_add_co_ci_u32_e64 v6, null, 0, v11, vcc_lo
	s_delay_alu instid0(VALU_DEP_1)
	v_mul_lo_u16 v6, v6, v8
.LBB42_25:
	s_or_b32 exec_lo, exec_lo, s0
	v_and_b32_e32 v8, 0xff, v12
	s_wait_loadcnt 0x2
	v_mov_b32_e32 v10, v13
	s_mov_b32 s1, 0
	s_mov_b32 s0, exec_lo
	v_cmpx_ne_u16_e32 0, v8
	s_cbranch_execz .LBB42_29
; %bb.26:
	v_dual_mov_b32 v11, v12 :: v_dual_mov_b32 v8, v13
.LBB42_27:                              ; =>This Inner Loop Header: Depth=1
	s_delay_alu instid0(VALU_DEP_1) | instskip(NEXT) | instid1(VALU_DEP_2)
	v_cvt_f32_ubyte0_e32 v15, v8
	v_mov_b32_e32 v10, v11
	s_delay_alu instid0(VALU_DEP_1) | instskip(NEXT) | instid1(VALU_DEP_1)
	v_cvt_f32_ubyte0_e32 v11, v10
	v_rcp_iflag_f32_e32 v14, v11
	v_nop
	s_delay_alu instid0(TRANS32_DEP_1) | instskip(NEXT) | instid1(VALU_DEP_1)
	v_mul_f32_e32 v14, v15, v14
	v_trunc_f32_e32 v14, v14
	s_delay_alu instid0(VALU_DEP_1) | instskip(SKIP_1) | instid1(VALU_DEP_2)
	v_fma_f32 v15, -v14, v11, v15
	v_cvt_u32_f32_e32 v14, v14
	v_cmp_ge_f32_e64 vcc_lo, |v15|, v11
	s_delay_alu instid0(VALU_DEP_1) | instskip(NEXT) | instid1(VALU_DEP_1)
	v_add_co_ci_u32_e64 v11, null, 0, v14, vcc_lo
	v_mul_lo_u32 v11, v11, v10
	s_delay_alu instid0(VALU_DEP_1) | instskip(NEXT) | instid1(VALU_DEP_1)
	v_sub_nc_u32_e32 v8, v8, v11
	v_and_b32_e32 v11, 0xff, v8
	v_mov_b32_e32 v8, v10
	s_delay_alu instid0(VALU_DEP_2) | instskip(SKIP_1) | instid1(SALU_CYCLE_1)
	v_cmp_eq_u16_e32 vcc_lo, 0, v11
	s_or_b32 s1, vcc_lo, s1
	s_and_not1_b32 exec_lo, exec_lo, s1
	s_cbranch_execnz .LBB42_27
; %bb.28:
	s_or_b32 exec_lo, exec_lo, s1
.LBB42_29:
	s_delay_alu instid0(SALU_CYCLE_1) | instskip(SKIP_3) | instid1(VALU_DEP_2)
	s_or_b32 exec_lo, exec_lo, s0
	v_and_b32_e32 v11, 0xff, v10
	v_mov_b32_e32 v8, 0
	s_mov_b32 s0, exec_lo
	v_cmpx_ne_u16_e32 0, v11
	s_cbranch_execz .LBB42_31
; %bb.30:
	v_cvt_f32_ubyte0_e32 v8, v10
	v_cvt_f32_ubyte0_e32 v11, v12
	s_delay_alu instid0(VALU_DEP_2) | instskip(SKIP_1) | instid1(TRANS32_DEP_1)
	v_rcp_iflag_f32_e32 v10, v8
	v_nop
	v_mul_f32_e32 v10, v11, v10
	s_delay_alu instid0(VALU_DEP_1) | instskip(NEXT) | instid1(VALU_DEP_1)
	v_trunc_f32_e32 v10, v10
	v_fma_f32 v11, -v10, v8, v11
	v_cvt_u32_f32_e32 v10, v10
	s_delay_alu instid0(VALU_DEP_2) | instskip(NEXT) | instid1(VALU_DEP_1)
	v_cmp_ge_f32_e64 vcc_lo, |v11|, v8
	v_add_co_ci_u32_e64 v8, null, 0, v10, vcc_lo
	s_delay_alu instid0(VALU_DEP_1)
	v_mul_lo_u16 v8, v8, v13
.LBB42_31:
	s_or_b32 exec_lo, exec_lo, s0
	v_dual_lshrrev_b32 v11, 8, v12 :: v_dual_lshrrev_b32 v14, 8, v13
	s_mov_b32 s1, 0
	s_mov_b32 s0, exec_lo
	s_delay_alu instid0(VALU_DEP_1) | instskip(NEXT) | instid1(VALU_DEP_1)
	v_and_b32_e32 v10, 0xff, v11
	v_cmpx_ne_u16_e32 0, v10
	s_cbranch_execz .LBB42_35
; %bb.32:
	v_mov_b32_e32 v15, v11
.LBB42_33:                              ; =>This Inner Loop Header: Depth=1
	v_cvt_f32_ubyte0_e32 v17, v14
	s_delay_alu instid0(VALU_DEP_2) | instskip(NEXT) | instid1(VALU_DEP_1)
	v_mov_b32_e32 v10, v15
	v_cvt_f32_ubyte0_e32 v15, v10
	s_delay_alu instid0(VALU_DEP_1) | instskip(SKIP_1) | instid1(TRANS32_DEP_1)
	v_rcp_iflag_f32_e32 v16, v15
	v_nop
	v_mul_f32_e32 v16, v17, v16
	s_delay_alu instid0(VALU_DEP_1) | instskip(NEXT) | instid1(VALU_DEP_1)
	v_trunc_f32_e32 v16, v16
	v_fma_f32 v17, -v16, v15, v17
	v_cvt_u32_f32_e32 v16, v16
	s_delay_alu instid0(VALU_DEP_2) | instskip(NEXT) | instid1(VALU_DEP_1)
	v_cmp_ge_f32_e64 vcc_lo, |v17|, v15
	v_add_co_ci_u32_e64 v15, null, 0, v16, vcc_lo
	s_delay_alu instid0(VALU_DEP_1) | instskip(NEXT) | instid1(VALU_DEP_1)
	v_mul_lo_u32 v15, v15, v10
	v_sub_nc_u32_e32 v14, v14, v15
	s_delay_alu instid0(VALU_DEP_1) | instskip(SKIP_1) | instid1(VALU_DEP_2)
	v_and_b32_e32 v15, 0xff, v14
	v_mov_b32_e32 v14, v10
	v_cmp_eq_u16_e32 vcc_lo, 0, v15
	s_or_b32 s1, vcc_lo, s1
	s_delay_alu instid0(SALU_CYCLE_1)
	s_and_not1_b32 exec_lo, exec_lo, s1
	s_cbranch_execnz .LBB42_33
; %bb.34:
	s_or_b32 exec_lo, exec_lo, s1
	v_mov_b32_e32 v14, v10
.LBB42_35:
	s_or_b32 exec_lo, exec_lo, s0
	s_delay_alu instid0(VALU_DEP_1) | instskip(SKIP_2) | instid1(VALU_DEP_2)
	v_and_b32_e32 v15, 0xff, v14
	v_mov_b32_e32 v10, 0
	s_mov_b32 s0, exec_lo
	v_cmpx_ne_u16_e32 0, v15
	s_cbranch_execz .LBB42_37
; %bb.36:
	v_cvt_f32_ubyte0_e32 v10, v14
	v_cvt_f32_ubyte0_e32 v11, v11
	v_lshrrev_b32_e32 v15, 8, v13
	s_delay_alu instid0(VALU_DEP_3) | instskip(SKIP_1) | instid1(TRANS32_DEP_1)
	v_rcp_iflag_f32_e32 v14, v10
	v_nop
	v_mul_f32_e32 v14, v11, v14
	s_delay_alu instid0(VALU_DEP_1) | instskip(NEXT) | instid1(VALU_DEP_1)
	v_trunc_f32_e32 v14, v14
	v_fma_f32 v11, -v14, v10, v11
	v_cvt_u32_f32_e32 v14, v14
	s_delay_alu instid0(VALU_DEP_2) | instskip(NEXT) | instid1(VALU_DEP_1)
	v_cmp_ge_f32_e64 vcc_lo, |v11|, v10
	v_add_co_ci_u32_e64 v10, null, 0, v14, vcc_lo
	s_delay_alu instid0(VALU_DEP_1)
	v_mul_lo_u16 v10, v10, v15
.LBB42_37:
	s_or_b32 exec_lo, exec_lo, s0
	v_dual_lshrrev_b32 v14, 16, v12 :: v_dual_lshrrev_b32 v15, 16, v13
	s_mov_b32 s1, 0
	s_mov_b32 s0, exec_lo
	s_delay_alu instid0(VALU_DEP_1) | instskip(NEXT) | instid1(VALU_DEP_1)
	v_and_b32_e32 v11, 0xff, v14
	v_cmpx_ne_u16_e32 0, v11
	s_cbranch_execz .LBB42_41
; %bb.38:
	v_mov_b32_e32 v16, v14
.LBB42_39:                              ; =>This Inner Loop Header: Depth=1
	v_cvt_f32_ubyte0_e32 v18, v15
	s_delay_alu instid0(VALU_DEP_2) | instskip(NEXT) | instid1(VALU_DEP_1)
	v_mov_b32_e32 v11, v16
	v_cvt_f32_ubyte0_e32 v16, v11
	s_delay_alu instid0(VALU_DEP_1) | instskip(SKIP_1) | instid1(TRANS32_DEP_1)
	v_rcp_iflag_f32_e32 v17, v16
	v_nop
	v_mul_f32_e32 v17, v18, v17
	s_delay_alu instid0(VALU_DEP_1) | instskip(NEXT) | instid1(VALU_DEP_1)
	v_trunc_f32_e32 v17, v17
	v_fma_f32 v18, -v17, v16, v18
	v_cvt_u32_f32_e32 v17, v17
	s_delay_alu instid0(VALU_DEP_2) | instskip(NEXT) | instid1(VALU_DEP_1)
	v_cmp_ge_f32_e64 vcc_lo, |v18|, v16
	v_add_co_ci_u32_e64 v16, null, 0, v17, vcc_lo
	s_delay_alu instid0(VALU_DEP_1) | instskip(NEXT) | instid1(VALU_DEP_1)
	v_mul_lo_u32 v16, v16, v11
	v_sub_nc_u32_e32 v15, v15, v16
	s_delay_alu instid0(VALU_DEP_1) | instskip(SKIP_1) | instid1(VALU_DEP_2)
	v_and_b32_e32 v16, 0xff, v15
	v_mov_b32_e32 v15, v11
	v_cmp_eq_u16_e32 vcc_lo, 0, v16
	s_or_b32 s1, vcc_lo, s1
	s_delay_alu instid0(SALU_CYCLE_1)
	s_and_not1_b32 exec_lo, exec_lo, s1
	s_cbranch_execnz .LBB42_39
; %bb.40:
	s_or_b32 exec_lo, exec_lo, s1
	v_mov_b32_e32 v15, v11
.LBB42_41:
	s_or_b32 exec_lo, exec_lo, s0
	s_delay_alu instid0(VALU_DEP_1) | instskip(SKIP_2) | instid1(VALU_DEP_2)
	v_and_b32_e32 v16, 0xff, v15
	v_mov_b32_e32 v11, 0
	s_mov_b32 s0, exec_lo
	v_cmpx_ne_u16_e32 0, v16
	s_cbranch_execz .LBB42_43
; %bb.42:
	v_cvt_f32_ubyte0_e32 v11, v15
	v_cvt_f32_ubyte0_e32 v14, v14
	v_lshrrev_b32_e32 v16, 16, v13
	s_delay_alu instid0(VALU_DEP_3) | instskip(SKIP_1) | instid1(TRANS32_DEP_1)
	v_rcp_iflag_f32_e32 v15, v11
	v_nop
	v_mul_f32_e32 v15, v14, v15
	s_delay_alu instid0(VALU_DEP_1) | instskip(NEXT) | instid1(VALU_DEP_1)
	v_trunc_f32_e32 v15, v15
	v_fma_f32 v14, -v15, v11, v14
	v_cvt_u32_f32_e32 v15, v15
	s_delay_alu instid0(VALU_DEP_2) | instskip(NEXT) | instid1(VALU_DEP_1)
	v_cmp_ge_f32_e64 vcc_lo, |v14|, v11
	v_add_co_ci_u32_e64 v11, null, 0, v15, vcc_lo
	s_delay_alu instid0(VALU_DEP_1)
	v_mul_lo_u16 v11, v11, v16
.LBB42_43:
	s_or_b32 exec_lo, exec_lo, s0
	v_dual_lshrrev_b32 v14, 24, v12 :: v_dual_lshrrev_b32 v15, 24, v13
	s_mov_b32 s0, exec_lo
	v_cmpx_lt_u32_e32 0xffffff, v12
	s_cbranch_execz .LBB42_47
; %bb.44:
	s_delay_alu instid0(VALU_DEP_2)
	v_mov_b32_e32 v16, v14
	s_mov_b32 s1, 0
.LBB42_45:                              ; =>This Inner Loop Header: Depth=1
	v_cvt_f32_ubyte0_e32 v18, v15
	s_delay_alu instid0(VALU_DEP_2) | instskip(NEXT) | instid1(VALU_DEP_1)
	v_mov_b32_e32 v12, v16
	v_cvt_f32_ubyte0_e32 v16, v12
	s_delay_alu instid0(VALU_DEP_1) | instskip(SKIP_1) | instid1(TRANS32_DEP_1)
	v_rcp_iflag_f32_e32 v17, v16
	v_nop
	v_mul_f32_e32 v17, v18, v17
	s_delay_alu instid0(VALU_DEP_1) | instskip(NEXT) | instid1(VALU_DEP_1)
	v_trunc_f32_e32 v17, v17
	v_fma_f32 v18, -v17, v16, v18
	v_cvt_u32_f32_e32 v17, v17
	s_delay_alu instid0(VALU_DEP_2) | instskip(NEXT) | instid1(VALU_DEP_1)
	v_cmp_ge_f32_e64 vcc_lo, |v18|, v16
	v_add_co_ci_u32_e64 v16, null, 0, v17, vcc_lo
	s_delay_alu instid0(VALU_DEP_1) | instskip(NEXT) | instid1(VALU_DEP_1)
	v_mul_lo_u32 v16, v16, v12
	v_sub_nc_u32_e32 v15, v15, v16
	s_delay_alu instid0(VALU_DEP_1) | instskip(SKIP_1) | instid1(VALU_DEP_2)
	v_and_b32_e32 v16, 0xff, v15
	v_mov_b32_e32 v15, v12
	v_cmp_eq_u16_e32 vcc_lo, 0, v16
	s_or_b32 s1, vcc_lo, s1
	s_delay_alu instid0(SALU_CYCLE_1)
	s_and_not1_b32 exec_lo, exec_lo, s1
	s_cbranch_execnz .LBB42_45
; %bb.46:
	s_or_b32 exec_lo, exec_lo, s1
	v_mov_b32_e32 v15, v12
.LBB42_47:
	s_or_b32 exec_lo, exec_lo, s0
	s_delay_alu instid0(VALU_DEP_1) | instskip(SKIP_2) | instid1(VALU_DEP_2)
	v_and_b32_e32 v16, 0xff, v15
	v_mov_b32_e32 v12, 0
	s_mov_b32 s0, exec_lo
	v_cmpx_ne_u16_e32 0, v16
	s_cbranch_execz .LBB42_49
; %bb.48:
	v_cvt_f32_ubyte0_e32 v12, v15
	v_cvt_f32_ubyte0_e32 v14, v14
	v_lshrrev_b32_e32 v13, 24, v13
	s_delay_alu instid0(VALU_DEP_3) | instskip(SKIP_1) | instid1(TRANS32_DEP_1)
	v_rcp_iflag_f32_e32 v15, v12
	v_nop
	v_mul_f32_e32 v15, v14, v15
	s_delay_alu instid0(VALU_DEP_1) | instskip(NEXT) | instid1(VALU_DEP_1)
	v_trunc_f32_e32 v15, v15
	v_fma_f32 v14, -v15, v12, v14
	v_cvt_u32_f32_e32 v15, v15
	s_delay_alu instid0(VALU_DEP_2) | instskip(NEXT) | instid1(VALU_DEP_1)
	v_cmp_ge_f32_e64 vcc_lo, |v14|, v12
	v_add_co_ci_u32_e64 v12, null, 0, v15, vcc_lo
	s_delay_alu instid0(VALU_DEP_1)
	v_mul_lo_u16 v12, v12, v13
.LBB42_49:
	s_or_b32 exec_lo, exec_lo, s0
	v_and_b32_e32 v13, 0xff, v9
	s_wait_loadcnt 0x1
	v_mov_b32_e32 v14, v7
	s_mov_b32 s1, 0
	s_mov_b32 s0, exec_lo
	v_cmpx_ne_u16_e32 0, v13
	s_cbranch_execz .LBB42_53
; %bb.50:
	v_dual_mov_b32 v15, v9 :: v_dual_mov_b32 v13, v7
.LBB42_51:                              ; =>This Inner Loop Header: Depth=1
	s_delay_alu instid0(VALU_DEP_1) | instskip(NEXT) | instid1(VALU_DEP_2)
	v_cvt_f32_ubyte0_e32 v17, v13
	v_mov_b32_e32 v14, v15
	s_delay_alu instid0(VALU_DEP_1) | instskip(NEXT) | instid1(VALU_DEP_1)
	v_cvt_f32_ubyte0_e32 v15, v14
	v_rcp_iflag_f32_e32 v16, v15
	v_nop
	s_delay_alu instid0(TRANS32_DEP_1) | instskip(NEXT) | instid1(VALU_DEP_1)
	v_mul_f32_e32 v16, v17, v16
	v_trunc_f32_e32 v16, v16
	s_delay_alu instid0(VALU_DEP_1) | instskip(SKIP_1) | instid1(VALU_DEP_2)
	v_fma_f32 v17, -v16, v15, v17
	v_cvt_u32_f32_e32 v16, v16
	v_cmp_ge_f32_e64 vcc_lo, |v17|, v15
	s_delay_alu instid0(VALU_DEP_1) | instskip(NEXT) | instid1(VALU_DEP_1)
	v_add_co_ci_u32_e64 v15, null, 0, v16, vcc_lo
	v_mul_lo_u32 v15, v15, v14
	s_delay_alu instid0(VALU_DEP_1) | instskip(NEXT) | instid1(VALU_DEP_1)
	v_sub_nc_u32_e32 v13, v13, v15
	v_and_b32_e32 v15, 0xff, v13
	v_mov_b32_e32 v13, v14
	s_delay_alu instid0(VALU_DEP_2) | instskip(SKIP_1) | instid1(SALU_CYCLE_1)
	v_cmp_eq_u16_e32 vcc_lo, 0, v15
	s_or_b32 s1, vcc_lo, s1
	s_and_not1_b32 exec_lo, exec_lo, s1
	s_cbranch_execnz .LBB42_51
; %bb.52:
	s_or_b32 exec_lo, exec_lo, s1
.LBB42_53:
	s_delay_alu instid0(SALU_CYCLE_1) | instskip(SKIP_3) | instid1(VALU_DEP_2)
	s_or_b32 exec_lo, exec_lo, s0
	v_and_b32_e32 v15, 0xff, v14
	v_mov_b32_e32 v13, 0
	s_mov_b32 s0, exec_lo
	v_cmpx_ne_u16_e32 0, v15
	s_cbranch_execz .LBB42_55
; %bb.54:
	v_cvt_f32_ubyte0_e32 v13, v14
	v_cvt_f32_ubyte0_e32 v15, v9
	s_delay_alu instid0(VALU_DEP_2) | instskip(SKIP_1) | instid1(TRANS32_DEP_1)
	v_rcp_iflag_f32_e32 v14, v13
	v_nop
	v_mul_f32_e32 v14, v15, v14
	s_delay_alu instid0(VALU_DEP_1) | instskip(NEXT) | instid1(VALU_DEP_1)
	v_trunc_f32_e32 v14, v14
	v_fma_f32 v15, -v14, v13, v15
	v_cvt_u32_f32_e32 v14, v14
	s_delay_alu instid0(VALU_DEP_2) | instskip(NEXT) | instid1(VALU_DEP_1)
	v_cmp_ge_f32_e64 vcc_lo, |v15|, v13
	v_add_co_ci_u32_e64 v13, null, 0, v14, vcc_lo
	s_delay_alu instid0(VALU_DEP_1)
	v_mul_lo_u16 v13, v13, v7
.LBB42_55:
	s_or_b32 exec_lo, exec_lo, s0
	v_dual_lshrrev_b32 v15, 8, v9 :: v_dual_lshrrev_b32 v16, 8, v7
	s_mov_b32 s1, 0
	s_mov_b32 s0, exec_lo
	s_delay_alu instid0(VALU_DEP_1) | instskip(NEXT) | instid1(VALU_DEP_1)
	v_and_b32_e32 v14, 0xff, v15
	v_cmpx_ne_u16_e32 0, v14
	s_cbranch_execz .LBB42_59
; %bb.56:
	v_mov_b32_e32 v17, v15
.LBB42_57:                              ; =>This Inner Loop Header: Depth=1
	v_cvt_f32_ubyte0_e32 v19, v16
	s_delay_alu instid0(VALU_DEP_2) | instskip(NEXT) | instid1(VALU_DEP_1)
	v_mov_b32_e32 v14, v17
	v_cvt_f32_ubyte0_e32 v17, v14
	s_delay_alu instid0(VALU_DEP_1) | instskip(SKIP_1) | instid1(TRANS32_DEP_1)
	v_rcp_iflag_f32_e32 v18, v17
	v_nop
	v_mul_f32_e32 v18, v19, v18
	s_delay_alu instid0(VALU_DEP_1) | instskip(NEXT) | instid1(VALU_DEP_1)
	v_trunc_f32_e32 v18, v18
	v_fma_f32 v19, -v18, v17, v19
	v_cvt_u32_f32_e32 v18, v18
	s_delay_alu instid0(VALU_DEP_2) | instskip(NEXT) | instid1(VALU_DEP_1)
	v_cmp_ge_f32_e64 vcc_lo, |v19|, v17
	v_add_co_ci_u32_e64 v17, null, 0, v18, vcc_lo
	s_delay_alu instid0(VALU_DEP_1) | instskip(NEXT) | instid1(VALU_DEP_1)
	v_mul_lo_u32 v17, v17, v14
	v_sub_nc_u32_e32 v16, v16, v17
	s_delay_alu instid0(VALU_DEP_1) | instskip(SKIP_1) | instid1(VALU_DEP_2)
	v_and_b32_e32 v17, 0xff, v16
	v_mov_b32_e32 v16, v14
	v_cmp_eq_u16_e32 vcc_lo, 0, v17
	s_or_b32 s1, vcc_lo, s1
	s_delay_alu instid0(SALU_CYCLE_1)
	s_and_not1_b32 exec_lo, exec_lo, s1
	s_cbranch_execnz .LBB42_57
; %bb.58:
	s_or_b32 exec_lo, exec_lo, s1
	v_mov_b32_e32 v16, v14
.LBB42_59:
	s_or_b32 exec_lo, exec_lo, s0
	s_delay_alu instid0(VALU_DEP_1) | instskip(SKIP_2) | instid1(VALU_DEP_2)
	v_and_b32_e32 v17, 0xff, v16
	v_mov_b32_e32 v14, 0
	s_mov_b32 s0, exec_lo
	v_cmpx_ne_u16_e32 0, v17
	s_cbranch_execz .LBB42_61
; %bb.60:
	v_cvt_f32_ubyte0_e32 v14, v16
	v_cvt_f32_ubyte0_e32 v15, v15
	v_lshrrev_b32_e32 v17, 8, v7
	s_delay_alu instid0(VALU_DEP_3) | instskip(SKIP_1) | instid1(TRANS32_DEP_1)
	v_rcp_iflag_f32_e32 v16, v14
	v_nop
	v_mul_f32_e32 v16, v15, v16
	s_delay_alu instid0(VALU_DEP_1) | instskip(NEXT) | instid1(VALU_DEP_1)
	v_trunc_f32_e32 v16, v16
	v_fma_f32 v15, -v16, v14, v15
	v_cvt_u32_f32_e32 v16, v16
	s_delay_alu instid0(VALU_DEP_2) | instskip(NEXT) | instid1(VALU_DEP_1)
	v_cmp_ge_f32_e64 vcc_lo, |v15|, v14
	v_add_co_ci_u32_e64 v14, null, 0, v16, vcc_lo
	s_delay_alu instid0(VALU_DEP_1)
	v_mul_lo_u16 v14, v14, v17
.LBB42_61:
	s_or_b32 exec_lo, exec_lo, s0
	v_dual_lshrrev_b32 v16, 16, v9 :: v_dual_lshrrev_b32 v17, 16, v7
	s_mov_b32 s1, 0
	s_mov_b32 s0, exec_lo
	s_delay_alu instid0(VALU_DEP_1) | instskip(NEXT) | instid1(VALU_DEP_1)
	v_and_b32_e32 v15, 0xff, v16
	v_cmpx_ne_u16_e32 0, v15
	s_cbranch_execz .LBB42_65
; %bb.62:
	v_mov_b32_e32 v18, v16
.LBB42_63:                              ; =>This Inner Loop Header: Depth=1
	v_cvt_f32_ubyte0_e32 v20, v17
	s_delay_alu instid0(VALU_DEP_2) | instskip(NEXT) | instid1(VALU_DEP_1)
	v_mov_b32_e32 v15, v18
	v_cvt_f32_ubyte0_e32 v18, v15
	s_delay_alu instid0(VALU_DEP_1) | instskip(SKIP_1) | instid1(TRANS32_DEP_1)
	v_rcp_iflag_f32_e32 v19, v18
	v_nop
	v_mul_f32_e32 v19, v20, v19
	s_delay_alu instid0(VALU_DEP_1) | instskip(NEXT) | instid1(VALU_DEP_1)
	v_trunc_f32_e32 v19, v19
	v_fma_f32 v20, -v19, v18, v20
	v_cvt_u32_f32_e32 v19, v19
	s_delay_alu instid0(VALU_DEP_2) | instskip(NEXT) | instid1(VALU_DEP_1)
	v_cmp_ge_f32_e64 vcc_lo, |v20|, v18
	v_add_co_ci_u32_e64 v18, null, 0, v19, vcc_lo
	s_delay_alu instid0(VALU_DEP_1) | instskip(NEXT) | instid1(VALU_DEP_1)
	v_mul_lo_u32 v18, v18, v15
	v_sub_nc_u32_e32 v17, v17, v18
	s_delay_alu instid0(VALU_DEP_1) | instskip(SKIP_1) | instid1(VALU_DEP_2)
	v_and_b32_e32 v18, 0xff, v17
	v_mov_b32_e32 v17, v15
	v_cmp_eq_u16_e32 vcc_lo, 0, v18
	s_or_b32 s1, vcc_lo, s1
	s_delay_alu instid0(SALU_CYCLE_1)
	s_and_not1_b32 exec_lo, exec_lo, s1
	s_cbranch_execnz .LBB42_63
; %bb.64:
	s_or_b32 exec_lo, exec_lo, s1
	v_mov_b32_e32 v17, v15
.LBB42_65:
	s_or_b32 exec_lo, exec_lo, s0
	s_delay_alu instid0(VALU_DEP_1) | instskip(SKIP_2) | instid1(VALU_DEP_2)
	v_and_b32_e32 v18, 0xff, v17
	v_mov_b32_e32 v15, 0
	s_mov_b32 s0, exec_lo
	v_cmpx_ne_u16_e32 0, v18
	s_cbranch_execz .LBB42_67
; %bb.66:
	v_cvt_f32_ubyte0_e32 v15, v17
	v_cvt_f32_ubyte0_e32 v16, v16
	v_lshrrev_b32_e32 v18, 16, v7
	s_delay_alu instid0(VALU_DEP_3) | instskip(SKIP_1) | instid1(TRANS32_DEP_1)
	v_rcp_iflag_f32_e32 v17, v15
	v_nop
	v_mul_f32_e32 v17, v16, v17
	s_delay_alu instid0(VALU_DEP_1) | instskip(NEXT) | instid1(VALU_DEP_1)
	v_trunc_f32_e32 v17, v17
	v_fma_f32 v16, -v17, v15, v16
	v_cvt_u32_f32_e32 v17, v17
	s_delay_alu instid0(VALU_DEP_2) | instskip(NEXT) | instid1(VALU_DEP_1)
	v_cmp_ge_f32_e64 vcc_lo, |v16|, v15
	v_add_co_ci_u32_e64 v15, null, 0, v17, vcc_lo
	s_delay_alu instid0(VALU_DEP_1)
	v_mul_lo_u16 v15, v15, v18
.LBB42_67:
	s_or_b32 exec_lo, exec_lo, s0
	v_dual_lshrrev_b32 v16, 24, v9 :: v_dual_lshrrev_b32 v17, 24, v7
	s_mov_b32 s0, exec_lo
	v_cmpx_lt_u32_e32 0xffffff, v9
	s_cbranch_execz .LBB42_71
; %bb.68:
	s_delay_alu instid0(VALU_DEP_2)
	v_mov_b32_e32 v18, v16
	s_mov_b32 s1, 0
.LBB42_69:                              ; =>This Inner Loop Header: Depth=1
	v_cvt_f32_ubyte0_e32 v20, v17
	s_delay_alu instid0(VALU_DEP_2) | instskip(NEXT) | instid1(VALU_DEP_1)
	v_mov_b32_e32 v9, v18
	v_cvt_f32_ubyte0_e32 v18, v9
	s_delay_alu instid0(VALU_DEP_1) | instskip(SKIP_1) | instid1(TRANS32_DEP_1)
	v_rcp_iflag_f32_e32 v19, v18
	v_nop
	v_mul_f32_e32 v19, v20, v19
	s_delay_alu instid0(VALU_DEP_1) | instskip(NEXT) | instid1(VALU_DEP_1)
	v_trunc_f32_e32 v19, v19
	v_fma_f32 v20, -v19, v18, v20
	v_cvt_u32_f32_e32 v19, v19
	s_delay_alu instid0(VALU_DEP_2) | instskip(NEXT) | instid1(VALU_DEP_1)
	v_cmp_ge_f32_e64 vcc_lo, |v20|, v18
	v_add_co_ci_u32_e64 v18, null, 0, v19, vcc_lo
	s_delay_alu instid0(VALU_DEP_1) | instskip(NEXT) | instid1(VALU_DEP_1)
	v_mul_lo_u32 v18, v18, v9
	v_sub_nc_u32_e32 v17, v17, v18
	s_delay_alu instid0(VALU_DEP_1) | instskip(SKIP_1) | instid1(VALU_DEP_2)
	v_and_b32_e32 v18, 0xff, v17
	v_mov_b32_e32 v17, v9
	v_cmp_eq_u16_e32 vcc_lo, 0, v18
	s_or_b32 s1, vcc_lo, s1
	s_delay_alu instid0(SALU_CYCLE_1)
	s_and_not1_b32 exec_lo, exec_lo, s1
	s_cbranch_execnz .LBB42_69
; %bb.70:
	s_or_b32 exec_lo, exec_lo, s1
	v_mov_b32_e32 v17, v9
.LBB42_71:
	s_or_b32 exec_lo, exec_lo, s0
	s_delay_alu instid0(VALU_DEP_1) | instskip(SKIP_2) | instid1(VALU_DEP_2)
	v_and_b32_e32 v18, 0xff, v17
	v_mov_b32_e32 v9, 0
	s_mov_b32 s0, exec_lo
	v_cmpx_ne_u16_e32 0, v18
	s_cbranch_execz .LBB42_73
; %bb.72:
	v_cvt_f32_ubyte0_e32 v9, v17
	v_cvt_f32_ubyte0_e32 v16, v16
	v_lshrrev_b32_e32 v7, 24, v7
	s_delay_alu instid0(VALU_DEP_3) | instskip(SKIP_1) | instid1(TRANS32_DEP_1)
	v_rcp_iflag_f32_e32 v17, v9
	v_nop
	v_mul_f32_e32 v17, v16, v17
	s_delay_alu instid0(VALU_DEP_1) | instskip(NEXT) | instid1(VALU_DEP_1)
	v_trunc_f32_e32 v17, v17
	v_fma_f32 v16, -v17, v9, v16
	v_cvt_u32_f32_e32 v17, v17
	s_delay_alu instid0(VALU_DEP_2) | instskip(NEXT) | instid1(VALU_DEP_1)
	v_cmp_ge_f32_e64 vcc_lo, |v16|, v9
	v_add_co_ci_u32_e64 v9, null, 0, v17, vcc_lo
	s_delay_alu instid0(VALU_DEP_1)
	v_mul_lo_u16 v9, v9, v7
.LBB42_73:
	s_or_b32 exec_lo, exec_lo, s0
	v_and_b32_e32 v7, 0xff, v3
	s_wait_loadcnt 0x0
	v_mov_b32_e32 v16, v1
	s_mov_b32 s1, 0
	s_mov_b32 s0, exec_lo
	v_cmpx_ne_u16_e32 0, v7
	s_cbranch_execz .LBB42_77
; %bb.74:
	v_dual_mov_b32 v17, v3 :: v_dual_mov_b32 v7, v1
.LBB42_75:                              ; =>This Inner Loop Header: Depth=1
	s_delay_alu instid0(VALU_DEP_1) | instskip(NEXT) | instid1(VALU_DEP_2)
	v_cvt_f32_ubyte0_e32 v19, v7
	v_mov_b32_e32 v16, v17
	s_delay_alu instid0(VALU_DEP_1) | instskip(NEXT) | instid1(VALU_DEP_1)
	v_cvt_f32_ubyte0_e32 v17, v16
	v_rcp_iflag_f32_e32 v18, v17
	v_nop
	s_delay_alu instid0(TRANS32_DEP_1) | instskip(NEXT) | instid1(VALU_DEP_1)
	v_mul_f32_e32 v18, v19, v18
	v_trunc_f32_e32 v18, v18
	s_delay_alu instid0(VALU_DEP_1) | instskip(SKIP_1) | instid1(VALU_DEP_2)
	v_fma_f32 v19, -v18, v17, v19
	v_cvt_u32_f32_e32 v18, v18
	v_cmp_ge_f32_e64 vcc_lo, |v19|, v17
	s_delay_alu instid0(VALU_DEP_1) | instskip(NEXT) | instid1(VALU_DEP_1)
	v_add_co_ci_u32_e64 v17, null, 0, v18, vcc_lo
	v_mul_lo_u32 v17, v17, v16
	s_delay_alu instid0(VALU_DEP_1) | instskip(NEXT) | instid1(VALU_DEP_1)
	v_sub_nc_u32_e32 v7, v7, v17
	v_and_b32_e32 v17, 0xff, v7
	v_mov_b32_e32 v7, v16
	s_delay_alu instid0(VALU_DEP_2) | instskip(SKIP_1) | instid1(SALU_CYCLE_1)
	v_cmp_eq_u16_e32 vcc_lo, 0, v17
	s_or_b32 s1, vcc_lo, s1
	s_and_not1_b32 exec_lo, exec_lo, s1
	s_cbranch_execnz .LBB42_75
; %bb.76:
	s_or_b32 exec_lo, exec_lo, s1
.LBB42_77:
	s_delay_alu instid0(SALU_CYCLE_1) | instskip(SKIP_3) | instid1(VALU_DEP_2)
	s_or_b32 exec_lo, exec_lo, s0
	v_and_b32_e32 v17, 0xff, v16
	v_mov_b32_e32 v7, 0
	s_mov_b32 s0, exec_lo
	v_cmpx_ne_u16_e32 0, v17
	s_cbranch_execz .LBB42_79
; %bb.78:
	v_cvt_f32_ubyte0_e32 v7, v16
	v_cvt_f32_ubyte0_e32 v17, v3
	s_delay_alu instid0(VALU_DEP_2) | instskip(SKIP_1) | instid1(TRANS32_DEP_1)
	v_rcp_iflag_f32_e32 v16, v7
	v_nop
	v_mul_f32_e32 v16, v17, v16
	s_delay_alu instid0(VALU_DEP_1) | instskip(NEXT) | instid1(VALU_DEP_1)
	v_trunc_f32_e32 v16, v16
	v_fma_f32 v17, -v16, v7, v17
	v_cvt_u32_f32_e32 v16, v16
	s_delay_alu instid0(VALU_DEP_2) | instskip(NEXT) | instid1(VALU_DEP_1)
	v_cmp_ge_f32_e64 vcc_lo, |v17|, v7
	v_add_co_ci_u32_e64 v7, null, 0, v16, vcc_lo
	s_delay_alu instid0(VALU_DEP_1)
	v_mul_lo_u16 v7, v7, v1
.LBB42_79:
	s_or_b32 exec_lo, exec_lo, s0
	v_dual_lshrrev_b32 v17, 8, v3 :: v_dual_lshrrev_b32 v18, 8, v1
	s_mov_b32 s1, 0
	s_mov_b32 s0, exec_lo
	s_delay_alu instid0(VALU_DEP_1) | instskip(NEXT) | instid1(VALU_DEP_1)
	v_and_b32_e32 v16, 0xff, v17
	v_cmpx_ne_u16_e32 0, v16
	s_cbranch_execz .LBB42_83
; %bb.80:
	v_mov_b32_e32 v19, v17
.LBB42_81:                              ; =>This Inner Loop Header: Depth=1
	v_cvt_f32_ubyte0_e32 v21, v18
	s_delay_alu instid0(VALU_DEP_2) | instskip(NEXT) | instid1(VALU_DEP_1)
	v_mov_b32_e32 v16, v19
	v_cvt_f32_ubyte0_e32 v19, v16
	s_delay_alu instid0(VALU_DEP_1) | instskip(SKIP_1) | instid1(TRANS32_DEP_1)
	v_rcp_iflag_f32_e32 v20, v19
	v_nop
	v_mul_f32_e32 v20, v21, v20
	s_delay_alu instid0(VALU_DEP_1) | instskip(NEXT) | instid1(VALU_DEP_1)
	v_trunc_f32_e32 v20, v20
	v_fma_f32 v21, -v20, v19, v21
	v_cvt_u32_f32_e32 v20, v20
	s_delay_alu instid0(VALU_DEP_2) | instskip(NEXT) | instid1(VALU_DEP_1)
	v_cmp_ge_f32_e64 vcc_lo, |v21|, v19
	v_add_co_ci_u32_e64 v19, null, 0, v20, vcc_lo
	s_delay_alu instid0(VALU_DEP_1) | instskip(NEXT) | instid1(VALU_DEP_1)
	v_mul_lo_u32 v19, v19, v16
	v_sub_nc_u32_e32 v18, v18, v19
	s_delay_alu instid0(VALU_DEP_1) | instskip(SKIP_1) | instid1(VALU_DEP_2)
	v_and_b32_e32 v19, 0xff, v18
	v_mov_b32_e32 v18, v16
	v_cmp_eq_u16_e32 vcc_lo, 0, v19
	s_or_b32 s1, vcc_lo, s1
	s_delay_alu instid0(SALU_CYCLE_1)
	s_and_not1_b32 exec_lo, exec_lo, s1
	s_cbranch_execnz .LBB42_81
; %bb.82:
	s_or_b32 exec_lo, exec_lo, s1
	v_mov_b32_e32 v18, v16
.LBB42_83:
	s_or_b32 exec_lo, exec_lo, s0
	s_delay_alu instid0(VALU_DEP_1) | instskip(SKIP_2) | instid1(VALU_DEP_2)
	v_and_b32_e32 v19, 0xff, v18
	v_mov_b32_e32 v16, 0
	s_mov_b32 s0, exec_lo
	v_cmpx_ne_u16_e32 0, v19
	s_cbranch_execz .LBB42_85
; %bb.84:
	v_cvt_f32_ubyte0_e32 v16, v18
	v_cvt_f32_ubyte0_e32 v17, v17
	v_lshrrev_b32_e32 v19, 8, v1
	s_delay_alu instid0(VALU_DEP_3) | instskip(SKIP_1) | instid1(TRANS32_DEP_1)
	v_rcp_iflag_f32_e32 v18, v16
	v_nop
	v_mul_f32_e32 v18, v17, v18
	s_delay_alu instid0(VALU_DEP_1) | instskip(NEXT) | instid1(VALU_DEP_1)
	v_trunc_f32_e32 v18, v18
	v_fma_f32 v17, -v18, v16, v17
	v_cvt_u32_f32_e32 v18, v18
	s_delay_alu instid0(VALU_DEP_2) | instskip(NEXT) | instid1(VALU_DEP_1)
	v_cmp_ge_f32_e64 vcc_lo, |v17|, v16
	v_add_co_ci_u32_e64 v16, null, 0, v18, vcc_lo
	s_delay_alu instid0(VALU_DEP_1)
	v_mul_lo_u16 v16, v16, v19
.LBB42_85:
	s_or_b32 exec_lo, exec_lo, s0
	v_dual_lshrrev_b32 v18, 16, v3 :: v_dual_lshrrev_b32 v19, 16, v1
	s_mov_b32 s1, 0
	s_mov_b32 s0, exec_lo
	s_delay_alu instid0(VALU_DEP_1) | instskip(NEXT) | instid1(VALU_DEP_1)
	v_and_b32_e32 v17, 0xff, v18
	v_cmpx_ne_u16_e32 0, v17
	s_cbranch_execz .LBB42_89
; %bb.86:
	v_mov_b32_e32 v20, v18
.LBB42_87:                              ; =>This Inner Loop Header: Depth=1
	v_cvt_f32_ubyte0_e32 v22, v19
	s_delay_alu instid0(VALU_DEP_2) | instskip(NEXT) | instid1(VALU_DEP_1)
	v_mov_b32_e32 v17, v20
	v_cvt_f32_ubyte0_e32 v20, v17
	s_delay_alu instid0(VALU_DEP_1) | instskip(SKIP_1) | instid1(TRANS32_DEP_1)
	v_rcp_iflag_f32_e32 v21, v20
	v_nop
	v_mul_f32_e32 v21, v22, v21
	s_delay_alu instid0(VALU_DEP_1) | instskip(NEXT) | instid1(VALU_DEP_1)
	v_trunc_f32_e32 v21, v21
	v_fma_f32 v22, -v21, v20, v22
	v_cvt_u32_f32_e32 v21, v21
	s_delay_alu instid0(VALU_DEP_2) | instskip(NEXT) | instid1(VALU_DEP_1)
	v_cmp_ge_f32_e64 vcc_lo, |v22|, v20
	v_add_co_ci_u32_e64 v20, null, 0, v21, vcc_lo
	s_delay_alu instid0(VALU_DEP_1) | instskip(NEXT) | instid1(VALU_DEP_1)
	v_mul_lo_u32 v20, v20, v17
	v_sub_nc_u32_e32 v19, v19, v20
	s_delay_alu instid0(VALU_DEP_1) | instskip(SKIP_1) | instid1(VALU_DEP_2)
	v_and_b32_e32 v20, 0xff, v19
	v_mov_b32_e32 v19, v17
	v_cmp_eq_u16_e32 vcc_lo, 0, v20
	s_or_b32 s1, vcc_lo, s1
	s_delay_alu instid0(SALU_CYCLE_1)
	s_and_not1_b32 exec_lo, exec_lo, s1
	s_cbranch_execnz .LBB42_87
; %bb.88:
	s_or_b32 exec_lo, exec_lo, s1
	v_mov_b32_e32 v19, v17
.LBB42_89:
	s_or_b32 exec_lo, exec_lo, s0
	s_delay_alu instid0(VALU_DEP_1) | instskip(SKIP_2) | instid1(VALU_DEP_2)
	v_and_b32_e32 v20, 0xff, v19
	v_mov_b32_e32 v17, 0
	s_mov_b32 s0, exec_lo
	v_cmpx_ne_u16_e32 0, v20
	s_cbranch_execz .LBB42_91
; %bb.90:
	v_cvt_f32_ubyte0_e32 v17, v19
	v_cvt_f32_ubyte0_e32 v18, v18
	v_lshrrev_b32_e32 v20, 16, v1
	s_delay_alu instid0(VALU_DEP_3) | instskip(SKIP_1) | instid1(TRANS32_DEP_1)
	v_rcp_iflag_f32_e32 v19, v17
	v_nop
	v_mul_f32_e32 v19, v18, v19
	s_delay_alu instid0(VALU_DEP_1) | instskip(NEXT) | instid1(VALU_DEP_1)
	v_trunc_f32_e32 v19, v19
	v_fma_f32 v18, -v19, v17, v18
	v_cvt_u32_f32_e32 v19, v19
	s_delay_alu instid0(VALU_DEP_2) | instskip(NEXT) | instid1(VALU_DEP_1)
	v_cmp_ge_f32_e64 vcc_lo, |v18|, v17
	v_add_co_ci_u32_e64 v17, null, 0, v19, vcc_lo
	s_delay_alu instid0(VALU_DEP_1)
	v_mul_lo_u16 v17, v17, v20
.LBB42_91:
	s_or_b32 exec_lo, exec_lo, s0
	v_dual_lshrrev_b32 v18, 24, v3 :: v_dual_lshrrev_b32 v19, 24, v1
	s_mov_b32 s0, exec_lo
	v_cmpx_lt_u32_e32 0xffffff, v3
	s_cbranch_execz .LBB42_95
; %bb.92:
	s_delay_alu instid0(VALU_DEP_2)
	v_mov_b32_e32 v20, v18
	s_mov_b32 s1, 0
.LBB42_93:                              ; =>This Inner Loop Header: Depth=1
	v_cvt_f32_ubyte0_e32 v22, v19
	s_delay_alu instid0(VALU_DEP_2) | instskip(NEXT) | instid1(VALU_DEP_1)
	v_mov_b32_e32 v3, v20
	v_cvt_f32_ubyte0_e32 v20, v3
	s_delay_alu instid0(VALU_DEP_1) | instskip(SKIP_1) | instid1(TRANS32_DEP_1)
	v_rcp_iflag_f32_e32 v21, v20
	v_nop
	v_mul_f32_e32 v21, v22, v21
	s_delay_alu instid0(VALU_DEP_1) | instskip(NEXT) | instid1(VALU_DEP_1)
	v_trunc_f32_e32 v21, v21
	v_fma_f32 v22, -v21, v20, v22
	v_cvt_u32_f32_e32 v21, v21
	s_delay_alu instid0(VALU_DEP_2) | instskip(NEXT) | instid1(VALU_DEP_1)
	v_cmp_ge_f32_e64 vcc_lo, |v22|, v20
	v_add_co_ci_u32_e64 v20, null, 0, v21, vcc_lo
	s_delay_alu instid0(VALU_DEP_1) | instskip(NEXT) | instid1(VALU_DEP_1)
	v_mul_lo_u32 v20, v20, v3
	v_sub_nc_u32_e32 v19, v19, v20
	s_delay_alu instid0(VALU_DEP_1) | instskip(SKIP_1) | instid1(VALU_DEP_2)
	v_and_b32_e32 v20, 0xff, v19
	v_mov_b32_e32 v19, v3
	v_cmp_eq_u16_e32 vcc_lo, 0, v20
	s_or_b32 s1, vcc_lo, s1
	s_delay_alu instid0(SALU_CYCLE_1)
	s_and_not1_b32 exec_lo, exec_lo, s1
	s_cbranch_execnz .LBB42_93
; %bb.94:
	s_or_b32 exec_lo, exec_lo, s1
	v_mov_b32_e32 v19, v3
.LBB42_95:
	s_or_b32 exec_lo, exec_lo, s0
	s_delay_alu instid0(VALU_DEP_1) | instskip(SKIP_2) | instid1(VALU_DEP_2)
	v_and_b32_e32 v20, 0xff, v19
	v_mov_b32_e32 v3, 0
	s_mov_b32 s0, exec_lo
	v_cmpx_ne_u16_e32 0, v20
	s_cbranch_execz .LBB42_97
; %bb.96:
	v_cvt_f32_ubyte0_e32 v3, v19
	v_cvt_f32_ubyte0_e32 v18, v18
	v_lshrrev_b32_e32 v1, 24, v1
	s_delay_alu instid0(VALU_DEP_3) | instskip(SKIP_1) | instid1(TRANS32_DEP_1)
	v_rcp_iflag_f32_e32 v19, v3
	v_nop
	v_mul_f32_e32 v19, v18, v19
	s_delay_alu instid0(VALU_DEP_1) | instskip(NEXT) | instid1(VALU_DEP_1)
	v_trunc_f32_e32 v19, v19
	v_fma_f32 v18, -v19, v3, v18
	v_cvt_u32_f32_e32 v19, v19
	s_delay_alu instid0(VALU_DEP_2) | instskip(NEXT) | instid1(VALU_DEP_1)
	v_cmp_ge_f32_e64 vcc_lo, |v18|, v3
	v_add_co_ci_u32_e64 v3, null, 0, v19, vcc_lo
	s_delay_alu instid0(VALU_DEP_1)
	v_mul_lo_u16 v3, v3, v1
.LBB42_97:
	s_or_b32 exec_lo, exec_lo, s0
	v_perm_b32 v2, v2, v4, 0xc0c0004
	v_perm_b32 v4, v5, v6, 0xc0c0004
	;; [unrolled: 1-line block ×8, first 2 shown]
	v_lshl_or_b32 v2, v4, 16, v2
	v_lshl_or_b32 v1, v3, 16, v1
	;; [unrolled: 1-line block ×3, first 2 shown]
	s_add_nc_u64 s[4:5], s[16:17], s[14:15]
	v_lshl_or_b32 v4, v6, 16, v7
	s_mov_b32 s0, 0
	s_clause 0x3
	global_store_b32 v0, v2, s[4:5] scale_offset
	global_store_b32 v0, v3, s[4:5] offset:1024 scale_offset
	global_store_b32 v0, v4, s[4:5] offset:2048 scale_offset
	;; [unrolled: 1-line block ×3, first 2 shown]
.LBB42_98:
	s_and_b32 vcc_lo, exec_lo, s0
	s_cbranch_vccz .LBB42_276
; %bb.99:
	v_cmp_gt_i32_e32 vcc_lo, s13, v0
	s_wait_xcnt 0x3
	v_dual_mov_b32 v2, 0 :: v_dual_bitop2_b32 v10, s14, v0 bitop3:0x54
	v_or_b32_e32 v39, 0x100, v0
	v_dual_mov_b32 v12, 0 :: v_dual_mov_b32 v11, 0
	v_dual_mov_b32 v14, 0 :: v_dual_mov_b32 v13, 0
	;; [unrolled: 1-line block ×16, first 2 shown]
	s_wait_xcnt 0x0
	s_and_saveexec_b32 s1, vcc_lo
	s_cbranch_execz .LBB42_131
; %bb.100:
	s_clause 0x1
	global_load_u8 v41, v10, s[18:19]
	global_load_u8 v40, v10, s[2:3]
	v_cmp_gt_u32_e64 s0, s13, v39
	v_dual_mov_b32 v37, 0 :: v_dual_mov_b32 v38, 0
	v_dual_mov_b32 v5, 0 :: v_dual_mov_b32 v36, 0
	;; [unrolled: 1-line block ×15, first 2 shown]
	s_wait_xcnt 0x0
	s_and_saveexec_b32 s4, s0
	s_cbranch_execz .LBB42_130
; %bb.101:
	v_dual_mov_b32 v5, 0 :: v_dual_add_nc_u32 v4, s14, v0
	v_or_b32_e32 v1, 0x200, v0
	v_dual_mov_b32 v36, 0 :: v_dual_mov_b32 v6, 0
	s_clause 0x1
	global_load_u8 v38, v4, s[18:19] offset:256
	global_load_u8 v37, v4, s[2:3] offset:256
	v_dual_mov_b32 v35, 0 :: v_dual_mov_b32 v33, 0
	v_cmp_gt_u32_e64 s0, s13, v1
	v_dual_mov_b32 v34, 0 :: v_dual_mov_b32 v31, 0
	v_dual_mov_b32 v32, 0 :: v_dual_mov_b32 v29, 0
	;; [unrolled: 1-line block ×11, first 2 shown]
	v_mov_b32_e32 v12, 0
	s_wait_xcnt 0x0
	s_and_saveexec_b32 s5, s0
	s_cbranch_execz .LBB42_129
; %bb.102:
	v_add_nc_u64_e32 v[6:7], s[18:19], v[4:5]
	v_add_nc_u64_e32 v[8:9], s[2:3], v[4:5]
	v_or_b32_e32 v3, 0x300, v0
	v_dual_mov_b32 v35, 0 :: v_dual_mov_b32 v33, 0
	v_dual_mov_b32 v34, 0 :: v_dual_mov_b32 v31, 0
	global_load_u8 v36, v[6:7], off offset:512
	global_load_u8 v1, v[8:9], off offset:512
	v_cmp_gt_u32_e64 s0, s13, v3
	v_dual_mov_b32 v32, 0 :: v_dual_mov_b32 v29, 0
	v_dual_mov_b32 v30, 0 :: v_dual_mov_b32 v27, 0
	;; [unrolled: 1-line block ×10, first 2 shown]
	v_mov_b32_e32 v12, 0
	s_wait_xcnt 0x0
	s_and_saveexec_b32 s2, s0
	s_cbranch_execz .LBB42_128
; %bb.103:
	global_load_u8 v35, v[6:7], off offset:768
	global_load_u8 v5, v[8:9], off offset:768
	v_or_b32_e32 v3, 0x400, v0
	v_dual_mov_b32 v33, 0 :: v_dual_mov_b32 v34, 0
	v_dual_mov_b32 v31, 0 :: v_dual_mov_b32 v32, 0
	s_delay_alu instid0(VALU_DEP_3)
	v_cmp_gt_u32_e64 s0, s13, v3
	v_dual_mov_b32 v29, 0 :: v_dual_mov_b32 v30, 0
	v_dual_mov_b32 v27, 0 :: v_dual_mov_b32 v28, 0
	;; [unrolled: 1-line block ×10, first 2 shown]
	s_wait_xcnt 0x0
	s_and_saveexec_b32 s3, s0
	s_cbranch_execz .LBB42_127
; %bb.104:
	global_load_u8 v34, v[6:7], off offset:1024
	global_load_u8 v33, v[8:9], off offset:1024
	v_or_b32_e32 v3, 0x500, v0
	v_dual_mov_b32 v31, 0 :: v_dual_mov_b32 v32, 0
	v_dual_mov_b32 v29, 0 :: v_dual_mov_b32 v30, 0
	s_delay_alu instid0(VALU_DEP_3)
	v_cmp_gt_u32_e64 s0, s13, v3
	v_dual_mov_b32 v27, 0 :: v_dual_mov_b32 v28, 0
	v_dual_mov_b32 v25, 0 :: v_dual_mov_b32 v26, 0
	;; [unrolled: 1-line block ×9, first 2 shown]
	s_wait_xcnt 0x0
	s_and_saveexec_b32 s6, s0
	s_cbranch_execz .LBB42_126
; %bb.105:
	global_load_u8 v32, v[6:7], off offset:1280
	global_load_u8 v31, v[8:9], off offset:1280
	v_or_b32_e32 v3, 0x600, v0
	v_dual_mov_b32 v29, 0 :: v_dual_mov_b32 v30, 0
	v_dual_mov_b32 v27, 0 :: v_dual_mov_b32 v28, 0
	s_delay_alu instid0(VALU_DEP_3)
	v_cmp_gt_u32_e64 s0, s13, v3
	v_dual_mov_b32 v25, 0 :: v_dual_mov_b32 v26, 0
	v_dual_mov_b32 v23, 0 :: v_dual_mov_b32 v24, 0
	;; [unrolled: 1-line block ×8, first 2 shown]
	s_wait_xcnt 0x0
	s_and_saveexec_b32 s7, s0
	s_cbranch_execz .LBB42_125
; %bb.106:
	global_load_u8 v30, v[6:7], off offset:1536
	global_load_u8 v29, v[8:9], off offset:1536
	v_or_b32_e32 v3, 0x700, v0
	v_dual_mov_b32 v27, 0 :: v_dual_mov_b32 v28, 0
	v_dual_mov_b32 v25, 0 :: v_dual_mov_b32 v26, 0
	;; [unrolled: 1-line block ×9, first 2 shown]
	s_mov_b32 s8, exec_lo
	s_wait_xcnt 0x0
	v_cmpx_gt_u32_e64 s13, v3
	s_cbranch_execz .LBB42_124
; %bb.107:
	global_load_u8 v28, v[6:7], off offset:1792
	global_load_u8 v27, v[8:9], off offset:1792
	v_or_b32_e32 v3, 0x800, v0
	v_dual_mov_b32 v25, 0 :: v_dual_mov_b32 v26, 0
	v_dual_mov_b32 v23, 0 :: v_dual_mov_b32 v24, 0
	;; [unrolled: 1-line block ×8, first 2 shown]
	s_mov_b32 s9, exec_lo
	s_wait_xcnt 0x0
	v_cmpx_gt_u32_e64 s13, v3
	s_cbranch_execz .LBB42_123
; %bb.108:
	global_load_u8 v26, v[6:7], off offset:2048
	global_load_u8 v25, v[8:9], off offset:2048
	v_or_b32_e32 v3, 0x900, v0
	v_dual_mov_b32 v23, 0 :: v_dual_mov_b32 v24, 0
	v_dual_mov_b32 v21, 0 :: v_dual_mov_b32 v22, 0
	;; [unrolled: 1-line block ×7, first 2 shown]
	s_mov_b32 s10, exec_lo
	s_wait_xcnt 0x0
	v_cmpx_gt_u32_e64 s13, v3
	s_cbranch_execz .LBB42_122
; %bb.109:
	global_load_u8 v24, v[6:7], off offset:2304
	global_load_u8 v23, v[8:9], off offset:2304
	v_or_b32_e32 v3, 0xa00, v0
	v_dual_mov_b32 v21, 0 :: v_dual_mov_b32 v22, 0
	v_dual_mov_b32 v19, 0 :: v_dual_mov_b32 v20, 0
	;; [unrolled: 1-line block ×6, first 2 shown]
	s_mov_b32 s11, exec_lo
	s_wait_xcnt 0x0
	v_cmpx_gt_u32_e64 s13, v3
	s_cbranch_execz .LBB42_121
; %bb.110:
	global_load_u8 v22, v[6:7], off offset:2560
	global_load_u8 v21, v[8:9], off offset:2560
	v_or_b32_e32 v3, 0xb00, v0
	v_dual_mov_b32 v19, 0 :: v_dual_mov_b32 v20, 0
	v_dual_mov_b32 v17, 0 :: v_dual_mov_b32 v18, 0
	v_dual_mov_b32 v15, 0 :: v_dual_mov_b32 v16, 0
	v_dual_mov_b32 v13, 0 :: v_dual_mov_b32 v14, 0
	v_dual_mov_b32 v11, 0 :: v_dual_mov_b32 v12, 0
	s_mov_b32 s12, exec_lo
	s_wait_xcnt 0x0
	v_cmpx_gt_u32_e64 s13, v3
	s_cbranch_execz .LBB42_120
; %bb.111:
	global_load_u8 v20, v[6:7], off offset:2816
	global_load_u8 v19, v[8:9], off offset:2816
	v_or_b32_e32 v3, 0xc00, v0
	v_dual_mov_b32 v17, 0 :: v_dual_mov_b32 v18, 0
	v_dual_mov_b32 v15, 0 :: v_dual_mov_b32 v16, 0
	v_dual_mov_b32 v13, 0 :: v_dual_mov_b32 v14, 0
	v_dual_mov_b32 v11, 0 :: v_dual_mov_b32 v12, 0
	s_mov_b32 s15, exec_lo
	s_wait_xcnt 0x0
	v_cmpx_gt_u32_e64 s13, v3
	s_cbranch_execz .LBB42_119
; %bb.112:
	global_load_u8 v18, v[6:7], off offset:3072
	global_load_u8 v17, v[8:9], off offset:3072
	v_or_b32_e32 v3, 0xd00, v0
	v_dual_mov_b32 v15, 0 :: v_dual_mov_b32 v16, 0
	v_dual_mov_b32 v13, 0 :: v_dual_mov_b32 v14, 0
	;; [unrolled: 1-line block ×3, first 2 shown]
	s_mov_b32 s18, exec_lo
	s_wait_xcnt 0x0
	v_cmpx_gt_u32_e64 s13, v3
	s_cbranch_execz .LBB42_118
; %bb.113:
	global_load_u8 v16, v[6:7], off offset:3328
	global_load_u8 v15, v[8:9], off offset:3328
	v_or_b32_e32 v3, 0xe00, v0
	v_dual_mov_b32 v13, 0 :: v_dual_mov_b32 v14, 0
	v_dual_mov_b32 v11, 0 :: v_dual_mov_b32 v12, 0
	s_mov_b32 s19, exec_lo
	s_wait_xcnt 0x0
	v_cmpx_gt_u32_e64 s13, v3
	s_cbranch_execz .LBB42_117
; %bb.114:
	global_load_u8 v14, v[6:7], off offset:3584
	global_load_u8 v13, v[8:9], off offset:3584
	v_or_b32_e32 v3, 0xf00, v0
	v_dual_mov_b32 v11, 0 :: v_dual_mov_b32 v12, 0
	s_mov_b32 s20, exec_lo
	s_wait_xcnt 0x0
	s_delay_alu instid0(VALU_DEP_2)
	v_cmpx_gt_u32_e64 s13, v3
	s_cbranch_execz .LBB42_116
; %bb.115:
	global_load_u8 v12, v[6:7], off offset:3840
	global_load_u8 v11, v[8:9], off offset:3840
.LBB42_116:
	s_wait_xcnt 0x0
	s_or_b32 exec_lo, exec_lo, s20
.LBB42_117:
	s_delay_alu instid0(SALU_CYCLE_1)
	s_or_b32 exec_lo, exec_lo, s19
.LBB42_118:
	s_delay_alu instid0(SALU_CYCLE_1)
	s_or_b32 exec_lo, exec_lo, s18
.LBB42_119:
	s_delay_alu instid0(SALU_CYCLE_1)
	s_or_b32 exec_lo, exec_lo, s15
.LBB42_120:
	s_delay_alu instid0(SALU_CYCLE_1)
	s_or_b32 exec_lo, exec_lo, s12
.LBB42_121:
	s_delay_alu instid0(SALU_CYCLE_1)
	s_or_b32 exec_lo, exec_lo, s11
.LBB42_122:
	s_delay_alu instid0(SALU_CYCLE_1)
	s_or_b32 exec_lo, exec_lo, s10
.LBB42_123:
	s_delay_alu instid0(SALU_CYCLE_1)
	s_or_b32 exec_lo, exec_lo, s9
.LBB42_124:
	s_delay_alu instid0(SALU_CYCLE_1)
	s_or_b32 exec_lo, exec_lo, s8
.LBB42_125:
	s_delay_alu instid0(SALU_CYCLE_1)
	s_or_b32 exec_lo, exec_lo, s7
.LBB42_126:
	s_delay_alu instid0(SALU_CYCLE_1)
	s_or_b32 exec_lo, exec_lo, s6
.LBB42_127:
	s_delay_alu instid0(SALU_CYCLE_1)
	s_or_b32 exec_lo, exec_lo, s3
.LBB42_128:
	s_delay_alu instid0(SALU_CYCLE_1)
	s_or_b32 exec_lo, exec_lo, s2
	s_wait_loadcnt 0x0
	v_dual_mov_b32 v6, v5 :: v_dual_mov_b32 v5, v1
.LBB42_129:
	s_or_b32 exec_lo, exec_lo, s5
.LBB42_130:
	s_delay_alu instid0(SALU_CYCLE_1)
	s_or_b32 exec_lo, exec_lo, s4
.LBB42_131:
	s_delay_alu instid0(SALU_CYCLE_1)
	s_or_b32 exec_lo, exec_lo, s1
	v_dual_mov_b32 v1, v2 :: v_dual_mov_b32 v4, v2
	v_mov_b32_e32 v3, v2
	s_and_saveexec_b32 s1, vcc_lo
	s_cbranch_execz .LBB42_139
; %bb.132:
	s_wait_loadcnt 0x1
	v_and_b32_e32 v1, 0xff, v41
	s_wait_loadcnt 0x0
	v_mov_b32_e32 v2, v40
	s_mov_b32 s2, exec_lo
	s_delay_alu instid0(VALU_DEP_2)
	v_cmpx_ne_u16_e32 0, v1
	s_cbranch_execz .LBB42_136
; %bb.133:
	v_dual_mov_b32 v3, v41 :: v_dual_mov_b32 v1, v40
	s_mov_b32 s3, 0
.LBB42_134:                             ; =>This Inner Loop Header: Depth=1
	s_delay_alu instid0(VALU_DEP_1) | instskip(NEXT) | instid1(VALU_DEP_2)
	v_cvt_f32_ubyte0_e32 v7, v1
	v_mov_b32_e32 v2, v3
	s_delay_alu instid0(VALU_DEP_1) | instskip(NEXT) | instid1(VALU_DEP_1)
	v_cvt_f32_ubyte0_e32 v3, v2
	v_rcp_iflag_f32_e32 v4, v3
	v_nop
	s_delay_alu instid0(TRANS32_DEP_1) | instskip(NEXT) | instid1(VALU_DEP_1)
	v_mul_f32_e32 v4, v7, v4
	v_trunc_f32_e32 v4, v4
	s_delay_alu instid0(VALU_DEP_1) | instskip(SKIP_1) | instid1(VALU_DEP_2)
	v_fma_f32 v7, -v4, v3, v7
	v_cvt_u32_f32_e32 v4, v4
	v_cmp_ge_f32_e64 s0, |v7|, v3
	s_delay_alu instid0(VALU_DEP_1) | instskip(NEXT) | instid1(VALU_DEP_1)
	v_add_co_ci_u32_e64 v3, null, 0, v4, s0
	v_mul_lo_u32 v3, v3, v2
	s_delay_alu instid0(VALU_DEP_1) | instskip(NEXT) | instid1(VALU_DEP_1)
	v_sub_nc_u32_e32 v1, v1, v3
	v_and_b32_e32 v3, 0xff, v1
	v_mov_b32_e32 v1, v2
	s_delay_alu instid0(VALU_DEP_2) | instskip(SKIP_1) | instid1(SALU_CYCLE_1)
	v_cmp_eq_u16_e64 s0, 0, v3
	s_or_b32 s3, s0, s3
	s_and_not1_b32 exec_lo, exec_lo, s3
	s_cbranch_execnz .LBB42_134
; %bb.135:
	s_or_b32 exec_lo, exec_lo, s3
.LBB42_136:
	s_delay_alu instid0(SALU_CYCLE_1) | instskip(SKIP_2) | instid1(VALU_DEP_2)
	s_or_b32 exec_lo, exec_lo, s2
	v_and_b32_e32 v3, 0xff, v2
	v_mov_b32_e32 v1, 0
	v_cmp_ne_u16_e64 s0, 0, v3
	v_mov_b32_e32 v3, 0
	s_and_saveexec_b32 s2, s0
	s_cbranch_execz .LBB42_138
; %bb.137:
	v_cvt_f32_ubyte0_e32 v2, v2
	v_cvt_f32_ubyte0_e32 v4, v41
	s_delay_alu instid0(VALU_DEP_2) | instskip(SKIP_1) | instid1(TRANS32_DEP_1)
	v_rcp_iflag_f32_e32 v3, v2
	v_nop
	v_mul_f32_e32 v3, v4, v3
	s_delay_alu instid0(VALU_DEP_1) | instskip(NEXT) | instid1(VALU_DEP_1)
	v_trunc_f32_e32 v3, v3
	v_fma_f32 v4, -v3, v2, v4
	v_cvt_u32_f32_e32 v3, v3
	s_delay_alu instid0(VALU_DEP_2) | instskip(NEXT) | instid1(VALU_DEP_1)
	v_cmp_ge_f32_e64 s0, |v4|, v2
	v_add_co_ci_u32_e64 v2, null, 0, v3, s0
	s_delay_alu instid0(VALU_DEP_1)
	v_mul_lo_u16 v3, v2, v40
.LBB42_138:
	s_or_b32 exec_lo, exec_lo, s2
	s_delay_alu instid0(VALU_DEP_1) | instskip(SKIP_1) | instid1(VALU_DEP_2)
	v_and_b32_e32 v2, 0xff, v3
	v_dual_mov_b32 v4, v1 :: v_dual_mov_b32 v3, v1
	v_and_b32_e32 v2, 0xffff, v2
.LBB42_139:
	s_or_b32 exec_lo, exec_lo, s1
	v_cmp_gt_i32_e64 s0, s13, v39
	s_and_saveexec_b32 s2, s0
	s_cbranch_execz .LBB42_147
; %bb.140:
	s_wait_loadcnt 0x1
	v_and_b32_e32 v7, 0xff, v38
	s_mov_b32 s4, 0
	s_delay_alu instid0(VALU_DEP_1)
	v_cmp_ne_u16_e64 s1, 0, v7
	s_wait_loadcnt 0x0
	v_mov_b32_e32 v7, v37
	s_and_saveexec_b32 s3, s1
	s_cbranch_execz .LBB42_144
; %bb.141:
	v_dual_mov_b32 v9, v38 :: v_dual_mov_b32 v8, v37
.LBB42_142:                             ; =>This Inner Loop Header: Depth=1
	s_delay_alu instid0(VALU_DEP_1) | instskip(NEXT) | instid1(VALU_DEP_2)
	v_cvt_f32_ubyte0_e32 v40, v8
	v_mov_b32_e32 v7, v9
	s_delay_alu instid0(VALU_DEP_1) | instskip(NEXT) | instid1(VALU_DEP_1)
	v_cvt_f32_ubyte0_e32 v9, v7
	v_rcp_iflag_f32_e32 v39, v9
	v_nop
	s_delay_alu instid0(TRANS32_DEP_1) | instskip(NEXT) | instid1(VALU_DEP_1)
	v_mul_f32_e32 v39, v40, v39
	v_trunc_f32_e32 v39, v39
	s_delay_alu instid0(VALU_DEP_1) | instskip(SKIP_1) | instid1(VALU_DEP_2)
	v_fma_f32 v40, -v39, v9, v40
	v_cvt_u32_f32_e32 v39, v39
	v_cmp_ge_f32_e64 s1, |v40|, v9
	s_delay_alu instid0(VALU_DEP_1) | instskip(NEXT) | instid1(VALU_DEP_1)
	v_add_co_ci_u32_e64 v9, null, 0, v39, s1
	v_mul_lo_u32 v9, v9, v7
	s_delay_alu instid0(VALU_DEP_1) | instskip(NEXT) | instid1(VALU_DEP_1)
	v_sub_nc_u32_e32 v8, v8, v9
	v_and_b32_e32 v9, 0xff, v8
	v_mov_b32_e32 v8, v7
	s_delay_alu instid0(VALU_DEP_2) | instskip(SKIP_1) | instid1(SALU_CYCLE_1)
	v_cmp_eq_u16_e64 s1, 0, v9
	s_or_b32 s4, s1, s4
	s_and_not1_b32 exec_lo, exec_lo, s4
	s_cbranch_execnz .LBB42_142
; %bb.143:
	s_or_b32 exec_lo, exec_lo, s4
.LBB42_144:
	s_delay_alu instid0(SALU_CYCLE_1) | instskip(NEXT) | instid1(VALU_DEP_1)
	s_or_b32 exec_lo, exec_lo, s3
	v_and_b32_e32 v9, 0xff, v7
	v_mov_b32_e32 v8, 0
	s_mov_b32 s3, exec_lo
	s_delay_alu instid0(VALU_DEP_2)
	v_cmpx_ne_u16_e32 0, v9
	s_cbranch_execz .LBB42_146
; %bb.145:
	v_cvt_f32_ubyte0_e32 v7, v7
	v_cvt_f32_ubyte0_e32 v9, v38
	s_delay_alu instid0(VALU_DEP_2) | instskip(SKIP_1) | instid1(TRANS32_DEP_1)
	v_rcp_iflag_f32_e32 v8, v7
	v_nop
	v_mul_f32_e32 v8, v9, v8
	s_delay_alu instid0(VALU_DEP_1) | instskip(NEXT) | instid1(VALU_DEP_1)
	v_trunc_f32_e32 v8, v8
	v_fma_f32 v9, -v8, v7, v9
	v_cvt_u32_f32_e32 v8, v8
	s_delay_alu instid0(VALU_DEP_2) | instskip(NEXT) | instid1(VALU_DEP_1)
	v_cmp_ge_f32_e64 s1, |v9|, v7
	v_add_co_ci_u32_e64 v7, null, 0, v8, s1
	s_delay_alu instid0(VALU_DEP_1)
	v_mul_lo_u16 v8, v7, v37
.LBB42_146:
	s_or_b32 exec_lo, exec_lo, s3
	s_delay_alu instid0(VALU_DEP_1)
	v_perm_b32 v2, v2, v8, 0x7060004
.LBB42_147:
	s_or_b32 exec_lo, exec_lo, s2
	v_or_b32_e32 v7, 0x200, v0
	s_delay_alu instid0(VALU_DEP_1)
	v_cmp_gt_i32_e64 s1, s13, v7
	s_and_saveexec_b32 s3, s1
	s_cbranch_execz .LBB42_155
; %bb.148:
	v_and_b32_e32 v7, 0xff, v36
	s_mov_b32 s5, 0
	s_delay_alu instid0(VALU_DEP_1)
	v_cmp_ne_u16_e64 s2, 0, v7
	v_mov_b32_e32 v7, v5
	s_and_saveexec_b32 s4, s2
	s_cbranch_execz .LBB42_152
; %bb.149:
	v_dual_mov_b32 v9, v36 :: v_dual_mov_b32 v8, v5
.LBB42_150:                             ; =>This Inner Loop Header: Depth=1
	s_wait_loadcnt 0x1
	s_delay_alu instid0(VALU_DEP_1) | instskip(NEXT) | instid1(VALU_DEP_2)
	v_cvt_f32_ubyte0_e32 v38, v8
	v_mov_b32_e32 v7, v9
	s_delay_alu instid0(VALU_DEP_1) | instskip(SKIP_1) | instid1(VALU_DEP_1)
	v_cvt_f32_ubyte0_e32 v9, v7
	s_wait_loadcnt 0x0
	v_rcp_iflag_f32_e32 v37, v9
	v_nop
	s_delay_alu instid0(TRANS32_DEP_1) | instskip(NEXT) | instid1(VALU_DEP_1)
	v_mul_f32_e32 v37, v38, v37
	v_trunc_f32_e32 v37, v37
	s_delay_alu instid0(VALU_DEP_1) | instskip(SKIP_1) | instid1(VALU_DEP_2)
	v_fma_f32 v38, -v37, v9, v38
	v_cvt_u32_f32_e32 v37, v37
	v_cmp_ge_f32_e64 s2, |v38|, v9
	s_delay_alu instid0(VALU_DEP_1) | instskip(NEXT) | instid1(VALU_DEP_1)
	v_add_co_ci_u32_e64 v9, null, 0, v37, s2
	v_mul_lo_u32 v9, v9, v7
	s_delay_alu instid0(VALU_DEP_1) | instskip(NEXT) | instid1(VALU_DEP_1)
	v_sub_nc_u32_e32 v8, v8, v9
	v_and_b32_e32 v9, 0xff, v8
	v_mov_b32_e32 v8, v7
	s_delay_alu instid0(VALU_DEP_2) | instskip(SKIP_1) | instid1(SALU_CYCLE_1)
	v_cmp_eq_u16_e64 s2, 0, v9
	s_or_b32 s5, s2, s5
	s_and_not1_b32 exec_lo, exec_lo, s5
	s_cbranch_execnz .LBB42_150
; %bb.151:
	s_or_b32 exec_lo, exec_lo, s5
.LBB42_152:
	s_delay_alu instid0(SALU_CYCLE_1) | instskip(NEXT) | instid1(VALU_DEP_1)
	s_or_b32 exec_lo, exec_lo, s4
	v_and_b32_e32 v9, 0xff, v7
	v_mov_b32_e32 v8, 0
	s_mov_b32 s4, exec_lo
	s_delay_alu instid0(VALU_DEP_2)
	v_cmpx_ne_u16_e32 0, v9
	s_cbranch_execz .LBB42_154
; %bb.153:
	v_cvt_f32_ubyte0_e32 v7, v7
	v_cvt_f32_ubyte0_e32 v9, v36
	s_delay_alu instid0(VALU_DEP_2) | instskip(SKIP_1) | instid1(TRANS32_DEP_1)
	v_rcp_iflag_f32_e32 v8, v7
	v_nop
	v_mul_f32_e32 v8, v9, v8
	s_delay_alu instid0(VALU_DEP_1) | instskip(NEXT) | instid1(VALU_DEP_1)
	v_trunc_f32_e32 v8, v8
	v_fma_f32 v9, -v8, v7, v9
	v_cvt_u32_f32_e32 v8, v8
	s_delay_alu instid0(VALU_DEP_2) | instskip(NEXT) | instid1(VALU_DEP_1)
	v_cmp_ge_f32_e64 s2, |v9|, v7
	v_add_co_ci_u32_e64 v7, null, 0, v8, s2
	s_delay_alu instid0(VALU_DEP_1)
	v_mul_lo_u16 v8, v7, v5
.LBB42_154:
	s_or_b32 exec_lo, exec_lo, s4
	s_delay_alu instid0(VALU_DEP_1)
	v_perm_b32 v2, v2, v8, 0x7000504
.LBB42_155:
	s_or_b32 exec_lo, exec_lo, s3
	v_or_b32_e32 v5, 0x300, v0
	s_delay_alu instid0(VALU_DEP_1)
	v_cmp_gt_i32_e64 s2, s13, v5
	s_and_saveexec_b32 s4, s2
	s_cbranch_execz .LBB42_163
; %bb.156:
	v_and_b32_e32 v5, 0xff, v35
	s_mov_b32 s6, 0
	s_delay_alu instid0(VALU_DEP_1)
	v_cmp_ne_u16_e64 s3, 0, v5
	v_mov_b32_e32 v5, v6
	s_and_saveexec_b32 s5, s3
	s_cbranch_execz .LBB42_160
; %bb.157:
	v_dual_mov_b32 v8, v35 :: v_dual_mov_b32 v7, v6
.LBB42_158:                             ; =>This Inner Loop Header: Depth=1
	s_delay_alu instid0(VALU_DEP_1) | instskip(NEXT) | instid1(VALU_DEP_2)
	v_cvt_f32_ubyte0_e32 v36, v7
	v_mov_b32_e32 v5, v8
	s_delay_alu instid0(VALU_DEP_1) | instskip(NEXT) | instid1(VALU_DEP_1)
	v_cvt_f32_ubyte0_e32 v8, v5
	v_rcp_iflag_f32_e32 v9, v8
	v_nop
	s_delay_alu instid0(TRANS32_DEP_1) | instskip(NEXT) | instid1(VALU_DEP_1)
	v_mul_f32_e32 v9, v36, v9
	v_trunc_f32_e32 v9, v9
	s_delay_alu instid0(VALU_DEP_1) | instskip(SKIP_1) | instid1(VALU_DEP_2)
	v_fma_f32 v36, -v9, v8, v36
	v_cvt_u32_f32_e32 v9, v9
	v_cmp_ge_f32_e64 s3, |v36|, v8
	s_delay_alu instid0(VALU_DEP_1) | instskip(NEXT) | instid1(VALU_DEP_1)
	v_add_co_ci_u32_e64 v8, null, 0, v9, s3
	v_mul_lo_u32 v8, v8, v5
	s_delay_alu instid0(VALU_DEP_1) | instskip(NEXT) | instid1(VALU_DEP_1)
	v_sub_nc_u32_e32 v7, v7, v8
	v_and_b32_e32 v8, 0xff, v7
	v_mov_b32_e32 v7, v5
	s_delay_alu instid0(VALU_DEP_2) | instskip(SKIP_1) | instid1(SALU_CYCLE_1)
	v_cmp_eq_u16_e64 s3, 0, v8
	s_or_b32 s6, s3, s6
	s_and_not1_b32 exec_lo, exec_lo, s6
	s_cbranch_execnz .LBB42_158
; %bb.159:
	s_or_b32 exec_lo, exec_lo, s6
.LBB42_160:
	s_delay_alu instid0(SALU_CYCLE_1) | instskip(NEXT) | instid1(VALU_DEP_1)
	s_or_b32 exec_lo, exec_lo, s5
	v_and_b32_e32 v8, 0xff, v5
	v_mov_b32_e32 v7, 0
	s_mov_b32 s5, exec_lo
	s_delay_alu instid0(VALU_DEP_2)
	v_cmpx_ne_u16_e32 0, v8
	s_cbranch_execz .LBB42_162
; %bb.161:
	v_cvt_f32_ubyte0_e32 v5, v5
	v_cvt_f32_ubyte0_e32 v8, v35
	s_delay_alu instid0(VALU_DEP_2) | instskip(SKIP_1) | instid1(TRANS32_DEP_1)
	v_rcp_iflag_f32_e32 v7, v5
	v_nop
	v_mul_f32_e32 v7, v8, v7
	s_delay_alu instid0(VALU_DEP_1) | instskip(NEXT) | instid1(VALU_DEP_1)
	v_trunc_f32_e32 v7, v7
	v_fma_f32 v8, -v7, v5, v8
	v_cvt_u32_f32_e32 v7, v7
	s_delay_alu instid0(VALU_DEP_2) | instskip(NEXT) | instid1(VALU_DEP_1)
	v_cmp_ge_f32_e64 s3, |v8|, v5
	v_add_co_ci_u32_e64 v5, null, 0, v7, s3
	s_delay_alu instid0(VALU_DEP_1)
	v_mul_lo_u16 v7, v5, v6
.LBB42_162:
	s_or_b32 exec_lo, exec_lo, s5
	s_delay_alu instid0(VALU_DEP_1)
	v_perm_b32 v2, v2, v7, 0x60504
.LBB42_163:
	s_or_b32 exec_lo, exec_lo, s4
	v_or_b32_e32 v5, 0x400, v0
	s_mov_b32 s4, exec_lo
	s_delay_alu instid0(VALU_DEP_1)
	v_cmpx_gt_i32_e64 s13, v5
	s_cbranch_execz .LBB42_171
; %bb.164:
	v_and_b32_e32 v6, 0xff, v34
	s_mov_b32 s6, 0
	s_delay_alu instid0(VALU_DEP_1)
	v_cmp_ne_u16_e64 s3, 0, v6
	v_mov_b32_e32 v6, v33
	s_and_saveexec_b32 s5, s3
	s_cbranch_execz .LBB42_168
; %bb.165:
	v_dual_mov_b32 v8, v34 :: v_dual_mov_b32 v7, v33
.LBB42_166:                             ; =>This Inner Loop Header: Depth=1
	s_delay_alu instid0(VALU_DEP_1) | instskip(NEXT) | instid1(VALU_DEP_2)
	v_cvt_f32_ubyte0_e32 v35, v7
	v_mov_b32_e32 v6, v8
	s_delay_alu instid0(VALU_DEP_1) | instskip(NEXT) | instid1(VALU_DEP_1)
	v_cvt_f32_ubyte0_e32 v8, v6
	v_rcp_iflag_f32_e32 v9, v8
	v_nop
	s_delay_alu instid0(TRANS32_DEP_1) | instskip(NEXT) | instid1(VALU_DEP_1)
	v_mul_f32_e32 v9, v35, v9
	v_trunc_f32_e32 v9, v9
	s_delay_alu instid0(VALU_DEP_1) | instskip(SKIP_1) | instid1(VALU_DEP_2)
	v_fma_f32 v35, -v9, v8, v35
	v_cvt_u32_f32_e32 v9, v9
	v_cmp_ge_f32_e64 s3, |v35|, v8
	s_delay_alu instid0(VALU_DEP_1) | instskip(NEXT) | instid1(VALU_DEP_1)
	v_add_co_ci_u32_e64 v8, null, 0, v9, s3
	v_mul_lo_u32 v8, v8, v6
	s_delay_alu instid0(VALU_DEP_1) | instskip(NEXT) | instid1(VALU_DEP_1)
	v_sub_nc_u32_e32 v7, v7, v8
	v_and_b32_e32 v8, 0xff, v7
	v_mov_b32_e32 v7, v6
	s_delay_alu instid0(VALU_DEP_2) | instskip(SKIP_1) | instid1(SALU_CYCLE_1)
	v_cmp_eq_u16_e64 s3, 0, v8
	s_or_b32 s6, s3, s6
	s_and_not1_b32 exec_lo, exec_lo, s6
	s_cbranch_execnz .LBB42_166
; %bb.167:
	s_or_b32 exec_lo, exec_lo, s6
.LBB42_168:
	s_delay_alu instid0(SALU_CYCLE_1) | instskip(NEXT) | instid1(VALU_DEP_1)
	s_or_b32 exec_lo, exec_lo, s5
	v_and_b32_e32 v8, 0xff, v6
	v_mov_b32_e32 v7, 0
	s_mov_b32 s5, exec_lo
	s_delay_alu instid0(VALU_DEP_2)
	v_cmpx_ne_u16_e32 0, v8
	s_cbranch_execz .LBB42_170
; %bb.169:
	v_cvt_f32_ubyte0_e32 v6, v6
	v_cvt_f32_ubyte0_e32 v8, v34
	s_delay_alu instid0(VALU_DEP_2) | instskip(SKIP_1) | instid1(TRANS32_DEP_1)
	v_rcp_iflag_f32_e32 v7, v6
	v_nop
	v_mul_f32_e32 v7, v8, v7
	s_delay_alu instid0(VALU_DEP_1) | instskip(NEXT) | instid1(VALU_DEP_1)
	v_trunc_f32_e32 v7, v7
	v_fma_f32 v8, -v7, v6, v8
	v_cvt_u32_f32_e32 v7, v7
	s_delay_alu instid0(VALU_DEP_2) | instskip(NEXT) | instid1(VALU_DEP_1)
	v_cmp_ge_f32_e64 s3, |v8|, v6
	v_add_co_ci_u32_e64 v6, null, 0, v7, s3
	s_delay_alu instid0(VALU_DEP_1)
	v_mul_lo_u16 v7, v6, v33
.LBB42_170:
	s_or_b32 exec_lo, exec_lo, s5
	s_delay_alu instid0(VALU_DEP_1)
	v_perm_b32 v1, v7, v1, 0x3020104
.LBB42_171:
	s_or_b32 exec_lo, exec_lo, s4
	v_or_b32_e32 v6, 0x500, v0
	s_delay_alu instid0(VALU_DEP_1)
	v_cmp_gt_i32_e64 s3, s13, v6
	s_and_saveexec_b32 s5, s3
	s_cbranch_execz .LBB42_179
; %bb.172:
	v_and_b32_e32 v6, 0xff, v32
	s_mov_b32 s7, 0
	s_delay_alu instid0(VALU_DEP_1)
	v_cmp_ne_u16_e64 s4, 0, v6
	v_mov_b32_e32 v6, v31
	s_and_saveexec_b32 s6, s4
	s_cbranch_execz .LBB42_176
; %bb.173:
	v_dual_mov_b32 v8, v32 :: v_dual_mov_b32 v7, v31
.LBB42_174:                             ; =>This Inner Loop Header: Depth=1
	s_delay_alu instid0(VALU_DEP_1) | instskip(NEXT) | instid1(VALU_DEP_2)
	v_cvt_f32_ubyte0_e32 v33, v7
	v_mov_b32_e32 v6, v8
	s_delay_alu instid0(VALU_DEP_1) | instskip(NEXT) | instid1(VALU_DEP_1)
	v_cvt_f32_ubyte0_e32 v8, v6
	v_rcp_iflag_f32_e32 v9, v8
	v_nop
	s_delay_alu instid0(TRANS32_DEP_1) | instskip(NEXT) | instid1(VALU_DEP_1)
	v_mul_f32_e32 v9, v33, v9
	v_trunc_f32_e32 v9, v9
	s_delay_alu instid0(VALU_DEP_1) | instskip(SKIP_1) | instid1(VALU_DEP_2)
	v_fma_f32 v33, -v9, v8, v33
	v_cvt_u32_f32_e32 v9, v9
	v_cmp_ge_f32_e64 s4, |v33|, v8
	s_delay_alu instid0(VALU_DEP_1) | instskip(NEXT) | instid1(VALU_DEP_1)
	v_add_co_ci_u32_e64 v8, null, 0, v9, s4
	v_mul_lo_u32 v8, v8, v6
	s_delay_alu instid0(VALU_DEP_1) | instskip(NEXT) | instid1(VALU_DEP_1)
	v_sub_nc_u32_e32 v7, v7, v8
	v_and_b32_e32 v8, 0xff, v7
	v_mov_b32_e32 v7, v6
	s_delay_alu instid0(VALU_DEP_2) | instskip(SKIP_1) | instid1(SALU_CYCLE_1)
	v_cmp_eq_u16_e64 s4, 0, v8
	s_or_b32 s7, s4, s7
	s_and_not1_b32 exec_lo, exec_lo, s7
	s_cbranch_execnz .LBB42_174
; %bb.175:
	s_or_b32 exec_lo, exec_lo, s7
.LBB42_176:
	s_delay_alu instid0(SALU_CYCLE_1) | instskip(NEXT) | instid1(VALU_DEP_1)
	s_or_b32 exec_lo, exec_lo, s6
	v_and_b32_e32 v8, 0xff, v6
	v_mov_b32_e32 v7, 0
	s_mov_b32 s6, exec_lo
	s_delay_alu instid0(VALU_DEP_2)
	v_cmpx_ne_u16_e32 0, v8
	s_cbranch_execz .LBB42_178
; %bb.177:
	v_cvt_f32_ubyte0_e32 v6, v6
	v_cvt_f32_ubyte0_e32 v8, v32
	s_delay_alu instid0(VALU_DEP_2) | instskip(SKIP_1) | instid1(TRANS32_DEP_1)
	v_rcp_iflag_f32_e32 v7, v6
	v_nop
	v_mul_f32_e32 v7, v8, v7
	s_delay_alu instid0(VALU_DEP_1) | instskip(NEXT) | instid1(VALU_DEP_1)
	v_trunc_f32_e32 v7, v7
	v_fma_f32 v8, -v7, v6, v8
	v_cvt_u32_f32_e32 v7, v7
	s_delay_alu instid0(VALU_DEP_2) | instskip(NEXT) | instid1(VALU_DEP_1)
	v_cmp_ge_f32_e64 s4, |v8|, v6
	v_add_co_ci_u32_e64 v6, null, 0, v7, s4
	s_delay_alu instid0(VALU_DEP_1)
	v_mul_lo_u16 v7, v6, v31
.LBB42_178:
	s_or_b32 exec_lo, exec_lo, s6
	s_delay_alu instid0(VALU_DEP_1)
	v_perm_b32 v1, v1, v7, 0x7060004
.LBB42_179:
	s_or_b32 exec_lo, exec_lo, s5
	v_or_b32_e32 v6, 0x600, v0
	s_delay_alu instid0(VALU_DEP_1)
	v_cmp_gt_i32_e64 s4, s13, v6
	s_and_saveexec_b32 s6, s4
	s_cbranch_execz .LBB42_187
; %bb.180:
	v_and_b32_e32 v6, 0xff, v30
	s_mov_b32 s8, 0
	s_delay_alu instid0(VALU_DEP_1)
	v_cmp_ne_u16_e64 s5, 0, v6
	v_mov_b32_e32 v6, v29
	s_and_saveexec_b32 s7, s5
	s_cbranch_execz .LBB42_184
; %bb.181:
	v_dual_mov_b32 v8, v30 :: v_dual_mov_b32 v7, v29
.LBB42_182:                             ; =>This Inner Loop Header: Depth=1
	s_delay_alu instid0(VALU_DEP_1) | instskip(NEXT) | instid1(VALU_DEP_2)
	v_cvt_f32_ubyte0_e32 v31, v7
	v_mov_b32_e32 v6, v8
	s_delay_alu instid0(VALU_DEP_1) | instskip(NEXT) | instid1(VALU_DEP_1)
	v_cvt_f32_ubyte0_e32 v8, v6
	v_rcp_iflag_f32_e32 v9, v8
	v_nop
	s_delay_alu instid0(TRANS32_DEP_1) | instskip(NEXT) | instid1(VALU_DEP_1)
	v_mul_f32_e32 v9, v31, v9
	v_trunc_f32_e32 v9, v9
	s_delay_alu instid0(VALU_DEP_1) | instskip(SKIP_1) | instid1(VALU_DEP_2)
	v_fma_f32 v31, -v9, v8, v31
	v_cvt_u32_f32_e32 v9, v9
	v_cmp_ge_f32_e64 s5, |v31|, v8
	s_delay_alu instid0(VALU_DEP_1) | instskip(NEXT) | instid1(VALU_DEP_1)
	v_add_co_ci_u32_e64 v8, null, 0, v9, s5
	v_mul_lo_u32 v8, v8, v6
	s_delay_alu instid0(VALU_DEP_1) | instskip(NEXT) | instid1(VALU_DEP_1)
	v_sub_nc_u32_e32 v7, v7, v8
	v_and_b32_e32 v8, 0xff, v7
	v_mov_b32_e32 v7, v6
	s_delay_alu instid0(VALU_DEP_2) | instskip(SKIP_1) | instid1(SALU_CYCLE_1)
	v_cmp_eq_u16_e64 s5, 0, v8
	s_or_b32 s8, s5, s8
	s_and_not1_b32 exec_lo, exec_lo, s8
	s_cbranch_execnz .LBB42_182
; %bb.183:
	s_or_b32 exec_lo, exec_lo, s8
.LBB42_184:
	s_delay_alu instid0(SALU_CYCLE_1) | instskip(NEXT) | instid1(VALU_DEP_1)
	s_or_b32 exec_lo, exec_lo, s7
	v_and_b32_e32 v8, 0xff, v6
	v_mov_b32_e32 v7, 0
	s_mov_b32 s7, exec_lo
	s_delay_alu instid0(VALU_DEP_2)
	v_cmpx_ne_u16_e32 0, v8
	s_cbranch_execz .LBB42_186
; %bb.185:
	v_cvt_f32_ubyte0_e32 v6, v6
	v_cvt_f32_ubyte0_e32 v8, v30
	s_delay_alu instid0(VALU_DEP_2) | instskip(SKIP_1) | instid1(TRANS32_DEP_1)
	v_rcp_iflag_f32_e32 v7, v6
	v_nop
	v_mul_f32_e32 v7, v8, v7
	s_delay_alu instid0(VALU_DEP_1) | instskip(NEXT) | instid1(VALU_DEP_1)
	v_trunc_f32_e32 v7, v7
	v_fma_f32 v8, -v7, v6, v8
	v_cvt_u32_f32_e32 v7, v7
	s_delay_alu instid0(VALU_DEP_2) | instskip(NEXT) | instid1(VALU_DEP_1)
	v_cmp_ge_f32_e64 s5, |v8|, v6
	v_add_co_ci_u32_e64 v6, null, 0, v7, s5
	s_delay_alu instid0(VALU_DEP_1)
	v_mul_lo_u16 v7, v6, v29
.LBB42_186:
	s_or_b32 exec_lo, exec_lo, s7
	s_delay_alu instid0(VALU_DEP_1)
	v_perm_b32 v1, v1, v7, 0x7000504
.LBB42_187:
	s_or_b32 exec_lo, exec_lo, s6
	v_or_b32_e32 v6, 0x700, v0
	s_delay_alu instid0(VALU_DEP_1)
	v_cmp_gt_i32_e64 s5, s13, v6
	s_and_saveexec_b32 s7, s5
	s_cbranch_execz .LBB42_195
; %bb.188:
	v_and_b32_e32 v6, 0xff, v28
	s_mov_b32 s9, 0
	s_delay_alu instid0(VALU_DEP_1)
	v_cmp_ne_u16_e64 s6, 0, v6
	v_mov_b32_e32 v6, v27
	s_and_saveexec_b32 s8, s6
	s_cbranch_execz .LBB42_192
; %bb.189:
	v_dual_mov_b32 v8, v28 :: v_dual_mov_b32 v7, v27
.LBB42_190:                             ; =>This Inner Loop Header: Depth=1
	s_delay_alu instid0(VALU_DEP_1) | instskip(NEXT) | instid1(VALU_DEP_2)
	v_cvt_f32_ubyte0_e32 v29, v7
	v_mov_b32_e32 v6, v8
	s_delay_alu instid0(VALU_DEP_1) | instskip(NEXT) | instid1(VALU_DEP_1)
	v_cvt_f32_ubyte0_e32 v8, v6
	v_rcp_iflag_f32_e32 v9, v8
	v_nop
	s_delay_alu instid0(TRANS32_DEP_1) | instskip(NEXT) | instid1(VALU_DEP_1)
	v_mul_f32_e32 v9, v29, v9
	v_trunc_f32_e32 v9, v9
	s_delay_alu instid0(VALU_DEP_1) | instskip(SKIP_1) | instid1(VALU_DEP_2)
	v_fma_f32 v29, -v9, v8, v29
	v_cvt_u32_f32_e32 v9, v9
	v_cmp_ge_f32_e64 s6, |v29|, v8
	s_delay_alu instid0(VALU_DEP_1) | instskip(NEXT) | instid1(VALU_DEP_1)
	v_add_co_ci_u32_e64 v8, null, 0, v9, s6
	v_mul_lo_u32 v8, v8, v6
	s_delay_alu instid0(VALU_DEP_1) | instskip(NEXT) | instid1(VALU_DEP_1)
	v_sub_nc_u32_e32 v7, v7, v8
	v_and_b32_e32 v8, 0xff, v7
	v_mov_b32_e32 v7, v6
	s_delay_alu instid0(VALU_DEP_2) | instskip(SKIP_1) | instid1(SALU_CYCLE_1)
	v_cmp_eq_u16_e64 s6, 0, v8
	s_or_b32 s9, s6, s9
	s_and_not1_b32 exec_lo, exec_lo, s9
	s_cbranch_execnz .LBB42_190
; %bb.191:
	s_or_b32 exec_lo, exec_lo, s9
.LBB42_192:
	s_delay_alu instid0(SALU_CYCLE_1) | instskip(NEXT) | instid1(VALU_DEP_1)
	s_or_b32 exec_lo, exec_lo, s8
	v_and_b32_e32 v8, 0xff, v6
	v_mov_b32_e32 v7, 0
	s_mov_b32 s8, exec_lo
	s_delay_alu instid0(VALU_DEP_2)
	v_cmpx_ne_u16_e32 0, v8
	s_cbranch_execz .LBB42_194
; %bb.193:
	v_cvt_f32_ubyte0_e32 v6, v6
	v_cvt_f32_ubyte0_e32 v8, v28
	s_delay_alu instid0(VALU_DEP_2) | instskip(SKIP_1) | instid1(TRANS32_DEP_1)
	v_rcp_iflag_f32_e32 v7, v6
	v_nop
	v_mul_f32_e32 v7, v8, v7
	s_delay_alu instid0(VALU_DEP_1) | instskip(NEXT) | instid1(VALU_DEP_1)
	v_trunc_f32_e32 v7, v7
	v_fma_f32 v8, -v7, v6, v8
	v_cvt_u32_f32_e32 v7, v7
	s_delay_alu instid0(VALU_DEP_2) | instskip(NEXT) | instid1(VALU_DEP_1)
	v_cmp_ge_f32_e64 s6, |v8|, v6
	v_add_co_ci_u32_e64 v6, null, 0, v7, s6
	s_delay_alu instid0(VALU_DEP_1)
	v_mul_lo_u16 v7, v6, v27
.LBB42_194:
	s_or_b32 exec_lo, exec_lo, s8
	s_delay_alu instid0(VALU_DEP_1)
	v_perm_b32 v1, v1, v7, 0x60504
.LBB42_195:
	s_or_b32 exec_lo, exec_lo, s7
	v_or_b32_e32 v8, 0x800, v0
	s_mov_b32 s7, exec_lo
	s_delay_alu instid0(VALU_DEP_1)
	v_cmpx_gt_i32_e64 s13, v8
	s_cbranch_execz .LBB42_203
; %bb.196:
	v_and_b32_e32 v6, 0xff, v26
	s_mov_b32 s9, 0
	s_delay_alu instid0(VALU_DEP_1)
	v_cmp_ne_u16_e64 s6, 0, v6
	v_mov_b32_e32 v6, v25
	s_and_saveexec_b32 s8, s6
	s_cbranch_execz .LBB42_200
; %bb.197:
	v_dual_mov_b32 v9, v26 :: v_dual_mov_b32 v7, v25
.LBB42_198:                             ; =>This Inner Loop Header: Depth=1
	s_delay_alu instid0(VALU_DEP_1) | instskip(NEXT) | instid1(VALU_DEP_2)
	v_cvt_f32_ubyte0_e32 v28, v7
	v_mov_b32_e32 v6, v9
	s_delay_alu instid0(VALU_DEP_1) | instskip(NEXT) | instid1(VALU_DEP_1)
	v_cvt_f32_ubyte0_e32 v9, v6
	v_rcp_iflag_f32_e32 v27, v9
	v_nop
	s_delay_alu instid0(TRANS32_DEP_1) | instskip(NEXT) | instid1(VALU_DEP_1)
	v_mul_f32_e32 v27, v28, v27
	v_trunc_f32_e32 v27, v27
	s_delay_alu instid0(VALU_DEP_1) | instskip(SKIP_1) | instid1(VALU_DEP_2)
	v_fma_f32 v28, -v27, v9, v28
	v_cvt_u32_f32_e32 v27, v27
	v_cmp_ge_f32_e64 s6, |v28|, v9
	s_delay_alu instid0(VALU_DEP_1) | instskip(NEXT) | instid1(VALU_DEP_1)
	v_add_co_ci_u32_e64 v9, null, 0, v27, s6
	v_mul_lo_u32 v9, v9, v6
	s_delay_alu instid0(VALU_DEP_1) | instskip(NEXT) | instid1(VALU_DEP_1)
	v_sub_nc_u32_e32 v7, v7, v9
	v_and_b32_e32 v9, 0xff, v7
	v_mov_b32_e32 v7, v6
	s_delay_alu instid0(VALU_DEP_2) | instskip(SKIP_1) | instid1(SALU_CYCLE_1)
	v_cmp_eq_u16_e64 s6, 0, v9
	s_or_b32 s9, s6, s9
	s_and_not1_b32 exec_lo, exec_lo, s9
	s_cbranch_execnz .LBB42_198
; %bb.199:
	s_or_b32 exec_lo, exec_lo, s9
.LBB42_200:
	s_delay_alu instid0(SALU_CYCLE_1) | instskip(NEXT) | instid1(VALU_DEP_1)
	s_or_b32 exec_lo, exec_lo, s8
	v_and_b32_e32 v9, 0xff, v6
	v_mov_b32_e32 v7, 0
	s_mov_b32 s8, exec_lo
	s_delay_alu instid0(VALU_DEP_2)
	v_cmpx_ne_u16_e32 0, v9
	s_cbranch_execz .LBB42_202
; %bb.201:
	v_cvt_f32_ubyte0_e32 v6, v6
	v_cvt_f32_ubyte0_e32 v9, v26
	s_delay_alu instid0(VALU_DEP_2) | instskip(SKIP_1) | instid1(TRANS32_DEP_1)
	v_rcp_iflag_f32_e32 v7, v6
	v_nop
	v_mul_f32_e32 v7, v9, v7
	s_delay_alu instid0(VALU_DEP_1) | instskip(NEXT) | instid1(VALU_DEP_1)
	v_trunc_f32_e32 v7, v7
	v_fma_f32 v9, -v7, v6, v9
	v_cvt_u32_f32_e32 v7, v7
	s_delay_alu instid0(VALU_DEP_2) | instskip(NEXT) | instid1(VALU_DEP_1)
	v_cmp_ge_f32_e64 s6, |v9|, v6
	v_add_co_ci_u32_e64 v6, null, 0, v7, s6
	s_delay_alu instid0(VALU_DEP_1)
	v_mul_lo_u16 v7, v6, v25
.LBB42_202:
	s_or_b32 exec_lo, exec_lo, s8
	s_delay_alu instid0(VALU_DEP_1)
	v_perm_b32 v4, v7, v4, 0x3020104
.LBB42_203:
	s_or_b32 exec_lo, exec_lo, s7
	v_or_b32_e32 v6, 0x900, v0
	s_delay_alu instid0(VALU_DEP_1)
	v_cmp_gt_i32_e64 s6, s13, v6
	s_and_saveexec_b32 s8, s6
	s_cbranch_execz .LBB42_211
; %bb.204:
	v_and_b32_e32 v6, 0xff, v24
	s_mov_b32 s10, 0
	s_delay_alu instid0(VALU_DEP_1)
	v_cmp_ne_u16_e64 s7, 0, v6
	v_mov_b32_e32 v6, v23
	s_and_saveexec_b32 s9, s7
	s_cbranch_execz .LBB42_208
; %bb.205:
	v_dual_mov_b32 v9, v24 :: v_dual_mov_b32 v7, v23
.LBB42_206:                             ; =>This Inner Loop Header: Depth=1
	s_delay_alu instid0(VALU_DEP_1) | instskip(NEXT) | instid1(VALU_DEP_2)
	v_cvt_f32_ubyte0_e32 v26, v7
	v_mov_b32_e32 v6, v9
	s_delay_alu instid0(VALU_DEP_1) | instskip(NEXT) | instid1(VALU_DEP_1)
	v_cvt_f32_ubyte0_e32 v9, v6
	v_rcp_iflag_f32_e32 v25, v9
	v_nop
	s_delay_alu instid0(TRANS32_DEP_1) | instskip(NEXT) | instid1(VALU_DEP_1)
	v_mul_f32_e32 v25, v26, v25
	v_trunc_f32_e32 v25, v25
	s_delay_alu instid0(VALU_DEP_1) | instskip(SKIP_1) | instid1(VALU_DEP_2)
	v_fma_f32 v26, -v25, v9, v26
	v_cvt_u32_f32_e32 v25, v25
	v_cmp_ge_f32_e64 s7, |v26|, v9
	s_delay_alu instid0(VALU_DEP_1) | instskip(NEXT) | instid1(VALU_DEP_1)
	v_add_co_ci_u32_e64 v9, null, 0, v25, s7
	v_mul_lo_u32 v9, v9, v6
	s_delay_alu instid0(VALU_DEP_1) | instskip(NEXT) | instid1(VALU_DEP_1)
	v_sub_nc_u32_e32 v7, v7, v9
	v_and_b32_e32 v9, 0xff, v7
	v_mov_b32_e32 v7, v6
	s_delay_alu instid0(VALU_DEP_2) | instskip(SKIP_1) | instid1(SALU_CYCLE_1)
	v_cmp_eq_u16_e64 s7, 0, v9
	s_or_b32 s10, s7, s10
	s_and_not1_b32 exec_lo, exec_lo, s10
	s_cbranch_execnz .LBB42_206
; %bb.207:
	s_or_b32 exec_lo, exec_lo, s10
.LBB42_208:
	s_delay_alu instid0(SALU_CYCLE_1) | instskip(NEXT) | instid1(VALU_DEP_1)
	s_or_b32 exec_lo, exec_lo, s9
	v_and_b32_e32 v9, 0xff, v6
	v_mov_b32_e32 v7, 0
	s_mov_b32 s9, exec_lo
	s_delay_alu instid0(VALU_DEP_2)
	v_cmpx_ne_u16_e32 0, v9
	s_cbranch_execz .LBB42_210
; %bb.209:
	v_cvt_f32_ubyte0_e32 v6, v6
	v_cvt_f32_ubyte0_e32 v9, v24
	s_delay_alu instid0(VALU_DEP_2) | instskip(SKIP_1) | instid1(TRANS32_DEP_1)
	v_rcp_iflag_f32_e32 v7, v6
	v_nop
	v_mul_f32_e32 v7, v9, v7
	s_delay_alu instid0(VALU_DEP_1) | instskip(NEXT) | instid1(VALU_DEP_1)
	v_trunc_f32_e32 v7, v7
	v_fma_f32 v9, -v7, v6, v9
	v_cvt_u32_f32_e32 v7, v7
	s_delay_alu instid0(VALU_DEP_2) | instskip(NEXT) | instid1(VALU_DEP_1)
	v_cmp_ge_f32_e64 s7, |v9|, v6
	v_add_co_ci_u32_e64 v6, null, 0, v7, s7
	s_delay_alu instid0(VALU_DEP_1)
	v_mul_lo_u16 v7, v6, v23
.LBB42_210:
	s_or_b32 exec_lo, exec_lo, s9
	s_delay_alu instid0(VALU_DEP_1)
	v_perm_b32 v4, v4, v7, 0x7060004
.LBB42_211:
	s_or_b32 exec_lo, exec_lo, s8
	v_or_b32_e32 v6, 0xa00, v0
	s_delay_alu instid0(VALU_DEP_1)
	v_cmp_gt_i32_e64 s7, s13, v6
	s_and_saveexec_b32 s9, s7
	s_cbranch_execz .LBB42_219
; %bb.212:
	v_and_b32_e32 v6, 0xff, v22
	s_mov_b32 s11, 0
	s_delay_alu instid0(VALU_DEP_1)
	v_cmp_ne_u16_e64 s8, 0, v6
	v_mov_b32_e32 v6, v21
	s_and_saveexec_b32 s10, s8
	s_cbranch_execz .LBB42_216
; %bb.213:
	v_dual_mov_b32 v9, v22 :: v_dual_mov_b32 v7, v21
.LBB42_214:                             ; =>This Inner Loop Header: Depth=1
	s_delay_alu instid0(VALU_DEP_1) | instskip(NEXT) | instid1(VALU_DEP_2)
	v_cvt_f32_ubyte0_e32 v24, v7
	v_mov_b32_e32 v6, v9
	s_delay_alu instid0(VALU_DEP_1) | instskip(NEXT) | instid1(VALU_DEP_1)
	v_cvt_f32_ubyte0_e32 v9, v6
	v_rcp_iflag_f32_e32 v23, v9
	v_nop
	s_delay_alu instid0(TRANS32_DEP_1) | instskip(NEXT) | instid1(VALU_DEP_1)
	v_mul_f32_e32 v23, v24, v23
	v_trunc_f32_e32 v23, v23
	s_delay_alu instid0(VALU_DEP_1) | instskip(SKIP_1) | instid1(VALU_DEP_2)
	v_fma_f32 v24, -v23, v9, v24
	v_cvt_u32_f32_e32 v23, v23
	v_cmp_ge_f32_e64 s8, |v24|, v9
	s_delay_alu instid0(VALU_DEP_1) | instskip(NEXT) | instid1(VALU_DEP_1)
	v_add_co_ci_u32_e64 v9, null, 0, v23, s8
	v_mul_lo_u32 v9, v9, v6
	s_delay_alu instid0(VALU_DEP_1) | instskip(NEXT) | instid1(VALU_DEP_1)
	v_sub_nc_u32_e32 v7, v7, v9
	v_and_b32_e32 v9, 0xff, v7
	v_mov_b32_e32 v7, v6
	s_delay_alu instid0(VALU_DEP_2) | instskip(SKIP_1) | instid1(SALU_CYCLE_1)
	v_cmp_eq_u16_e64 s8, 0, v9
	s_or_b32 s11, s8, s11
	s_and_not1_b32 exec_lo, exec_lo, s11
	s_cbranch_execnz .LBB42_214
; %bb.215:
	s_or_b32 exec_lo, exec_lo, s11
.LBB42_216:
	s_delay_alu instid0(SALU_CYCLE_1) | instskip(NEXT) | instid1(VALU_DEP_1)
	s_or_b32 exec_lo, exec_lo, s10
	v_and_b32_e32 v9, 0xff, v6
	v_mov_b32_e32 v7, 0
	s_mov_b32 s10, exec_lo
	s_delay_alu instid0(VALU_DEP_2)
	v_cmpx_ne_u16_e32 0, v9
	s_cbranch_execz .LBB42_218
; %bb.217:
	v_cvt_f32_ubyte0_e32 v6, v6
	v_cvt_f32_ubyte0_e32 v9, v22
	s_delay_alu instid0(VALU_DEP_2) | instskip(SKIP_1) | instid1(TRANS32_DEP_1)
	v_rcp_iflag_f32_e32 v7, v6
	v_nop
	v_mul_f32_e32 v7, v9, v7
	s_delay_alu instid0(VALU_DEP_1) | instskip(NEXT) | instid1(VALU_DEP_1)
	v_trunc_f32_e32 v7, v7
	v_fma_f32 v9, -v7, v6, v9
	v_cvt_u32_f32_e32 v7, v7
	s_delay_alu instid0(VALU_DEP_2) | instskip(NEXT) | instid1(VALU_DEP_1)
	v_cmp_ge_f32_e64 s8, |v9|, v6
	v_add_co_ci_u32_e64 v6, null, 0, v7, s8
	s_delay_alu instid0(VALU_DEP_1)
	v_mul_lo_u16 v7, v6, v21
.LBB42_218:
	s_or_b32 exec_lo, exec_lo, s10
	s_delay_alu instid0(VALU_DEP_1)
	v_perm_b32 v4, v4, v7, 0x7000504
.LBB42_219:
	s_or_b32 exec_lo, exec_lo, s9
	v_or_b32_e32 v6, 0xb00, v0
	s_delay_alu instid0(VALU_DEP_1)
	v_cmp_gt_i32_e64 s8, s13, v6
	s_and_saveexec_b32 s10, s8
	s_cbranch_execz .LBB42_227
; %bb.220:
	v_and_b32_e32 v6, 0xff, v20
	s_mov_b32 s12, 0
	s_delay_alu instid0(VALU_DEP_1)
	v_cmp_ne_u16_e64 s9, 0, v6
	v_mov_b32_e32 v6, v19
	s_and_saveexec_b32 s11, s9
	s_cbranch_execz .LBB42_224
; %bb.221:
	v_dual_mov_b32 v9, v20 :: v_dual_mov_b32 v7, v19
.LBB42_222:                             ; =>This Inner Loop Header: Depth=1
	s_delay_alu instid0(VALU_DEP_1) | instskip(NEXT) | instid1(VALU_DEP_2)
	v_cvt_f32_ubyte0_e32 v22, v7
	v_mov_b32_e32 v6, v9
	s_delay_alu instid0(VALU_DEP_1) | instskip(NEXT) | instid1(VALU_DEP_1)
	v_cvt_f32_ubyte0_e32 v9, v6
	v_rcp_iflag_f32_e32 v21, v9
	v_nop
	s_delay_alu instid0(TRANS32_DEP_1) | instskip(NEXT) | instid1(VALU_DEP_1)
	v_mul_f32_e32 v21, v22, v21
	v_trunc_f32_e32 v21, v21
	s_delay_alu instid0(VALU_DEP_1) | instskip(SKIP_1) | instid1(VALU_DEP_2)
	v_fma_f32 v22, -v21, v9, v22
	v_cvt_u32_f32_e32 v21, v21
	v_cmp_ge_f32_e64 s9, |v22|, v9
	s_delay_alu instid0(VALU_DEP_1) | instskip(NEXT) | instid1(VALU_DEP_1)
	v_add_co_ci_u32_e64 v9, null, 0, v21, s9
	v_mul_lo_u32 v9, v9, v6
	s_delay_alu instid0(VALU_DEP_1) | instskip(NEXT) | instid1(VALU_DEP_1)
	v_sub_nc_u32_e32 v7, v7, v9
	v_and_b32_e32 v9, 0xff, v7
	v_mov_b32_e32 v7, v6
	s_delay_alu instid0(VALU_DEP_2) | instskip(SKIP_1) | instid1(SALU_CYCLE_1)
	v_cmp_eq_u16_e64 s9, 0, v9
	s_or_b32 s12, s9, s12
	s_and_not1_b32 exec_lo, exec_lo, s12
	s_cbranch_execnz .LBB42_222
; %bb.223:
	s_or_b32 exec_lo, exec_lo, s12
.LBB42_224:
	s_delay_alu instid0(SALU_CYCLE_1) | instskip(NEXT) | instid1(VALU_DEP_1)
	s_or_b32 exec_lo, exec_lo, s11
	v_and_b32_e32 v9, 0xff, v6
	v_mov_b32_e32 v7, 0
	s_mov_b32 s11, exec_lo
	s_delay_alu instid0(VALU_DEP_2)
	v_cmpx_ne_u16_e32 0, v9
	s_cbranch_execz .LBB42_226
; %bb.225:
	v_cvt_f32_ubyte0_e32 v6, v6
	v_cvt_f32_ubyte0_e32 v9, v20
	s_delay_alu instid0(VALU_DEP_2) | instskip(SKIP_1) | instid1(TRANS32_DEP_1)
	v_rcp_iflag_f32_e32 v7, v6
	v_nop
	v_mul_f32_e32 v7, v9, v7
	s_delay_alu instid0(VALU_DEP_1) | instskip(NEXT) | instid1(VALU_DEP_1)
	v_trunc_f32_e32 v7, v7
	v_fma_f32 v9, -v7, v6, v9
	v_cvt_u32_f32_e32 v7, v7
	s_delay_alu instid0(VALU_DEP_2) | instskip(NEXT) | instid1(VALU_DEP_1)
	v_cmp_ge_f32_e64 s9, |v9|, v6
	v_add_co_ci_u32_e64 v6, null, 0, v7, s9
	s_delay_alu instid0(VALU_DEP_1)
	v_mul_lo_u16 v7, v6, v19
.LBB42_226:
	s_or_b32 exec_lo, exec_lo, s11
	s_delay_alu instid0(VALU_DEP_1)
	v_perm_b32 v4, v4, v7, 0x60504
.LBB42_227:
	s_or_b32 exec_lo, exec_lo, s10
	v_or_b32_e32 v9, 0xc00, v0
	s_mov_b32 s10, exec_lo
	s_delay_alu instid0(VALU_DEP_1)
	v_cmpx_gt_i32_e64 s13, v9
	s_cbranch_execz .LBB42_235
; %bb.228:
	v_and_b32_e32 v6, 0xff, v18
	s_mov_b32 s12, 0
	s_delay_alu instid0(VALU_DEP_1)
	v_cmp_ne_u16_e64 s9, 0, v6
	v_mov_b32_e32 v6, v17
	s_and_saveexec_b32 s11, s9
	s_cbranch_execz .LBB42_232
; %bb.229:
	v_dual_mov_b32 v19, v18 :: v_dual_mov_b32 v7, v17
.LBB42_230:                             ; =>This Inner Loop Header: Depth=1
	s_delay_alu instid0(VALU_DEP_1) | instskip(NEXT) | instid1(VALU_DEP_2)
	v_cvt_f32_ubyte0_e32 v21, v7
	v_mov_b32_e32 v6, v19
	s_delay_alu instid0(VALU_DEP_1) | instskip(NEXT) | instid1(VALU_DEP_1)
	v_cvt_f32_ubyte0_e32 v19, v6
	v_rcp_iflag_f32_e32 v20, v19
	v_nop
	s_delay_alu instid0(TRANS32_DEP_1) | instskip(NEXT) | instid1(VALU_DEP_1)
	v_mul_f32_e32 v20, v21, v20
	v_trunc_f32_e32 v20, v20
	s_delay_alu instid0(VALU_DEP_1) | instskip(SKIP_1) | instid1(VALU_DEP_2)
	v_fma_f32 v21, -v20, v19, v21
	v_cvt_u32_f32_e32 v20, v20
	v_cmp_ge_f32_e64 s9, |v21|, v19
	s_delay_alu instid0(VALU_DEP_1) | instskip(NEXT) | instid1(VALU_DEP_1)
	v_add_co_ci_u32_e64 v19, null, 0, v20, s9
	v_mul_lo_u32 v19, v19, v6
	s_delay_alu instid0(VALU_DEP_1) | instskip(NEXT) | instid1(VALU_DEP_1)
	v_sub_nc_u32_e32 v7, v7, v19
	v_and_b32_e32 v19, 0xff, v7
	v_mov_b32_e32 v7, v6
	s_delay_alu instid0(VALU_DEP_2) | instskip(SKIP_1) | instid1(SALU_CYCLE_1)
	v_cmp_eq_u16_e64 s9, 0, v19
	s_or_b32 s12, s9, s12
	s_and_not1_b32 exec_lo, exec_lo, s12
	s_cbranch_execnz .LBB42_230
; %bb.231:
	s_or_b32 exec_lo, exec_lo, s12
.LBB42_232:
	s_delay_alu instid0(SALU_CYCLE_1) | instskip(NEXT) | instid1(VALU_DEP_1)
	s_or_b32 exec_lo, exec_lo, s11
	v_and_b32_e32 v19, 0xff, v6
	v_mov_b32_e32 v7, 0
	s_mov_b32 s11, exec_lo
	s_delay_alu instid0(VALU_DEP_2)
	v_cmpx_ne_u16_e32 0, v19
	s_cbranch_execz .LBB42_234
; %bb.233:
	v_cvt_f32_ubyte0_e32 v6, v6
	v_cvt_f32_ubyte0_e32 v18, v18
	s_delay_alu instid0(VALU_DEP_2) | instskip(SKIP_1) | instid1(TRANS32_DEP_1)
	v_rcp_iflag_f32_e32 v7, v6
	v_nop
	v_mul_f32_e32 v7, v18, v7
	s_delay_alu instid0(VALU_DEP_1) | instskip(NEXT) | instid1(VALU_DEP_1)
	v_trunc_f32_e32 v7, v7
	v_fma_f32 v18, -v7, v6, v18
	v_cvt_u32_f32_e32 v7, v7
	s_delay_alu instid0(VALU_DEP_2) | instskip(NEXT) | instid1(VALU_DEP_1)
	v_cmp_ge_f32_e64 s9, |v18|, v6
	v_add_co_ci_u32_e64 v6, null, 0, v7, s9
	s_delay_alu instid0(VALU_DEP_1)
	v_mul_lo_u16 v7, v6, v17
.LBB42_234:
	s_or_b32 exec_lo, exec_lo, s11
	s_delay_alu instid0(VALU_DEP_1)
	v_perm_b32 v3, v7, v3, 0x3020104
.LBB42_235:
	s_or_b32 exec_lo, exec_lo, s10
	v_or_b32_e32 v6, 0xd00, v0
	s_delay_alu instid0(VALU_DEP_1)
	v_cmp_gt_i32_e64 s9, s13, v6
	s_and_saveexec_b32 s11, s9
	s_cbranch_execz .LBB42_243
; %bb.236:
	v_and_b32_e32 v6, 0xff, v16
	s_mov_b32 s15, 0
	s_delay_alu instid0(VALU_DEP_1)
	v_cmp_ne_u16_e64 s10, 0, v6
	v_mov_b32_e32 v6, v15
	s_and_saveexec_b32 s12, s10
	s_cbranch_execz .LBB42_240
; %bb.237:
	v_dual_mov_b32 v17, v16 :: v_dual_mov_b32 v7, v15
.LBB42_238:                             ; =>This Inner Loop Header: Depth=1
	s_delay_alu instid0(VALU_DEP_1) | instskip(NEXT) | instid1(VALU_DEP_2)
	v_cvt_f32_ubyte0_e32 v19, v7
	v_mov_b32_e32 v6, v17
	s_delay_alu instid0(VALU_DEP_1) | instskip(NEXT) | instid1(VALU_DEP_1)
	v_cvt_f32_ubyte0_e32 v17, v6
	v_rcp_iflag_f32_e32 v18, v17
	v_nop
	s_delay_alu instid0(TRANS32_DEP_1) | instskip(NEXT) | instid1(VALU_DEP_1)
	v_mul_f32_e32 v18, v19, v18
	v_trunc_f32_e32 v18, v18
	s_delay_alu instid0(VALU_DEP_1) | instskip(SKIP_1) | instid1(VALU_DEP_2)
	v_fma_f32 v19, -v18, v17, v19
	v_cvt_u32_f32_e32 v18, v18
	v_cmp_ge_f32_e64 s10, |v19|, v17
	s_delay_alu instid0(VALU_DEP_1) | instskip(NEXT) | instid1(VALU_DEP_1)
	v_add_co_ci_u32_e64 v17, null, 0, v18, s10
	v_mul_lo_u32 v17, v17, v6
	s_delay_alu instid0(VALU_DEP_1) | instskip(NEXT) | instid1(VALU_DEP_1)
	v_sub_nc_u32_e32 v7, v7, v17
	v_and_b32_e32 v17, 0xff, v7
	v_mov_b32_e32 v7, v6
	s_delay_alu instid0(VALU_DEP_2) | instskip(SKIP_1) | instid1(SALU_CYCLE_1)
	v_cmp_eq_u16_e64 s10, 0, v17
	s_or_b32 s15, s10, s15
	s_and_not1_b32 exec_lo, exec_lo, s15
	s_cbranch_execnz .LBB42_238
; %bb.239:
	s_or_b32 exec_lo, exec_lo, s15
.LBB42_240:
	s_delay_alu instid0(SALU_CYCLE_1) | instskip(NEXT) | instid1(VALU_DEP_1)
	s_or_b32 exec_lo, exec_lo, s12
	v_and_b32_e32 v17, 0xff, v6
	v_mov_b32_e32 v7, 0
	s_mov_b32 s12, exec_lo
	s_delay_alu instid0(VALU_DEP_2)
	v_cmpx_ne_u16_e32 0, v17
	s_cbranch_execz .LBB42_242
; %bb.241:
	v_cvt_f32_ubyte0_e32 v6, v6
	v_cvt_f32_ubyte0_e32 v16, v16
	s_delay_alu instid0(VALU_DEP_2) | instskip(SKIP_1) | instid1(TRANS32_DEP_1)
	v_rcp_iflag_f32_e32 v7, v6
	v_nop
	v_mul_f32_e32 v7, v16, v7
	s_delay_alu instid0(VALU_DEP_1) | instskip(NEXT) | instid1(VALU_DEP_1)
	v_trunc_f32_e32 v7, v7
	v_fma_f32 v16, -v7, v6, v16
	v_cvt_u32_f32_e32 v7, v7
	s_delay_alu instid0(VALU_DEP_2) | instskip(NEXT) | instid1(VALU_DEP_1)
	v_cmp_ge_f32_e64 s10, |v16|, v6
	v_add_co_ci_u32_e64 v6, null, 0, v7, s10
	s_delay_alu instid0(VALU_DEP_1)
	v_mul_lo_u16 v7, v6, v15
.LBB42_242:
	s_or_b32 exec_lo, exec_lo, s12
	s_delay_alu instid0(VALU_DEP_1)
	v_perm_b32 v3, v3, v7, 0x7060004
.LBB42_243:
	s_or_b32 exec_lo, exec_lo, s11
	v_or_b32_e32 v6, 0xe00, v0
	s_delay_alu instid0(VALU_DEP_1)
	v_cmp_gt_i32_e64 s10, s13, v6
	s_and_saveexec_b32 s12, s10
	s_cbranch_execz .LBB42_251
; %bb.244:
	v_and_b32_e32 v6, 0xff, v14
	s_mov_b32 s18, 0
	s_delay_alu instid0(VALU_DEP_1)
	v_cmp_ne_u16_e64 s11, 0, v6
	v_mov_b32_e32 v6, v13
	s_and_saveexec_b32 s15, s11
	s_cbranch_execz .LBB42_248
; %bb.245:
	v_dual_mov_b32 v15, v14 :: v_dual_mov_b32 v7, v13
.LBB42_246:                             ; =>This Inner Loop Header: Depth=1
	s_delay_alu instid0(VALU_DEP_1) | instskip(NEXT) | instid1(VALU_DEP_2)
	v_cvt_f32_ubyte0_e32 v17, v7
	v_mov_b32_e32 v6, v15
	s_delay_alu instid0(VALU_DEP_1) | instskip(NEXT) | instid1(VALU_DEP_1)
	v_cvt_f32_ubyte0_e32 v15, v6
	v_rcp_iflag_f32_e32 v16, v15
	v_nop
	s_delay_alu instid0(TRANS32_DEP_1) | instskip(NEXT) | instid1(VALU_DEP_1)
	v_mul_f32_e32 v16, v17, v16
	v_trunc_f32_e32 v16, v16
	s_delay_alu instid0(VALU_DEP_1) | instskip(SKIP_1) | instid1(VALU_DEP_2)
	v_fma_f32 v17, -v16, v15, v17
	v_cvt_u32_f32_e32 v16, v16
	v_cmp_ge_f32_e64 s11, |v17|, v15
	s_delay_alu instid0(VALU_DEP_1) | instskip(NEXT) | instid1(VALU_DEP_1)
	v_add_co_ci_u32_e64 v15, null, 0, v16, s11
	v_mul_lo_u32 v15, v15, v6
	s_delay_alu instid0(VALU_DEP_1) | instskip(NEXT) | instid1(VALU_DEP_1)
	v_sub_nc_u32_e32 v7, v7, v15
	v_and_b32_e32 v15, 0xff, v7
	v_mov_b32_e32 v7, v6
	s_delay_alu instid0(VALU_DEP_2) | instskip(SKIP_1) | instid1(SALU_CYCLE_1)
	v_cmp_eq_u16_e64 s11, 0, v15
	s_or_b32 s18, s11, s18
	s_and_not1_b32 exec_lo, exec_lo, s18
	s_cbranch_execnz .LBB42_246
; %bb.247:
	s_or_b32 exec_lo, exec_lo, s18
.LBB42_248:
	s_delay_alu instid0(SALU_CYCLE_1) | instskip(NEXT) | instid1(VALU_DEP_1)
	s_or_b32 exec_lo, exec_lo, s15
	v_and_b32_e32 v15, 0xff, v6
	v_mov_b32_e32 v7, 0
	s_mov_b32 s15, exec_lo
	s_delay_alu instid0(VALU_DEP_2)
	v_cmpx_ne_u16_e32 0, v15
	s_cbranch_execz .LBB42_250
; %bb.249:
	v_cvt_f32_ubyte0_e32 v6, v6
	v_cvt_f32_ubyte0_e32 v14, v14
	s_delay_alu instid0(VALU_DEP_2) | instskip(SKIP_1) | instid1(TRANS32_DEP_1)
	v_rcp_iflag_f32_e32 v7, v6
	v_nop
	v_mul_f32_e32 v7, v14, v7
	s_delay_alu instid0(VALU_DEP_1) | instskip(NEXT) | instid1(VALU_DEP_1)
	v_trunc_f32_e32 v7, v7
	v_fma_f32 v14, -v7, v6, v14
	v_cvt_u32_f32_e32 v7, v7
	s_delay_alu instid0(VALU_DEP_2) | instskip(NEXT) | instid1(VALU_DEP_1)
	v_cmp_ge_f32_e64 s11, |v14|, v6
	v_add_co_ci_u32_e64 v6, null, 0, v7, s11
	s_delay_alu instid0(VALU_DEP_1)
	v_mul_lo_u16 v7, v6, v13
.LBB42_250:
	s_or_b32 exec_lo, exec_lo, s15
	s_delay_alu instid0(VALU_DEP_1)
	v_perm_b32 v3, v3, v7, 0x7000504
.LBB42_251:
	s_or_b32 exec_lo, exec_lo, s12
	v_or_b32_e32 v6, 0xf00, v0
	s_delay_alu instid0(VALU_DEP_1)
	v_cmp_gt_i32_e64 s11, s13, v6
	s_and_saveexec_b32 s15, s11
	s_cbranch_execz .LBB42_259
; %bb.252:
	v_and_b32_e32 v6, 0xff, v12
	s_mov_b32 s19, 0
	s_delay_alu instid0(VALU_DEP_1)
	v_cmp_ne_u16_e64 s12, 0, v6
	v_mov_b32_e32 v6, v11
	s_and_saveexec_b32 s18, s12
	s_cbranch_execz .LBB42_256
; %bb.253:
	v_dual_mov_b32 v13, v12 :: v_dual_mov_b32 v7, v11
.LBB42_254:                             ; =>This Inner Loop Header: Depth=1
	s_delay_alu instid0(VALU_DEP_1) | instskip(NEXT) | instid1(VALU_DEP_2)
	v_cvt_f32_ubyte0_e32 v15, v7
	v_mov_b32_e32 v6, v13
	s_delay_alu instid0(VALU_DEP_1) | instskip(NEXT) | instid1(VALU_DEP_1)
	v_cvt_f32_ubyte0_e32 v13, v6
	v_rcp_iflag_f32_e32 v14, v13
	v_nop
	s_delay_alu instid0(TRANS32_DEP_1) | instskip(NEXT) | instid1(VALU_DEP_1)
	v_mul_f32_e32 v14, v15, v14
	v_trunc_f32_e32 v14, v14
	s_delay_alu instid0(VALU_DEP_1) | instskip(SKIP_1) | instid1(VALU_DEP_2)
	v_fma_f32 v15, -v14, v13, v15
	v_cvt_u32_f32_e32 v14, v14
	v_cmp_ge_f32_e64 s12, |v15|, v13
	s_delay_alu instid0(VALU_DEP_1) | instskip(NEXT) | instid1(VALU_DEP_1)
	v_add_co_ci_u32_e64 v13, null, 0, v14, s12
	v_mul_lo_u32 v13, v13, v6
	s_delay_alu instid0(VALU_DEP_1) | instskip(NEXT) | instid1(VALU_DEP_1)
	v_sub_nc_u32_e32 v7, v7, v13
	v_and_b32_e32 v13, 0xff, v7
	v_mov_b32_e32 v7, v6
	s_delay_alu instid0(VALU_DEP_2) | instskip(SKIP_1) | instid1(SALU_CYCLE_1)
	v_cmp_eq_u16_e64 s12, 0, v13
	s_or_b32 s19, s12, s19
	s_and_not1_b32 exec_lo, exec_lo, s19
	s_cbranch_execnz .LBB42_254
; %bb.255:
	s_or_b32 exec_lo, exec_lo, s19
.LBB42_256:
	s_delay_alu instid0(SALU_CYCLE_1) | instskip(NEXT) | instid1(VALU_DEP_1)
	s_or_b32 exec_lo, exec_lo, s18
	v_and_b32_e32 v13, 0xff, v6
	v_mov_b32_e32 v7, 0
	s_mov_b32 s18, exec_lo
	s_delay_alu instid0(VALU_DEP_2)
	v_cmpx_ne_u16_e32 0, v13
	s_cbranch_execz .LBB42_258
; %bb.257:
	v_cvt_f32_ubyte0_e32 v6, v6
	v_cvt_f32_ubyte0_e32 v12, v12
	s_delay_alu instid0(VALU_DEP_2) | instskip(SKIP_1) | instid1(TRANS32_DEP_1)
	v_rcp_iflag_f32_e32 v7, v6
	v_nop
	v_mul_f32_e32 v7, v12, v7
	s_delay_alu instid0(VALU_DEP_1) | instskip(NEXT) | instid1(VALU_DEP_1)
	v_trunc_f32_e32 v7, v7
	v_fma_f32 v12, -v7, v6, v12
	v_cvt_u32_f32_e32 v7, v7
	s_delay_alu instid0(VALU_DEP_2) | instskip(NEXT) | instid1(VALU_DEP_1)
	v_cmp_ge_f32_e64 s12, |v12|, v6
	v_add_co_ci_u32_e64 v6, null, 0, v7, s12
	s_delay_alu instid0(VALU_DEP_1)
	v_mul_lo_u16 v7, v6, v11
.LBB42_258:
	s_or_b32 exec_lo, exec_lo, s18
	s_delay_alu instid0(VALU_DEP_1)
	v_perm_b32 v3, v3, v7, 0x60504
.LBB42_259:
	s_or_b32 exec_lo, exec_lo, s15
	s_and_saveexec_b32 s12, vcc_lo
	s_cbranch_execz .LBB42_276
; %bb.260:
	global_store_b8 v10, v2, s[16:17]
	s_wait_xcnt 0x0
	s_and_b32 exec_lo, exec_lo, s0
	s_cbranch_execz .LBB42_276
; %bb.261:
	v_dual_lshrrev_b32 v7, 8, v2 :: v_dual_add_nc_u32 v6, s14, v0
	global_store_b8 v6, v7, s[16:17] offset:256
	s_wait_xcnt 0x0
	s_and_b32 exec_lo, exec_lo, s1
	s_cbranch_execz .LBB42_276
; %bb.262:
	v_mov_b32_e32 v7, 0
	s_delay_alu instid0(VALU_DEP_1)
	v_add_nc_u64_e32 v[6:7], s[16:17], v[6:7]
	global_store_d16_hi_b8 v[6:7], v2, off offset:512
	s_wait_xcnt 0x0
	s_and_b32 exec_lo, exec_lo, s2
	s_cbranch_execz .LBB42_276
; %bb.263:
	v_lshrrev_b32_e32 v0, 24, v2
	v_cmp_gt_u32_e32 vcc_lo, s13, v5
	global_store_b8 v[6:7], v0, off offset:768
	s_wait_xcnt 0x0
	s_and_b32 exec_lo, exec_lo, vcc_lo
	s_cbranch_execz .LBB42_276
; %bb.264:
	global_store_b8 v[6:7], v1, off offset:1024
	s_wait_xcnt 0x0
	s_and_b32 exec_lo, exec_lo, s3
	s_cbranch_execz .LBB42_276
; %bb.265:
	v_lshrrev_b32_e32 v0, 8, v1
	global_store_b8 v[6:7], v0, off offset:1280
	s_wait_xcnt 0x0
	s_and_b32 exec_lo, exec_lo, s4
	s_cbranch_execz .LBB42_276
; %bb.266:
	global_store_d16_hi_b8 v[6:7], v1, off offset:1536
	s_wait_xcnt 0x0
	s_and_b32 exec_lo, exec_lo, s5
	s_cbranch_execz .LBB42_276
; %bb.267:
	v_lshrrev_b32_e32 v0, 24, v1
	v_cmp_gt_u32_e32 vcc_lo, s13, v8
	global_store_b8 v[6:7], v0, off offset:1792
	s_wait_xcnt 0x0
	s_and_b32 exec_lo, exec_lo, vcc_lo
	s_cbranch_execz .LBB42_276
; %bb.268:
	global_store_b8 v[6:7], v4, off offset:2048
	s_wait_xcnt 0x0
	s_and_b32 exec_lo, exec_lo, s6
	s_cbranch_execz .LBB42_276
; %bb.269:
	v_lshrrev_b32_e32 v0, 8, v4
	global_store_b8 v[6:7], v0, off offset:2304
	s_wait_xcnt 0x0
	s_and_b32 exec_lo, exec_lo, s7
	s_cbranch_execz .LBB42_276
; %bb.270:
	global_store_d16_hi_b8 v[6:7], v4, off offset:2560
	s_wait_xcnt 0x0
	s_and_b32 exec_lo, exec_lo, s8
	s_cbranch_execz .LBB42_276
; %bb.271:
	v_lshrrev_b32_e32 v0, 24, v4
	v_cmp_gt_u32_e32 vcc_lo, s13, v9
	global_store_b8 v[6:7], v0, off offset:2816
	s_wait_xcnt 0x0
	s_and_b32 exec_lo, exec_lo, vcc_lo
	s_cbranch_execz .LBB42_276
; %bb.272:
	global_store_b8 v[6:7], v3, off offset:3072
	s_wait_xcnt 0x0
	s_and_b32 exec_lo, exec_lo, s9
	s_cbranch_execz .LBB42_276
; %bb.273:
	v_lshrrev_b32_e32 v0, 8, v3
	global_store_b8 v[6:7], v0, off offset:3328
	s_wait_xcnt 0x0
	s_and_b32 exec_lo, exec_lo, s10
	s_cbranch_execz .LBB42_276
; %bb.274:
	global_store_d16_hi_b8 v[6:7], v3, off offset:3584
	s_wait_xcnt 0x0
	s_and_b32 exec_lo, exec_lo, s11
	s_cbranch_execz .LBB42_276
; %bb.275:
	v_lshrrev_b32_e32 v0, 24, v3
	global_store_b8 v[6:7], v0, off offset:3840
.LBB42_276:
	s_endpgm
	.section	.rodata,"a",@progbits
	.p2align	6, 0x0
	.amdhsa_kernel _ZN2at6native29vectorized_elementwise_kernelILi4EZZZNS0_15lcm_kernel_cudaERNS_18TensorIteratorBaseEENKUlvE_clEvENKUlvE_clEvEUlhhE_St5arrayIPcLm3EEEEviT0_T1_
		.amdhsa_group_segment_fixed_size 0
		.amdhsa_private_segment_fixed_size 0
		.amdhsa_kernarg_size 32
		.amdhsa_user_sgpr_count 2
		.amdhsa_user_sgpr_dispatch_ptr 0
		.amdhsa_user_sgpr_queue_ptr 0
		.amdhsa_user_sgpr_kernarg_segment_ptr 1
		.amdhsa_user_sgpr_dispatch_id 0
		.amdhsa_user_sgpr_kernarg_preload_length 0
		.amdhsa_user_sgpr_kernarg_preload_offset 0
		.amdhsa_user_sgpr_private_segment_size 0
		.amdhsa_wavefront_size32 1
		.amdhsa_uses_dynamic_stack 0
		.amdhsa_enable_private_segment 0
		.amdhsa_system_sgpr_workgroup_id_x 1
		.amdhsa_system_sgpr_workgroup_id_y 0
		.amdhsa_system_sgpr_workgroup_id_z 0
		.amdhsa_system_sgpr_workgroup_info 0
		.amdhsa_system_vgpr_workitem_id 0
		.amdhsa_next_free_vgpr 42
		.amdhsa_next_free_sgpr 21
		.amdhsa_named_barrier_count 0
		.amdhsa_reserve_vcc 1
		.amdhsa_float_round_mode_32 0
		.amdhsa_float_round_mode_16_64 0
		.amdhsa_float_denorm_mode_32 3
		.amdhsa_float_denorm_mode_16_64 3
		.amdhsa_fp16_overflow 0
		.amdhsa_memory_ordered 1
		.amdhsa_forward_progress 1
		.amdhsa_inst_pref_size 103
		.amdhsa_round_robin_scheduling 0
		.amdhsa_exception_fp_ieee_invalid_op 0
		.amdhsa_exception_fp_denorm_src 0
		.amdhsa_exception_fp_ieee_div_zero 0
		.amdhsa_exception_fp_ieee_overflow 0
		.amdhsa_exception_fp_ieee_underflow 0
		.amdhsa_exception_fp_ieee_inexact 0
		.amdhsa_exception_int_div_zero 0
	.end_amdhsa_kernel
	.section	.text._ZN2at6native29vectorized_elementwise_kernelILi4EZZZNS0_15lcm_kernel_cudaERNS_18TensorIteratorBaseEENKUlvE_clEvENKUlvE_clEvEUlhhE_St5arrayIPcLm3EEEEviT0_T1_,"axG",@progbits,_ZN2at6native29vectorized_elementwise_kernelILi4EZZZNS0_15lcm_kernel_cudaERNS_18TensorIteratorBaseEENKUlvE_clEvENKUlvE_clEvEUlhhE_St5arrayIPcLm3EEEEviT0_T1_,comdat
.Lfunc_end42:
	.size	_ZN2at6native29vectorized_elementwise_kernelILi4EZZZNS0_15lcm_kernel_cudaERNS_18TensorIteratorBaseEENKUlvE_clEvENKUlvE_clEvEUlhhE_St5arrayIPcLm3EEEEviT0_T1_, .Lfunc_end42-_ZN2at6native29vectorized_elementwise_kernelILi4EZZZNS0_15lcm_kernel_cudaERNS_18TensorIteratorBaseEENKUlvE_clEvENKUlvE_clEvEUlhhE_St5arrayIPcLm3EEEEviT0_T1_
                                        ; -- End function
	.set _ZN2at6native29vectorized_elementwise_kernelILi4EZZZNS0_15lcm_kernel_cudaERNS_18TensorIteratorBaseEENKUlvE_clEvENKUlvE_clEvEUlhhE_St5arrayIPcLm3EEEEviT0_T1_.num_vgpr, 42
	.set _ZN2at6native29vectorized_elementwise_kernelILi4EZZZNS0_15lcm_kernel_cudaERNS_18TensorIteratorBaseEENKUlvE_clEvENKUlvE_clEvEUlhhE_St5arrayIPcLm3EEEEviT0_T1_.num_agpr, 0
	.set _ZN2at6native29vectorized_elementwise_kernelILi4EZZZNS0_15lcm_kernel_cudaERNS_18TensorIteratorBaseEENKUlvE_clEvENKUlvE_clEvEUlhhE_St5arrayIPcLm3EEEEviT0_T1_.numbered_sgpr, 21
	.set _ZN2at6native29vectorized_elementwise_kernelILi4EZZZNS0_15lcm_kernel_cudaERNS_18TensorIteratorBaseEENKUlvE_clEvENKUlvE_clEvEUlhhE_St5arrayIPcLm3EEEEviT0_T1_.num_named_barrier, 0
	.set _ZN2at6native29vectorized_elementwise_kernelILi4EZZZNS0_15lcm_kernel_cudaERNS_18TensorIteratorBaseEENKUlvE_clEvENKUlvE_clEvEUlhhE_St5arrayIPcLm3EEEEviT0_T1_.private_seg_size, 0
	.set _ZN2at6native29vectorized_elementwise_kernelILi4EZZZNS0_15lcm_kernel_cudaERNS_18TensorIteratorBaseEENKUlvE_clEvENKUlvE_clEvEUlhhE_St5arrayIPcLm3EEEEviT0_T1_.uses_vcc, 1
	.set _ZN2at6native29vectorized_elementwise_kernelILi4EZZZNS0_15lcm_kernel_cudaERNS_18TensorIteratorBaseEENKUlvE_clEvENKUlvE_clEvEUlhhE_St5arrayIPcLm3EEEEviT0_T1_.uses_flat_scratch, 0
	.set _ZN2at6native29vectorized_elementwise_kernelILi4EZZZNS0_15lcm_kernel_cudaERNS_18TensorIteratorBaseEENKUlvE_clEvENKUlvE_clEvEUlhhE_St5arrayIPcLm3EEEEviT0_T1_.has_dyn_sized_stack, 0
	.set _ZN2at6native29vectorized_elementwise_kernelILi4EZZZNS0_15lcm_kernel_cudaERNS_18TensorIteratorBaseEENKUlvE_clEvENKUlvE_clEvEUlhhE_St5arrayIPcLm3EEEEviT0_T1_.has_recursion, 0
	.set _ZN2at6native29vectorized_elementwise_kernelILi4EZZZNS0_15lcm_kernel_cudaERNS_18TensorIteratorBaseEENKUlvE_clEvENKUlvE_clEvEUlhhE_St5arrayIPcLm3EEEEviT0_T1_.has_indirect_call, 0
	.section	.AMDGPU.csdata,"",@progbits
; Kernel info:
; codeLenInByte = 13088
; TotalNumSgprs: 23
; NumVgprs: 42
; ScratchSize: 0
; MemoryBound: 0
; FloatMode: 240
; IeeeMode: 1
; LDSByteSize: 0 bytes/workgroup (compile time only)
; SGPRBlocks: 0
; VGPRBlocks: 2
; NumSGPRsForWavesPerEU: 23
; NumVGPRsForWavesPerEU: 42
; NamedBarCnt: 0
; Occupancy: 16
; WaveLimiterHint : 1
; COMPUTE_PGM_RSRC2:SCRATCH_EN: 0
; COMPUTE_PGM_RSRC2:USER_SGPR: 2
; COMPUTE_PGM_RSRC2:TRAP_HANDLER: 0
; COMPUTE_PGM_RSRC2:TGID_X_EN: 1
; COMPUTE_PGM_RSRC2:TGID_Y_EN: 0
; COMPUTE_PGM_RSRC2:TGID_Z_EN: 0
; COMPUTE_PGM_RSRC2:TIDIG_COMP_CNT: 0
	.section	.text._ZN2at6native29vectorized_elementwise_kernelILi2EZZZNS0_15lcm_kernel_cudaERNS_18TensorIteratorBaseEENKUlvE_clEvENKUlvE_clEvEUlhhE_St5arrayIPcLm3EEEEviT0_T1_,"axG",@progbits,_ZN2at6native29vectorized_elementwise_kernelILi2EZZZNS0_15lcm_kernel_cudaERNS_18TensorIteratorBaseEENKUlvE_clEvENKUlvE_clEvEUlhhE_St5arrayIPcLm3EEEEviT0_T1_,comdat
	.globl	_ZN2at6native29vectorized_elementwise_kernelILi2EZZZNS0_15lcm_kernel_cudaERNS_18TensorIteratorBaseEENKUlvE_clEvENKUlvE_clEvEUlhhE_St5arrayIPcLm3EEEEviT0_T1_ ; -- Begin function _ZN2at6native29vectorized_elementwise_kernelILi2EZZZNS0_15lcm_kernel_cudaERNS_18TensorIteratorBaseEENKUlvE_clEvENKUlvE_clEvEUlhhE_St5arrayIPcLm3EEEEviT0_T1_
	.p2align	8
	.type	_ZN2at6native29vectorized_elementwise_kernelILi2EZZZNS0_15lcm_kernel_cudaERNS_18TensorIteratorBaseEENKUlvE_clEvENKUlvE_clEvEUlhhE_St5arrayIPcLm3EEEEviT0_T1_,@function
_ZN2at6native29vectorized_elementwise_kernelILi2EZZZNS0_15lcm_kernel_cudaERNS_18TensorIteratorBaseEENKUlvE_clEvENKUlvE_clEvEUlhhE_St5arrayIPcLm3EEEEviT0_T1_: ; @_ZN2at6native29vectorized_elementwise_kernelILi2EZZZNS0_15lcm_kernel_cudaERNS_18TensorIteratorBaseEENKUlvE_clEvENKUlvE_clEvEUlhhE_St5arrayIPcLm3EEEEviT0_T1_
; %bb.0:
	s_clause 0x2
	s_load_b32 s4, s[0:1], 0x0
	s_load_b128 s[16:19], s[0:1], 0x8
	s_load_b64 s[2:3], s[0:1], 0x18
	s_wait_xcnt 0x0
	s_bfe_u32 s0, ttmp6, 0x4000c
	s_and_b32 s1, ttmp6, 15
	s_add_co_i32 s0, s0, 1
	s_getreg_b32 s5, hwreg(HW_REG_IB_STS2, 6, 4)
	s_mul_i32 s0, ttmp9, s0
	s_delay_alu instid0(SALU_CYCLE_1) | instskip(SKIP_2) | instid1(SALU_CYCLE_1)
	s_add_co_i32 s1, s1, s0
	s_cmp_eq_u32 s5, 0
	s_cselect_b32 s0, ttmp9, s1
	s_lshl_b32 s14, s0, 12
	s_mov_b32 s0, -1
	s_wait_kmcnt 0x0
	s_sub_co_i32 s13, s4, s14
	s_delay_alu instid0(SALU_CYCLE_1)
	s_cmp_gt_i32 s13, 0xfff
	s_cbranch_scc0 .LBB43_98
; %bb.1:
	s_ashr_i32 s15, s14, 31
	s_delay_alu instid0(SALU_CYCLE_1)
	s_add_nc_u64 s[0:1], s[18:19], s[14:15]
	s_add_nc_u64 s[4:5], s[2:3], s[14:15]
	s_clause 0xf
	global_load_u16 v7, v0, s[0:1] scale_offset
	global_load_u16 v11, v0, s[0:1] offset:512 scale_offset
	global_load_u16 v15, v0, s[0:1] offset:1024 scale_offset
	global_load_u16 v17, v0, s[0:1] offset:1536 scale_offset
	global_load_u16 v13, v0, s[0:1] offset:2048 scale_offset
	global_load_u16 v9, v0, s[0:1] offset:2560 scale_offset
	global_load_u16 v5, v0, s[0:1] offset:3072 scale_offset
	global_load_u16 v1, v0, s[0:1] offset:3584 scale_offset
	global_load_u16 v8, v0, s[4:5] scale_offset
	global_load_u16 v12, v0, s[4:5] offset:512 scale_offset
	global_load_u16 v16, v0, s[4:5] offset:1024 scale_offset
	;; [unrolled: 1-line block ×6, first 2 shown]
	; meta instruction
	global_load_u16 v2, v0, s[4:5] offset:3584 scale_offset
	s_wait_xcnt 0x8
	s_mov_b32 s0, exec_lo
	s_wait_loadcnt 0xf
	v_and_b32_e32 v3, 0xff, v7
	s_wait_loadcnt 0x7
	v_mov_b32_e32 v4, v8
	s_wait_xcnt 0x0
	s_delay_alu instid0(VALU_DEP_2)
	v_cmpx_ne_u16_e32 0, v3
	s_cbranch_execz .LBB43_5
; %bb.2:
	v_dual_mov_b32 v19, v7 :: v_dual_mov_b32 v3, v8
	s_mov_b32 s1, 0
.LBB43_3:                               ; =>This Inner Loop Header: Depth=1
	s_delay_alu instid0(VALU_DEP_1) | instskip(NEXT) | instid1(VALU_DEP_2)
	v_cvt_f32_ubyte0_e32 v21, v3
	v_mov_b32_e32 v4, v19
	s_delay_alu instid0(VALU_DEP_1) | instskip(NEXT) | instid1(VALU_DEP_1)
	v_cvt_f32_ubyte0_e32 v19, v4
	v_rcp_iflag_f32_e32 v20, v19
	v_nop
	s_delay_alu instid0(TRANS32_DEP_1) | instskip(NEXT) | instid1(VALU_DEP_1)
	v_mul_f32_e32 v20, v21, v20
	v_trunc_f32_e32 v20, v20
	s_delay_alu instid0(VALU_DEP_1) | instskip(SKIP_1) | instid1(VALU_DEP_2)
	v_fma_f32 v21, -v20, v19, v21
	v_cvt_u32_f32_e32 v20, v20
	v_cmp_ge_f32_e64 vcc_lo, |v21|, v19
	s_delay_alu instid0(VALU_DEP_1) | instskip(NEXT) | instid1(VALU_DEP_1)
	v_add_co_ci_u32_e64 v19, null, 0, v20, vcc_lo
	v_mul_lo_u32 v19, v19, v4
	s_delay_alu instid0(VALU_DEP_1) | instskip(NEXT) | instid1(VALU_DEP_1)
	v_sub_nc_u32_e32 v3, v3, v19
	v_and_b32_e32 v19, 0xff, v3
	v_mov_b32_e32 v3, v4
	s_delay_alu instid0(VALU_DEP_2) | instskip(SKIP_1) | instid1(SALU_CYCLE_1)
	v_cmp_eq_u16_e32 vcc_lo, 0, v19
	s_or_b32 s1, vcc_lo, s1
	s_and_not1_b32 exec_lo, exec_lo, s1
	s_cbranch_execnz .LBB43_3
; %bb.4:
	s_or_b32 exec_lo, exec_lo, s1
.LBB43_5:
	s_delay_alu instid0(SALU_CYCLE_1) | instskip(SKIP_3) | instid1(VALU_DEP_2)
	s_or_b32 exec_lo, exec_lo, s0
	v_and_b32_e32 v19, 0xff, v4
	v_mov_b32_e32 v3, 0
	s_mov_b32 s0, exec_lo
	v_cmpx_ne_u16_e32 0, v19
	s_cbranch_execz .LBB43_7
; %bb.6:
	v_cvt_f32_ubyte0_e32 v3, v4
	v_cvt_f32_ubyte0_e32 v19, v7
	s_delay_alu instid0(VALU_DEP_2) | instskip(SKIP_1) | instid1(TRANS32_DEP_1)
	v_rcp_iflag_f32_e32 v4, v3
	v_nop
	v_mul_f32_e32 v4, v19, v4
	s_delay_alu instid0(VALU_DEP_1) | instskip(NEXT) | instid1(VALU_DEP_1)
	v_trunc_f32_e32 v4, v4
	v_fma_f32 v19, -v4, v3, v19
	v_cvt_u32_f32_e32 v4, v4
	s_delay_alu instid0(VALU_DEP_2) | instskip(NEXT) | instid1(VALU_DEP_1)
	v_cmp_ge_f32_e64 vcc_lo, |v19|, v3
	v_add_co_ci_u32_e64 v3, null, 0, v4, vcc_lo
	s_delay_alu instid0(VALU_DEP_1)
	v_mul_lo_u16 v3, v3, v8
.LBB43_7:
	s_or_b32 exec_lo, exec_lo, s0
	v_lshrrev_b16 v4, 8, v7
	v_lshrrev_b16 v19, 8, v8
	s_mov_b32 s1, 0
	s_mov_b32 s0, exec_lo
	s_delay_alu instid0(VALU_DEP_2)
	v_cmpx_ne_u16_e32 0, v4
	s_cbranch_execz .LBB43_11
; %bb.8:
	v_lshrrev_b16 v20, 8, v8
.LBB43_9:                               ; =>This Inner Loop Header: Depth=1
	s_delay_alu instid0(VALU_DEP_1) | instskip(SKIP_1) | instid1(VALU_DEP_1)
	v_cvt_f32_ubyte0_e32 v22, v20
	v_mov_b32_e32 v19, v4
	v_cvt_f32_ubyte0_e32 v4, v19
	s_delay_alu instid0(VALU_DEP_1) | instskip(SKIP_1) | instid1(TRANS32_DEP_1)
	v_rcp_iflag_f32_e32 v21, v4
	v_nop
	v_mul_f32_e32 v21, v22, v21
	s_delay_alu instid0(VALU_DEP_1) | instskip(NEXT) | instid1(VALU_DEP_1)
	v_trunc_f32_e32 v21, v21
	v_fma_f32 v22, -v21, v4, v22
	v_cvt_u32_f32_e32 v21, v21
	s_delay_alu instid0(VALU_DEP_2) | instskip(NEXT) | instid1(VALU_DEP_1)
	v_cmp_ge_f32_e64 vcc_lo, |v22|, v4
	v_add_co_ci_u32_e64 v4, null, 0, v21, vcc_lo
	s_delay_alu instid0(VALU_DEP_1) | instskip(NEXT) | instid1(VALU_DEP_1)
	v_mul_lo_u32 v4, v4, v19
	v_dual_sub_nc_u32 v4, v20, v4 :: v_dual_mov_b32 v20, v19
	s_delay_alu instid0(VALU_DEP_1) | instskip(NEXT) | instid1(VALU_DEP_1)
	v_and_b32_e32 v4, 0xff, v4
	v_cmp_eq_u16_e32 vcc_lo, 0, v4
	s_or_b32 s1, vcc_lo, s1
	s_delay_alu instid0(SALU_CYCLE_1)
	s_and_not1_b32 exec_lo, exec_lo, s1
	s_cbranch_execnz .LBB43_9
; %bb.10:
	s_or_b32 exec_lo, exec_lo, s1
.LBB43_11:
	s_delay_alu instid0(SALU_CYCLE_1) | instskip(SKIP_3) | instid1(VALU_DEP_2)
	s_or_b32 exec_lo, exec_lo, s0
	v_and_b32_e32 v20, 0xff, v19
	v_mov_b32_e32 v4, 0
	s_mov_b32 s0, exec_lo
	v_cmpx_ne_u16_e32 0, v20
	s_cbranch_execz .LBB43_13
; %bb.12:
	v_cvt_f32_ubyte0_e32 v4, v19
	v_cvt_f32_ubyte1_e32 v7, v7
	v_lshrrev_b16 v8, 8, v8
	s_delay_alu instid0(VALU_DEP_3) | instskip(SKIP_1) | instid1(TRANS32_DEP_1)
	v_rcp_iflag_f32_e32 v19, v4
	v_nop
	v_mul_f32_e32 v19, v7, v19
	s_delay_alu instid0(VALU_DEP_1) | instskip(NEXT) | instid1(VALU_DEP_1)
	v_trunc_f32_e32 v19, v19
	v_fma_f32 v7, -v19, v4, v7
	v_cvt_u32_f32_e32 v19, v19
	s_delay_alu instid0(VALU_DEP_2) | instskip(NEXT) | instid1(VALU_DEP_1)
	v_cmp_ge_f32_e64 vcc_lo, |v7|, v4
	v_add_co_ci_u32_e64 v4, null, 0, v19, vcc_lo
	s_delay_alu instid0(VALU_DEP_1)
	v_mul_lo_u16 v4, v4, v8
.LBB43_13:
	s_or_b32 exec_lo, exec_lo, s0
	v_and_b32_e32 v7, 0xff, v11
	s_wait_loadcnt 0x6
	v_mov_b32_e32 v8, v12
	s_mov_b32 s1, 0
	s_mov_b32 s0, exec_lo
	v_cmpx_ne_u16_e32 0, v7
	s_cbranch_execz .LBB43_17
; %bb.14:
	v_dual_mov_b32 v19, v11 :: v_dual_mov_b32 v7, v12
.LBB43_15:                              ; =>This Inner Loop Header: Depth=1
	s_delay_alu instid0(VALU_DEP_1) | instskip(NEXT) | instid1(VALU_DEP_2)
	v_cvt_f32_ubyte0_e32 v21, v7
	v_mov_b32_e32 v8, v19
	s_delay_alu instid0(VALU_DEP_1) | instskip(NEXT) | instid1(VALU_DEP_1)
	v_cvt_f32_ubyte0_e32 v19, v8
	v_rcp_iflag_f32_e32 v20, v19
	v_nop
	s_delay_alu instid0(TRANS32_DEP_1) | instskip(NEXT) | instid1(VALU_DEP_1)
	v_mul_f32_e32 v20, v21, v20
	v_trunc_f32_e32 v20, v20
	s_delay_alu instid0(VALU_DEP_1) | instskip(SKIP_1) | instid1(VALU_DEP_2)
	v_fma_f32 v21, -v20, v19, v21
	v_cvt_u32_f32_e32 v20, v20
	v_cmp_ge_f32_e64 vcc_lo, |v21|, v19
	s_delay_alu instid0(VALU_DEP_1) | instskip(NEXT) | instid1(VALU_DEP_1)
	v_add_co_ci_u32_e64 v19, null, 0, v20, vcc_lo
	v_mul_lo_u32 v19, v19, v8
	s_delay_alu instid0(VALU_DEP_1) | instskip(NEXT) | instid1(VALU_DEP_1)
	v_sub_nc_u32_e32 v7, v7, v19
	v_and_b32_e32 v19, 0xff, v7
	v_mov_b32_e32 v7, v8
	s_delay_alu instid0(VALU_DEP_2) | instskip(SKIP_1) | instid1(SALU_CYCLE_1)
	v_cmp_eq_u16_e32 vcc_lo, 0, v19
	s_or_b32 s1, vcc_lo, s1
	s_and_not1_b32 exec_lo, exec_lo, s1
	s_cbranch_execnz .LBB43_15
; %bb.16:
	s_or_b32 exec_lo, exec_lo, s1
.LBB43_17:
	s_delay_alu instid0(SALU_CYCLE_1) | instskip(SKIP_3) | instid1(VALU_DEP_2)
	s_or_b32 exec_lo, exec_lo, s0
	v_and_b32_e32 v19, 0xff, v8
	v_mov_b32_e32 v7, 0
	s_mov_b32 s0, exec_lo
	v_cmpx_ne_u16_e32 0, v19
	s_cbranch_execz .LBB43_19
; %bb.18:
	v_cvt_f32_ubyte0_e32 v7, v8
	v_cvt_f32_ubyte0_e32 v19, v11
	s_delay_alu instid0(VALU_DEP_2) | instskip(SKIP_1) | instid1(TRANS32_DEP_1)
	v_rcp_iflag_f32_e32 v8, v7
	v_nop
	v_mul_f32_e32 v8, v19, v8
	s_delay_alu instid0(VALU_DEP_1) | instskip(NEXT) | instid1(VALU_DEP_1)
	v_trunc_f32_e32 v8, v8
	v_fma_f32 v19, -v8, v7, v19
	v_cvt_u32_f32_e32 v8, v8
	s_delay_alu instid0(VALU_DEP_2) | instskip(NEXT) | instid1(VALU_DEP_1)
	v_cmp_ge_f32_e64 vcc_lo, |v19|, v7
	v_add_co_ci_u32_e64 v7, null, 0, v8, vcc_lo
	s_delay_alu instid0(VALU_DEP_1)
	v_mul_lo_u16 v7, v7, v12
.LBB43_19:
	s_or_b32 exec_lo, exec_lo, s0
	v_lshrrev_b16 v8, 8, v11
	v_lshrrev_b16 v19, 8, v12
	s_mov_b32 s1, 0
	s_mov_b32 s0, exec_lo
	s_delay_alu instid0(VALU_DEP_2)
	v_cmpx_ne_u16_e32 0, v8
	s_cbranch_execz .LBB43_23
; %bb.20:
	v_lshrrev_b16 v20, 8, v12
.LBB43_21:                              ; =>This Inner Loop Header: Depth=1
	s_delay_alu instid0(VALU_DEP_1) | instskip(SKIP_1) | instid1(VALU_DEP_1)
	v_cvt_f32_ubyte0_e32 v22, v20
	v_mov_b32_e32 v19, v8
	v_cvt_f32_ubyte0_e32 v8, v19
	s_delay_alu instid0(VALU_DEP_1) | instskip(SKIP_1) | instid1(TRANS32_DEP_1)
	v_rcp_iflag_f32_e32 v21, v8
	v_nop
	v_mul_f32_e32 v21, v22, v21
	s_delay_alu instid0(VALU_DEP_1) | instskip(NEXT) | instid1(VALU_DEP_1)
	v_trunc_f32_e32 v21, v21
	v_fma_f32 v22, -v21, v8, v22
	v_cvt_u32_f32_e32 v21, v21
	s_delay_alu instid0(VALU_DEP_2) | instskip(NEXT) | instid1(VALU_DEP_1)
	v_cmp_ge_f32_e64 vcc_lo, |v22|, v8
	v_add_co_ci_u32_e64 v8, null, 0, v21, vcc_lo
	s_delay_alu instid0(VALU_DEP_1) | instskip(NEXT) | instid1(VALU_DEP_1)
	v_mul_lo_u32 v8, v8, v19
	v_dual_sub_nc_u32 v8, v20, v8 :: v_dual_mov_b32 v20, v19
	s_delay_alu instid0(VALU_DEP_1) | instskip(NEXT) | instid1(VALU_DEP_1)
	v_and_b32_e32 v8, 0xff, v8
	v_cmp_eq_u16_e32 vcc_lo, 0, v8
	s_or_b32 s1, vcc_lo, s1
	s_delay_alu instid0(SALU_CYCLE_1)
	s_and_not1_b32 exec_lo, exec_lo, s1
	s_cbranch_execnz .LBB43_21
; %bb.22:
	s_or_b32 exec_lo, exec_lo, s1
.LBB43_23:
	s_delay_alu instid0(SALU_CYCLE_1) | instskip(SKIP_3) | instid1(VALU_DEP_2)
	s_or_b32 exec_lo, exec_lo, s0
	v_and_b32_e32 v20, 0xff, v19
	v_mov_b32_e32 v8, 0
	s_mov_b32 s0, exec_lo
	v_cmpx_ne_u16_e32 0, v20
	s_cbranch_execz .LBB43_25
; %bb.24:
	v_cvt_f32_ubyte0_e32 v8, v19
	v_cvt_f32_ubyte1_e32 v11, v11
	v_lshrrev_b16 v12, 8, v12
	s_delay_alu instid0(VALU_DEP_3) | instskip(SKIP_1) | instid1(TRANS32_DEP_1)
	v_rcp_iflag_f32_e32 v19, v8
	v_nop
	v_mul_f32_e32 v19, v11, v19
	s_delay_alu instid0(VALU_DEP_1) | instskip(NEXT) | instid1(VALU_DEP_1)
	v_trunc_f32_e32 v19, v19
	v_fma_f32 v11, -v19, v8, v11
	v_cvt_u32_f32_e32 v19, v19
	s_delay_alu instid0(VALU_DEP_2) | instskip(NEXT) | instid1(VALU_DEP_1)
	v_cmp_ge_f32_e64 vcc_lo, |v11|, v8
	v_add_co_ci_u32_e64 v8, null, 0, v19, vcc_lo
	s_delay_alu instid0(VALU_DEP_1)
	v_mul_lo_u16 v8, v8, v12
.LBB43_25:
	s_or_b32 exec_lo, exec_lo, s0
	v_and_b32_e32 v11, 0xff, v15
	s_wait_loadcnt 0x5
	v_mov_b32_e32 v12, v16
	s_mov_b32 s1, 0
	s_mov_b32 s0, exec_lo
	v_cmpx_ne_u16_e32 0, v11
	s_cbranch_execz .LBB43_29
; %bb.26:
	v_dual_mov_b32 v19, v15 :: v_dual_mov_b32 v11, v16
.LBB43_27:                              ; =>This Inner Loop Header: Depth=1
	s_delay_alu instid0(VALU_DEP_1) | instskip(NEXT) | instid1(VALU_DEP_2)
	v_cvt_f32_ubyte0_e32 v21, v11
	v_mov_b32_e32 v12, v19
	s_delay_alu instid0(VALU_DEP_1) | instskip(NEXT) | instid1(VALU_DEP_1)
	v_cvt_f32_ubyte0_e32 v19, v12
	v_rcp_iflag_f32_e32 v20, v19
	v_nop
	s_delay_alu instid0(TRANS32_DEP_1) | instskip(NEXT) | instid1(VALU_DEP_1)
	v_mul_f32_e32 v20, v21, v20
	v_trunc_f32_e32 v20, v20
	s_delay_alu instid0(VALU_DEP_1) | instskip(SKIP_1) | instid1(VALU_DEP_2)
	v_fma_f32 v21, -v20, v19, v21
	v_cvt_u32_f32_e32 v20, v20
	v_cmp_ge_f32_e64 vcc_lo, |v21|, v19
	s_delay_alu instid0(VALU_DEP_1) | instskip(NEXT) | instid1(VALU_DEP_1)
	v_add_co_ci_u32_e64 v19, null, 0, v20, vcc_lo
	v_mul_lo_u32 v19, v19, v12
	s_delay_alu instid0(VALU_DEP_1) | instskip(NEXT) | instid1(VALU_DEP_1)
	v_sub_nc_u32_e32 v11, v11, v19
	v_and_b32_e32 v19, 0xff, v11
	v_mov_b32_e32 v11, v12
	s_delay_alu instid0(VALU_DEP_2) | instskip(SKIP_1) | instid1(SALU_CYCLE_1)
	v_cmp_eq_u16_e32 vcc_lo, 0, v19
	s_or_b32 s1, vcc_lo, s1
	s_and_not1_b32 exec_lo, exec_lo, s1
	s_cbranch_execnz .LBB43_27
; %bb.28:
	s_or_b32 exec_lo, exec_lo, s1
.LBB43_29:
	s_delay_alu instid0(SALU_CYCLE_1) | instskip(SKIP_3) | instid1(VALU_DEP_2)
	s_or_b32 exec_lo, exec_lo, s0
	v_and_b32_e32 v19, 0xff, v12
	v_mov_b32_e32 v11, 0
	s_mov_b32 s0, exec_lo
	v_cmpx_ne_u16_e32 0, v19
	s_cbranch_execz .LBB43_31
; %bb.30:
	v_cvt_f32_ubyte0_e32 v11, v12
	v_cvt_f32_ubyte0_e32 v19, v15
	s_delay_alu instid0(VALU_DEP_2) | instskip(SKIP_1) | instid1(TRANS32_DEP_1)
	v_rcp_iflag_f32_e32 v12, v11
	v_nop
	v_mul_f32_e32 v12, v19, v12
	s_delay_alu instid0(VALU_DEP_1) | instskip(NEXT) | instid1(VALU_DEP_1)
	v_trunc_f32_e32 v12, v12
	v_fma_f32 v19, -v12, v11, v19
	v_cvt_u32_f32_e32 v12, v12
	s_delay_alu instid0(VALU_DEP_2) | instskip(NEXT) | instid1(VALU_DEP_1)
	v_cmp_ge_f32_e64 vcc_lo, |v19|, v11
	v_add_co_ci_u32_e64 v11, null, 0, v12, vcc_lo
	s_delay_alu instid0(VALU_DEP_1)
	v_mul_lo_u16 v11, v11, v16
.LBB43_31:
	s_or_b32 exec_lo, exec_lo, s0
	v_lshrrev_b16 v12, 8, v15
	v_lshrrev_b16 v19, 8, v16
	s_mov_b32 s1, 0
	s_mov_b32 s0, exec_lo
	s_delay_alu instid0(VALU_DEP_2)
	v_cmpx_ne_u16_e32 0, v12
	s_cbranch_execz .LBB43_35
; %bb.32:
	v_lshrrev_b16 v20, 8, v16
.LBB43_33:                              ; =>This Inner Loop Header: Depth=1
	s_delay_alu instid0(VALU_DEP_1) | instskip(SKIP_1) | instid1(VALU_DEP_1)
	v_cvt_f32_ubyte0_e32 v22, v20
	v_mov_b32_e32 v19, v12
	v_cvt_f32_ubyte0_e32 v12, v19
	s_delay_alu instid0(VALU_DEP_1) | instskip(SKIP_1) | instid1(TRANS32_DEP_1)
	v_rcp_iflag_f32_e32 v21, v12
	v_nop
	v_mul_f32_e32 v21, v22, v21
	s_delay_alu instid0(VALU_DEP_1) | instskip(NEXT) | instid1(VALU_DEP_1)
	v_trunc_f32_e32 v21, v21
	v_fma_f32 v22, -v21, v12, v22
	v_cvt_u32_f32_e32 v21, v21
	s_delay_alu instid0(VALU_DEP_2) | instskip(NEXT) | instid1(VALU_DEP_1)
	v_cmp_ge_f32_e64 vcc_lo, |v22|, v12
	v_add_co_ci_u32_e64 v12, null, 0, v21, vcc_lo
	s_delay_alu instid0(VALU_DEP_1) | instskip(NEXT) | instid1(VALU_DEP_1)
	v_mul_lo_u32 v12, v12, v19
	v_dual_sub_nc_u32 v12, v20, v12 :: v_dual_mov_b32 v20, v19
	s_delay_alu instid0(VALU_DEP_1) | instskip(NEXT) | instid1(VALU_DEP_1)
	v_and_b32_e32 v12, 0xff, v12
	v_cmp_eq_u16_e32 vcc_lo, 0, v12
	s_or_b32 s1, vcc_lo, s1
	s_delay_alu instid0(SALU_CYCLE_1)
	s_and_not1_b32 exec_lo, exec_lo, s1
	s_cbranch_execnz .LBB43_33
; %bb.34:
	s_or_b32 exec_lo, exec_lo, s1
.LBB43_35:
	s_delay_alu instid0(SALU_CYCLE_1) | instskip(SKIP_3) | instid1(VALU_DEP_2)
	s_or_b32 exec_lo, exec_lo, s0
	v_and_b32_e32 v20, 0xff, v19
	v_mov_b32_e32 v12, 0
	s_mov_b32 s0, exec_lo
	v_cmpx_ne_u16_e32 0, v20
	s_cbranch_execz .LBB43_37
; %bb.36:
	v_cvt_f32_ubyte0_e32 v12, v19
	v_cvt_f32_ubyte1_e32 v15, v15
	v_lshrrev_b16 v16, 8, v16
	s_delay_alu instid0(VALU_DEP_3) | instskip(SKIP_1) | instid1(TRANS32_DEP_1)
	v_rcp_iflag_f32_e32 v19, v12
	v_nop
	v_mul_f32_e32 v19, v15, v19
	s_delay_alu instid0(VALU_DEP_1) | instskip(NEXT) | instid1(VALU_DEP_1)
	v_trunc_f32_e32 v19, v19
	v_fma_f32 v15, -v19, v12, v15
	v_cvt_u32_f32_e32 v19, v19
	s_delay_alu instid0(VALU_DEP_2) | instskip(NEXT) | instid1(VALU_DEP_1)
	v_cmp_ge_f32_e64 vcc_lo, |v15|, v12
	v_add_co_ci_u32_e64 v12, null, 0, v19, vcc_lo
	s_delay_alu instid0(VALU_DEP_1)
	v_mul_lo_u16 v12, v12, v16
.LBB43_37:
	s_or_b32 exec_lo, exec_lo, s0
	v_and_b32_e32 v15, 0xff, v17
	s_wait_loadcnt 0x4
	v_mov_b32_e32 v16, v18
	s_mov_b32 s1, 0
	s_mov_b32 s0, exec_lo
	v_cmpx_ne_u16_e32 0, v15
	s_cbranch_execz .LBB43_41
; %bb.38:
	v_dual_mov_b32 v19, v17 :: v_dual_mov_b32 v15, v18
.LBB43_39:                              ; =>This Inner Loop Header: Depth=1
	s_delay_alu instid0(VALU_DEP_1) | instskip(NEXT) | instid1(VALU_DEP_2)
	v_cvt_f32_ubyte0_e32 v21, v15
	v_mov_b32_e32 v16, v19
	s_delay_alu instid0(VALU_DEP_1) | instskip(NEXT) | instid1(VALU_DEP_1)
	v_cvt_f32_ubyte0_e32 v19, v16
	v_rcp_iflag_f32_e32 v20, v19
	v_nop
	s_delay_alu instid0(TRANS32_DEP_1) | instskip(NEXT) | instid1(VALU_DEP_1)
	v_mul_f32_e32 v20, v21, v20
	v_trunc_f32_e32 v20, v20
	s_delay_alu instid0(VALU_DEP_1) | instskip(SKIP_1) | instid1(VALU_DEP_2)
	v_fma_f32 v21, -v20, v19, v21
	v_cvt_u32_f32_e32 v20, v20
	v_cmp_ge_f32_e64 vcc_lo, |v21|, v19
	s_delay_alu instid0(VALU_DEP_1) | instskip(NEXT) | instid1(VALU_DEP_1)
	v_add_co_ci_u32_e64 v19, null, 0, v20, vcc_lo
	v_mul_lo_u32 v19, v19, v16
	s_delay_alu instid0(VALU_DEP_1) | instskip(NEXT) | instid1(VALU_DEP_1)
	v_sub_nc_u32_e32 v15, v15, v19
	v_and_b32_e32 v19, 0xff, v15
	v_mov_b32_e32 v15, v16
	s_delay_alu instid0(VALU_DEP_2) | instskip(SKIP_1) | instid1(SALU_CYCLE_1)
	v_cmp_eq_u16_e32 vcc_lo, 0, v19
	s_or_b32 s1, vcc_lo, s1
	s_and_not1_b32 exec_lo, exec_lo, s1
	s_cbranch_execnz .LBB43_39
; %bb.40:
	s_or_b32 exec_lo, exec_lo, s1
.LBB43_41:
	s_delay_alu instid0(SALU_CYCLE_1) | instskip(SKIP_3) | instid1(VALU_DEP_2)
	s_or_b32 exec_lo, exec_lo, s0
	v_and_b32_e32 v19, 0xff, v16
	v_mov_b32_e32 v15, 0
	s_mov_b32 s0, exec_lo
	v_cmpx_ne_u16_e32 0, v19
	s_cbranch_execz .LBB43_43
; %bb.42:
	v_cvt_f32_ubyte0_e32 v15, v16
	v_cvt_f32_ubyte0_e32 v19, v17
	s_delay_alu instid0(VALU_DEP_2) | instskip(SKIP_1) | instid1(TRANS32_DEP_1)
	v_rcp_iflag_f32_e32 v16, v15
	v_nop
	v_mul_f32_e32 v16, v19, v16
	s_delay_alu instid0(VALU_DEP_1) | instskip(NEXT) | instid1(VALU_DEP_1)
	v_trunc_f32_e32 v16, v16
	v_fma_f32 v19, -v16, v15, v19
	v_cvt_u32_f32_e32 v16, v16
	s_delay_alu instid0(VALU_DEP_2) | instskip(NEXT) | instid1(VALU_DEP_1)
	v_cmp_ge_f32_e64 vcc_lo, |v19|, v15
	v_add_co_ci_u32_e64 v15, null, 0, v16, vcc_lo
	s_delay_alu instid0(VALU_DEP_1)
	v_mul_lo_u16 v15, v15, v18
.LBB43_43:
	s_or_b32 exec_lo, exec_lo, s0
	v_lshrrev_b16 v16, 8, v17
	v_lshrrev_b16 v19, 8, v18
	s_mov_b32 s1, 0
	s_mov_b32 s0, exec_lo
	s_delay_alu instid0(VALU_DEP_2)
	v_cmpx_ne_u16_e32 0, v16
	s_cbranch_execz .LBB43_47
; %bb.44:
	v_lshrrev_b16 v20, 8, v18
.LBB43_45:                              ; =>This Inner Loop Header: Depth=1
	s_delay_alu instid0(VALU_DEP_1) | instskip(SKIP_1) | instid1(VALU_DEP_1)
	v_cvt_f32_ubyte0_e32 v22, v20
	v_mov_b32_e32 v19, v16
	v_cvt_f32_ubyte0_e32 v16, v19
	s_delay_alu instid0(VALU_DEP_1) | instskip(SKIP_1) | instid1(TRANS32_DEP_1)
	v_rcp_iflag_f32_e32 v21, v16
	v_nop
	v_mul_f32_e32 v21, v22, v21
	s_delay_alu instid0(VALU_DEP_1) | instskip(NEXT) | instid1(VALU_DEP_1)
	v_trunc_f32_e32 v21, v21
	v_fma_f32 v22, -v21, v16, v22
	v_cvt_u32_f32_e32 v21, v21
	s_delay_alu instid0(VALU_DEP_2) | instskip(NEXT) | instid1(VALU_DEP_1)
	v_cmp_ge_f32_e64 vcc_lo, |v22|, v16
	v_add_co_ci_u32_e64 v16, null, 0, v21, vcc_lo
	s_delay_alu instid0(VALU_DEP_1) | instskip(NEXT) | instid1(VALU_DEP_1)
	v_mul_lo_u32 v16, v16, v19
	v_dual_sub_nc_u32 v16, v20, v16 :: v_dual_mov_b32 v20, v19
	s_delay_alu instid0(VALU_DEP_1) | instskip(NEXT) | instid1(VALU_DEP_1)
	v_and_b32_e32 v16, 0xff, v16
	v_cmp_eq_u16_e32 vcc_lo, 0, v16
	s_or_b32 s1, vcc_lo, s1
	s_delay_alu instid0(SALU_CYCLE_1)
	s_and_not1_b32 exec_lo, exec_lo, s1
	s_cbranch_execnz .LBB43_45
; %bb.46:
	s_or_b32 exec_lo, exec_lo, s1
.LBB43_47:
	s_delay_alu instid0(SALU_CYCLE_1) | instskip(SKIP_3) | instid1(VALU_DEP_2)
	s_or_b32 exec_lo, exec_lo, s0
	v_and_b32_e32 v20, 0xff, v19
	v_mov_b32_e32 v16, 0
	s_mov_b32 s0, exec_lo
	v_cmpx_ne_u16_e32 0, v20
	s_cbranch_execz .LBB43_49
; %bb.48:
	v_cvt_f32_ubyte0_e32 v16, v19
	v_cvt_f32_ubyte1_e32 v17, v17
	v_lshrrev_b16 v18, 8, v18
	s_delay_alu instid0(VALU_DEP_3) | instskip(SKIP_1) | instid1(TRANS32_DEP_1)
	v_rcp_iflag_f32_e32 v19, v16
	v_nop
	v_mul_f32_e32 v19, v17, v19
	s_delay_alu instid0(VALU_DEP_1) | instskip(NEXT) | instid1(VALU_DEP_1)
	v_trunc_f32_e32 v19, v19
	v_fma_f32 v17, -v19, v16, v17
	v_cvt_u32_f32_e32 v19, v19
	s_delay_alu instid0(VALU_DEP_2) | instskip(NEXT) | instid1(VALU_DEP_1)
	v_cmp_ge_f32_e64 vcc_lo, |v17|, v16
	v_add_co_ci_u32_e64 v16, null, 0, v19, vcc_lo
	s_delay_alu instid0(VALU_DEP_1)
	v_mul_lo_u16 v16, v16, v18
.LBB43_49:
	s_or_b32 exec_lo, exec_lo, s0
	v_and_b32_e32 v17, 0xff, v13
	s_wait_loadcnt 0x3
	v_mov_b32_e32 v18, v14
	s_mov_b32 s1, 0
	s_mov_b32 s0, exec_lo
	v_cmpx_ne_u16_e32 0, v17
	s_cbranch_execz .LBB43_53
; %bb.50:
	v_dual_mov_b32 v19, v13 :: v_dual_mov_b32 v17, v14
.LBB43_51:                              ; =>This Inner Loop Header: Depth=1
	s_delay_alu instid0(VALU_DEP_1) | instskip(NEXT) | instid1(VALU_DEP_2)
	v_cvt_f32_ubyte0_e32 v21, v17
	v_mov_b32_e32 v18, v19
	s_delay_alu instid0(VALU_DEP_1) | instskip(NEXT) | instid1(VALU_DEP_1)
	v_cvt_f32_ubyte0_e32 v19, v18
	v_rcp_iflag_f32_e32 v20, v19
	v_nop
	s_delay_alu instid0(TRANS32_DEP_1) | instskip(NEXT) | instid1(VALU_DEP_1)
	v_mul_f32_e32 v20, v21, v20
	v_trunc_f32_e32 v20, v20
	s_delay_alu instid0(VALU_DEP_1) | instskip(SKIP_1) | instid1(VALU_DEP_2)
	v_fma_f32 v21, -v20, v19, v21
	v_cvt_u32_f32_e32 v20, v20
	v_cmp_ge_f32_e64 vcc_lo, |v21|, v19
	s_delay_alu instid0(VALU_DEP_1) | instskip(NEXT) | instid1(VALU_DEP_1)
	v_add_co_ci_u32_e64 v19, null, 0, v20, vcc_lo
	v_mul_lo_u32 v19, v19, v18
	s_delay_alu instid0(VALU_DEP_1) | instskip(NEXT) | instid1(VALU_DEP_1)
	v_sub_nc_u32_e32 v17, v17, v19
	v_and_b32_e32 v19, 0xff, v17
	v_mov_b32_e32 v17, v18
	s_delay_alu instid0(VALU_DEP_2) | instskip(SKIP_1) | instid1(SALU_CYCLE_1)
	v_cmp_eq_u16_e32 vcc_lo, 0, v19
	s_or_b32 s1, vcc_lo, s1
	s_and_not1_b32 exec_lo, exec_lo, s1
	s_cbranch_execnz .LBB43_51
; %bb.52:
	s_or_b32 exec_lo, exec_lo, s1
.LBB43_53:
	s_delay_alu instid0(SALU_CYCLE_1) | instskip(SKIP_3) | instid1(VALU_DEP_2)
	s_or_b32 exec_lo, exec_lo, s0
	v_and_b32_e32 v19, 0xff, v18
	v_mov_b32_e32 v17, 0
	s_mov_b32 s0, exec_lo
	v_cmpx_ne_u16_e32 0, v19
	s_cbranch_execz .LBB43_55
; %bb.54:
	v_cvt_f32_ubyte0_e32 v17, v18
	v_cvt_f32_ubyte0_e32 v19, v13
	s_delay_alu instid0(VALU_DEP_2) | instskip(SKIP_1) | instid1(TRANS32_DEP_1)
	v_rcp_iflag_f32_e32 v18, v17
	v_nop
	v_mul_f32_e32 v18, v19, v18
	s_delay_alu instid0(VALU_DEP_1) | instskip(NEXT) | instid1(VALU_DEP_1)
	v_trunc_f32_e32 v18, v18
	v_fma_f32 v19, -v18, v17, v19
	v_cvt_u32_f32_e32 v18, v18
	s_delay_alu instid0(VALU_DEP_2) | instskip(NEXT) | instid1(VALU_DEP_1)
	v_cmp_ge_f32_e64 vcc_lo, |v19|, v17
	v_add_co_ci_u32_e64 v17, null, 0, v18, vcc_lo
	s_delay_alu instid0(VALU_DEP_1)
	v_mul_lo_u16 v17, v17, v14
.LBB43_55:
	s_or_b32 exec_lo, exec_lo, s0
	v_lshrrev_b16 v18, 8, v13
	v_lshrrev_b16 v19, 8, v14
	s_mov_b32 s1, 0
	s_mov_b32 s0, exec_lo
	s_delay_alu instid0(VALU_DEP_2)
	v_cmpx_ne_u16_e32 0, v18
	s_cbranch_execz .LBB43_59
; %bb.56:
	v_lshrrev_b16 v20, 8, v14
.LBB43_57:                              ; =>This Inner Loop Header: Depth=1
	s_delay_alu instid0(VALU_DEP_1) | instskip(SKIP_1) | instid1(VALU_DEP_1)
	v_cvt_f32_ubyte0_e32 v22, v20
	v_mov_b32_e32 v19, v18
	v_cvt_f32_ubyte0_e32 v18, v19
	s_delay_alu instid0(VALU_DEP_1) | instskip(SKIP_1) | instid1(TRANS32_DEP_1)
	v_rcp_iflag_f32_e32 v21, v18
	v_nop
	v_mul_f32_e32 v21, v22, v21
	s_delay_alu instid0(VALU_DEP_1) | instskip(NEXT) | instid1(VALU_DEP_1)
	v_trunc_f32_e32 v21, v21
	v_fma_f32 v22, -v21, v18, v22
	v_cvt_u32_f32_e32 v21, v21
	s_delay_alu instid0(VALU_DEP_2) | instskip(NEXT) | instid1(VALU_DEP_1)
	v_cmp_ge_f32_e64 vcc_lo, |v22|, v18
	v_add_co_ci_u32_e64 v18, null, 0, v21, vcc_lo
	s_delay_alu instid0(VALU_DEP_1) | instskip(NEXT) | instid1(VALU_DEP_1)
	v_mul_lo_u32 v18, v18, v19
	v_dual_sub_nc_u32 v18, v20, v18 :: v_dual_mov_b32 v20, v19
	s_delay_alu instid0(VALU_DEP_1) | instskip(NEXT) | instid1(VALU_DEP_1)
	v_and_b32_e32 v18, 0xff, v18
	v_cmp_eq_u16_e32 vcc_lo, 0, v18
	s_or_b32 s1, vcc_lo, s1
	s_delay_alu instid0(SALU_CYCLE_1)
	s_and_not1_b32 exec_lo, exec_lo, s1
	s_cbranch_execnz .LBB43_57
; %bb.58:
	s_or_b32 exec_lo, exec_lo, s1
.LBB43_59:
	s_delay_alu instid0(SALU_CYCLE_1) | instskip(SKIP_3) | instid1(VALU_DEP_2)
	s_or_b32 exec_lo, exec_lo, s0
	v_and_b32_e32 v20, 0xff, v19
	v_mov_b32_e32 v18, 0
	s_mov_b32 s0, exec_lo
	v_cmpx_ne_u16_e32 0, v20
	s_cbranch_execz .LBB43_61
; %bb.60:
	v_cvt_f32_ubyte0_e32 v18, v19
	v_cvt_f32_ubyte1_e32 v13, v13
	v_lshrrev_b16 v14, 8, v14
	s_delay_alu instid0(VALU_DEP_3) | instskip(SKIP_1) | instid1(TRANS32_DEP_1)
	v_rcp_iflag_f32_e32 v19, v18
	v_nop
	v_mul_f32_e32 v19, v13, v19
	s_delay_alu instid0(VALU_DEP_1) | instskip(NEXT) | instid1(VALU_DEP_1)
	v_trunc_f32_e32 v19, v19
	v_fma_f32 v13, -v19, v18, v13
	v_cvt_u32_f32_e32 v19, v19
	s_delay_alu instid0(VALU_DEP_2) | instskip(NEXT) | instid1(VALU_DEP_1)
	v_cmp_ge_f32_e64 vcc_lo, |v13|, v18
	v_add_co_ci_u32_e64 v13, null, 0, v19, vcc_lo
	s_delay_alu instid0(VALU_DEP_1)
	v_mul_lo_u16 v18, v13, v14
.LBB43_61:
	s_or_b32 exec_lo, exec_lo, s0
	v_and_b32_e32 v13, 0xff, v9
	s_wait_loadcnt 0x2
	v_mov_b32_e32 v14, v10
	s_mov_b32 s1, 0
	s_mov_b32 s0, exec_lo
	v_cmpx_ne_u16_e32 0, v13
	s_cbranch_execz .LBB43_65
; %bb.62:
	v_dual_mov_b32 v19, v9 :: v_dual_mov_b32 v13, v10
.LBB43_63:                              ; =>This Inner Loop Header: Depth=1
	s_delay_alu instid0(VALU_DEP_1) | instskip(NEXT) | instid1(VALU_DEP_2)
	v_cvt_f32_ubyte0_e32 v21, v13
	v_mov_b32_e32 v14, v19
	s_delay_alu instid0(VALU_DEP_1) | instskip(NEXT) | instid1(VALU_DEP_1)
	v_cvt_f32_ubyte0_e32 v19, v14
	v_rcp_iflag_f32_e32 v20, v19
	v_nop
	s_delay_alu instid0(TRANS32_DEP_1) | instskip(NEXT) | instid1(VALU_DEP_1)
	v_mul_f32_e32 v20, v21, v20
	v_trunc_f32_e32 v20, v20
	s_delay_alu instid0(VALU_DEP_1) | instskip(SKIP_1) | instid1(VALU_DEP_2)
	v_fma_f32 v21, -v20, v19, v21
	v_cvt_u32_f32_e32 v20, v20
	v_cmp_ge_f32_e64 vcc_lo, |v21|, v19
	s_delay_alu instid0(VALU_DEP_1) | instskip(NEXT) | instid1(VALU_DEP_1)
	v_add_co_ci_u32_e64 v19, null, 0, v20, vcc_lo
	v_mul_lo_u32 v19, v19, v14
	s_delay_alu instid0(VALU_DEP_1) | instskip(NEXT) | instid1(VALU_DEP_1)
	v_sub_nc_u32_e32 v13, v13, v19
	v_and_b32_e32 v19, 0xff, v13
	v_mov_b32_e32 v13, v14
	s_delay_alu instid0(VALU_DEP_2) | instskip(SKIP_1) | instid1(SALU_CYCLE_1)
	v_cmp_eq_u16_e32 vcc_lo, 0, v19
	s_or_b32 s1, vcc_lo, s1
	s_and_not1_b32 exec_lo, exec_lo, s1
	s_cbranch_execnz .LBB43_63
; %bb.64:
	s_or_b32 exec_lo, exec_lo, s1
.LBB43_65:
	s_delay_alu instid0(SALU_CYCLE_1) | instskip(SKIP_3) | instid1(VALU_DEP_2)
	s_or_b32 exec_lo, exec_lo, s0
	v_and_b32_e32 v19, 0xff, v14
	v_mov_b32_e32 v13, 0
	s_mov_b32 s0, exec_lo
	v_cmpx_ne_u16_e32 0, v19
	s_cbranch_execz .LBB43_67
; %bb.66:
	v_cvt_f32_ubyte0_e32 v13, v14
	v_cvt_f32_ubyte0_e32 v19, v9
	s_delay_alu instid0(VALU_DEP_2) | instskip(SKIP_1) | instid1(TRANS32_DEP_1)
	v_rcp_iflag_f32_e32 v14, v13
	v_nop
	v_mul_f32_e32 v14, v19, v14
	s_delay_alu instid0(VALU_DEP_1) | instskip(NEXT) | instid1(VALU_DEP_1)
	v_trunc_f32_e32 v14, v14
	v_fma_f32 v19, -v14, v13, v19
	v_cvt_u32_f32_e32 v14, v14
	s_delay_alu instid0(VALU_DEP_2) | instskip(NEXT) | instid1(VALU_DEP_1)
	v_cmp_ge_f32_e64 vcc_lo, |v19|, v13
	v_add_co_ci_u32_e64 v13, null, 0, v14, vcc_lo
	s_delay_alu instid0(VALU_DEP_1)
	v_mul_lo_u16 v13, v13, v10
.LBB43_67:
	s_or_b32 exec_lo, exec_lo, s0
	v_lshrrev_b16 v14, 8, v9
	v_lshrrev_b16 v19, 8, v10
	s_mov_b32 s1, 0
	s_mov_b32 s0, exec_lo
	s_delay_alu instid0(VALU_DEP_2)
	v_cmpx_ne_u16_e32 0, v14
	s_cbranch_execz .LBB43_71
; %bb.68:
	v_lshrrev_b16 v20, 8, v10
.LBB43_69:                              ; =>This Inner Loop Header: Depth=1
	s_delay_alu instid0(VALU_DEP_1) | instskip(SKIP_1) | instid1(VALU_DEP_1)
	v_cvt_f32_ubyte0_e32 v22, v20
	v_mov_b32_e32 v19, v14
	v_cvt_f32_ubyte0_e32 v14, v19
	s_delay_alu instid0(VALU_DEP_1) | instskip(SKIP_1) | instid1(TRANS32_DEP_1)
	v_rcp_iflag_f32_e32 v21, v14
	v_nop
	v_mul_f32_e32 v21, v22, v21
	s_delay_alu instid0(VALU_DEP_1) | instskip(NEXT) | instid1(VALU_DEP_1)
	v_trunc_f32_e32 v21, v21
	v_fma_f32 v22, -v21, v14, v22
	v_cvt_u32_f32_e32 v21, v21
	s_delay_alu instid0(VALU_DEP_2) | instskip(NEXT) | instid1(VALU_DEP_1)
	v_cmp_ge_f32_e64 vcc_lo, |v22|, v14
	v_add_co_ci_u32_e64 v14, null, 0, v21, vcc_lo
	s_delay_alu instid0(VALU_DEP_1) | instskip(NEXT) | instid1(VALU_DEP_1)
	v_mul_lo_u32 v14, v14, v19
	v_dual_sub_nc_u32 v14, v20, v14 :: v_dual_mov_b32 v20, v19
	s_delay_alu instid0(VALU_DEP_1) | instskip(NEXT) | instid1(VALU_DEP_1)
	v_and_b32_e32 v14, 0xff, v14
	v_cmp_eq_u16_e32 vcc_lo, 0, v14
	s_or_b32 s1, vcc_lo, s1
	s_delay_alu instid0(SALU_CYCLE_1)
	s_and_not1_b32 exec_lo, exec_lo, s1
	s_cbranch_execnz .LBB43_69
; %bb.70:
	s_or_b32 exec_lo, exec_lo, s1
.LBB43_71:
	s_delay_alu instid0(SALU_CYCLE_1) | instskip(SKIP_3) | instid1(VALU_DEP_2)
	s_or_b32 exec_lo, exec_lo, s0
	v_and_b32_e32 v20, 0xff, v19
	v_mov_b32_e32 v14, 0
	s_mov_b32 s0, exec_lo
	v_cmpx_ne_u16_e32 0, v20
	s_cbranch_execz .LBB43_73
; %bb.72:
	v_cvt_f32_ubyte0_e32 v14, v19
	v_cvt_f32_ubyte1_e32 v9, v9
	v_lshrrev_b16 v10, 8, v10
	s_delay_alu instid0(VALU_DEP_3) | instskip(SKIP_1) | instid1(TRANS32_DEP_1)
	v_rcp_iflag_f32_e32 v19, v14
	v_nop
	v_mul_f32_e32 v19, v9, v19
	s_delay_alu instid0(VALU_DEP_1) | instskip(NEXT) | instid1(VALU_DEP_1)
	v_trunc_f32_e32 v19, v19
	v_fma_f32 v9, -v19, v14, v9
	v_cvt_u32_f32_e32 v19, v19
	s_delay_alu instid0(VALU_DEP_2) | instskip(NEXT) | instid1(VALU_DEP_1)
	v_cmp_ge_f32_e64 vcc_lo, |v9|, v14
	v_add_co_ci_u32_e64 v9, null, 0, v19, vcc_lo
	s_delay_alu instid0(VALU_DEP_1)
	v_mul_lo_u16 v14, v9, v10
.LBB43_73:
	s_or_b32 exec_lo, exec_lo, s0
	v_and_b32_e32 v9, 0xff, v5
	s_wait_loadcnt 0x1
	v_mov_b32_e32 v10, v6
	s_mov_b32 s1, 0
	s_mov_b32 s0, exec_lo
	v_cmpx_ne_u16_e32 0, v9
	s_cbranch_execz .LBB43_77
; %bb.74:
	v_dual_mov_b32 v19, v5 :: v_dual_mov_b32 v9, v6
.LBB43_75:                              ; =>This Inner Loop Header: Depth=1
	s_delay_alu instid0(VALU_DEP_1) | instskip(NEXT) | instid1(VALU_DEP_2)
	v_cvt_f32_ubyte0_e32 v21, v9
	v_mov_b32_e32 v10, v19
	s_delay_alu instid0(VALU_DEP_1) | instskip(NEXT) | instid1(VALU_DEP_1)
	v_cvt_f32_ubyte0_e32 v19, v10
	v_rcp_iflag_f32_e32 v20, v19
	v_nop
	s_delay_alu instid0(TRANS32_DEP_1) | instskip(NEXT) | instid1(VALU_DEP_1)
	v_mul_f32_e32 v20, v21, v20
	v_trunc_f32_e32 v20, v20
	s_delay_alu instid0(VALU_DEP_1) | instskip(SKIP_1) | instid1(VALU_DEP_2)
	v_fma_f32 v21, -v20, v19, v21
	v_cvt_u32_f32_e32 v20, v20
	v_cmp_ge_f32_e64 vcc_lo, |v21|, v19
	s_delay_alu instid0(VALU_DEP_1) | instskip(NEXT) | instid1(VALU_DEP_1)
	v_add_co_ci_u32_e64 v19, null, 0, v20, vcc_lo
	v_mul_lo_u32 v19, v19, v10
	s_delay_alu instid0(VALU_DEP_1) | instskip(NEXT) | instid1(VALU_DEP_1)
	v_sub_nc_u32_e32 v9, v9, v19
	v_and_b32_e32 v19, 0xff, v9
	v_mov_b32_e32 v9, v10
	s_delay_alu instid0(VALU_DEP_2) | instskip(SKIP_1) | instid1(SALU_CYCLE_1)
	v_cmp_eq_u16_e32 vcc_lo, 0, v19
	s_or_b32 s1, vcc_lo, s1
	s_and_not1_b32 exec_lo, exec_lo, s1
	s_cbranch_execnz .LBB43_75
; %bb.76:
	s_or_b32 exec_lo, exec_lo, s1
.LBB43_77:
	s_delay_alu instid0(SALU_CYCLE_1) | instskip(SKIP_3) | instid1(VALU_DEP_2)
	s_or_b32 exec_lo, exec_lo, s0
	v_and_b32_e32 v19, 0xff, v10
	v_mov_b32_e32 v9, 0
	s_mov_b32 s0, exec_lo
	v_cmpx_ne_u16_e32 0, v19
	s_cbranch_execz .LBB43_79
; %bb.78:
	v_cvt_f32_ubyte0_e32 v9, v10
	v_cvt_f32_ubyte0_e32 v19, v5
	s_delay_alu instid0(VALU_DEP_2) | instskip(SKIP_1) | instid1(TRANS32_DEP_1)
	v_rcp_iflag_f32_e32 v10, v9
	v_nop
	v_mul_f32_e32 v10, v19, v10
	s_delay_alu instid0(VALU_DEP_1) | instskip(NEXT) | instid1(VALU_DEP_1)
	v_trunc_f32_e32 v10, v10
	v_fma_f32 v19, -v10, v9, v19
	v_cvt_u32_f32_e32 v10, v10
	s_delay_alu instid0(VALU_DEP_2) | instskip(NEXT) | instid1(VALU_DEP_1)
	v_cmp_ge_f32_e64 vcc_lo, |v19|, v9
	v_add_co_ci_u32_e64 v9, null, 0, v10, vcc_lo
	s_delay_alu instid0(VALU_DEP_1)
	v_mul_lo_u16 v9, v9, v6
.LBB43_79:
	s_or_b32 exec_lo, exec_lo, s0
	v_lshrrev_b16 v10, 8, v5
	v_lshrrev_b16 v19, 8, v6
	s_mov_b32 s1, 0
	s_mov_b32 s0, exec_lo
	s_delay_alu instid0(VALU_DEP_2)
	v_cmpx_ne_u16_e32 0, v10
	s_cbranch_execz .LBB43_83
; %bb.80:
	v_lshrrev_b16 v20, 8, v6
.LBB43_81:                              ; =>This Inner Loop Header: Depth=1
	s_delay_alu instid0(VALU_DEP_1) | instskip(SKIP_1) | instid1(VALU_DEP_1)
	v_cvt_f32_ubyte0_e32 v22, v20
	v_mov_b32_e32 v19, v10
	v_cvt_f32_ubyte0_e32 v10, v19
	s_delay_alu instid0(VALU_DEP_1) | instskip(SKIP_1) | instid1(TRANS32_DEP_1)
	v_rcp_iflag_f32_e32 v21, v10
	v_nop
	v_mul_f32_e32 v21, v22, v21
	s_delay_alu instid0(VALU_DEP_1) | instskip(NEXT) | instid1(VALU_DEP_1)
	v_trunc_f32_e32 v21, v21
	v_fma_f32 v22, -v21, v10, v22
	v_cvt_u32_f32_e32 v21, v21
	s_delay_alu instid0(VALU_DEP_2) | instskip(NEXT) | instid1(VALU_DEP_1)
	v_cmp_ge_f32_e64 vcc_lo, |v22|, v10
	v_add_co_ci_u32_e64 v10, null, 0, v21, vcc_lo
	s_delay_alu instid0(VALU_DEP_1) | instskip(NEXT) | instid1(VALU_DEP_1)
	v_mul_lo_u32 v10, v10, v19
	v_dual_sub_nc_u32 v10, v20, v10 :: v_dual_mov_b32 v20, v19
	s_delay_alu instid0(VALU_DEP_1) | instskip(NEXT) | instid1(VALU_DEP_1)
	v_and_b32_e32 v10, 0xff, v10
	v_cmp_eq_u16_e32 vcc_lo, 0, v10
	s_or_b32 s1, vcc_lo, s1
	s_delay_alu instid0(SALU_CYCLE_1)
	s_and_not1_b32 exec_lo, exec_lo, s1
	s_cbranch_execnz .LBB43_81
; %bb.82:
	s_or_b32 exec_lo, exec_lo, s1
.LBB43_83:
	s_delay_alu instid0(SALU_CYCLE_1) | instskip(SKIP_3) | instid1(VALU_DEP_2)
	s_or_b32 exec_lo, exec_lo, s0
	v_and_b32_e32 v20, 0xff, v19
	v_mov_b32_e32 v10, 0
	s_mov_b32 s0, exec_lo
	v_cmpx_ne_u16_e32 0, v20
	s_cbranch_execz .LBB43_85
; %bb.84:
	v_cvt_f32_ubyte0_e32 v10, v19
	v_cvt_f32_ubyte1_e32 v5, v5
	v_lshrrev_b16 v6, 8, v6
	s_delay_alu instid0(VALU_DEP_3) | instskip(SKIP_1) | instid1(TRANS32_DEP_1)
	v_rcp_iflag_f32_e32 v19, v10
	v_nop
	v_mul_f32_e32 v19, v5, v19
	s_delay_alu instid0(VALU_DEP_1) | instskip(NEXT) | instid1(VALU_DEP_1)
	v_trunc_f32_e32 v19, v19
	v_fma_f32 v5, -v19, v10, v5
	v_cvt_u32_f32_e32 v19, v19
	s_delay_alu instid0(VALU_DEP_2) | instskip(NEXT) | instid1(VALU_DEP_1)
	v_cmp_ge_f32_e64 vcc_lo, |v5|, v10
	v_add_co_ci_u32_e64 v5, null, 0, v19, vcc_lo
	s_delay_alu instid0(VALU_DEP_1)
	v_mul_lo_u16 v10, v5, v6
.LBB43_85:
	s_or_b32 exec_lo, exec_lo, s0
	v_and_b32_e32 v5, 0xff, v1
	s_wait_loadcnt 0x0
	v_mov_b32_e32 v6, v2
	s_mov_b32 s1, 0
	s_mov_b32 s0, exec_lo
	v_cmpx_ne_u16_e32 0, v5
	s_cbranch_execz .LBB43_89
; %bb.86:
	v_dual_mov_b32 v19, v1 :: v_dual_mov_b32 v5, v2
.LBB43_87:                              ; =>This Inner Loop Header: Depth=1
	s_delay_alu instid0(VALU_DEP_1) | instskip(NEXT) | instid1(VALU_DEP_2)
	v_cvt_f32_ubyte0_e32 v21, v5
	v_mov_b32_e32 v6, v19
	s_delay_alu instid0(VALU_DEP_1) | instskip(NEXT) | instid1(VALU_DEP_1)
	v_cvt_f32_ubyte0_e32 v19, v6
	v_rcp_iflag_f32_e32 v20, v19
	v_nop
	s_delay_alu instid0(TRANS32_DEP_1) | instskip(NEXT) | instid1(VALU_DEP_1)
	v_mul_f32_e32 v20, v21, v20
	v_trunc_f32_e32 v20, v20
	s_delay_alu instid0(VALU_DEP_1) | instskip(SKIP_1) | instid1(VALU_DEP_2)
	v_fma_f32 v21, -v20, v19, v21
	v_cvt_u32_f32_e32 v20, v20
	v_cmp_ge_f32_e64 vcc_lo, |v21|, v19
	s_delay_alu instid0(VALU_DEP_1) | instskip(NEXT) | instid1(VALU_DEP_1)
	v_add_co_ci_u32_e64 v19, null, 0, v20, vcc_lo
	v_mul_lo_u32 v19, v19, v6
	s_delay_alu instid0(VALU_DEP_1) | instskip(NEXT) | instid1(VALU_DEP_1)
	v_sub_nc_u32_e32 v5, v5, v19
	v_and_b32_e32 v19, 0xff, v5
	v_mov_b32_e32 v5, v6
	s_delay_alu instid0(VALU_DEP_2) | instskip(SKIP_1) | instid1(SALU_CYCLE_1)
	v_cmp_eq_u16_e32 vcc_lo, 0, v19
	s_or_b32 s1, vcc_lo, s1
	s_and_not1_b32 exec_lo, exec_lo, s1
	s_cbranch_execnz .LBB43_87
; %bb.88:
	s_or_b32 exec_lo, exec_lo, s1
.LBB43_89:
	s_delay_alu instid0(SALU_CYCLE_1) | instskip(SKIP_3) | instid1(VALU_DEP_2)
	s_or_b32 exec_lo, exec_lo, s0
	v_and_b32_e32 v19, 0xff, v6
	v_mov_b32_e32 v5, 0
	s_mov_b32 s0, exec_lo
	v_cmpx_ne_u16_e32 0, v19
	s_cbranch_execz .LBB43_91
; %bb.90:
	v_cvt_f32_ubyte0_e32 v5, v6
	v_cvt_f32_ubyte0_e32 v19, v1
	s_delay_alu instid0(VALU_DEP_2) | instskip(SKIP_1) | instid1(TRANS32_DEP_1)
	v_rcp_iflag_f32_e32 v6, v5
	v_nop
	v_mul_f32_e32 v6, v19, v6
	s_delay_alu instid0(VALU_DEP_1) | instskip(NEXT) | instid1(VALU_DEP_1)
	v_trunc_f32_e32 v6, v6
	v_fma_f32 v19, -v6, v5, v19
	v_cvt_u32_f32_e32 v6, v6
	s_delay_alu instid0(VALU_DEP_2) | instskip(NEXT) | instid1(VALU_DEP_1)
	v_cmp_ge_f32_e64 vcc_lo, |v19|, v5
	v_add_co_ci_u32_e64 v5, null, 0, v6, vcc_lo
	s_delay_alu instid0(VALU_DEP_1)
	v_mul_lo_u16 v5, v5, v2
.LBB43_91:
	s_or_b32 exec_lo, exec_lo, s0
	v_lshrrev_b16 v19, 8, v1
	v_lshrrev_b16 v6, 8, v2
	s_mov_b32 s1, 0
	s_mov_b32 s0, exec_lo
	s_delay_alu instid0(VALU_DEP_2)
	v_cmpx_ne_u16_e32 0, v19
	s_cbranch_execz .LBB43_95
; %bb.92:
	v_lshrrev_b16 v20, 8, v2
.LBB43_93:                              ; =>This Inner Loop Header: Depth=1
	s_delay_alu instid0(VALU_DEP_1) | instskip(SKIP_1) | instid1(VALU_DEP_1)
	v_cvt_f32_ubyte0_e32 v22, v20
	v_mov_b32_e32 v6, v19
	v_cvt_f32_ubyte0_e32 v19, v6
	s_delay_alu instid0(VALU_DEP_1) | instskip(SKIP_1) | instid1(TRANS32_DEP_1)
	v_rcp_iflag_f32_e32 v21, v19
	v_nop
	v_mul_f32_e32 v21, v22, v21
	s_delay_alu instid0(VALU_DEP_1) | instskip(NEXT) | instid1(VALU_DEP_1)
	v_trunc_f32_e32 v21, v21
	v_fma_f32 v22, -v21, v19, v22
	v_cvt_u32_f32_e32 v21, v21
	s_delay_alu instid0(VALU_DEP_2) | instskip(NEXT) | instid1(VALU_DEP_1)
	v_cmp_ge_f32_e64 vcc_lo, |v22|, v19
	v_add_co_ci_u32_e64 v19, null, 0, v21, vcc_lo
	s_delay_alu instid0(VALU_DEP_1) | instskip(NEXT) | instid1(VALU_DEP_1)
	v_mul_lo_u32 v19, v19, v6
	v_dual_mov_b32 v20, v6 :: v_dual_sub_nc_u32 v19, v20, v19
	s_delay_alu instid0(VALU_DEP_1) | instskip(NEXT) | instid1(VALU_DEP_1)
	v_and_b32_e32 v19, 0xff, v19
	v_cmp_eq_u16_e32 vcc_lo, 0, v19
	s_or_b32 s1, vcc_lo, s1
	s_delay_alu instid0(SALU_CYCLE_1)
	s_and_not1_b32 exec_lo, exec_lo, s1
	s_cbranch_execnz .LBB43_93
; %bb.94:
	s_or_b32 exec_lo, exec_lo, s1
.LBB43_95:
	s_delay_alu instid0(SALU_CYCLE_1) | instskip(SKIP_3) | instid1(VALU_DEP_2)
	s_or_b32 exec_lo, exec_lo, s0
	v_and_b32_e32 v20, 0xff, v6
	v_mov_b32_e32 v19, 0
	s_mov_b32 s0, exec_lo
	v_cmpx_ne_u16_e32 0, v20
	s_cbranch_execz .LBB43_97
; %bb.96:
	v_cvt_f32_ubyte0_e32 v6, v6
	v_cvt_f32_ubyte1_e32 v1, v1
	v_lshrrev_b16 v2, 8, v2
	s_delay_alu instid0(VALU_DEP_3) | instskip(SKIP_1) | instid1(TRANS32_DEP_1)
	v_rcp_iflag_f32_e32 v19, v6
	v_nop
	v_mul_f32_e32 v19, v1, v19
	s_delay_alu instid0(VALU_DEP_1) | instskip(NEXT) | instid1(VALU_DEP_1)
	v_trunc_f32_e32 v19, v19
	v_fma_f32 v1, -v19, v6, v1
	v_cvt_u32_f32_e32 v19, v19
	s_delay_alu instid0(VALU_DEP_2) | instskip(NEXT) | instid1(VALU_DEP_1)
	v_cmp_ge_f32_e64 vcc_lo, |v1|, v6
	v_add_co_ci_u32_e64 v1, null, 0, v19, vcc_lo
	s_delay_alu instid0(VALU_DEP_1)
	v_mul_lo_u16 v19, v1, v2
.LBB43_97:
	s_or_b32 exec_lo, exec_lo, s0
	v_perm_b32 v3, v3, v4, 0xc0c0004
	v_perm_b32 v4, v7, v8, 0xc0c0004
	;; [unrolled: 1-line block ×5, first 2 shown]
	s_add_nc_u64 s[4:5], s[16:17], s[14:15]
	s_mov_b32 s0, 0
	v_perm_b32 v6, v17, v18, 0xc0c0004
	v_perm_b32 v1, v5, v19, 0xc0c0004
	;; [unrolled: 1-line block ×3, first 2 shown]
	s_clause 0x7
	global_store_b16 v0, v3, s[4:5] scale_offset
	global_store_b16 v0, v4, s[4:5] offset:512 scale_offset
	global_store_b16 v0, v7, s[4:5] offset:1024 scale_offset
	;; [unrolled: 1-line block ×7, first 2 shown]
.LBB43_98:
	s_and_b32 vcc_lo, exec_lo, s0
	s_cbranch_vccz .LBB43_276
; %bb.99:
	v_cmp_gt_i32_e32 vcc_lo, s13, v0
	s_wait_xcnt 0x1
	v_dual_mov_b32 v2, 0 :: v_dual_bitop2_b32 v10, s14, v0 bitop3:0x54
	v_or_b32_e32 v39, 0x100, v0
	v_dual_mov_b32 v12, 0 :: v_dual_mov_b32 v11, 0
	v_dual_mov_b32 v14, 0 :: v_dual_mov_b32 v13, 0
	;; [unrolled: 1-line block ×16, first 2 shown]
	s_wait_xcnt 0x0
	s_and_saveexec_b32 s1, vcc_lo
	s_cbranch_execz .LBB43_131
; %bb.100:
	s_clause 0x1
	global_load_u8 v41, v10, s[18:19]
	global_load_u8 v40, v10, s[2:3]
	v_cmp_gt_u32_e64 s0, s13, v39
	v_dual_mov_b32 v37, 0 :: v_dual_mov_b32 v38, 0
	v_dual_mov_b32 v5, 0 :: v_dual_mov_b32 v36, 0
	;; [unrolled: 1-line block ×15, first 2 shown]
	s_wait_xcnt 0x0
	s_and_saveexec_b32 s4, s0
	s_cbranch_execz .LBB43_130
; %bb.101:
	v_dual_mov_b32 v5, 0 :: v_dual_add_nc_u32 v4, s14, v0
	v_or_b32_e32 v1, 0x200, v0
	v_dual_mov_b32 v36, 0 :: v_dual_mov_b32 v6, 0
	s_clause 0x1
	global_load_u8 v38, v4, s[18:19] offset:256
	global_load_u8 v37, v4, s[2:3] offset:256
	v_dual_mov_b32 v35, 0 :: v_dual_mov_b32 v33, 0
	v_cmp_gt_u32_e64 s0, s13, v1
	v_dual_mov_b32 v34, 0 :: v_dual_mov_b32 v31, 0
	v_dual_mov_b32 v32, 0 :: v_dual_mov_b32 v29, 0
	;; [unrolled: 1-line block ×11, first 2 shown]
	v_mov_b32_e32 v12, 0
	s_wait_xcnt 0x0
	s_and_saveexec_b32 s5, s0
	s_cbranch_execz .LBB43_129
; %bb.102:
	v_add_nc_u64_e32 v[6:7], s[18:19], v[4:5]
	v_add_nc_u64_e32 v[8:9], s[2:3], v[4:5]
	v_or_b32_e32 v3, 0x300, v0
	v_dual_mov_b32 v35, 0 :: v_dual_mov_b32 v33, 0
	v_dual_mov_b32 v34, 0 :: v_dual_mov_b32 v31, 0
	global_load_u8 v36, v[6:7], off offset:512
	global_load_u8 v1, v[8:9], off offset:512
	v_cmp_gt_u32_e64 s0, s13, v3
	v_dual_mov_b32 v32, 0 :: v_dual_mov_b32 v29, 0
	v_dual_mov_b32 v30, 0 :: v_dual_mov_b32 v27, 0
	;; [unrolled: 1-line block ×10, first 2 shown]
	v_mov_b32_e32 v12, 0
	s_wait_xcnt 0x0
	s_and_saveexec_b32 s2, s0
	s_cbranch_execz .LBB43_128
; %bb.103:
	global_load_u8 v35, v[6:7], off offset:768
	global_load_u8 v5, v[8:9], off offset:768
	v_or_b32_e32 v3, 0x400, v0
	v_dual_mov_b32 v33, 0 :: v_dual_mov_b32 v34, 0
	v_dual_mov_b32 v31, 0 :: v_dual_mov_b32 v32, 0
	s_delay_alu instid0(VALU_DEP_3)
	v_cmp_gt_u32_e64 s0, s13, v3
	v_dual_mov_b32 v29, 0 :: v_dual_mov_b32 v30, 0
	v_dual_mov_b32 v27, 0 :: v_dual_mov_b32 v28, 0
	;; [unrolled: 1-line block ×10, first 2 shown]
	s_wait_xcnt 0x0
	s_and_saveexec_b32 s3, s0
	s_cbranch_execz .LBB43_127
; %bb.104:
	global_load_u8 v34, v[6:7], off offset:1024
	global_load_u8 v33, v[8:9], off offset:1024
	v_or_b32_e32 v3, 0x500, v0
	v_dual_mov_b32 v31, 0 :: v_dual_mov_b32 v32, 0
	v_dual_mov_b32 v29, 0 :: v_dual_mov_b32 v30, 0
	s_delay_alu instid0(VALU_DEP_3)
	v_cmp_gt_u32_e64 s0, s13, v3
	v_dual_mov_b32 v27, 0 :: v_dual_mov_b32 v28, 0
	v_dual_mov_b32 v25, 0 :: v_dual_mov_b32 v26, 0
	;; [unrolled: 1-line block ×9, first 2 shown]
	s_wait_xcnt 0x0
	s_and_saveexec_b32 s6, s0
	s_cbranch_execz .LBB43_126
; %bb.105:
	global_load_u8 v32, v[6:7], off offset:1280
	global_load_u8 v31, v[8:9], off offset:1280
	v_or_b32_e32 v3, 0x600, v0
	v_dual_mov_b32 v29, 0 :: v_dual_mov_b32 v30, 0
	v_dual_mov_b32 v27, 0 :: v_dual_mov_b32 v28, 0
	s_delay_alu instid0(VALU_DEP_3)
	v_cmp_gt_u32_e64 s0, s13, v3
	v_dual_mov_b32 v25, 0 :: v_dual_mov_b32 v26, 0
	v_dual_mov_b32 v23, 0 :: v_dual_mov_b32 v24, 0
	;; [unrolled: 1-line block ×8, first 2 shown]
	s_wait_xcnt 0x0
	s_and_saveexec_b32 s7, s0
	s_cbranch_execz .LBB43_125
; %bb.106:
	global_load_u8 v30, v[6:7], off offset:1536
	global_load_u8 v29, v[8:9], off offset:1536
	v_or_b32_e32 v3, 0x700, v0
	v_dual_mov_b32 v27, 0 :: v_dual_mov_b32 v28, 0
	v_dual_mov_b32 v25, 0 :: v_dual_mov_b32 v26, 0
	;; [unrolled: 1-line block ×9, first 2 shown]
	s_mov_b32 s8, exec_lo
	s_wait_xcnt 0x0
	v_cmpx_gt_u32_e64 s13, v3
	s_cbranch_execz .LBB43_124
; %bb.107:
	global_load_u8 v28, v[6:7], off offset:1792
	global_load_u8 v27, v[8:9], off offset:1792
	v_or_b32_e32 v3, 0x800, v0
	v_dual_mov_b32 v25, 0 :: v_dual_mov_b32 v26, 0
	v_dual_mov_b32 v23, 0 :: v_dual_mov_b32 v24, 0
	v_dual_mov_b32 v21, 0 :: v_dual_mov_b32 v22, 0
	v_dual_mov_b32 v19, 0 :: v_dual_mov_b32 v20, 0
	v_dual_mov_b32 v17, 0 :: v_dual_mov_b32 v18, 0
	v_dual_mov_b32 v15, 0 :: v_dual_mov_b32 v16, 0
	v_dual_mov_b32 v13, 0 :: v_dual_mov_b32 v14, 0
	v_dual_mov_b32 v11, 0 :: v_dual_mov_b32 v12, 0
	s_mov_b32 s9, exec_lo
	s_wait_xcnt 0x0
	v_cmpx_gt_u32_e64 s13, v3
	s_cbranch_execz .LBB43_123
; %bb.108:
	global_load_u8 v26, v[6:7], off offset:2048
	global_load_u8 v25, v[8:9], off offset:2048
	v_or_b32_e32 v3, 0x900, v0
	v_dual_mov_b32 v23, 0 :: v_dual_mov_b32 v24, 0
	v_dual_mov_b32 v21, 0 :: v_dual_mov_b32 v22, 0
	v_dual_mov_b32 v19, 0 :: v_dual_mov_b32 v20, 0
	v_dual_mov_b32 v17, 0 :: v_dual_mov_b32 v18, 0
	v_dual_mov_b32 v15, 0 :: v_dual_mov_b32 v16, 0
	v_dual_mov_b32 v13, 0 :: v_dual_mov_b32 v14, 0
	v_dual_mov_b32 v11, 0 :: v_dual_mov_b32 v12, 0
	s_mov_b32 s10, exec_lo
	s_wait_xcnt 0x0
	v_cmpx_gt_u32_e64 s13, v3
	s_cbranch_execz .LBB43_122
; %bb.109:
	global_load_u8 v24, v[6:7], off offset:2304
	global_load_u8 v23, v[8:9], off offset:2304
	v_or_b32_e32 v3, 0xa00, v0
	v_dual_mov_b32 v21, 0 :: v_dual_mov_b32 v22, 0
	v_dual_mov_b32 v19, 0 :: v_dual_mov_b32 v20, 0
	;; [unrolled: 1-line block ×6, first 2 shown]
	s_mov_b32 s11, exec_lo
	s_wait_xcnt 0x0
	v_cmpx_gt_u32_e64 s13, v3
	s_cbranch_execz .LBB43_121
; %bb.110:
	global_load_u8 v22, v[6:7], off offset:2560
	global_load_u8 v21, v[8:9], off offset:2560
	v_or_b32_e32 v3, 0xb00, v0
	v_dual_mov_b32 v19, 0 :: v_dual_mov_b32 v20, 0
	v_dual_mov_b32 v17, 0 :: v_dual_mov_b32 v18, 0
	;; [unrolled: 1-line block ×5, first 2 shown]
	s_mov_b32 s12, exec_lo
	s_wait_xcnt 0x0
	v_cmpx_gt_u32_e64 s13, v3
	s_cbranch_execz .LBB43_120
; %bb.111:
	global_load_u8 v20, v[6:7], off offset:2816
	global_load_u8 v19, v[8:9], off offset:2816
	v_or_b32_e32 v3, 0xc00, v0
	v_dual_mov_b32 v17, 0 :: v_dual_mov_b32 v18, 0
	v_dual_mov_b32 v15, 0 :: v_dual_mov_b32 v16, 0
	;; [unrolled: 1-line block ×4, first 2 shown]
	s_mov_b32 s15, exec_lo
	s_wait_xcnt 0x0
	v_cmpx_gt_u32_e64 s13, v3
	s_cbranch_execz .LBB43_119
; %bb.112:
	global_load_u8 v18, v[6:7], off offset:3072
	global_load_u8 v17, v[8:9], off offset:3072
	v_or_b32_e32 v3, 0xd00, v0
	v_dual_mov_b32 v15, 0 :: v_dual_mov_b32 v16, 0
	v_dual_mov_b32 v13, 0 :: v_dual_mov_b32 v14, 0
	;; [unrolled: 1-line block ×3, first 2 shown]
	s_mov_b32 s18, exec_lo
	s_wait_xcnt 0x0
	v_cmpx_gt_u32_e64 s13, v3
	s_cbranch_execz .LBB43_118
; %bb.113:
	global_load_u8 v16, v[6:7], off offset:3328
	global_load_u8 v15, v[8:9], off offset:3328
	v_or_b32_e32 v3, 0xe00, v0
	v_dual_mov_b32 v13, 0 :: v_dual_mov_b32 v14, 0
	v_dual_mov_b32 v11, 0 :: v_dual_mov_b32 v12, 0
	s_mov_b32 s19, exec_lo
	s_wait_xcnt 0x0
	v_cmpx_gt_u32_e64 s13, v3
	s_cbranch_execz .LBB43_117
; %bb.114:
	global_load_u8 v14, v[6:7], off offset:3584
	global_load_u8 v13, v[8:9], off offset:3584
	v_or_b32_e32 v3, 0xf00, v0
	v_dual_mov_b32 v11, 0 :: v_dual_mov_b32 v12, 0
	s_mov_b32 s20, exec_lo
	s_wait_xcnt 0x0
	s_delay_alu instid0(VALU_DEP_2)
	v_cmpx_gt_u32_e64 s13, v3
	s_cbranch_execz .LBB43_116
; %bb.115:
	global_load_u8 v12, v[6:7], off offset:3840
	global_load_u8 v11, v[8:9], off offset:3840
.LBB43_116:
	s_wait_xcnt 0x0
	s_or_b32 exec_lo, exec_lo, s20
.LBB43_117:
	s_delay_alu instid0(SALU_CYCLE_1)
	s_or_b32 exec_lo, exec_lo, s19
.LBB43_118:
	s_delay_alu instid0(SALU_CYCLE_1)
	s_or_b32 exec_lo, exec_lo, s18
.LBB43_119:
	s_delay_alu instid0(SALU_CYCLE_1)
	s_or_b32 exec_lo, exec_lo, s15
.LBB43_120:
	s_delay_alu instid0(SALU_CYCLE_1)
	s_or_b32 exec_lo, exec_lo, s12
.LBB43_121:
	s_delay_alu instid0(SALU_CYCLE_1)
	s_or_b32 exec_lo, exec_lo, s11
.LBB43_122:
	s_delay_alu instid0(SALU_CYCLE_1)
	s_or_b32 exec_lo, exec_lo, s10
.LBB43_123:
	s_delay_alu instid0(SALU_CYCLE_1)
	s_or_b32 exec_lo, exec_lo, s9
.LBB43_124:
	s_delay_alu instid0(SALU_CYCLE_1)
	s_or_b32 exec_lo, exec_lo, s8
.LBB43_125:
	s_delay_alu instid0(SALU_CYCLE_1)
	s_or_b32 exec_lo, exec_lo, s7
.LBB43_126:
	s_delay_alu instid0(SALU_CYCLE_1)
	s_or_b32 exec_lo, exec_lo, s6
.LBB43_127:
	s_delay_alu instid0(SALU_CYCLE_1)
	s_or_b32 exec_lo, exec_lo, s3
.LBB43_128:
	s_delay_alu instid0(SALU_CYCLE_1)
	s_or_b32 exec_lo, exec_lo, s2
	s_wait_loadcnt 0x0
	v_dual_mov_b32 v6, v5 :: v_dual_mov_b32 v5, v1
.LBB43_129:
	s_or_b32 exec_lo, exec_lo, s5
.LBB43_130:
	s_delay_alu instid0(SALU_CYCLE_1)
	s_or_b32 exec_lo, exec_lo, s4
.LBB43_131:
	s_delay_alu instid0(SALU_CYCLE_1)
	s_or_b32 exec_lo, exec_lo, s1
	v_dual_mov_b32 v1, v2 :: v_dual_mov_b32 v4, v2
	v_mov_b32_e32 v3, v2
	s_and_saveexec_b32 s1, vcc_lo
	s_cbranch_execz .LBB43_139
; %bb.132:
	s_wait_loadcnt 0x1
	v_and_b32_e32 v1, 0xff, v41
	s_wait_loadcnt 0x0
	v_mov_b32_e32 v2, v40
	s_mov_b32 s2, exec_lo
	s_delay_alu instid0(VALU_DEP_2)
	v_cmpx_ne_u16_e32 0, v1
	s_cbranch_execz .LBB43_136
; %bb.133:
	v_dual_mov_b32 v3, v41 :: v_dual_mov_b32 v1, v40
	s_mov_b32 s3, 0
.LBB43_134:                             ; =>This Inner Loop Header: Depth=1
	s_delay_alu instid0(VALU_DEP_1) | instskip(NEXT) | instid1(VALU_DEP_2)
	v_cvt_f32_ubyte0_e32 v7, v1
	v_mov_b32_e32 v2, v3
	s_delay_alu instid0(VALU_DEP_1) | instskip(NEXT) | instid1(VALU_DEP_1)
	v_cvt_f32_ubyte0_e32 v3, v2
	v_rcp_iflag_f32_e32 v4, v3
	v_nop
	s_delay_alu instid0(TRANS32_DEP_1) | instskip(NEXT) | instid1(VALU_DEP_1)
	v_mul_f32_e32 v4, v7, v4
	v_trunc_f32_e32 v4, v4
	s_delay_alu instid0(VALU_DEP_1) | instskip(SKIP_1) | instid1(VALU_DEP_2)
	v_fma_f32 v7, -v4, v3, v7
	v_cvt_u32_f32_e32 v4, v4
	v_cmp_ge_f32_e64 s0, |v7|, v3
	s_delay_alu instid0(VALU_DEP_1) | instskip(NEXT) | instid1(VALU_DEP_1)
	v_add_co_ci_u32_e64 v3, null, 0, v4, s0
	v_mul_lo_u32 v3, v3, v2
	s_delay_alu instid0(VALU_DEP_1) | instskip(NEXT) | instid1(VALU_DEP_1)
	v_sub_nc_u32_e32 v1, v1, v3
	v_and_b32_e32 v3, 0xff, v1
	v_mov_b32_e32 v1, v2
	s_delay_alu instid0(VALU_DEP_2) | instskip(SKIP_1) | instid1(SALU_CYCLE_1)
	v_cmp_eq_u16_e64 s0, 0, v3
	s_or_b32 s3, s0, s3
	s_and_not1_b32 exec_lo, exec_lo, s3
	s_cbranch_execnz .LBB43_134
; %bb.135:
	s_or_b32 exec_lo, exec_lo, s3
.LBB43_136:
	s_delay_alu instid0(SALU_CYCLE_1) | instskip(SKIP_2) | instid1(VALU_DEP_2)
	s_or_b32 exec_lo, exec_lo, s2
	v_and_b32_e32 v3, 0xff, v2
	v_mov_b32_e32 v1, 0
	v_cmp_ne_u16_e64 s0, 0, v3
	v_mov_b32_e32 v3, 0
	s_and_saveexec_b32 s2, s0
	s_cbranch_execz .LBB43_138
; %bb.137:
	v_cvt_f32_ubyte0_e32 v2, v2
	v_cvt_f32_ubyte0_e32 v4, v41
	s_delay_alu instid0(VALU_DEP_2) | instskip(SKIP_1) | instid1(TRANS32_DEP_1)
	v_rcp_iflag_f32_e32 v3, v2
	v_nop
	v_mul_f32_e32 v3, v4, v3
	s_delay_alu instid0(VALU_DEP_1) | instskip(NEXT) | instid1(VALU_DEP_1)
	v_trunc_f32_e32 v3, v3
	v_fma_f32 v4, -v3, v2, v4
	v_cvt_u32_f32_e32 v3, v3
	s_delay_alu instid0(VALU_DEP_2) | instskip(NEXT) | instid1(VALU_DEP_1)
	v_cmp_ge_f32_e64 s0, |v4|, v2
	v_add_co_ci_u32_e64 v2, null, 0, v3, s0
	s_delay_alu instid0(VALU_DEP_1)
	v_mul_lo_u16 v3, v2, v40
.LBB43_138:
	s_or_b32 exec_lo, exec_lo, s2
	s_delay_alu instid0(VALU_DEP_1) | instskip(SKIP_1) | instid1(VALU_DEP_2)
	v_and_b32_e32 v2, 0xff, v3
	v_dual_mov_b32 v4, v1 :: v_dual_mov_b32 v3, v1
	v_and_b32_e32 v2, 0xffff, v2
.LBB43_139:
	s_or_b32 exec_lo, exec_lo, s1
	v_cmp_gt_i32_e64 s0, s13, v39
	s_and_saveexec_b32 s2, s0
	s_cbranch_execz .LBB43_147
; %bb.140:
	s_wait_loadcnt 0x1
	v_and_b32_e32 v7, 0xff, v38
	s_mov_b32 s4, 0
	s_delay_alu instid0(VALU_DEP_1)
	v_cmp_ne_u16_e64 s1, 0, v7
	s_wait_loadcnt 0x0
	v_mov_b32_e32 v7, v37
	s_and_saveexec_b32 s3, s1
	s_cbranch_execz .LBB43_144
; %bb.141:
	v_dual_mov_b32 v9, v38 :: v_dual_mov_b32 v8, v37
.LBB43_142:                             ; =>This Inner Loop Header: Depth=1
	s_delay_alu instid0(VALU_DEP_1) | instskip(NEXT) | instid1(VALU_DEP_2)
	v_cvt_f32_ubyte0_e32 v40, v8
	v_mov_b32_e32 v7, v9
	s_delay_alu instid0(VALU_DEP_1) | instskip(NEXT) | instid1(VALU_DEP_1)
	v_cvt_f32_ubyte0_e32 v9, v7
	v_rcp_iflag_f32_e32 v39, v9
	v_nop
	s_delay_alu instid0(TRANS32_DEP_1) | instskip(NEXT) | instid1(VALU_DEP_1)
	v_mul_f32_e32 v39, v40, v39
	v_trunc_f32_e32 v39, v39
	s_delay_alu instid0(VALU_DEP_1) | instskip(SKIP_1) | instid1(VALU_DEP_2)
	v_fma_f32 v40, -v39, v9, v40
	v_cvt_u32_f32_e32 v39, v39
	v_cmp_ge_f32_e64 s1, |v40|, v9
	s_delay_alu instid0(VALU_DEP_1) | instskip(NEXT) | instid1(VALU_DEP_1)
	v_add_co_ci_u32_e64 v9, null, 0, v39, s1
	v_mul_lo_u32 v9, v9, v7
	s_delay_alu instid0(VALU_DEP_1) | instskip(NEXT) | instid1(VALU_DEP_1)
	v_sub_nc_u32_e32 v8, v8, v9
	v_and_b32_e32 v9, 0xff, v8
	v_mov_b32_e32 v8, v7
	s_delay_alu instid0(VALU_DEP_2) | instskip(SKIP_1) | instid1(SALU_CYCLE_1)
	v_cmp_eq_u16_e64 s1, 0, v9
	s_or_b32 s4, s1, s4
	s_and_not1_b32 exec_lo, exec_lo, s4
	s_cbranch_execnz .LBB43_142
; %bb.143:
	s_or_b32 exec_lo, exec_lo, s4
.LBB43_144:
	s_delay_alu instid0(SALU_CYCLE_1) | instskip(NEXT) | instid1(VALU_DEP_1)
	s_or_b32 exec_lo, exec_lo, s3
	v_and_b32_e32 v9, 0xff, v7
	v_mov_b32_e32 v8, 0
	s_mov_b32 s3, exec_lo
	s_delay_alu instid0(VALU_DEP_2)
	v_cmpx_ne_u16_e32 0, v9
	s_cbranch_execz .LBB43_146
; %bb.145:
	v_cvt_f32_ubyte0_e32 v7, v7
	v_cvt_f32_ubyte0_e32 v9, v38
	s_delay_alu instid0(VALU_DEP_2) | instskip(SKIP_1) | instid1(TRANS32_DEP_1)
	v_rcp_iflag_f32_e32 v8, v7
	v_nop
	v_mul_f32_e32 v8, v9, v8
	s_delay_alu instid0(VALU_DEP_1) | instskip(NEXT) | instid1(VALU_DEP_1)
	v_trunc_f32_e32 v8, v8
	v_fma_f32 v9, -v8, v7, v9
	v_cvt_u32_f32_e32 v8, v8
	s_delay_alu instid0(VALU_DEP_2) | instskip(NEXT) | instid1(VALU_DEP_1)
	v_cmp_ge_f32_e64 s1, |v9|, v7
	v_add_co_ci_u32_e64 v7, null, 0, v8, s1
	s_delay_alu instid0(VALU_DEP_1)
	v_mul_lo_u16 v8, v7, v37
.LBB43_146:
	s_or_b32 exec_lo, exec_lo, s3
	s_delay_alu instid0(VALU_DEP_1)
	v_perm_b32 v2, v2, v8, 0x7060004
.LBB43_147:
	s_or_b32 exec_lo, exec_lo, s2
	v_or_b32_e32 v7, 0x200, v0
	s_delay_alu instid0(VALU_DEP_1)
	v_cmp_gt_i32_e64 s1, s13, v7
	s_and_saveexec_b32 s3, s1
	s_cbranch_execz .LBB43_155
; %bb.148:
	v_and_b32_e32 v7, 0xff, v36
	s_mov_b32 s5, 0
	s_delay_alu instid0(VALU_DEP_1)
	v_cmp_ne_u16_e64 s2, 0, v7
	v_mov_b32_e32 v7, v5
	s_and_saveexec_b32 s4, s2
	s_cbranch_execz .LBB43_152
; %bb.149:
	v_dual_mov_b32 v9, v36 :: v_dual_mov_b32 v8, v5
.LBB43_150:                             ; =>This Inner Loop Header: Depth=1
	s_wait_loadcnt 0x1
	s_delay_alu instid0(VALU_DEP_1) | instskip(NEXT) | instid1(VALU_DEP_2)
	v_cvt_f32_ubyte0_e32 v38, v8
	v_mov_b32_e32 v7, v9
	s_delay_alu instid0(VALU_DEP_1) | instskip(SKIP_1) | instid1(VALU_DEP_1)
	v_cvt_f32_ubyte0_e32 v9, v7
	s_wait_loadcnt 0x0
	v_rcp_iflag_f32_e32 v37, v9
	v_nop
	s_delay_alu instid0(TRANS32_DEP_1) | instskip(NEXT) | instid1(VALU_DEP_1)
	v_mul_f32_e32 v37, v38, v37
	v_trunc_f32_e32 v37, v37
	s_delay_alu instid0(VALU_DEP_1) | instskip(SKIP_1) | instid1(VALU_DEP_2)
	v_fma_f32 v38, -v37, v9, v38
	v_cvt_u32_f32_e32 v37, v37
	v_cmp_ge_f32_e64 s2, |v38|, v9
	s_delay_alu instid0(VALU_DEP_1) | instskip(NEXT) | instid1(VALU_DEP_1)
	v_add_co_ci_u32_e64 v9, null, 0, v37, s2
	v_mul_lo_u32 v9, v9, v7
	s_delay_alu instid0(VALU_DEP_1) | instskip(NEXT) | instid1(VALU_DEP_1)
	v_sub_nc_u32_e32 v8, v8, v9
	v_and_b32_e32 v9, 0xff, v8
	v_mov_b32_e32 v8, v7
	s_delay_alu instid0(VALU_DEP_2) | instskip(SKIP_1) | instid1(SALU_CYCLE_1)
	v_cmp_eq_u16_e64 s2, 0, v9
	s_or_b32 s5, s2, s5
	s_and_not1_b32 exec_lo, exec_lo, s5
	s_cbranch_execnz .LBB43_150
; %bb.151:
	s_or_b32 exec_lo, exec_lo, s5
.LBB43_152:
	s_delay_alu instid0(SALU_CYCLE_1) | instskip(NEXT) | instid1(VALU_DEP_1)
	s_or_b32 exec_lo, exec_lo, s4
	v_and_b32_e32 v9, 0xff, v7
	v_mov_b32_e32 v8, 0
	s_mov_b32 s4, exec_lo
	s_delay_alu instid0(VALU_DEP_2)
	v_cmpx_ne_u16_e32 0, v9
	s_cbranch_execz .LBB43_154
; %bb.153:
	v_cvt_f32_ubyte0_e32 v7, v7
	v_cvt_f32_ubyte0_e32 v9, v36
	s_delay_alu instid0(VALU_DEP_2) | instskip(SKIP_1) | instid1(TRANS32_DEP_1)
	v_rcp_iflag_f32_e32 v8, v7
	v_nop
	v_mul_f32_e32 v8, v9, v8
	s_delay_alu instid0(VALU_DEP_1) | instskip(NEXT) | instid1(VALU_DEP_1)
	v_trunc_f32_e32 v8, v8
	v_fma_f32 v9, -v8, v7, v9
	v_cvt_u32_f32_e32 v8, v8
	s_delay_alu instid0(VALU_DEP_2) | instskip(NEXT) | instid1(VALU_DEP_1)
	v_cmp_ge_f32_e64 s2, |v9|, v7
	v_add_co_ci_u32_e64 v7, null, 0, v8, s2
	s_delay_alu instid0(VALU_DEP_1)
	v_mul_lo_u16 v8, v7, v5
.LBB43_154:
	s_or_b32 exec_lo, exec_lo, s4
	s_delay_alu instid0(VALU_DEP_1)
	v_perm_b32 v2, v2, v8, 0x7000504
.LBB43_155:
	s_or_b32 exec_lo, exec_lo, s3
	v_or_b32_e32 v5, 0x300, v0
	s_delay_alu instid0(VALU_DEP_1)
	v_cmp_gt_i32_e64 s2, s13, v5
	s_and_saveexec_b32 s4, s2
	s_cbranch_execz .LBB43_163
; %bb.156:
	v_and_b32_e32 v5, 0xff, v35
	s_mov_b32 s6, 0
	s_delay_alu instid0(VALU_DEP_1)
	v_cmp_ne_u16_e64 s3, 0, v5
	v_mov_b32_e32 v5, v6
	s_and_saveexec_b32 s5, s3
	s_cbranch_execz .LBB43_160
; %bb.157:
	v_dual_mov_b32 v8, v35 :: v_dual_mov_b32 v7, v6
.LBB43_158:                             ; =>This Inner Loop Header: Depth=1
	s_delay_alu instid0(VALU_DEP_1) | instskip(NEXT) | instid1(VALU_DEP_2)
	v_cvt_f32_ubyte0_e32 v36, v7
	v_mov_b32_e32 v5, v8
	s_delay_alu instid0(VALU_DEP_1) | instskip(NEXT) | instid1(VALU_DEP_1)
	v_cvt_f32_ubyte0_e32 v8, v5
	v_rcp_iflag_f32_e32 v9, v8
	v_nop
	s_delay_alu instid0(TRANS32_DEP_1) | instskip(NEXT) | instid1(VALU_DEP_1)
	v_mul_f32_e32 v9, v36, v9
	v_trunc_f32_e32 v9, v9
	s_delay_alu instid0(VALU_DEP_1) | instskip(SKIP_1) | instid1(VALU_DEP_2)
	v_fma_f32 v36, -v9, v8, v36
	v_cvt_u32_f32_e32 v9, v9
	v_cmp_ge_f32_e64 s3, |v36|, v8
	s_delay_alu instid0(VALU_DEP_1) | instskip(NEXT) | instid1(VALU_DEP_1)
	v_add_co_ci_u32_e64 v8, null, 0, v9, s3
	v_mul_lo_u32 v8, v8, v5
	s_delay_alu instid0(VALU_DEP_1) | instskip(NEXT) | instid1(VALU_DEP_1)
	v_sub_nc_u32_e32 v7, v7, v8
	v_and_b32_e32 v8, 0xff, v7
	v_mov_b32_e32 v7, v5
	s_delay_alu instid0(VALU_DEP_2) | instskip(SKIP_1) | instid1(SALU_CYCLE_1)
	v_cmp_eq_u16_e64 s3, 0, v8
	s_or_b32 s6, s3, s6
	s_and_not1_b32 exec_lo, exec_lo, s6
	s_cbranch_execnz .LBB43_158
; %bb.159:
	s_or_b32 exec_lo, exec_lo, s6
.LBB43_160:
	s_delay_alu instid0(SALU_CYCLE_1) | instskip(NEXT) | instid1(VALU_DEP_1)
	s_or_b32 exec_lo, exec_lo, s5
	v_and_b32_e32 v8, 0xff, v5
	v_mov_b32_e32 v7, 0
	s_mov_b32 s5, exec_lo
	s_delay_alu instid0(VALU_DEP_2)
	v_cmpx_ne_u16_e32 0, v8
	s_cbranch_execz .LBB43_162
; %bb.161:
	v_cvt_f32_ubyte0_e32 v5, v5
	v_cvt_f32_ubyte0_e32 v8, v35
	s_delay_alu instid0(VALU_DEP_2) | instskip(SKIP_1) | instid1(TRANS32_DEP_1)
	v_rcp_iflag_f32_e32 v7, v5
	v_nop
	v_mul_f32_e32 v7, v8, v7
	s_delay_alu instid0(VALU_DEP_1) | instskip(NEXT) | instid1(VALU_DEP_1)
	v_trunc_f32_e32 v7, v7
	v_fma_f32 v8, -v7, v5, v8
	v_cvt_u32_f32_e32 v7, v7
	s_delay_alu instid0(VALU_DEP_2) | instskip(NEXT) | instid1(VALU_DEP_1)
	v_cmp_ge_f32_e64 s3, |v8|, v5
	v_add_co_ci_u32_e64 v5, null, 0, v7, s3
	s_delay_alu instid0(VALU_DEP_1)
	v_mul_lo_u16 v7, v5, v6
.LBB43_162:
	s_or_b32 exec_lo, exec_lo, s5
	s_delay_alu instid0(VALU_DEP_1)
	v_perm_b32 v2, v2, v7, 0x60504
.LBB43_163:
	s_or_b32 exec_lo, exec_lo, s4
	v_or_b32_e32 v5, 0x400, v0
	s_mov_b32 s4, exec_lo
	s_delay_alu instid0(VALU_DEP_1)
	v_cmpx_gt_i32_e64 s13, v5
	s_cbranch_execz .LBB43_171
; %bb.164:
	v_and_b32_e32 v6, 0xff, v34
	s_mov_b32 s6, 0
	s_delay_alu instid0(VALU_DEP_1)
	v_cmp_ne_u16_e64 s3, 0, v6
	v_mov_b32_e32 v6, v33
	s_and_saveexec_b32 s5, s3
	s_cbranch_execz .LBB43_168
; %bb.165:
	v_dual_mov_b32 v8, v34 :: v_dual_mov_b32 v7, v33
.LBB43_166:                             ; =>This Inner Loop Header: Depth=1
	s_delay_alu instid0(VALU_DEP_1) | instskip(NEXT) | instid1(VALU_DEP_2)
	v_cvt_f32_ubyte0_e32 v35, v7
	v_mov_b32_e32 v6, v8
	s_delay_alu instid0(VALU_DEP_1) | instskip(NEXT) | instid1(VALU_DEP_1)
	v_cvt_f32_ubyte0_e32 v8, v6
	v_rcp_iflag_f32_e32 v9, v8
	v_nop
	s_delay_alu instid0(TRANS32_DEP_1) | instskip(NEXT) | instid1(VALU_DEP_1)
	v_mul_f32_e32 v9, v35, v9
	v_trunc_f32_e32 v9, v9
	s_delay_alu instid0(VALU_DEP_1) | instskip(SKIP_1) | instid1(VALU_DEP_2)
	v_fma_f32 v35, -v9, v8, v35
	v_cvt_u32_f32_e32 v9, v9
	v_cmp_ge_f32_e64 s3, |v35|, v8
	s_delay_alu instid0(VALU_DEP_1) | instskip(NEXT) | instid1(VALU_DEP_1)
	v_add_co_ci_u32_e64 v8, null, 0, v9, s3
	v_mul_lo_u32 v8, v8, v6
	s_delay_alu instid0(VALU_DEP_1) | instskip(NEXT) | instid1(VALU_DEP_1)
	v_sub_nc_u32_e32 v7, v7, v8
	v_and_b32_e32 v8, 0xff, v7
	v_mov_b32_e32 v7, v6
	s_delay_alu instid0(VALU_DEP_2) | instskip(SKIP_1) | instid1(SALU_CYCLE_1)
	v_cmp_eq_u16_e64 s3, 0, v8
	s_or_b32 s6, s3, s6
	s_and_not1_b32 exec_lo, exec_lo, s6
	s_cbranch_execnz .LBB43_166
; %bb.167:
	s_or_b32 exec_lo, exec_lo, s6
.LBB43_168:
	s_delay_alu instid0(SALU_CYCLE_1) | instskip(NEXT) | instid1(VALU_DEP_1)
	s_or_b32 exec_lo, exec_lo, s5
	v_and_b32_e32 v8, 0xff, v6
	v_mov_b32_e32 v7, 0
	s_mov_b32 s5, exec_lo
	s_delay_alu instid0(VALU_DEP_2)
	v_cmpx_ne_u16_e32 0, v8
	s_cbranch_execz .LBB43_170
; %bb.169:
	v_cvt_f32_ubyte0_e32 v6, v6
	v_cvt_f32_ubyte0_e32 v8, v34
	s_delay_alu instid0(VALU_DEP_2) | instskip(SKIP_1) | instid1(TRANS32_DEP_1)
	v_rcp_iflag_f32_e32 v7, v6
	v_nop
	v_mul_f32_e32 v7, v8, v7
	s_delay_alu instid0(VALU_DEP_1) | instskip(NEXT) | instid1(VALU_DEP_1)
	v_trunc_f32_e32 v7, v7
	v_fma_f32 v8, -v7, v6, v8
	v_cvt_u32_f32_e32 v7, v7
	s_delay_alu instid0(VALU_DEP_2) | instskip(NEXT) | instid1(VALU_DEP_1)
	v_cmp_ge_f32_e64 s3, |v8|, v6
	v_add_co_ci_u32_e64 v6, null, 0, v7, s3
	s_delay_alu instid0(VALU_DEP_1)
	v_mul_lo_u16 v7, v6, v33
.LBB43_170:
	s_or_b32 exec_lo, exec_lo, s5
	s_delay_alu instid0(VALU_DEP_1)
	v_perm_b32 v1, v7, v1, 0x3020104
.LBB43_171:
	s_or_b32 exec_lo, exec_lo, s4
	v_or_b32_e32 v6, 0x500, v0
	s_delay_alu instid0(VALU_DEP_1)
	v_cmp_gt_i32_e64 s3, s13, v6
	s_and_saveexec_b32 s5, s3
	s_cbranch_execz .LBB43_179
; %bb.172:
	v_and_b32_e32 v6, 0xff, v32
	s_mov_b32 s7, 0
	s_delay_alu instid0(VALU_DEP_1)
	v_cmp_ne_u16_e64 s4, 0, v6
	v_mov_b32_e32 v6, v31
	s_and_saveexec_b32 s6, s4
	s_cbranch_execz .LBB43_176
; %bb.173:
	v_dual_mov_b32 v8, v32 :: v_dual_mov_b32 v7, v31
.LBB43_174:                             ; =>This Inner Loop Header: Depth=1
	s_delay_alu instid0(VALU_DEP_1) | instskip(NEXT) | instid1(VALU_DEP_2)
	v_cvt_f32_ubyte0_e32 v33, v7
	v_mov_b32_e32 v6, v8
	s_delay_alu instid0(VALU_DEP_1) | instskip(NEXT) | instid1(VALU_DEP_1)
	v_cvt_f32_ubyte0_e32 v8, v6
	v_rcp_iflag_f32_e32 v9, v8
	v_nop
	s_delay_alu instid0(TRANS32_DEP_1) | instskip(NEXT) | instid1(VALU_DEP_1)
	v_mul_f32_e32 v9, v33, v9
	v_trunc_f32_e32 v9, v9
	s_delay_alu instid0(VALU_DEP_1) | instskip(SKIP_1) | instid1(VALU_DEP_2)
	v_fma_f32 v33, -v9, v8, v33
	v_cvt_u32_f32_e32 v9, v9
	v_cmp_ge_f32_e64 s4, |v33|, v8
	s_delay_alu instid0(VALU_DEP_1) | instskip(NEXT) | instid1(VALU_DEP_1)
	v_add_co_ci_u32_e64 v8, null, 0, v9, s4
	v_mul_lo_u32 v8, v8, v6
	s_delay_alu instid0(VALU_DEP_1) | instskip(NEXT) | instid1(VALU_DEP_1)
	v_sub_nc_u32_e32 v7, v7, v8
	v_and_b32_e32 v8, 0xff, v7
	v_mov_b32_e32 v7, v6
	s_delay_alu instid0(VALU_DEP_2) | instskip(SKIP_1) | instid1(SALU_CYCLE_1)
	v_cmp_eq_u16_e64 s4, 0, v8
	s_or_b32 s7, s4, s7
	s_and_not1_b32 exec_lo, exec_lo, s7
	s_cbranch_execnz .LBB43_174
; %bb.175:
	s_or_b32 exec_lo, exec_lo, s7
.LBB43_176:
	s_delay_alu instid0(SALU_CYCLE_1) | instskip(NEXT) | instid1(VALU_DEP_1)
	s_or_b32 exec_lo, exec_lo, s6
	v_and_b32_e32 v8, 0xff, v6
	v_mov_b32_e32 v7, 0
	s_mov_b32 s6, exec_lo
	s_delay_alu instid0(VALU_DEP_2)
	v_cmpx_ne_u16_e32 0, v8
	s_cbranch_execz .LBB43_178
; %bb.177:
	v_cvt_f32_ubyte0_e32 v6, v6
	v_cvt_f32_ubyte0_e32 v8, v32
	s_delay_alu instid0(VALU_DEP_2) | instskip(SKIP_1) | instid1(TRANS32_DEP_1)
	v_rcp_iflag_f32_e32 v7, v6
	v_nop
	v_mul_f32_e32 v7, v8, v7
	s_delay_alu instid0(VALU_DEP_1) | instskip(NEXT) | instid1(VALU_DEP_1)
	v_trunc_f32_e32 v7, v7
	v_fma_f32 v8, -v7, v6, v8
	v_cvt_u32_f32_e32 v7, v7
	s_delay_alu instid0(VALU_DEP_2) | instskip(NEXT) | instid1(VALU_DEP_1)
	v_cmp_ge_f32_e64 s4, |v8|, v6
	v_add_co_ci_u32_e64 v6, null, 0, v7, s4
	s_delay_alu instid0(VALU_DEP_1)
	v_mul_lo_u16 v7, v6, v31
.LBB43_178:
	s_or_b32 exec_lo, exec_lo, s6
	s_delay_alu instid0(VALU_DEP_1)
	v_perm_b32 v1, v1, v7, 0x7060004
.LBB43_179:
	s_or_b32 exec_lo, exec_lo, s5
	v_or_b32_e32 v6, 0x600, v0
	s_delay_alu instid0(VALU_DEP_1)
	v_cmp_gt_i32_e64 s4, s13, v6
	s_and_saveexec_b32 s6, s4
	s_cbranch_execz .LBB43_187
; %bb.180:
	v_and_b32_e32 v6, 0xff, v30
	s_mov_b32 s8, 0
	s_delay_alu instid0(VALU_DEP_1)
	v_cmp_ne_u16_e64 s5, 0, v6
	v_mov_b32_e32 v6, v29
	s_and_saveexec_b32 s7, s5
	s_cbranch_execz .LBB43_184
; %bb.181:
	v_dual_mov_b32 v8, v30 :: v_dual_mov_b32 v7, v29
.LBB43_182:                             ; =>This Inner Loop Header: Depth=1
	s_delay_alu instid0(VALU_DEP_1) | instskip(NEXT) | instid1(VALU_DEP_2)
	v_cvt_f32_ubyte0_e32 v31, v7
	v_mov_b32_e32 v6, v8
	s_delay_alu instid0(VALU_DEP_1) | instskip(NEXT) | instid1(VALU_DEP_1)
	v_cvt_f32_ubyte0_e32 v8, v6
	v_rcp_iflag_f32_e32 v9, v8
	v_nop
	s_delay_alu instid0(TRANS32_DEP_1) | instskip(NEXT) | instid1(VALU_DEP_1)
	v_mul_f32_e32 v9, v31, v9
	v_trunc_f32_e32 v9, v9
	s_delay_alu instid0(VALU_DEP_1) | instskip(SKIP_1) | instid1(VALU_DEP_2)
	v_fma_f32 v31, -v9, v8, v31
	v_cvt_u32_f32_e32 v9, v9
	v_cmp_ge_f32_e64 s5, |v31|, v8
	s_delay_alu instid0(VALU_DEP_1) | instskip(NEXT) | instid1(VALU_DEP_1)
	v_add_co_ci_u32_e64 v8, null, 0, v9, s5
	v_mul_lo_u32 v8, v8, v6
	s_delay_alu instid0(VALU_DEP_1) | instskip(NEXT) | instid1(VALU_DEP_1)
	v_sub_nc_u32_e32 v7, v7, v8
	v_and_b32_e32 v8, 0xff, v7
	v_mov_b32_e32 v7, v6
	s_delay_alu instid0(VALU_DEP_2) | instskip(SKIP_1) | instid1(SALU_CYCLE_1)
	v_cmp_eq_u16_e64 s5, 0, v8
	s_or_b32 s8, s5, s8
	s_and_not1_b32 exec_lo, exec_lo, s8
	s_cbranch_execnz .LBB43_182
; %bb.183:
	s_or_b32 exec_lo, exec_lo, s8
.LBB43_184:
	s_delay_alu instid0(SALU_CYCLE_1) | instskip(NEXT) | instid1(VALU_DEP_1)
	s_or_b32 exec_lo, exec_lo, s7
	v_and_b32_e32 v8, 0xff, v6
	v_mov_b32_e32 v7, 0
	s_mov_b32 s7, exec_lo
	s_delay_alu instid0(VALU_DEP_2)
	v_cmpx_ne_u16_e32 0, v8
	s_cbranch_execz .LBB43_186
; %bb.185:
	v_cvt_f32_ubyte0_e32 v6, v6
	v_cvt_f32_ubyte0_e32 v8, v30
	s_delay_alu instid0(VALU_DEP_2) | instskip(SKIP_1) | instid1(TRANS32_DEP_1)
	v_rcp_iflag_f32_e32 v7, v6
	v_nop
	v_mul_f32_e32 v7, v8, v7
	s_delay_alu instid0(VALU_DEP_1) | instskip(NEXT) | instid1(VALU_DEP_1)
	v_trunc_f32_e32 v7, v7
	v_fma_f32 v8, -v7, v6, v8
	v_cvt_u32_f32_e32 v7, v7
	s_delay_alu instid0(VALU_DEP_2) | instskip(NEXT) | instid1(VALU_DEP_1)
	v_cmp_ge_f32_e64 s5, |v8|, v6
	v_add_co_ci_u32_e64 v6, null, 0, v7, s5
	s_delay_alu instid0(VALU_DEP_1)
	v_mul_lo_u16 v7, v6, v29
.LBB43_186:
	s_or_b32 exec_lo, exec_lo, s7
	s_delay_alu instid0(VALU_DEP_1)
	v_perm_b32 v1, v1, v7, 0x7000504
.LBB43_187:
	s_or_b32 exec_lo, exec_lo, s6
	v_or_b32_e32 v6, 0x700, v0
	s_delay_alu instid0(VALU_DEP_1)
	v_cmp_gt_i32_e64 s5, s13, v6
	s_and_saveexec_b32 s7, s5
	s_cbranch_execz .LBB43_195
; %bb.188:
	v_and_b32_e32 v6, 0xff, v28
	s_mov_b32 s9, 0
	s_delay_alu instid0(VALU_DEP_1)
	v_cmp_ne_u16_e64 s6, 0, v6
	v_mov_b32_e32 v6, v27
	s_and_saveexec_b32 s8, s6
	s_cbranch_execz .LBB43_192
; %bb.189:
	v_dual_mov_b32 v8, v28 :: v_dual_mov_b32 v7, v27
.LBB43_190:                             ; =>This Inner Loop Header: Depth=1
	s_delay_alu instid0(VALU_DEP_1) | instskip(NEXT) | instid1(VALU_DEP_2)
	v_cvt_f32_ubyte0_e32 v29, v7
	v_mov_b32_e32 v6, v8
	s_delay_alu instid0(VALU_DEP_1) | instskip(NEXT) | instid1(VALU_DEP_1)
	v_cvt_f32_ubyte0_e32 v8, v6
	v_rcp_iflag_f32_e32 v9, v8
	v_nop
	s_delay_alu instid0(TRANS32_DEP_1) | instskip(NEXT) | instid1(VALU_DEP_1)
	v_mul_f32_e32 v9, v29, v9
	v_trunc_f32_e32 v9, v9
	s_delay_alu instid0(VALU_DEP_1) | instskip(SKIP_1) | instid1(VALU_DEP_2)
	v_fma_f32 v29, -v9, v8, v29
	v_cvt_u32_f32_e32 v9, v9
	v_cmp_ge_f32_e64 s6, |v29|, v8
	s_delay_alu instid0(VALU_DEP_1) | instskip(NEXT) | instid1(VALU_DEP_1)
	v_add_co_ci_u32_e64 v8, null, 0, v9, s6
	v_mul_lo_u32 v8, v8, v6
	s_delay_alu instid0(VALU_DEP_1) | instskip(NEXT) | instid1(VALU_DEP_1)
	v_sub_nc_u32_e32 v7, v7, v8
	v_and_b32_e32 v8, 0xff, v7
	v_mov_b32_e32 v7, v6
	s_delay_alu instid0(VALU_DEP_2) | instskip(SKIP_1) | instid1(SALU_CYCLE_1)
	v_cmp_eq_u16_e64 s6, 0, v8
	s_or_b32 s9, s6, s9
	s_and_not1_b32 exec_lo, exec_lo, s9
	s_cbranch_execnz .LBB43_190
; %bb.191:
	s_or_b32 exec_lo, exec_lo, s9
.LBB43_192:
	s_delay_alu instid0(SALU_CYCLE_1) | instskip(NEXT) | instid1(VALU_DEP_1)
	s_or_b32 exec_lo, exec_lo, s8
	v_and_b32_e32 v8, 0xff, v6
	v_mov_b32_e32 v7, 0
	s_mov_b32 s8, exec_lo
	s_delay_alu instid0(VALU_DEP_2)
	v_cmpx_ne_u16_e32 0, v8
	s_cbranch_execz .LBB43_194
; %bb.193:
	v_cvt_f32_ubyte0_e32 v6, v6
	v_cvt_f32_ubyte0_e32 v8, v28
	s_delay_alu instid0(VALU_DEP_2) | instskip(SKIP_1) | instid1(TRANS32_DEP_1)
	v_rcp_iflag_f32_e32 v7, v6
	v_nop
	v_mul_f32_e32 v7, v8, v7
	s_delay_alu instid0(VALU_DEP_1) | instskip(NEXT) | instid1(VALU_DEP_1)
	v_trunc_f32_e32 v7, v7
	v_fma_f32 v8, -v7, v6, v8
	v_cvt_u32_f32_e32 v7, v7
	s_delay_alu instid0(VALU_DEP_2) | instskip(NEXT) | instid1(VALU_DEP_1)
	v_cmp_ge_f32_e64 s6, |v8|, v6
	v_add_co_ci_u32_e64 v6, null, 0, v7, s6
	s_delay_alu instid0(VALU_DEP_1)
	v_mul_lo_u16 v7, v6, v27
.LBB43_194:
	s_or_b32 exec_lo, exec_lo, s8
	s_delay_alu instid0(VALU_DEP_1)
	v_perm_b32 v1, v1, v7, 0x60504
.LBB43_195:
	s_or_b32 exec_lo, exec_lo, s7
	v_or_b32_e32 v8, 0x800, v0
	s_mov_b32 s7, exec_lo
	s_delay_alu instid0(VALU_DEP_1)
	v_cmpx_gt_i32_e64 s13, v8
	s_cbranch_execz .LBB43_203
; %bb.196:
	v_and_b32_e32 v6, 0xff, v26
	s_mov_b32 s9, 0
	s_delay_alu instid0(VALU_DEP_1)
	v_cmp_ne_u16_e64 s6, 0, v6
	v_mov_b32_e32 v6, v25
	s_and_saveexec_b32 s8, s6
	s_cbranch_execz .LBB43_200
; %bb.197:
	v_dual_mov_b32 v9, v26 :: v_dual_mov_b32 v7, v25
.LBB43_198:                             ; =>This Inner Loop Header: Depth=1
	s_delay_alu instid0(VALU_DEP_1) | instskip(NEXT) | instid1(VALU_DEP_2)
	v_cvt_f32_ubyte0_e32 v28, v7
	v_mov_b32_e32 v6, v9
	s_delay_alu instid0(VALU_DEP_1) | instskip(NEXT) | instid1(VALU_DEP_1)
	v_cvt_f32_ubyte0_e32 v9, v6
	v_rcp_iflag_f32_e32 v27, v9
	v_nop
	s_delay_alu instid0(TRANS32_DEP_1) | instskip(NEXT) | instid1(VALU_DEP_1)
	v_mul_f32_e32 v27, v28, v27
	v_trunc_f32_e32 v27, v27
	s_delay_alu instid0(VALU_DEP_1) | instskip(SKIP_1) | instid1(VALU_DEP_2)
	v_fma_f32 v28, -v27, v9, v28
	v_cvt_u32_f32_e32 v27, v27
	v_cmp_ge_f32_e64 s6, |v28|, v9
	s_delay_alu instid0(VALU_DEP_1) | instskip(NEXT) | instid1(VALU_DEP_1)
	v_add_co_ci_u32_e64 v9, null, 0, v27, s6
	v_mul_lo_u32 v9, v9, v6
	s_delay_alu instid0(VALU_DEP_1) | instskip(NEXT) | instid1(VALU_DEP_1)
	v_sub_nc_u32_e32 v7, v7, v9
	v_and_b32_e32 v9, 0xff, v7
	v_mov_b32_e32 v7, v6
	s_delay_alu instid0(VALU_DEP_2) | instskip(SKIP_1) | instid1(SALU_CYCLE_1)
	v_cmp_eq_u16_e64 s6, 0, v9
	s_or_b32 s9, s6, s9
	s_and_not1_b32 exec_lo, exec_lo, s9
	s_cbranch_execnz .LBB43_198
; %bb.199:
	s_or_b32 exec_lo, exec_lo, s9
.LBB43_200:
	s_delay_alu instid0(SALU_CYCLE_1) | instskip(NEXT) | instid1(VALU_DEP_1)
	s_or_b32 exec_lo, exec_lo, s8
	v_and_b32_e32 v9, 0xff, v6
	v_mov_b32_e32 v7, 0
	s_mov_b32 s8, exec_lo
	s_delay_alu instid0(VALU_DEP_2)
	v_cmpx_ne_u16_e32 0, v9
	s_cbranch_execz .LBB43_202
; %bb.201:
	v_cvt_f32_ubyte0_e32 v6, v6
	v_cvt_f32_ubyte0_e32 v9, v26
	s_delay_alu instid0(VALU_DEP_2) | instskip(SKIP_1) | instid1(TRANS32_DEP_1)
	v_rcp_iflag_f32_e32 v7, v6
	v_nop
	v_mul_f32_e32 v7, v9, v7
	s_delay_alu instid0(VALU_DEP_1) | instskip(NEXT) | instid1(VALU_DEP_1)
	v_trunc_f32_e32 v7, v7
	v_fma_f32 v9, -v7, v6, v9
	v_cvt_u32_f32_e32 v7, v7
	s_delay_alu instid0(VALU_DEP_2) | instskip(NEXT) | instid1(VALU_DEP_1)
	v_cmp_ge_f32_e64 s6, |v9|, v6
	v_add_co_ci_u32_e64 v6, null, 0, v7, s6
	s_delay_alu instid0(VALU_DEP_1)
	v_mul_lo_u16 v7, v6, v25
.LBB43_202:
	s_or_b32 exec_lo, exec_lo, s8
	s_delay_alu instid0(VALU_DEP_1)
	v_perm_b32 v4, v7, v4, 0x3020104
.LBB43_203:
	s_or_b32 exec_lo, exec_lo, s7
	v_or_b32_e32 v6, 0x900, v0
	s_delay_alu instid0(VALU_DEP_1)
	v_cmp_gt_i32_e64 s6, s13, v6
	s_and_saveexec_b32 s8, s6
	s_cbranch_execz .LBB43_211
; %bb.204:
	v_and_b32_e32 v6, 0xff, v24
	s_mov_b32 s10, 0
	s_delay_alu instid0(VALU_DEP_1)
	v_cmp_ne_u16_e64 s7, 0, v6
	v_mov_b32_e32 v6, v23
	s_and_saveexec_b32 s9, s7
	s_cbranch_execz .LBB43_208
; %bb.205:
	v_dual_mov_b32 v9, v24 :: v_dual_mov_b32 v7, v23
.LBB43_206:                             ; =>This Inner Loop Header: Depth=1
	s_delay_alu instid0(VALU_DEP_1) | instskip(NEXT) | instid1(VALU_DEP_2)
	v_cvt_f32_ubyte0_e32 v26, v7
	v_mov_b32_e32 v6, v9
	s_delay_alu instid0(VALU_DEP_1) | instskip(NEXT) | instid1(VALU_DEP_1)
	v_cvt_f32_ubyte0_e32 v9, v6
	v_rcp_iflag_f32_e32 v25, v9
	v_nop
	s_delay_alu instid0(TRANS32_DEP_1) | instskip(NEXT) | instid1(VALU_DEP_1)
	v_mul_f32_e32 v25, v26, v25
	v_trunc_f32_e32 v25, v25
	s_delay_alu instid0(VALU_DEP_1) | instskip(SKIP_1) | instid1(VALU_DEP_2)
	v_fma_f32 v26, -v25, v9, v26
	v_cvt_u32_f32_e32 v25, v25
	v_cmp_ge_f32_e64 s7, |v26|, v9
	s_delay_alu instid0(VALU_DEP_1) | instskip(NEXT) | instid1(VALU_DEP_1)
	v_add_co_ci_u32_e64 v9, null, 0, v25, s7
	v_mul_lo_u32 v9, v9, v6
	s_delay_alu instid0(VALU_DEP_1) | instskip(NEXT) | instid1(VALU_DEP_1)
	v_sub_nc_u32_e32 v7, v7, v9
	v_and_b32_e32 v9, 0xff, v7
	v_mov_b32_e32 v7, v6
	s_delay_alu instid0(VALU_DEP_2) | instskip(SKIP_1) | instid1(SALU_CYCLE_1)
	v_cmp_eq_u16_e64 s7, 0, v9
	s_or_b32 s10, s7, s10
	s_and_not1_b32 exec_lo, exec_lo, s10
	s_cbranch_execnz .LBB43_206
; %bb.207:
	s_or_b32 exec_lo, exec_lo, s10
.LBB43_208:
	s_delay_alu instid0(SALU_CYCLE_1) | instskip(NEXT) | instid1(VALU_DEP_1)
	s_or_b32 exec_lo, exec_lo, s9
	v_and_b32_e32 v9, 0xff, v6
	v_mov_b32_e32 v7, 0
	s_mov_b32 s9, exec_lo
	s_delay_alu instid0(VALU_DEP_2)
	v_cmpx_ne_u16_e32 0, v9
	s_cbranch_execz .LBB43_210
; %bb.209:
	v_cvt_f32_ubyte0_e32 v6, v6
	v_cvt_f32_ubyte0_e32 v9, v24
	s_delay_alu instid0(VALU_DEP_2) | instskip(SKIP_1) | instid1(TRANS32_DEP_1)
	v_rcp_iflag_f32_e32 v7, v6
	v_nop
	v_mul_f32_e32 v7, v9, v7
	s_delay_alu instid0(VALU_DEP_1) | instskip(NEXT) | instid1(VALU_DEP_1)
	v_trunc_f32_e32 v7, v7
	v_fma_f32 v9, -v7, v6, v9
	v_cvt_u32_f32_e32 v7, v7
	s_delay_alu instid0(VALU_DEP_2) | instskip(NEXT) | instid1(VALU_DEP_1)
	v_cmp_ge_f32_e64 s7, |v9|, v6
	v_add_co_ci_u32_e64 v6, null, 0, v7, s7
	s_delay_alu instid0(VALU_DEP_1)
	v_mul_lo_u16 v7, v6, v23
.LBB43_210:
	s_or_b32 exec_lo, exec_lo, s9
	s_delay_alu instid0(VALU_DEP_1)
	v_perm_b32 v4, v4, v7, 0x7060004
.LBB43_211:
	s_or_b32 exec_lo, exec_lo, s8
	v_or_b32_e32 v6, 0xa00, v0
	s_delay_alu instid0(VALU_DEP_1)
	v_cmp_gt_i32_e64 s7, s13, v6
	s_and_saveexec_b32 s9, s7
	s_cbranch_execz .LBB43_219
; %bb.212:
	v_and_b32_e32 v6, 0xff, v22
	s_mov_b32 s11, 0
	s_delay_alu instid0(VALU_DEP_1)
	v_cmp_ne_u16_e64 s8, 0, v6
	v_mov_b32_e32 v6, v21
	s_and_saveexec_b32 s10, s8
	s_cbranch_execz .LBB43_216
; %bb.213:
	v_dual_mov_b32 v9, v22 :: v_dual_mov_b32 v7, v21
.LBB43_214:                             ; =>This Inner Loop Header: Depth=1
	s_delay_alu instid0(VALU_DEP_1) | instskip(NEXT) | instid1(VALU_DEP_2)
	v_cvt_f32_ubyte0_e32 v24, v7
	v_mov_b32_e32 v6, v9
	s_delay_alu instid0(VALU_DEP_1) | instskip(NEXT) | instid1(VALU_DEP_1)
	v_cvt_f32_ubyte0_e32 v9, v6
	v_rcp_iflag_f32_e32 v23, v9
	v_nop
	s_delay_alu instid0(TRANS32_DEP_1) | instskip(NEXT) | instid1(VALU_DEP_1)
	v_mul_f32_e32 v23, v24, v23
	v_trunc_f32_e32 v23, v23
	s_delay_alu instid0(VALU_DEP_1) | instskip(SKIP_1) | instid1(VALU_DEP_2)
	v_fma_f32 v24, -v23, v9, v24
	v_cvt_u32_f32_e32 v23, v23
	v_cmp_ge_f32_e64 s8, |v24|, v9
	s_delay_alu instid0(VALU_DEP_1) | instskip(NEXT) | instid1(VALU_DEP_1)
	v_add_co_ci_u32_e64 v9, null, 0, v23, s8
	v_mul_lo_u32 v9, v9, v6
	s_delay_alu instid0(VALU_DEP_1) | instskip(NEXT) | instid1(VALU_DEP_1)
	v_sub_nc_u32_e32 v7, v7, v9
	v_and_b32_e32 v9, 0xff, v7
	v_mov_b32_e32 v7, v6
	s_delay_alu instid0(VALU_DEP_2) | instskip(SKIP_1) | instid1(SALU_CYCLE_1)
	v_cmp_eq_u16_e64 s8, 0, v9
	s_or_b32 s11, s8, s11
	s_and_not1_b32 exec_lo, exec_lo, s11
	s_cbranch_execnz .LBB43_214
; %bb.215:
	s_or_b32 exec_lo, exec_lo, s11
.LBB43_216:
	s_delay_alu instid0(SALU_CYCLE_1) | instskip(NEXT) | instid1(VALU_DEP_1)
	s_or_b32 exec_lo, exec_lo, s10
	v_and_b32_e32 v9, 0xff, v6
	v_mov_b32_e32 v7, 0
	s_mov_b32 s10, exec_lo
	s_delay_alu instid0(VALU_DEP_2)
	v_cmpx_ne_u16_e32 0, v9
	s_cbranch_execz .LBB43_218
; %bb.217:
	v_cvt_f32_ubyte0_e32 v6, v6
	v_cvt_f32_ubyte0_e32 v9, v22
	s_delay_alu instid0(VALU_DEP_2) | instskip(SKIP_1) | instid1(TRANS32_DEP_1)
	v_rcp_iflag_f32_e32 v7, v6
	v_nop
	v_mul_f32_e32 v7, v9, v7
	s_delay_alu instid0(VALU_DEP_1) | instskip(NEXT) | instid1(VALU_DEP_1)
	v_trunc_f32_e32 v7, v7
	v_fma_f32 v9, -v7, v6, v9
	v_cvt_u32_f32_e32 v7, v7
	s_delay_alu instid0(VALU_DEP_2) | instskip(NEXT) | instid1(VALU_DEP_1)
	v_cmp_ge_f32_e64 s8, |v9|, v6
	v_add_co_ci_u32_e64 v6, null, 0, v7, s8
	s_delay_alu instid0(VALU_DEP_1)
	v_mul_lo_u16 v7, v6, v21
.LBB43_218:
	s_or_b32 exec_lo, exec_lo, s10
	s_delay_alu instid0(VALU_DEP_1)
	v_perm_b32 v4, v4, v7, 0x7000504
.LBB43_219:
	s_or_b32 exec_lo, exec_lo, s9
	v_or_b32_e32 v6, 0xb00, v0
	s_delay_alu instid0(VALU_DEP_1)
	v_cmp_gt_i32_e64 s8, s13, v6
	s_and_saveexec_b32 s10, s8
	s_cbranch_execz .LBB43_227
; %bb.220:
	v_and_b32_e32 v6, 0xff, v20
	s_mov_b32 s12, 0
	s_delay_alu instid0(VALU_DEP_1)
	v_cmp_ne_u16_e64 s9, 0, v6
	v_mov_b32_e32 v6, v19
	s_and_saveexec_b32 s11, s9
	s_cbranch_execz .LBB43_224
; %bb.221:
	v_dual_mov_b32 v9, v20 :: v_dual_mov_b32 v7, v19
.LBB43_222:                             ; =>This Inner Loop Header: Depth=1
	s_delay_alu instid0(VALU_DEP_1) | instskip(NEXT) | instid1(VALU_DEP_2)
	v_cvt_f32_ubyte0_e32 v22, v7
	v_mov_b32_e32 v6, v9
	s_delay_alu instid0(VALU_DEP_1) | instskip(NEXT) | instid1(VALU_DEP_1)
	v_cvt_f32_ubyte0_e32 v9, v6
	v_rcp_iflag_f32_e32 v21, v9
	v_nop
	s_delay_alu instid0(TRANS32_DEP_1) | instskip(NEXT) | instid1(VALU_DEP_1)
	v_mul_f32_e32 v21, v22, v21
	v_trunc_f32_e32 v21, v21
	s_delay_alu instid0(VALU_DEP_1) | instskip(SKIP_1) | instid1(VALU_DEP_2)
	v_fma_f32 v22, -v21, v9, v22
	v_cvt_u32_f32_e32 v21, v21
	v_cmp_ge_f32_e64 s9, |v22|, v9
	s_delay_alu instid0(VALU_DEP_1) | instskip(NEXT) | instid1(VALU_DEP_1)
	v_add_co_ci_u32_e64 v9, null, 0, v21, s9
	v_mul_lo_u32 v9, v9, v6
	s_delay_alu instid0(VALU_DEP_1) | instskip(NEXT) | instid1(VALU_DEP_1)
	v_sub_nc_u32_e32 v7, v7, v9
	v_and_b32_e32 v9, 0xff, v7
	v_mov_b32_e32 v7, v6
	s_delay_alu instid0(VALU_DEP_2) | instskip(SKIP_1) | instid1(SALU_CYCLE_1)
	v_cmp_eq_u16_e64 s9, 0, v9
	s_or_b32 s12, s9, s12
	s_and_not1_b32 exec_lo, exec_lo, s12
	s_cbranch_execnz .LBB43_222
; %bb.223:
	s_or_b32 exec_lo, exec_lo, s12
.LBB43_224:
	s_delay_alu instid0(SALU_CYCLE_1) | instskip(NEXT) | instid1(VALU_DEP_1)
	s_or_b32 exec_lo, exec_lo, s11
	v_and_b32_e32 v9, 0xff, v6
	v_mov_b32_e32 v7, 0
	s_mov_b32 s11, exec_lo
	s_delay_alu instid0(VALU_DEP_2)
	v_cmpx_ne_u16_e32 0, v9
	s_cbranch_execz .LBB43_226
; %bb.225:
	v_cvt_f32_ubyte0_e32 v6, v6
	v_cvt_f32_ubyte0_e32 v9, v20
	s_delay_alu instid0(VALU_DEP_2) | instskip(SKIP_1) | instid1(TRANS32_DEP_1)
	v_rcp_iflag_f32_e32 v7, v6
	v_nop
	v_mul_f32_e32 v7, v9, v7
	s_delay_alu instid0(VALU_DEP_1) | instskip(NEXT) | instid1(VALU_DEP_1)
	v_trunc_f32_e32 v7, v7
	v_fma_f32 v9, -v7, v6, v9
	v_cvt_u32_f32_e32 v7, v7
	s_delay_alu instid0(VALU_DEP_2) | instskip(NEXT) | instid1(VALU_DEP_1)
	v_cmp_ge_f32_e64 s9, |v9|, v6
	v_add_co_ci_u32_e64 v6, null, 0, v7, s9
	s_delay_alu instid0(VALU_DEP_1)
	v_mul_lo_u16 v7, v6, v19
.LBB43_226:
	s_or_b32 exec_lo, exec_lo, s11
	s_delay_alu instid0(VALU_DEP_1)
	v_perm_b32 v4, v4, v7, 0x60504
.LBB43_227:
	s_or_b32 exec_lo, exec_lo, s10
	v_or_b32_e32 v9, 0xc00, v0
	s_mov_b32 s10, exec_lo
	s_delay_alu instid0(VALU_DEP_1)
	v_cmpx_gt_i32_e64 s13, v9
	s_cbranch_execz .LBB43_235
; %bb.228:
	v_and_b32_e32 v6, 0xff, v18
	s_mov_b32 s12, 0
	s_delay_alu instid0(VALU_DEP_1)
	v_cmp_ne_u16_e64 s9, 0, v6
	v_mov_b32_e32 v6, v17
	s_and_saveexec_b32 s11, s9
	s_cbranch_execz .LBB43_232
; %bb.229:
	v_dual_mov_b32 v19, v18 :: v_dual_mov_b32 v7, v17
.LBB43_230:                             ; =>This Inner Loop Header: Depth=1
	s_delay_alu instid0(VALU_DEP_1) | instskip(NEXT) | instid1(VALU_DEP_2)
	v_cvt_f32_ubyte0_e32 v21, v7
	v_mov_b32_e32 v6, v19
	s_delay_alu instid0(VALU_DEP_1) | instskip(NEXT) | instid1(VALU_DEP_1)
	v_cvt_f32_ubyte0_e32 v19, v6
	v_rcp_iflag_f32_e32 v20, v19
	v_nop
	s_delay_alu instid0(TRANS32_DEP_1) | instskip(NEXT) | instid1(VALU_DEP_1)
	v_mul_f32_e32 v20, v21, v20
	v_trunc_f32_e32 v20, v20
	s_delay_alu instid0(VALU_DEP_1) | instskip(SKIP_1) | instid1(VALU_DEP_2)
	v_fma_f32 v21, -v20, v19, v21
	v_cvt_u32_f32_e32 v20, v20
	v_cmp_ge_f32_e64 s9, |v21|, v19
	s_delay_alu instid0(VALU_DEP_1) | instskip(NEXT) | instid1(VALU_DEP_1)
	v_add_co_ci_u32_e64 v19, null, 0, v20, s9
	v_mul_lo_u32 v19, v19, v6
	s_delay_alu instid0(VALU_DEP_1) | instskip(NEXT) | instid1(VALU_DEP_1)
	v_sub_nc_u32_e32 v7, v7, v19
	v_and_b32_e32 v19, 0xff, v7
	v_mov_b32_e32 v7, v6
	s_delay_alu instid0(VALU_DEP_2) | instskip(SKIP_1) | instid1(SALU_CYCLE_1)
	v_cmp_eq_u16_e64 s9, 0, v19
	s_or_b32 s12, s9, s12
	s_and_not1_b32 exec_lo, exec_lo, s12
	s_cbranch_execnz .LBB43_230
; %bb.231:
	s_or_b32 exec_lo, exec_lo, s12
.LBB43_232:
	s_delay_alu instid0(SALU_CYCLE_1) | instskip(NEXT) | instid1(VALU_DEP_1)
	s_or_b32 exec_lo, exec_lo, s11
	v_and_b32_e32 v19, 0xff, v6
	v_mov_b32_e32 v7, 0
	s_mov_b32 s11, exec_lo
	s_delay_alu instid0(VALU_DEP_2)
	v_cmpx_ne_u16_e32 0, v19
	s_cbranch_execz .LBB43_234
; %bb.233:
	v_cvt_f32_ubyte0_e32 v6, v6
	v_cvt_f32_ubyte0_e32 v18, v18
	s_delay_alu instid0(VALU_DEP_2) | instskip(SKIP_1) | instid1(TRANS32_DEP_1)
	v_rcp_iflag_f32_e32 v7, v6
	v_nop
	v_mul_f32_e32 v7, v18, v7
	s_delay_alu instid0(VALU_DEP_1) | instskip(NEXT) | instid1(VALU_DEP_1)
	v_trunc_f32_e32 v7, v7
	v_fma_f32 v18, -v7, v6, v18
	v_cvt_u32_f32_e32 v7, v7
	s_delay_alu instid0(VALU_DEP_2) | instskip(NEXT) | instid1(VALU_DEP_1)
	v_cmp_ge_f32_e64 s9, |v18|, v6
	v_add_co_ci_u32_e64 v6, null, 0, v7, s9
	s_delay_alu instid0(VALU_DEP_1)
	v_mul_lo_u16 v7, v6, v17
.LBB43_234:
	s_or_b32 exec_lo, exec_lo, s11
	s_delay_alu instid0(VALU_DEP_1)
	v_perm_b32 v3, v7, v3, 0x3020104
.LBB43_235:
	s_or_b32 exec_lo, exec_lo, s10
	v_or_b32_e32 v6, 0xd00, v0
	s_delay_alu instid0(VALU_DEP_1)
	v_cmp_gt_i32_e64 s9, s13, v6
	s_and_saveexec_b32 s11, s9
	s_cbranch_execz .LBB43_243
; %bb.236:
	v_and_b32_e32 v6, 0xff, v16
	s_mov_b32 s15, 0
	s_delay_alu instid0(VALU_DEP_1)
	v_cmp_ne_u16_e64 s10, 0, v6
	v_mov_b32_e32 v6, v15
	s_and_saveexec_b32 s12, s10
	s_cbranch_execz .LBB43_240
; %bb.237:
	v_dual_mov_b32 v17, v16 :: v_dual_mov_b32 v7, v15
.LBB43_238:                             ; =>This Inner Loop Header: Depth=1
	s_delay_alu instid0(VALU_DEP_1) | instskip(NEXT) | instid1(VALU_DEP_2)
	v_cvt_f32_ubyte0_e32 v19, v7
	v_mov_b32_e32 v6, v17
	s_delay_alu instid0(VALU_DEP_1) | instskip(NEXT) | instid1(VALU_DEP_1)
	v_cvt_f32_ubyte0_e32 v17, v6
	v_rcp_iflag_f32_e32 v18, v17
	v_nop
	s_delay_alu instid0(TRANS32_DEP_1) | instskip(NEXT) | instid1(VALU_DEP_1)
	v_mul_f32_e32 v18, v19, v18
	v_trunc_f32_e32 v18, v18
	s_delay_alu instid0(VALU_DEP_1) | instskip(SKIP_1) | instid1(VALU_DEP_2)
	v_fma_f32 v19, -v18, v17, v19
	v_cvt_u32_f32_e32 v18, v18
	v_cmp_ge_f32_e64 s10, |v19|, v17
	s_delay_alu instid0(VALU_DEP_1) | instskip(NEXT) | instid1(VALU_DEP_1)
	v_add_co_ci_u32_e64 v17, null, 0, v18, s10
	v_mul_lo_u32 v17, v17, v6
	s_delay_alu instid0(VALU_DEP_1) | instskip(NEXT) | instid1(VALU_DEP_1)
	v_sub_nc_u32_e32 v7, v7, v17
	v_and_b32_e32 v17, 0xff, v7
	v_mov_b32_e32 v7, v6
	s_delay_alu instid0(VALU_DEP_2) | instskip(SKIP_1) | instid1(SALU_CYCLE_1)
	v_cmp_eq_u16_e64 s10, 0, v17
	s_or_b32 s15, s10, s15
	s_and_not1_b32 exec_lo, exec_lo, s15
	s_cbranch_execnz .LBB43_238
; %bb.239:
	s_or_b32 exec_lo, exec_lo, s15
.LBB43_240:
	s_delay_alu instid0(SALU_CYCLE_1) | instskip(NEXT) | instid1(VALU_DEP_1)
	s_or_b32 exec_lo, exec_lo, s12
	v_and_b32_e32 v17, 0xff, v6
	v_mov_b32_e32 v7, 0
	s_mov_b32 s12, exec_lo
	s_delay_alu instid0(VALU_DEP_2)
	v_cmpx_ne_u16_e32 0, v17
	s_cbranch_execz .LBB43_242
; %bb.241:
	v_cvt_f32_ubyte0_e32 v6, v6
	v_cvt_f32_ubyte0_e32 v16, v16
	s_delay_alu instid0(VALU_DEP_2) | instskip(SKIP_1) | instid1(TRANS32_DEP_1)
	v_rcp_iflag_f32_e32 v7, v6
	v_nop
	v_mul_f32_e32 v7, v16, v7
	s_delay_alu instid0(VALU_DEP_1) | instskip(NEXT) | instid1(VALU_DEP_1)
	v_trunc_f32_e32 v7, v7
	v_fma_f32 v16, -v7, v6, v16
	v_cvt_u32_f32_e32 v7, v7
	s_delay_alu instid0(VALU_DEP_2) | instskip(NEXT) | instid1(VALU_DEP_1)
	v_cmp_ge_f32_e64 s10, |v16|, v6
	v_add_co_ci_u32_e64 v6, null, 0, v7, s10
	s_delay_alu instid0(VALU_DEP_1)
	v_mul_lo_u16 v7, v6, v15
.LBB43_242:
	s_or_b32 exec_lo, exec_lo, s12
	s_delay_alu instid0(VALU_DEP_1)
	v_perm_b32 v3, v3, v7, 0x7060004
.LBB43_243:
	s_or_b32 exec_lo, exec_lo, s11
	v_or_b32_e32 v6, 0xe00, v0
	s_delay_alu instid0(VALU_DEP_1)
	v_cmp_gt_i32_e64 s10, s13, v6
	s_and_saveexec_b32 s12, s10
	s_cbranch_execz .LBB43_251
; %bb.244:
	v_and_b32_e32 v6, 0xff, v14
	s_mov_b32 s18, 0
	s_delay_alu instid0(VALU_DEP_1)
	v_cmp_ne_u16_e64 s11, 0, v6
	v_mov_b32_e32 v6, v13
	s_and_saveexec_b32 s15, s11
	s_cbranch_execz .LBB43_248
; %bb.245:
	v_dual_mov_b32 v15, v14 :: v_dual_mov_b32 v7, v13
.LBB43_246:                             ; =>This Inner Loop Header: Depth=1
	s_delay_alu instid0(VALU_DEP_1) | instskip(NEXT) | instid1(VALU_DEP_2)
	v_cvt_f32_ubyte0_e32 v17, v7
	v_mov_b32_e32 v6, v15
	s_delay_alu instid0(VALU_DEP_1) | instskip(NEXT) | instid1(VALU_DEP_1)
	v_cvt_f32_ubyte0_e32 v15, v6
	v_rcp_iflag_f32_e32 v16, v15
	v_nop
	s_delay_alu instid0(TRANS32_DEP_1) | instskip(NEXT) | instid1(VALU_DEP_1)
	v_mul_f32_e32 v16, v17, v16
	v_trunc_f32_e32 v16, v16
	s_delay_alu instid0(VALU_DEP_1) | instskip(SKIP_1) | instid1(VALU_DEP_2)
	v_fma_f32 v17, -v16, v15, v17
	v_cvt_u32_f32_e32 v16, v16
	v_cmp_ge_f32_e64 s11, |v17|, v15
	s_delay_alu instid0(VALU_DEP_1) | instskip(NEXT) | instid1(VALU_DEP_1)
	v_add_co_ci_u32_e64 v15, null, 0, v16, s11
	v_mul_lo_u32 v15, v15, v6
	s_delay_alu instid0(VALU_DEP_1) | instskip(NEXT) | instid1(VALU_DEP_1)
	v_sub_nc_u32_e32 v7, v7, v15
	v_and_b32_e32 v15, 0xff, v7
	v_mov_b32_e32 v7, v6
	s_delay_alu instid0(VALU_DEP_2) | instskip(SKIP_1) | instid1(SALU_CYCLE_1)
	v_cmp_eq_u16_e64 s11, 0, v15
	s_or_b32 s18, s11, s18
	s_and_not1_b32 exec_lo, exec_lo, s18
	s_cbranch_execnz .LBB43_246
; %bb.247:
	s_or_b32 exec_lo, exec_lo, s18
.LBB43_248:
	s_delay_alu instid0(SALU_CYCLE_1) | instskip(NEXT) | instid1(VALU_DEP_1)
	s_or_b32 exec_lo, exec_lo, s15
	v_and_b32_e32 v15, 0xff, v6
	v_mov_b32_e32 v7, 0
	s_mov_b32 s15, exec_lo
	s_delay_alu instid0(VALU_DEP_2)
	v_cmpx_ne_u16_e32 0, v15
	s_cbranch_execz .LBB43_250
; %bb.249:
	v_cvt_f32_ubyte0_e32 v6, v6
	v_cvt_f32_ubyte0_e32 v14, v14
	s_delay_alu instid0(VALU_DEP_2) | instskip(SKIP_1) | instid1(TRANS32_DEP_1)
	v_rcp_iflag_f32_e32 v7, v6
	v_nop
	v_mul_f32_e32 v7, v14, v7
	s_delay_alu instid0(VALU_DEP_1) | instskip(NEXT) | instid1(VALU_DEP_1)
	v_trunc_f32_e32 v7, v7
	v_fma_f32 v14, -v7, v6, v14
	v_cvt_u32_f32_e32 v7, v7
	s_delay_alu instid0(VALU_DEP_2) | instskip(NEXT) | instid1(VALU_DEP_1)
	v_cmp_ge_f32_e64 s11, |v14|, v6
	v_add_co_ci_u32_e64 v6, null, 0, v7, s11
	s_delay_alu instid0(VALU_DEP_1)
	v_mul_lo_u16 v7, v6, v13
.LBB43_250:
	s_or_b32 exec_lo, exec_lo, s15
	s_delay_alu instid0(VALU_DEP_1)
	v_perm_b32 v3, v3, v7, 0x7000504
.LBB43_251:
	s_or_b32 exec_lo, exec_lo, s12
	v_or_b32_e32 v6, 0xf00, v0
	s_delay_alu instid0(VALU_DEP_1)
	v_cmp_gt_i32_e64 s11, s13, v6
	s_and_saveexec_b32 s15, s11
	s_cbranch_execz .LBB43_259
; %bb.252:
	v_and_b32_e32 v6, 0xff, v12
	s_mov_b32 s19, 0
	s_delay_alu instid0(VALU_DEP_1)
	v_cmp_ne_u16_e64 s12, 0, v6
	v_mov_b32_e32 v6, v11
	s_and_saveexec_b32 s18, s12
	s_cbranch_execz .LBB43_256
; %bb.253:
	v_dual_mov_b32 v13, v12 :: v_dual_mov_b32 v7, v11
.LBB43_254:                             ; =>This Inner Loop Header: Depth=1
	s_delay_alu instid0(VALU_DEP_1) | instskip(NEXT) | instid1(VALU_DEP_2)
	v_cvt_f32_ubyte0_e32 v15, v7
	v_mov_b32_e32 v6, v13
	s_delay_alu instid0(VALU_DEP_1) | instskip(NEXT) | instid1(VALU_DEP_1)
	v_cvt_f32_ubyte0_e32 v13, v6
	v_rcp_iflag_f32_e32 v14, v13
	v_nop
	s_delay_alu instid0(TRANS32_DEP_1) | instskip(NEXT) | instid1(VALU_DEP_1)
	v_mul_f32_e32 v14, v15, v14
	v_trunc_f32_e32 v14, v14
	s_delay_alu instid0(VALU_DEP_1) | instskip(SKIP_1) | instid1(VALU_DEP_2)
	v_fma_f32 v15, -v14, v13, v15
	v_cvt_u32_f32_e32 v14, v14
	v_cmp_ge_f32_e64 s12, |v15|, v13
	s_delay_alu instid0(VALU_DEP_1) | instskip(NEXT) | instid1(VALU_DEP_1)
	v_add_co_ci_u32_e64 v13, null, 0, v14, s12
	v_mul_lo_u32 v13, v13, v6
	s_delay_alu instid0(VALU_DEP_1) | instskip(NEXT) | instid1(VALU_DEP_1)
	v_sub_nc_u32_e32 v7, v7, v13
	v_and_b32_e32 v13, 0xff, v7
	v_mov_b32_e32 v7, v6
	s_delay_alu instid0(VALU_DEP_2) | instskip(SKIP_1) | instid1(SALU_CYCLE_1)
	v_cmp_eq_u16_e64 s12, 0, v13
	s_or_b32 s19, s12, s19
	s_and_not1_b32 exec_lo, exec_lo, s19
	s_cbranch_execnz .LBB43_254
; %bb.255:
	s_or_b32 exec_lo, exec_lo, s19
.LBB43_256:
	s_delay_alu instid0(SALU_CYCLE_1) | instskip(NEXT) | instid1(VALU_DEP_1)
	s_or_b32 exec_lo, exec_lo, s18
	v_and_b32_e32 v13, 0xff, v6
	v_mov_b32_e32 v7, 0
	s_mov_b32 s18, exec_lo
	s_delay_alu instid0(VALU_DEP_2)
	v_cmpx_ne_u16_e32 0, v13
	s_cbranch_execz .LBB43_258
; %bb.257:
	v_cvt_f32_ubyte0_e32 v6, v6
	v_cvt_f32_ubyte0_e32 v12, v12
	s_delay_alu instid0(VALU_DEP_2) | instskip(SKIP_1) | instid1(TRANS32_DEP_1)
	v_rcp_iflag_f32_e32 v7, v6
	v_nop
	v_mul_f32_e32 v7, v12, v7
	s_delay_alu instid0(VALU_DEP_1) | instskip(NEXT) | instid1(VALU_DEP_1)
	v_trunc_f32_e32 v7, v7
	v_fma_f32 v12, -v7, v6, v12
	v_cvt_u32_f32_e32 v7, v7
	s_delay_alu instid0(VALU_DEP_2) | instskip(NEXT) | instid1(VALU_DEP_1)
	v_cmp_ge_f32_e64 s12, |v12|, v6
	v_add_co_ci_u32_e64 v6, null, 0, v7, s12
	s_delay_alu instid0(VALU_DEP_1)
	v_mul_lo_u16 v7, v6, v11
.LBB43_258:
	s_or_b32 exec_lo, exec_lo, s18
	s_delay_alu instid0(VALU_DEP_1)
	v_perm_b32 v3, v3, v7, 0x60504
.LBB43_259:
	s_or_b32 exec_lo, exec_lo, s15
	s_and_saveexec_b32 s12, vcc_lo
	s_cbranch_execz .LBB43_276
; %bb.260:
	global_store_b8 v10, v2, s[16:17]
	s_wait_xcnt 0x0
	s_and_b32 exec_lo, exec_lo, s0
	s_cbranch_execz .LBB43_276
; %bb.261:
	v_dual_lshrrev_b32 v7, 8, v2 :: v_dual_add_nc_u32 v6, s14, v0
	global_store_b8 v6, v7, s[16:17] offset:256
	s_wait_xcnt 0x0
	s_and_b32 exec_lo, exec_lo, s1
	s_cbranch_execz .LBB43_276
; %bb.262:
	v_mov_b32_e32 v7, 0
	s_delay_alu instid0(VALU_DEP_1)
	v_add_nc_u64_e32 v[6:7], s[16:17], v[6:7]
	global_store_d16_hi_b8 v[6:7], v2, off offset:512
	s_wait_xcnt 0x0
	s_and_b32 exec_lo, exec_lo, s2
	s_cbranch_execz .LBB43_276
; %bb.263:
	v_lshrrev_b32_e32 v0, 24, v2
	v_cmp_gt_u32_e32 vcc_lo, s13, v5
	global_store_b8 v[6:7], v0, off offset:768
	s_wait_xcnt 0x0
	s_and_b32 exec_lo, exec_lo, vcc_lo
	s_cbranch_execz .LBB43_276
; %bb.264:
	global_store_b8 v[6:7], v1, off offset:1024
	s_wait_xcnt 0x0
	s_and_b32 exec_lo, exec_lo, s3
	s_cbranch_execz .LBB43_276
; %bb.265:
	v_lshrrev_b32_e32 v0, 8, v1
	global_store_b8 v[6:7], v0, off offset:1280
	s_wait_xcnt 0x0
	s_and_b32 exec_lo, exec_lo, s4
	s_cbranch_execz .LBB43_276
; %bb.266:
	global_store_d16_hi_b8 v[6:7], v1, off offset:1536
	s_wait_xcnt 0x0
	s_and_b32 exec_lo, exec_lo, s5
	s_cbranch_execz .LBB43_276
; %bb.267:
	v_lshrrev_b32_e32 v0, 24, v1
	v_cmp_gt_u32_e32 vcc_lo, s13, v8
	global_store_b8 v[6:7], v0, off offset:1792
	s_wait_xcnt 0x0
	s_and_b32 exec_lo, exec_lo, vcc_lo
	s_cbranch_execz .LBB43_276
; %bb.268:
	global_store_b8 v[6:7], v4, off offset:2048
	s_wait_xcnt 0x0
	s_and_b32 exec_lo, exec_lo, s6
	s_cbranch_execz .LBB43_276
; %bb.269:
	v_lshrrev_b32_e32 v0, 8, v4
	global_store_b8 v[6:7], v0, off offset:2304
	s_wait_xcnt 0x0
	s_and_b32 exec_lo, exec_lo, s7
	s_cbranch_execz .LBB43_276
; %bb.270:
	;; [unrolled: 23-line block ×3, first 2 shown]
	global_store_d16_hi_b8 v[6:7], v3, off offset:3584
	s_wait_xcnt 0x0
	s_and_b32 exec_lo, exec_lo, s11
	s_cbranch_execz .LBB43_276
; %bb.275:
	v_lshrrev_b32_e32 v0, 24, v3
	global_store_b8 v[6:7], v0, off offset:3840
.LBB43_276:
	s_endpgm
	.section	.rodata,"a",@progbits
	.p2align	6, 0x0
	.amdhsa_kernel _ZN2at6native29vectorized_elementwise_kernelILi2EZZZNS0_15lcm_kernel_cudaERNS_18TensorIteratorBaseEENKUlvE_clEvENKUlvE_clEvEUlhhE_St5arrayIPcLm3EEEEviT0_T1_
		.amdhsa_group_segment_fixed_size 0
		.amdhsa_private_segment_fixed_size 0
		.amdhsa_kernarg_size 32
		.amdhsa_user_sgpr_count 2
		.amdhsa_user_sgpr_dispatch_ptr 0
		.amdhsa_user_sgpr_queue_ptr 0
		.amdhsa_user_sgpr_kernarg_segment_ptr 1
		.amdhsa_user_sgpr_dispatch_id 0
		.amdhsa_user_sgpr_kernarg_preload_length 0
		.amdhsa_user_sgpr_kernarg_preload_offset 0
		.amdhsa_user_sgpr_private_segment_size 0
		.amdhsa_wavefront_size32 1
		.amdhsa_uses_dynamic_stack 0
		.amdhsa_enable_private_segment 0
		.amdhsa_system_sgpr_workgroup_id_x 1
		.amdhsa_system_sgpr_workgroup_id_y 0
		.amdhsa_system_sgpr_workgroup_id_z 0
		.amdhsa_system_sgpr_workgroup_info 0
		.amdhsa_system_vgpr_workitem_id 0
		.amdhsa_next_free_vgpr 42
		.amdhsa_next_free_sgpr 21
		.amdhsa_named_barrier_count 0
		.amdhsa_reserve_vcc 1
		.amdhsa_float_round_mode_32 0
		.amdhsa_float_round_mode_16_64 0
		.amdhsa_float_denorm_mode_32 3
		.amdhsa_float_denorm_mode_16_64 3
		.amdhsa_fp16_overflow 0
		.amdhsa_memory_ordered 1
		.amdhsa_forward_progress 1
		.amdhsa_inst_pref_size 104
		.amdhsa_round_robin_scheduling 0
		.amdhsa_exception_fp_ieee_invalid_op 0
		.amdhsa_exception_fp_denorm_src 0
		.amdhsa_exception_fp_ieee_div_zero 0
		.amdhsa_exception_fp_ieee_overflow 0
		.amdhsa_exception_fp_ieee_underflow 0
		.amdhsa_exception_fp_ieee_inexact 0
		.amdhsa_exception_int_div_zero 0
	.end_amdhsa_kernel
	.section	.text._ZN2at6native29vectorized_elementwise_kernelILi2EZZZNS0_15lcm_kernel_cudaERNS_18TensorIteratorBaseEENKUlvE_clEvENKUlvE_clEvEUlhhE_St5arrayIPcLm3EEEEviT0_T1_,"axG",@progbits,_ZN2at6native29vectorized_elementwise_kernelILi2EZZZNS0_15lcm_kernel_cudaERNS_18TensorIteratorBaseEENKUlvE_clEvENKUlvE_clEvEUlhhE_St5arrayIPcLm3EEEEviT0_T1_,comdat
.Lfunc_end43:
	.size	_ZN2at6native29vectorized_elementwise_kernelILi2EZZZNS0_15lcm_kernel_cudaERNS_18TensorIteratorBaseEENKUlvE_clEvENKUlvE_clEvEUlhhE_St5arrayIPcLm3EEEEviT0_T1_, .Lfunc_end43-_ZN2at6native29vectorized_elementwise_kernelILi2EZZZNS0_15lcm_kernel_cudaERNS_18TensorIteratorBaseEENKUlvE_clEvENKUlvE_clEvEUlhhE_St5arrayIPcLm3EEEEviT0_T1_
                                        ; -- End function
	.set _ZN2at6native29vectorized_elementwise_kernelILi2EZZZNS0_15lcm_kernel_cudaERNS_18TensorIteratorBaseEENKUlvE_clEvENKUlvE_clEvEUlhhE_St5arrayIPcLm3EEEEviT0_T1_.num_vgpr, 42
	.set _ZN2at6native29vectorized_elementwise_kernelILi2EZZZNS0_15lcm_kernel_cudaERNS_18TensorIteratorBaseEENKUlvE_clEvENKUlvE_clEvEUlhhE_St5arrayIPcLm3EEEEviT0_T1_.num_agpr, 0
	.set _ZN2at6native29vectorized_elementwise_kernelILi2EZZZNS0_15lcm_kernel_cudaERNS_18TensorIteratorBaseEENKUlvE_clEvENKUlvE_clEvEUlhhE_St5arrayIPcLm3EEEEviT0_T1_.numbered_sgpr, 21
	.set _ZN2at6native29vectorized_elementwise_kernelILi2EZZZNS0_15lcm_kernel_cudaERNS_18TensorIteratorBaseEENKUlvE_clEvENKUlvE_clEvEUlhhE_St5arrayIPcLm3EEEEviT0_T1_.num_named_barrier, 0
	.set _ZN2at6native29vectorized_elementwise_kernelILi2EZZZNS0_15lcm_kernel_cudaERNS_18TensorIteratorBaseEENKUlvE_clEvENKUlvE_clEvEUlhhE_St5arrayIPcLm3EEEEviT0_T1_.private_seg_size, 0
	.set _ZN2at6native29vectorized_elementwise_kernelILi2EZZZNS0_15lcm_kernel_cudaERNS_18TensorIteratorBaseEENKUlvE_clEvENKUlvE_clEvEUlhhE_St5arrayIPcLm3EEEEviT0_T1_.uses_vcc, 1
	.set _ZN2at6native29vectorized_elementwise_kernelILi2EZZZNS0_15lcm_kernel_cudaERNS_18TensorIteratorBaseEENKUlvE_clEvENKUlvE_clEvEUlhhE_St5arrayIPcLm3EEEEviT0_T1_.uses_flat_scratch, 0
	.set _ZN2at6native29vectorized_elementwise_kernelILi2EZZZNS0_15lcm_kernel_cudaERNS_18TensorIteratorBaseEENKUlvE_clEvENKUlvE_clEvEUlhhE_St5arrayIPcLm3EEEEviT0_T1_.has_dyn_sized_stack, 0
	.set _ZN2at6native29vectorized_elementwise_kernelILi2EZZZNS0_15lcm_kernel_cudaERNS_18TensorIteratorBaseEENKUlvE_clEvENKUlvE_clEvEUlhhE_St5arrayIPcLm3EEEEviT0_T1_.has_recursion, 0
	.set _ZN2at6native29vectorized_elementwise_kernelILi2EZZZNS0_15lcm_kernel_cudaERNS_18TensorIteratorBaseEENKUlvE_clEvENKUlvE_clEvEUlhhE_St5arrayIPcLm3EEEEviT0_T1_.has_indirect_call, 0
	.section	.AMDGPU.csdata,"",@progbits
; Kernel info:
; codeLenInByte = 13224
; TotalNumSgprs: 23
; NumVgprs: 42
; ScratchSize: 0
; MemoryBound: 0
; FloatMode: 240
; IeeeMode: 1
; LDSByteSize: 0 bytes/workgroup (compile time only)
; SGPRBlocks: 0
; VGPRBlocks: 2
; NumSGPRsForWavesPerEU: 23
; NumVGPRsForWavesPerEU: 42
; NamedBarCnt: 0
; Occupancy: 16
; WaveLimiterHint : 1
; COMPUTE_PGM_RSRC2:SCRATCH_EN: 0
; COMPUTE_PGM_RSRC2:USER_SGPR: 2
; COMPUTE_PGM_RSRC2:TRAP_HANDLER: 0
; COMPUTE_PGM_RSRC2:TGID_X_EN: 1
; COMPUTE_PGM_RSRC2:TGID_Y_EN: 0
; COMPUTE_PGM_RSRC2:TGID_Z_EN: 0
; COMPUTE_PGM_RSRC2:TIDIG_COMP_CNT: 0
	.section	.text._ZN2at6native27unrolled_elementwise_kernelIZZZNS0_15lcm_kernel_cudaERNS_18TensorIteratorBaseEENKUlvE_clEvENKUlvE_clEvEUlhhE_St5arrayIPcLm3EELi4E23TrivialOffsetCalculatorILi2EjESA_ILi1EjENS0_6memory15LoadWithoutCastENSD_16StoreWithoutCastEEEviT_T0_T2_T3_T4_T5_,"axG",@progbits,_ZN2at6native27unrolled_elementwise_kernelIZZZNS0_15lcm_kernel_cudaERNS_18TensorIteratorBaseEENKUlvE_clEvENKUlvE_clEvEUlhhE_St5arrayIPcLm3EELi4E23TrivialOffsetCalculatorILi2EjESA_ILi1EjENS0_6memory15LoadWithoutCastENSD_16StoreWithoutCastEEEviT_T0_T2_T3_T4_T5_,comdat
	.globl	_ZN2at6native27unrolled_elementwise_kernelIZZZNS0_15lcm_kernel_cudaERNS_18TensorIteratorBaseEENKUlvE_clEvENKUlvE_clEvEUlhhE_St5arrayIPcLm3EELi4E23TrivialOffsetCalculatorILi2EjESA_ILi1EjENS0_6memory15LoadWithoutCastENSD_16StoreWithoutCastEEEviT_T0_T2_T3_T4_T5_ ; -- Begin function _ZN2at6native27unrolled_elementwise_kernelIZZZNS0_15lcm_kernel_cudaERNS_18TensorIteratorBaseEENKUlvE_clEvENKUlvE_clEvEUlhhE_St5arrayIPcLm3EELi4E23TrivialOffsetCalculatorILi2EjESA_ILi1EjENS0_6memory15LoadWithoutCastENSD_16StoreWithoutCastEEEviT_T0_T2_T3_T4_T5_
	.p2align	8
	.type	_ZN2at6native27unrolled_elementwise_kernelIZZZNS0_15lcm_kernel_cudaERNS_18TensorIteratorBaseEENKUlvE_clEvENKUlvE_clEvEUlhhE_St5arrayIPcLm3EELi4E23TrivialOffsetCalculatorILi2EjESA_ILi1EjENS0_6memory15LoadWithoutCastENSD_16StoreWithoutCastEEEviT_T0_T2_T3_T4_T5_,@function
_ZN2at6native27unrolled_elementwise_kernelIZZZNS0_15lcm_kernel_cudaERNS_18TensorIteratorBaseEENKUlvE_clEvENKUlvE_clEvEUlhhE_St5arrayIPcLm3EELi4E23TrivialOffsetCalculatorILi2EjESA_ILi1EjENS0_6memory15LoadWithoutCastENSD_16StoreWithoutCastEEEviT_T0_T2_T3_T4_T5_: ; @_ZN2at6native27unrolled_elementwise_kernelIZZZNS0_15lcm_kernel_cudaERNS_18TensorIteratorBaseEENKUlvE_clEvENKUlvE_clEvEUlhhE_St5arrayIPcLm3EELi4E23TrivialOffsetCalculatorILi2EjESA_ILi1EjENS0_6memory15LoadWithoutCastENSD_16StoreWithoutCastEEEviT_T0_T2_T3_T4_T5_
; %bb.0:
	s_load_b32 s9, s[0:1], 0x0
	s_bfe_u32 s10, ttmp6, 0x4000c
	s_clause 0x1
	s_load_b128 s[4:7], s[0:1], 0x8
	s_load_b64 s[2:3], s[0:1], 0x18
	s_add_co_i32 s10, s10, 1
	s_and_b32 s8, ttmp6, 15
	s_wait_xcnt 0x0
	s_mul_i32 s0, ttmp9, s10
	s_getreg_b32 s11, hwreg(HW_REG_IB_STS2, 6, 4)
	s_add_co_i32 s8, s8, s0
	s_cmp_eq_u32 s11, 0
	v_dual_mov_b32 v3, 0 :: v_dual_mov_b32 v5, 0
	s_cselect_b32 s0, ttmp9, s8
	v_dual_mov_b32 v4, 0 :: v_dual_mov_b32 v7, 0
	s_lshl_b32 s8, s0, 10
	v_dual_mov_b32 v6, 0 :: v_dual_mov_b32 v9, 0
	v_dual_mov_b32 v8, 0 :: v_dual_bitop2_b32 v2, s8, v0 bitop3:0x54
	v_or_b32_e32 v1, 0x100, v0
	s_wait_kmcnt 0x0
	s_sub_co_i32 s9, s9, s8
	v_dual_mov_b32 v11, 0 :: v_dual_mov_b32 v10, 0
	v_cmp_gt_i32_e32 vcc_lo, s9, v0
	s_and_saveexec_b32 s1, vcc_lo
	s_cbranch_execnz .LBB44_3
; %bb.1:
	s_or_b32 exec_lo, exec_lo, s1
	s_and_saveexec_b32 s1, vcc_lo
	s_cbranch_execnz .LBB44_10
.LBB44_2:
	s_or_b32 exec_lo, exec_lo, s1
	v_cmp_gt_i32_e64 s0, s9, v1
	s_and_saveexec_b32 s2, s0
	s_cbranch_execnz .LBB44_17
	s_branch .LBB44_24
.LBB44_3:
	s_clause 0x1
	global_load_u8 v11, v2, s[6:7]
	global_load_u8 v10, v2, s[2:3]
	v_dual_mov_b32 v8, 0 :: v_dual_mov_b32 v9, 0
	v_dual_mov_b32 v6, 0 :: v_dual_mov_b32 v7, 0
	;; [unrolled: 1-line block ×3, first 2 shown]
	s_mov_b32 s10, exec_lo
	s_wait_xcnt 0x0
	v_cmpx_gt_u32_e64 s9, v1
	s_cbranch_execz .LBB44_9
; %bb.4:
	v_dual_add_nc_u32 v4, s8, v1 :: v_dual_mov_b32 v6, 0
	v_or_b32_e32 v12, 0x200, v0
	v_dual_mov_b32 v7, 0 :: v_dual_mov_b32 v5, 0
	s_clause 0x1
	global_load_u8 v9, v4, s[6:7]
	global_load_u8 v8, v4, s[2:3]
	s_wait_xcnt 0x0
	v_mov_b32_e32 v4, 0
	s_mov_b32 s11, exec_lo
	v_cmpx_gt_u32_e64 s9, v12
	s_cbranch_execz .LBB44_8
; %bb.5:
	v_dual_mov_b32 v5, 0 :: v_dual_add_nc_u32 v4, s8, v12
	v_or_b32_e32 v12, 0x300, v0
	s_mov_b32 s12, exec_lo
	s_clause 0x1
	global_load_u8 v7, v4, s[6:7]
	global_load_u8 v6, v4, s[2:3]
	s_wait_xcnt 0x0
	v_mov_b32_e32 v4, 0
	v_cmpx_gt_u32_e64 s9, v12
	s_cbranch_execz .LBB44_7
; %bb.6:
	v_add_nc_u32_e32 v12, s8, v12
	s_clause 0x1
	global_load_u8 v5, v12, s[6:7]
	global_load_u8 v4, v12, s[2:3]
.LBB44_7:
	s_wait_xcnt 0x0
	s_or_b32 exec_lo, exec_lo, s12
.LBB44_8:
	s_delay_alu instid0(SALU_CYCLE_1)
	s_or_b32 exec_lo, exec_lo, s11
.LBB44_9:
	s_delay_alu instid0(SALU_CYCLE_1) | instskip(NEXT) | instid1(SALU_CYCLE_1)
	s_or_b32 exec_lo, exec_lo, s10
	s_or_b32 exec_lo, exec_lo, s1
	s_and_saveexec_b32 s1, vcc_lo
	s_cbranch_execz .LBB44_2
.LBB44_10:
	s_wait_loadcnt 0x1
	v_and_b32_e32 v3, 0xff, v11
	s_mov_b32 s3, 0
	s_delay_alu instid0(VALU_DEP_1)
	v_cmp_ne_u16_e64 s0, 0, v3
	s_wait_loadcnt 0x0
	v_mov_b32_e32 v3, v10
	s_and_saveexec_b32 s2, s0
	s_cbranch_execz .LBB44_14
; %bb.11:
	v_dual_mov_b32 v13, v11 :: v_dual_mov_b32 v12, v10
.LBB44_12:                              ; =>This Inner Loop Header: Depth=1
	s_delay_alu instid0(VALU_DEP_1) | instskip(NEXT) | instid1(VALU_DEP_2)
	v_cvt_f32_ubyte0_e32 v15, v12
	v_mov_b32_e32 v3, v13
	s_delay_alu instid0(VALU_DEP_1) | instskip(NEXT) | instid1(VALU_DEP_1)
	v_cvt_f32_ubyte0_e32 v13, v3
	v_rcp_iflag_f32_e32 v14, v13
	v_nop
	s_delay_alu instid0(TRANS32_DEP_1) | instskip(NEXT) | instid1(VALU_DEP_1)
	v_mul_f32_e32 v14, v15, v14
	v_trunc_f32_e32 v14, v14
	s_delay_alu instid0(VALU_DEP_1) | instskip(SKIP_1) | instid1(VALU_DEP_2)
	v_fma_f32 v15, -v14, v13, v15
	v_cvt_u32_f32_e32 v14, v14
	v_cmp_ge_f32_e64 s0, |v15|, v13
	s_delay_alu instid0(VALU_DEP_1) | instskip(NEXT) | instid1(VALU_DEP_1)
	v_add_co_ci_u32_e64 v13, null, 0, v14, s0
	v_mul_lo_u32 v13, v13, v3
	s_delay_alu instid0(VALU_DEP_1) | instskip(NEXT) | instid1(VALU_DEP_1)
	v_sub_nc_u32_e32 v12, v12, v13
	v_and_b32_e32 v13, 0xff, v12
	v_mov_b32_e32 v12, v3
	s_delay_alu instid0(VALU_DEP_2) | instskip(SKIP_1) | instid1(SALU_CYCLE_1)
	v_cmp_eq_u16_e64 s0, 0, v13
	s_or_b32 s3, s0, s3
	s_and_not1_b32 exec_lo, exec_lo, s3
	s_cbranch_execnz .LBB44_12
; %bb.13:
	s_or_b32 exec_lo, exec_lo, s3
.LBB44_14:
	s_delay_alu instid0(SALU_CYCLE_1) | instskip(NEXT) | instid1(VALU_DEP_1)
	s_or_b32 exec_lo, exec_lo, s2
	v_and_b32_e32 v13, 0xff, v3
	v_mov_b32_e32 v12, 0
	s_mov_b32 s2, exec_lo
	s_delay_alu instid0(VALU_DEP_2)
	v_cmpx_ne_u16_e32 0, v13
	s_cbranch_execz .LBB44_16
; %bb.15:
	v_cvt_f32_ubyte0_e32 v3, v3
	v_cvt_f32_ubyte0_e32 v11, v11
	s_delay_alu instid0(VALU_DEP_2) | instskip(SKIP_1) | instid1(TRANS32_DEP_1)
	v_rcp_iflag_f32_e32 v12, v3
	v_nop
	v_mul_f32_e32 v12, v11, v12
	s_delay_alu instid0(VALU_DEP_1) | instskip(NEXT) | instid1(VALU_DEP_1)
	v_trunc_f32_e32 v12, v12
	v_fma_f32 v11, -v12, v3, v11
	v_cvt_u32_f32_e32 v12, v12
	s_delay_alu instid0(VALU_DEP_2) | instskip(NEXT) | instid1(VALU_DEP_1)
	v_cmp_ge_f32_e64 s0, |v11|, v3
	v_add_co_ci_u32_e64 v3, null, 0, v12, s0
	s_delay_alu instid0(VALU_DEP_1)
	v_mul_lo_u16 v12, v3, v10
.LBB44_16:
	s_or_b32 exec_lo, exec_lo, s2
	s_delay_alu instid0(VALU_DEP_1) | instskip(NEXT) | instid1(VALU_DEP_1)
	v_and_b32_e32 v3, 0xff, v12
	v_and_b32_e32 v3, 0xffff, v3
	s_or_b32 exec_lo, exec_lo, s1
	v_cmp_gt_i32_e64 s0, s9, v1
	s_and_saveexec_b32 s2, s0
	s_cbranch_execz .LBB44_24
.LBB44_17:
	s_wait_loadcnt 0x0
	v_and_b32_e32 v10, 0xff, v9
	s_mov_b32 s6, 0
	s_delay_alu instid0(VALU_DEP_1)
	v_cmp_ne_u16_e64 s1, 0, v10
	v_mov_b32_e32 v10, v8
	s_and_saveexec_b32 s3, s1
	s_cbranch_execz .LBB44_21
; %bb.18:
	v_dual_mov_b32 v12, v9 :: v_dual_mov_b32 v11, v8
.LBB44_19:                              ; =>This Inner Loop Header: Depth=1
	s_delay_alu instid0(VALU_DEP_1) | instskip(NEXT) | instid1(VALU_DEP_2)
	v_cvt_f32_ubyte0_e32 v14, v11
	v_mov_b32_e32 v10, v12
	s_delay_alu instid0(VALU_DEP_1) | instskip(NEXT) | instid1(VALU_DEP_1)
	v_cvt_f32_ubyte0_e32 v12, v10
	v_rcp_iflag_f32_e32 v13, v12
	v_nop
	s_delay_alu instid0(TRANS32_DEP_1) | instskip(NEXT) | instid1(VALU_DEP_1)
	v_mul_f32_e32 v13, v14, v13
	v_trunc_f32_e32 v13, v13
	s_delay_alu instid0(VALU_DEP_1) | instskip(SKIP_1) | instid1(VALU_DEP_2)
	v_fma_f32 v14, -v13, v12, v14
	v_cvt_u32_f32_e32 v13, v13
	v_cmp_ge_f32_e64 s1, |v14|, v12
	s_delay_alu instid0(VALU_DEP_1) | instskip(NEXT) | instid1(VALU_DEP_1)
	v_add_co_ci_u32_e64 v12, null, 0, v13, s1
	v_mul_lo_u32 v12, v12, v10
	s_delay_alu instid0(VALU_DEP_1) | instskip(NEXT) | instid1(VALU_DEP_1)
	v_sub_nc_u32_e32 v11, v11, v12
	v_and_b32_e32 v12, 0xff, v11
	v_mov_b32_e32 v11, v10
	s_delay_alu instid0(VALU_DEP_2) | instskip(SKIP_1) | instid1(SALU_CYCLE_1)
	v_cmp_eq_u16_e64 s1, 0, v12
	s_or_b32 s6, s1, s6
	s_and_not1_b32 exec_lo, exec_lo, s6
	s_cbranch_execnz .LBB44_19
; %bb.20:
	s_or_b32 exec_lo, exec_lo, s6
.LBB44_21:
	s_delay_alu instid0(SALU_CYCLE_1) | instskip(NEXT) | instid1(VALU_DEP_1)
	s_or_b32 exec_lo, exec_lo, s3
	v_and_b32_e32 v12, 0xff, v10
	v_mov_b32_e32 v11, 0
	s_mov_b32 s3, exec_lo
	s_delay_alu instid0(VALU_DEP_2)
	v_cmpx_ne_u16_e32 0, v12
	s_cbranch_execz .LBB44_23
; %bb.22:
	v_cvt_f32_ubyte0_e32 v10, v10
	v_cvt_f32_ubyte0_e32 v9, v9
	s_delay_alu instid0(VALU_DEP_2) | instskip(SKIP_1) | instid1(TRANS32_DEP_1)
	v_rcp_iflag_f32_e32 v11, v10
	v_nop
	v_mul_f32_e32 v11, v9, v11
	s_delay_alu instid0(VALU_DEP_1) | instskip(NEXT) | instid1(VALU_DEP_1)
	v_trunc_f32_e32 v11, v11
	v_fma_f32 v9, -v11, v10, v9
	v_cvt_u32_f32_e32 v11, v11
	s_delay_alu instid0(VALU_DEP_2) | instskip(NEXT) | instid1(VALU_DEP_1)
	v_cmp_ge_f32_e64 s1, |v9|, v10
	v_add_co_ci_u32_e64 v9, null, 0, v11, s1
	s_delay_alu instid0(VALU_DEP_1)
	v_mul_lo_u16 v11, v9, v8
.LBB44_23:
	s_or_b32 exec_lo, exec_lo, s3
	s_delay_alu instid0(VALU_DEP_1) | instskip(NEXT) | instid1(VALU_DEP_1)
	v_lshlrev_b16 v8, 8, v11
	v_or_b32_e32 v3, v3, v8
	s_delay_alu instid0(VALU_DEP_1)
	v_and_b32_e32 v3, 0xffff, v3
.LBB44_24:
	s_or_b32 exec_lo, exec_lo, s2
	s_wait_loadcnt 0x0
	v_or_b32_e32 v8, 0x200, v0
	s_delay_alu instid0(VALU_DEP_1)
	v_cmp_gt_i32_e64 s1, s9, v8
	s_and_saveexec_b32 s3, s1
	s_cbranch_execz .LBB44_32
; %bb.25:
	v_and_b32_e32 v9, 0xff, v7
	s_mov_b32 s7, 0
	s_delay_alu instid0(VALU_DEP_1)
	v_cmp_ne_u16_e64 s2, 0, v9
	v_mov_b32_e32 v9, v6
	s_and_saveexec_b32 s6, s2
	s_cbranch_execz .LBB44_29
; %bb.26:
	v_dual_mov_b32 v11, v7 :: v_dual_mov_b32 v10, v6
.LBB44_27:                              ; =>This Inner Loop Header: Depth=1
	s_delay_alu instid0(VALU_DEP_1) | instskip(NEXT) | instid1(VALU_DEP_2)
	v_cvt_f32_ubyte0_e32 v13, v10
	v_mov_b32_e32 v9, v11
	s_delay_alu instid0(VALU_DEP_1) | instskip(NEXT) | instid1(VALU_DEP_1)
	v_cvt_f32_ubyte0_e32 v11, v9
	v_rcp_iflag_f32_e32 v12, v11
	v_nop
	s_delay_alu instid0(TRANS32_DEP_1) | instskip(NEXT) | instid1(VALU_DEP_1)
	v_mul_f32_e32 v12, v13, v12
	v_trunc_f32_e32 v12, v12
	s_delay_alu instid0(VALU_DEP_1) | instskip(SKIP_1) | instid1(VALU_DEP_2)
	v_fma_f32 v13, -v12, v11, v13
	v_cvt_u32_f32_e32 v12, v12
	v_cmp_ge_f32_e64 s2, |v13|, v11
	s_delay_alu instid0(VALU_DEP_1) | instskip(NEXT) | instid1(VALU_DEP_1)
	v_add_co_ci_u32_e64 v11, null, 0, v12, s2
	v_mul_lo_u32 v11, v11, v9
	s_delay_alu instid0(VALU_DEP_1) | instskip(NEXT) | instid1(VALU_DEP_1)
	v_sub_nc_u32_e32 v10, v10, v11
	v_and_b32_e32 v11, 0xff, v10
	v_mov_b32_e32 v10, v9
	s_delay_alu instid0(VALU_DEP_2) | instskip(SKIP_1) | instid1(SALU_CYCLE_1)
	v_cmp_eq_u16_e64 s2, 0, v11
	s_or_b32 s7, s2, s7
	s_and_not1_b32 exec_lo, exec_lo, s7
	s_cbranch_execnz .LBB44_27
; %bb.28:
	s_or_b32 exec_lo, exec_lo, s7
.LBB44_29:
	s_delay_alu instid0(SALU_CYCLE_1) | instskip(NEXT) | instid1(VALU_DEP_1)
	s_or_b32 exec_lo, exec_lo, s6
	v_and_b32_e32 v11, 0xff, v9
	v_mov_b32_e32 v10, 0
	s_mov_b32 s6, exec_lo
	s_delay_alu instid0(VALU_DEP_2)
	v_cmpx_ne_u16_e32 0, v11
	s_cbranch_execz .LBB44_31
; %bb.30:
	v_cvt_f32_ubyte0_e32 v9, v9
	v_cvt_f32_ubyte0_e32 v7, v7
	s_delay_alu instid0(VALU_DEP_2) | instskip(SKIP_1) | instid1(TRANS32_DEP_1)
	v_rcp_iflag_f32_e32 v10, v9
	v_nop
	v_mul_f32_e32 v10, v7, v10
	s_delay_alu instid0(VALU_DEP_1) | instskip(NEXT) | instid1(VALU_DEP_1)
	v_trunc_f32_e32 v10, v10
	v_fma_f32 v7, -v10, v9, v7
	v_cvt_u32_f32_e32 v10, v10
	s_delay_alu instid0(VALU_DEP_2) | instskip(NEXT) | instid1(VALU_DEP_1)
	v_cmp_ge_f32_e64 s2, |v7|, v9
	v_add_co_ci_u32_e64 v7, null, 0, v10, s2
	s_delay_alu instid0(VALU_DEP_1)
	v_mul_lo_u16 v10, v7, v6
.LBB44_31:
	s_or_b32 exec_lo, exec_lo, s6
	s_delay_alu instid0(VALU_DEP_1) | instskip(NEXT) | instid1(VALU_DEP_1)
	v_and_b32_e32 v6, 0xff, v10
	v_lshlrev_b32_e32 v6, 16, v6
	s_delay_alu instid0(VALU_DEP_1)
	v_or_b32_e32 v3, v3, v6
.LBB44_32:
	s_or_b32 exec_lo, exec_lo, s3
	v_or_b32_e32 v0, 0x300, v0
	s_delay_alu instid0(VALU_DEP_1)
	v_cmp_gt_i32_e64 s2, s9, v0
	s_and_saveexec_b32 s6, s2
	s_cbranch_execz .LBB44_40
; %bb.33:
	v_and_b32_e32 v6, 0xff, v5
	s_mov_b32 s9, 0
	s_delay_alu instid0(VALU_DEP_1)
	v_cmp_ne_u16_e64 s3, 0, v6
	v_mov_b32_e32 v6, v4
	s_and_saveexec_b32 s7, s3
	s_cbranch_execz .LBB44_37
; %bb.34:
	v_dual_mov_b32 v9, v5 :: v_dual_mov_b32 v7, v4
.LBB44_35:                              ; =>This Inner Loop Header: Depth=1
	s_delay_alu instid0(VALU_DEP_1) | instskip(NEXT) | instid1(VALU_DEP_2)
	v_cvt_f32_ubyte0_e32 v11, v7
	v_mov_b32_e32 v6, v9
	s_delay_alu instid0(VALU_DEP_1) | instskip(NEXT) | instid1(VALU_DEP_1)
	v_cvt_f32_ubyte0_e32 v9, v6
	v_rcp_iflag_f32_e32 v10, v9
	v_nop
	s_delay_alu instid0(TRANS32_DEP_1) | instskip(NEXT) | instid1(VALU_DEP_1)
	v_mul_f32_e32 v10, v11, v10
	v_trunc_f32_e32 v10, v10
	s_delay_alu instid0(VALU_DEP_1) | instskip(SKIP_1) | instid1(VALU_DEP_2)
	v_fma_f32 v11, -v10, v9, v11
	v_cvt_u32_f32_e32 v10, v10
	v_cmp_ge_f32_e64 s3, |v11|, v9
	s_delay_alu instid0(VALU_DEP_1) | instskip(NEXT) | instid1(VALU_DEP_1)
	v_add_co_ci_u32_e64 v9, null, 0, v10, s3
	v_mul_lo_u32 v9, v9, v6
	s_delay_alu instid0(VALU_DEP_1) | instskip(NEXT) | instid1(VALU_DEP_1)
	v_sub_nc_u32_e32 v7, v7, v9
	v_and_b32_e32 v9, 0xff, v7
	v_mov_b32_e32 v7, v6
	s_delay_alu instid0(VALU_DEP_2) | instskip(SKIP_1) | instid1(SALU_CYCLE_1)
	v_cmp_eq_u16_e64 s3, 0, v9
	s_or_b32 s9, s3, s9
	s_and_not1_b32 exec_lo, exec_lo, s9
	s_cbranch_execnz .LBB44_35
; %bb.36:
	s_or_b32 exec_lo, exec_lo, s9
.LBB44_37:
	s_delay_alu instid0(SALU_CYCLE_1) | instskip(NEXT) | instid1(VALU_DEP_1)
	s_or_b32 exec_lo, exec_lo, s7
	v_and_b32_e32 v9, 0xff, v6
	v_mov_b32_e32 v7, 0
	s_mov_b32 s7, exec_lo
	s_delay_alu instid0(VALU_DEP_2)
	v_cmpx_ne_u16_e32 0, v9
	s_cbranch_execz .LBB44_39
; %bb.38:
	v_cvt_f32_ubyte0_e32 v6, v6
	v_cvt_f32_ubyte0_e32 v5, v5
	s_delay_alu instid0(VALU_DEP_2) | instskip(SKIP_1) | instid1(TRANS32_DEP_1)
	v_rcp_iflag_f32_e32 v7, v6
	v_nop
	v_mul_f32_e32 v7, v5, v7
	s_delay_alu instid0(VALU_DEP_1) | instskip(NEXT) | instid1(VALU_DEP_1)
	v_trunc_f32_e32 v7, v7
	v_fma_f32 v5, -v7, v6, v5
	v_cvt_u32_f32_e32 v7, v7
	s_delay_alu instid0(VALU_DEP_2) | instskip(NEXT) | instid1(VALU_DEP_1)
	v_cmp_ge_f32_e64 s3, |v5|, v6
	v_add_co_ci_u32_e64 v5, null, 0, v7, s3
	s_delay_alu instid0(VALU_DEP_1)
	v_mul_lo_u16 v7, v5, v4
.LBB44_39:
	s_or_b32 exec_lo, exec_lo, s7
	v_lshrrev_b32_e32 v4, 16, v3
	s_delay_alu instid0(VALU_DEP_2) | instskip(NEXT) | instid1(VALU_DEP_1)
	v_lshlrev_b16 v5, 8, v7
	v_or_b32_e32 v4, v4, v5
	s_delay_alu instid0(VALU_DEP_1) | instskip(NEXT) | instid1(VALU_DEP_1)
	v_lshlrev_b32_e32 v4, 16, v4
	v_and_or_b32 v3, 0xffff, v3, v4
.LBB44_40:
	s_or_b32 exec_lo, exec_lo, s6
	s_and_saveexec_b32 s3, vcc_lo
	s_cbranch_execz .LBB44_45
; %bb.41:
	global_store_b8 v2, v3, s[4:5]
	s_wait_xcnt 0x0
	s_and_b32 exec_lo, exec_lo, s0
	s_cbranch_execz .LBB44_45
; %bb.42:
	v_dual_add_nc_u32 v1, s8, v1 :: v_dual_lshrrev_b32 v2, 8, v3
	global_store_b8 v1, v2, s[4:5]
	s_wait_xcnt 0x0
	s_and_b32 exec_lo, exec_lo, s1
	s_cbranch_execz .LBB44_45
; %bb.43:
	v_add_nc_u32_e32 v1, s8, v8
	global_store_d16_hi_b8 v1, v3, s[4:5]
	s_wait_xcnt 0x0
	s_and_b32 exec_lo, exec_lo, s2
	s_cbranch_execz .LBB44_45
; %bb.44:
	v_dual_lshrrev_b32 v1, 24, v3 :: v_dual_add_nc_u32 v0, s8, v0
	global_store_b8 v0, v1, s[4:5]
.LBB44_45:
	s_endpgm
	.section	.rodata,"a",@progbits
	.p2align	6, 0x0
	.amdhsa_kernel _ZN2at6native27unrolled_elementwise_kernelIZZZNS0_15lcm_kernel_cudaERNS_18TensorIteratorBaseEENKUlvE_clEvENKUlvE_clEvEUlhhE_St5arrayIPcLm3EELi4E23TrivialOffsetCalculatorILi2EjESA_ILi1EjENS0_6memory15LoadWithoutCastENSD_16StoreWithoutCastEEEviT_T0_T2_T3_T4_T5_
		.amdhsa_group_segment_fixed_size 0
		.amdhsa_private_segment_fixed_size 0
		.amdhsa_kernarg_size 36
		.amdhsa_user_sgpr_count 2
		.amdhsa_user_sgpr_dispatch_ptr 0
		.amdhsa_user_sgpr_queue_ptr 0
		.amdhsa_user_sgpr_kernarg_segment_ptr 1
		.amdhsa_user_sgpr_dispatch_id 0
		.amdhsa_user_sgpr_kernarg_preload_length 0
		.amdhsa_user_sgpr_kernarg_preload_offset 0
		.amdhsa_user_sgpr_private_segment_size 0
		.amdhsa_wavefront_size32 1
		.amdhsa_uses_dynamic_stack 0
		.amdhsa_enable_private_segment 0
		.amdhsa_system_sgpr_workgroup_id_x 1
		.amdhsa_system_sgpr_workgroup_id_y 0
		.amdhsa_system_sgpr_workgroup_id_z 0
		.amdhsa_system_sgpr_workgroup_info 0
		.amdhsa_system_vgpr_workitem_id 0
		.amdhsa_next_free_vgpr 16
		.amdhsa_next_free_sgpr 13
		.amdhsa_named_barrier_count 0
		.amdhsa_reserve_vcc 1
		.amdhsa_float_round_mode_32 0
		.amdhsa_float_round_mode_16_64 0
		.amdhsa_float_denorm_mode_32 3
		.amdhsa_float_denorm_mode_16_64 3
		.amdhsa_fp16_overflow 0
		.amdhsa_memory_ordered 1
		.amdhsa_forward_progress 1
		.amdhsa_inst_pref_size 16
		.amdhsa_round_robin_scheduling 0
		.amdhsa_exception_fp_ieee_invalid_op 0
		.amdhsa_exception_fp_denorm_src 0
		.amdhsa_exception_fp_ieee_div_zero 0
		.amdhsa_exception_fp_ieee_overflow 0
		.amdhsa_exception_fp_ieee_underflow 0
		.amdhsa_exception_fp_ieee_inexact 0
		.amdhsa_exception_int_div_zero 0
	.end_amdhsa_kernel
	.section	.text._ZN2at6native27unrolled_elementwise_kernelIZZZNS0_15lcm_kernel_cudaERNS_18TensorIteratorBaseEENKUlvE_clEvENKUlvE_clEvEUlhhE_St5arrayIPcLm3EELi4E23TrivialOffsetCalculatorILi2EjESA_ILi1EjENS0_6memory15LoadWithoutCastENSD_16StoreWithoutCastEEEviT_T0_T2_T3_T4_T5_,"axG",@progbits,_ZN2at6native27unrolled_elementwise_kernelIZZZNS0_15lcm_kernel_cudaERNS_18TensorIteratorBaseEENKUlvE_clEvENKUlvE_clEvEUlhhE_St5arrayIPcLm3EELi4E23TrivialOffsetCalculatorILi2EjESA_ILi1EjENS0_6memory15LoadWithoutCastENSD_16StoreWithoutCastEEEviT_T0_T2_T3_T4_T5_,comdat
.Lfunc_end44:
	.size	_ZN2at6native27unrolled_elementwise_kernelIZZZNS0_15lcm_kernel_cudaERNS_18TensorIteratorBaseEENKUlvE_clEvENKUlvE_clEvEUlhhE_St5arrayIPcLm3EELi4E23TrivialOffsetCalculatorILi2EjESA_ILi1EjENS0_6memory15LoadWithoutCastENSD_16StoreWithoutCastEEEviT_T0_T2_T3_T4_T5_, .Lfunc_end44-_ZN2at6native27unrolled_elementwise_kernelIZZZNS0_15lcm_kernel_cudaERNS_18TensorIteratorBaseEENKUlvE_clEvENKUlvE_clEvEUlhhE_St5arrayIPcLm3EELi4E23TrivialOffsetCalculatorILi2EjESA_ILi1EjENS0_6memory15LoadWithoutCastENSD_16StoreWithoutCastEEEviT_T0_T2_T3_T4_T5_
                                        ; -- End function
	.set _ZN2at6native27unrolled_elementwise_kernelIZZZNS0_15lcm_kernel_cudaERNS_18TensorIteratorBaseEENKUlvE_clEvENKUlvE_clEvEUlhhE_St5arrayIPcLm3EELi4E23TrivialOffsetCalculatorILi2EjESA_ILi1EjENS0_6memory15LoadWithoutCastENSD_16StoreWithoutCastEEEviT_T0_T2_T3_T4_T5_.num_vgpr, 16
	.set _ZN2at6native27unrolled_elementwise_kernelIZZZNS0_15lcm_kernel_cudaERNS_18TensorIteratorBaseEENKUlvE_clEvENKUlvE_clEvEUlhhE_St5arrayIPcLm3EELi4E23TrivialOffsetCalculatorILi2EjESA_ILi1EjENS0_6memory15LoadWithoutCastENSD_16StoreWithoutCastEEEviT_T0_T2_T3_T4_T5_.num_agpr, 0
	.set _ZN2at6native27unrolled_elementwise_kernelIZZZNS0_15lcm_kernel_cudaERNS_18TensorIteratorBaseEENKUlvE_clEvENKUlvE_clEvEUlhhE_St5arrayIPcLm3EELi4E23TrivialOffsetCalculatorILi2EjESA_ILi1EjENS0_6memory15LoadWithoutCastENSD_16StoreWithoutCastEEEviT_T0_T2_T3_T4_T5_.numbered_sgpr, 13
	.set _ZN2at6native27unrolled_elementwise_kernelIZZZNS0_15lcm_kernel_cudaERNS_18TensorIteratorBaseEENKUlvE_clEvENKUlvE_clEvEUlhhE_St5arrayIPcLm3EELi4E23TrivialOffsetCalculatorILi2EjESA_ILi1EjENS0_6memory15LoadWithoutCastENSD_16StoreWithoutCastEEEviT_T0_T2_T3_T4_T5_.num_named_barrier, 0
	.set _ZN2at6native27unrolled_elementwise_kernelIZZZNS0_15lcm_kernel_cudaERNS_18TensorIteratorBaseEENKUlvE_clEvENKUlvE_clEvEUlhhE_St5arrayIPcLm3EELi4E23TrivialOffsetCalculatorILi2EjESA_ILi1EjENS0_6memory15LoadWithoutCastENSD_16StoreWithoutCastEEEviT_T0_T2_T3_T4_T5_.private_seg_size, 0
	.set _ZN2at6native27unrolled_elementwise_kernelIZZZNS0_15lcm_kernel_cudaERNS_18TensorIteratorBaseEENKUlvE_clEvENKUlvE_clEvEUlhhE_St5arrayIPcLm3EELi4E23TrivialOffsetCalculatorILi2EjESA_ILi1EjENS0_6memory15LoadWithoutCastENSD_16StoreWithoutCastEEEviT_T0_T2_T3_T4_T5_.uses_vcc, 1
	.set _ZN2at6native27unrolled_elementwise_kernelIZZZNS0_15lcm_kernel_cudaERNS_18TensorIteratorBaseEENKUlvE_clEvENKUlvE_clEvEUlhhE_St5arrayIPcLm3EELi4E23TrivialOffsetCalculatorILi2EjESA_ILi1EjENS0_6memory15LoadWithoutCastENSD_16StoreWithoutCastEEEviT_T0_T2_T3_T4_T5_.uses_flat_scratch, 0
	.set _ZN2at6native27unrolled_elementwise_kernelIZZZNS0_15lcm_kernel_cudaERNS_18TensorIteratorBaseEENKUlvE_clEvENKUlvE_clEvEUlhhE_St5arrayIPcLm3EELi4E23TrivialOffsetCalculatorILi2EjESA_ILi1EjENS0_6memory15LoadWithoutCastENSD_16StoreWithoutCastEEEviT_T0_T2_T3_T4_T5_.has_dyn_sized_stack, 0
	.set _ZN2at6native27unrolled_elementwise_kernelIZZZNS0_15lcm_kernel_cudaERNS_18TensorIteratorBaseEENKUlvE_clEvENKUlvE_clEvEUlhhE_St5arrayIPcLm3EELi4E23TrivialOffsetCalculatorILi2EjESA_ILi1EjENS0_6memory15LoadWithoutCastENSD_16StoreWithoutCastEEEviT_T0_T2_T3_T4_T5_.has_recursion, 0
	.set _ZN2at6native27unrolled_elementwise_kernelIZZZNS0_15lcm_kernel_cudaERNS_18TensorIteratorBaseEENKUlvE_clEvENKUlvE_clEvEUlhhE_St5arrayIPcLm3EELi4E23TrivialOffsetCalculatorILi2EjESA_ILi1EjENS0_6memory15LoadWithoutCastENSD_16StoreWithoutCastEEEviT_T0_T2_T3_T4_T5_.has_indirect_call, 0
	.section	.AMDGPU.csdata,"",@progbits
; Kernel info:
; codeLenInByte = 1988
; TotalNumSgprs: 15
; NumVgprs: 16
; ScratchSize: 0
; MemoryBound: 0
; FloatMode: 240
; IeeeMode: 1
; LDSByteSize: 0 bytes/workgroup (compile time only)
; SGPRBlocks: 0
; VGPRBlocks: 0
; NumSGPRsForWavesPerEU: 15
; NumVGPRsForWavesPerEU: 16
; NamedBarCnt: 0
; Occupancy: 16
; WaveLimiterHint : 0
; COMPUTE_PGM_RSRC2:SCRATCH_EN: 0
; COMPUTE_PGM_RSRC2:USER_SGPR: 2
; COMPUTE_PGM_RSRC2:TRAP_HANDLER: 0
; COMPUTE_PGM_RSRC2:TGID_X_EN: 1
; COMPUTE_PGM_RSRC2:TGID_Y_EN: 0
; COMPUTE_PGM_RSRC2:TGID_Z_EN: 0
; COMPUTE_PGM_RSRC2:TIDIG_COMP_CNT: 0
	.section	.text._ZN2at6native32elementwise_kernel_manual_unrollILi128ELi8EZNS0_22gpu_kernel_impl_nocastIZZZNS0_15lcm_kernel_cudaERNS_18TensorIteratorBaseEENKUlvE_clEvENKUlvE_clEvEUlhhE_EEvS4_RKT_EUlibE_EEviT1_,"axG",@progbits,_ZN2at6native32elementwise_kernel_manual_unrollILi128ELi8EZNS0_22gpu_kernel_impl_nocastIZZZNS0_15lcm_kernel_cudaERNS_18TensorIteratorBaseEENKUlvE_clEvENKUlvE_clEvEUlhhE_EEvS4_RKT_EUlibE_EEviT1_,comdat
	.globl	_ZN2at6native32elementwise_kernel_manual_unrollILi128ELi8EZNS0_22gpu_kernel_impl_nocastIZZZNS0_15lcm_kernel_cudaERNS_18TensorIteratorBaseEENKUlvE_clEvENKUlvE_clEvEUlhhE_EEvS4_RKT_EUlibE_EEviT1_ ; -- Begin function _ZN2at6native32elementwise_kernel_manual_unrollILi128ELi8EZNS0_22gpu_kernel_impl_nocastIZZZNS0_15lcm_kernel_cudaERNS_18TensorIteratorBaseEENKUlvE_clEvENKUlvE_clEvEUlhhE_EEvS4_RKT_EUlibE_EEviT1_
	.p2align	8
	.type	_ZN2at6native32elementwise_kernel_manual_unrollILi128ELi8EZNS0_22gpu_kernel_impl_nocastIZZZNS0_15lcm_kernel_cudaERNS_18TensorIteratorBaseEENKUlvE_clEvENKUlvE_clEvEUlhhE_EEvS4_RKT_EUlibE_EEviT1_,@function
_ZN2at6native32elementwise_kernel_manual_unrollILi128ELi8EZNS0_22gpu_kernel_impl_nocastIZZZNS0_15lcm_kernel_cudaERNS_18TensorIteratorBaseEENKUlvE_clEvENKUlvE_clEvEUlhhE_EEvS4_RKT_EUlibE_EEviT1_: ; @_ZN2at6native32elementwise_kernel_manual_unrollILi128ELi8EZNS0_22gpu_kernel_impl_nocastIZZZNS0_15lcm_kernel_cudaERNS_18TensorIteratorBaseEENKUlvE_clEvENKUlvE_clEvEUlhhE_EEvS4_RKT_EUlibE_EEviT1_
; %bb.0:
	s_clause 0x1
	s_load_b32 s26, s[0:1], 0x8
	s_load_b32 s33, s[0:1], 0x0
	s_bfe_u32 s2, ttmp6, 0x4000c
	s_and_b32 s3, ttmp6, 15
	s_add_co_i32 s2, s2, 1
	s_getreg_b32 s4, hwreg(HW_REG_IB_STS2, 6, 4)
	s_mul_i32 s2, ttmp9, s2
	s_add_nc_u64 s[12:13], s[0:1], 8
	s_add_co_i32 s3, s3, s2
	s_cmp_eq_u32 s4, 0
	s_mov_b32 s21, 0
	s_cselect_b32 s2, ttmp9, s3
	s_wait_xcnt 0x0
	s_mov_b32 s0, exec_lo
	v_lshl_or_b32 v0, s2, 10, v0
	s_delay_alu instid0(VALU_DEP_1) | instskip(SKIP_2) | instid1(SALU_CYCLE_1)
	v_or_b32_e32 v5, 0x380, v0
	s_wait_kmcnt 0x0
	s_add_co_i32 s27, s26, -1
	s_cmp_gt_u32 s27, 1
	s_cselect_b32 s28, -1, 0
	v_cmpx_le_i32_e64 s33, v5
	s_xor_b32 s29, exec_lo, s0
	s_cbranch_execz .LBB45_154
; %bb.1:
	s_clause 0x5
	s_load_b128 s[4:7], s[12:13], 0x4
	s_load_b64 s[16:17], s[12:13], 0x14
	s_load_b128 s[8:11], s[12:13], 0xc4
	s_load_b64 s[18:19], s[12:13], 0xd4
	s_load_b64 s[14:15], s[12:13], 0x198
	s_load_b128 s[0:3], s[12:13], 0x188
	s_cmp_lg_u32 s26, 0
	s_mov_b32 s23, s21
	s_cselect_b32 s34, -1, 0
	s_min_u32 s31, s27, 15
	s_cmp_gt_u32 s26, 1
	s_cselect_b32 s30, -1, 0
	s_wait_kmcnt 0x0
	s_mov_b32 s20, s5
	s_mov_b32 s22, s16
	s_mov_b32 s5, exec_lo
	v_cmpx_gt_i32_e64 s33, v0
	s_cbranch_execnz .LBB45_9
; %bb.2:
	s_or_b32 exec_lo, exec_lo, s5
	s_delay_alu instid0(SALU_CYCLE_1)
	s_mov_b32 s5, exec_lo
	v_cmpx_gt_i32_e64 s33, v0
	s_cbranch_execnz .LBB45_27
.LBB45_3:
	s_or_b32 exec_lo, exec_lo, s5
	s_delay_alu instid0(SALU_CYCLE_1)
	s_mov_b32 s5, exec_lo
	v_cmpx_gt_i32_e64 s33, v0
	s_cbranch_execnz .LBB45_45
.LBB45_4:
	s_or_b32 exec_lo, exec_lo, s5
	s_delay_alu instid0(SALU_CYCLE_1)
	s_mov_b32 s5, exec_lo
	v_cmpx_gt_i32_e64 s33, v0
	s_cbranch_execnz .LBB45_63
.LBB45_5:
	s_or_b32 exec_lo, exec_lo, s5
	s_delay_alu instid0(SALU_CYCLE_1)
	s_mov_b32 s5, exec_lo
	v_cmpx_gt_i32_e64 s33, v0
	s_cbranch_execnz .LBB45_81
.LBB45_6:
	s_or_b32 exec_lo, exec_lo, s5
	s_delay_alu instid0(SALU_CYCLE_1)
	s_mov_b32 s5, exec_lo
	v_cmpx_gt_i32_e64 s33, v0
	s_cbranch_execnz .LBB45_99
.LBB45_7:
	s_or_b32 exec_lo, exec_lo, s5
	s_delay_alu instid0(SALU_CYCLE_1)
	s_mov_b32 s5, exec_lo
	v_cmpx_gt_i32_e64 s33, v0
	s_cbranch_execnz .LBB45_117
.LBB45_8:
	s_or_b32 exec_lo, exec_lo, s5
	s_delay_alu instid0(SALU_CYCLE_1)
	s_mov_b32 s5, exec_lo
	v_cmpx_gt_i32_e64 s33, v0
	s_cbranch_execnz .LBB45_135
	s_branch .LBB45_153
.LBB45_9:
	s_and_not1_b32 vcc_lo, exec_lo, s28
	s_cbranch_vccnz .LBB45_15
; %bb.10:
	s_and_not1_b32 vcc_lo, exec_lo, s34
	s_cbranch_vccnz .LBB45_16
; %bb.11:
	v_dual_mov_b32 v4, 0 :: v_dual_mov_b32 v1, v0
	v_dual_mov_b32 v6, 0 :: v_dual_mov_b32 v5, 0
	s_add_co_i32 s16, s31, 1
	s_mov_b64 s[24:25], 0xffffffffffffffe8
	s_and_b32 s16, s16, 30
	s_add_nc_u64 s[24:25], s[12:13], s[24:25]
.LBB45_12:                              ; =>This Inner Loop Header: Depth=1
	s_clause 0x1
	s_load_b128 s[36:39], s[24:25], 0x1c
	s_load_b64 s[44:45], s[24:25], 0x2c
	s_add_co_i32 s16, s16, -2
	s_delay_alu instid0(SALU_CYCLE_1) | instskip(SKIP_2) | instid1(VALU_DEP_1)
	s_cmp_lg_u32 s16, 0
	s_wait_kmcnt 0x0
	v_mul_hi_u32 v2, s37, v1
	v_add_nc_u32_e32 v2, v1, v2
	s_delay_alu instid0(VALU_DEP_1) | instskip(NEXT) | instid1(VALU_DEP_1)
	v_lshrrev_b32_e32 v2, s38, v2
	v_mul_hi_u32 v3, s44, v2
	v_mul_lo_u32 v7, v2, s36
	s_clause 0x1
	s_load_b128 s[40:43], s[24:25], 0xdc
	s_load_b64 s[36:37], s[24:25], 0xec
	s_wait_xcnt 0x0
	s_add_nc_u64 s[24:25], s[24:25], 24
	s_delay_alu instid0(VALU_DEP_2) | instskip(NEXT) | instid1(VALU_DEP_2)
	v_add_nc_u32_e32 v3, v2, v3
	v_sub_nc_u32_e32 v7, v1, v7
	s_delay_alu instid0(VALU_DEP_2) | instskip(SKIP_1) | instid1(VALU_DEP_2)
	v_lshrrev_b32_e32 v1, s45, v3
	s_wait_kmcnt 0x0
	v_mad_u32 v4, v7, s40, v4
	s_delay_alu instid0(VALU_DEP_2) | instskip(SKIP_2) | instid1(VALU_DEP_3)
	v_mul_lo_u32 v3, v1, s39
	v_mad_u32 v5, v7, s42, v5
	v_mad_u32 v6, v7, s41, v6
	v_sub_nc_u32_e32 v2, v2, v3
	s_delay_alu instid0(VALU_DEP_1) | instskip(NEXT) | instid1(VALU_DEP_4)
	v_mad_u32 v4, v2, s43, v4
	v_mad_u32 v5, v2, s37, v5
	s_delay_alu instid0(VALU_DEP_4)
	v_mad_u32 v6, v2, s36, v6
	s_cbranch_scc1 .LBB45_12
; %bb.13:
	s_bitcmp1_b32 s31, 0
	s_cselect_b32 s16, -1, 0
	s_delay_alu instid0(SALU_CYCLE_1)
	s_and_b32 vcc_lo, exec_lo, s16
	s_cbranch_vccnz .LBB45_17
; %bb.14:
	s_clause 0x1
	s_load_b96 s[36:38], s[24:25], 0x1c
	s_load_b96 s[40:42], s[24:25], 0xdc
	s_wait_kmcnt 0x0
	v_mul_hi_u32 v2, s37, v1
	s_delay_alu instid0(VALU_DEP_1) | instskip(NEXT) | instid1(VALU_DEP_1)
	v_add_nc_u32_e32 v2, v1, v2
	v_lshrrev_b32_e32 v2, s38, v2
	s_delay_alu instid0(VALU_DEP_1) | instskip(NEXT) | instid1(VALU_DEP_1)
	v_mul_lo_u32 v2, v2, s36
	v_sub_nc_u32_e32 v1, v1, v2
	s_delay_alu instid0(VALU_DEP_1)
	v_mad_u32 v4, v1, s40, v4
	v_mad_u32 v6, v1, s41, v6
	;; [unrolled: 1-line block ×3, first 2 shown]
	s_cbranch_execz .LBB45_18
	s_branch .LBB45_20
.LBB45_15:
                                        ; implicit-def: $vgpr5
                                        ; implicit-def: $vgpr6
                                        ; implicit-def: $vgpr4
	s_branch .LBB45_18
.LBB45_16:
	v_dual_mov_b32 v5, 0 :: v_dual_mov_b32 v6, 0
	v_mov_b32_e32 v4, 0
.LBB45_17:
	s_cbranch_execnz .LBB45_20
.LBB45_18:
	v_mov_b32_e32 v1, 0
	s_and_not1_b32 vcc_lo, exec_lo, s30
	s_delay_alu instid0(VALU_DEP_1) | instskip(NEXT) | instid1(VALU_DEP_1)
	v_mul_u64_e32 v[2:3], s[20:21], v[0:1]
	v_add_nc_u32_e32 v2, v0, v3
	s_delay_alu instid0(VALU_DEP_1) | instskip(NEXT) | instid1(VALU_DEP_1)
	v_lshrrev_b32_e32 v2, s6, v2
	v_mul_lo_u32 v3, v2, s4
	s_delay_alu instid0(VALU_DEP_1) | instskip(NEXT) | instid1(VALU_DEP_1)
	v_sub_nc_u32_e32 v3, v0, v3
	v_mul_lo_u32 v4, v3, s8
	v_mul_lo_u32 v5, v3, s10
	;; [unrolled: 1-line block ×3, first 2 shown]
	s_cbranch_vccnz .LBB45_20
; %bb.19:
	v_mov_b32_e32 v3, v1
	s_delay_alu instid0(VALU_DEP_1) | instskip(NEXT) | instid1(VALU_DEP_1)
	v_mul_u64_e32 v[8:9], s[22:23], v[2:3]
	v_add_nc_u32_e32 v1, v2, v9
	s_delay_alu instid0(VALU_DEP_1) | instskip(NEXT) | instid1(VALU_DEP_1)
	v_lshrrev_b32_e32 v1, s17, v1
	v_mul_lo_u32 v1, v1, s7
	s_delay_alu instid0(VALU_DEP_1) | instskip(NEXT) | instid1(VALU_DEP_1)
	v_sub_nc_u32_e32 v1, v2, v1
	v_mad_u32 v4, v1, s11, v4
	v_mad_u32 v6, v1, s18, v6
	;; [unrolled: 1-line block ×3, first 2 shown]
.LBB45_20:
	global_load_u8 v2, v6, s[2:3]
	global_load_u8 v1, v5, s[14:15]
	s_mov_b32 s24, 0
	s_mov_b32 s16, exec_lo
	s_wait_loadcnt 0x0
	v_mov_b32_e32 v3, v1
	v_cmpx_ne_u16_e32 0, v2
	s_cbranch_execz .LBB45_24
; %bb.21:
	v_dual_mov_b32 v6, v2 :: v_dual_mov_b32 v5, v1
.LBB45_22:                              ; =>This Inner Loop Header: Depth=1
	s_delay_alu instid0(VALU_DEP_1) | instskip(NEXT) | instid1(VALU_DEP_2)
	v_cvt_f32_ubyte0_e32 v8, v5
	v_mov_b32_e32 v3, v6
	s_delay_alu instid0(VALU_DEP_1) | instskip(NEXT) | instid1(VALU_DEP_1)
	v_cvt_f32_ubyte0_e32 v6, v3
	v_rcp_iflag_f32_e32 v7, v6
	v_nop
	s_delay_alu instid0(TRANS32_DEP_1) | instskip(NEXT) | instid1(VALU_DEP_1)
	v_mul_f32_e32 v7, v8, v7
	v_trunc_f32_e32 v7, v7
	s_delay_alu instid0(VALU_DEP_1) | instskip(SKIP_1) | instid1(VALU_DEP_2)
	v_fma_f32 v8, -v7, v6, v8
	v_cvt_u32_f32_e32 v7, v7
	v_cmp_ge_f32_e64 vcc_lo, |v8|, v6
	s_delay_alu instid0(VALU_DEP_1) | instskip(NEXT) | instid1(VALU_DEP_1)
	v_add_co_ci_u32_e64 v6, null, 0, v7, vcc_lo
	v_mul_lo_u32 v6, v6, v3
	s_delay_alu instid0(VALU_DEP_1) | instskip(NEXT) | instid1(VALU_DEP_1)
	v_sub_nc_u32_e32 v5, v5, v6
	v_and_b32_e32 v6, 0xff, v5
	v_mov_b32_e32 v5, v3
	s_delay_alu instid0(VALU_DEP_2) | instskip(SKIP_1) | instid1(SALU_CYCLE_1)
	v_cmp_eq_u16_e32 vcc_lo, 0, v6
	s_or_b32 s24, vcc_lo, s24
	s_and_not1_b32 exec_lo, exec_lo, s24
	s_cbranch_execnz .LBB45_22
; %bb.23:
	s_or_b32 exec_lo, exec_lo, s24
.LBB45_24:
	s_delay_alu instid0(SALU_CYCLE_1) | instskip(NEXT) | instid1(VALU_DEP_2)
	s_or_b32 exec_lo, exec_lo, s16
	v_and_b32_e32 v6, 0xff, v3
	v_mov_b32_e32 v5, 0
	s_mov_b32 s16, exec_lo
	s_delay_alu instid0(VALU_DEP_2)
	v_cmpx_ne_u16_e32 0, v6
	s_cbranch_execz .LBB45_26
; %bb.25:
	v_cvt_f32_ubyte0_e32 v3, v3
	v_cvt_f32_ubyte0_e32 v2, v2
	s_delay_alu instid0(VALU_DEP_2) | instskip(SKIP_1) | instid1(TRANS32_DEP_1)
	v_rcp_iflag_f32_e32 v5, v3
	v_nop
	v_mul_f32_e32 v5, v2, v5
	s_delay_alu instid0(VALU_DEP_1) | instskip(NEXT) | instid1(VALU_DEP_1)
	v_trunc_f32_e32 v5, v5
	v_fma_f32 v2, -v5, v3, v2
	v_cvt_u32_f32_e32 v5, v5
	s_delay_alu instid0(VALU_DEP_2) | instskip(NEXT) | instid1(VALU_DEP_1)
	v_cmp_ge_f32_e64 vcc_lo, |v2|, v3
	v_add_co_ci_u32_e64 v2, null, 0, v5, vcc_lo
	s_delay_alu instid0(VALU_DEP_1)
	v_mul_lo_u16 v5, v2, v1
.LBB45_26:
	s_or_b32 exec_lo, exec_lo, s16
	v_add_nc_u32_e32 v0, 0x80, v0
	global_store_b8 v4, v5, s[0:1]
	s_wait_xcnt 0x0
	s_or_b32 exec_lo, exec_lo, s5
	s_delay_alu instid0(SALU_CYCLE_1)
	s_mov_b32 s5, exec_lo
	v_cmpx_gt_i32_e64 s33, v0
	s_cbranch_execz .LBB45_3
.LBB45_27:
	s_and_not1_b32 vcc_lo, exec_lo, s28
	s_cbranch_vccnz .LBB45_33
; %bb.28:
	s_and_not1_b32 vcc_lo, exec_lo, s34
	s_cbranch_vccnz .LBB45_34
; %bb.29:
	v_dual_mov_b32 v4, 0 :: v_dual_mov_b32 v1, v0
	v_dual_mov_b32 v6, 0 :: v_dual_mov_b32 v5, 0
	s_add_co_i32 s16, s31, 1
	s_mov_b64 s[24:25], 0xffffffffffffffe8
	s_and_b32 s16, s16, 30
	s_add_nc_u64 s[24:25], s[12:13], s[24:25]
.LBB45_30:                              ; =>This Inner Loop Header: Depth=1
	s_clause 0x1
	s_load_b128 s[36:39], s[24:25], 0x1c
	s_load_b64 s[44:45], s[24:25], 0x2c
	s_add_co_i32 s16, s16, -2
	s_delay_alu instid0(SALU_CYCLE_1) | instskip(SKIP_2) | instid1(VALU_DEP_1)
	s_cmp_eq_u32 s16, 0
	s_wait_kmcnt 0x0
	v_mul_hi_u32 v2, s37, v1
	v_add_nc_u32_e32 v2, v1, v2
	s_delay_alu instid0(VALU_DEP_1) | instskip(NEXT) | instid1(VALU_DEP_1)
	v_lshrrev_b32_e32 v2, s38, v2
	v_mul_hi_u32 v3, s44, v2
	v_mul_lo_u32 v7, v2, s36
	s_clause 0x1
	s_load_b128 s[40:43], s[24:25], 0xdc
	s_load_b64 s[36:37], s[24:25], 0xec
	s_wait_xcnt 0x0
	s_add_nc_u64 s[24:25], s[24:25], 24
	s_delay_alu instid0(VALU_DEP_2) | instskip(NEXT) | instid1(VALU_DEP_2)
	v_add_nc_u32_e32 v3, v2, v3
	v_sub_nc_u32_e32 v7, v1, v7
	s_delay_alu instid0(VALU_DEP_2) | instskip(SKIP_1) | instid1(VALU_DEP_2)
	v_lshrrev_b32_e32 v1, s45, v3
	s_wait_kmcnt 0x0
	v_mad_u32 v4, v7, s40, v4
	s_delay_alu instid0(VALU_DEP_2) | instskip(SKIP_2) | instid1(VALU_DEP_3)
	v_mul_lo_u32 v3, v1, s39
	v_mad_u32 v5, v7, s42, v5
	v_mad_u32 v6, v7, s41, v6
	v_sub_nc_u32_e32 v2, v2, v3
	s_delay_alu instid0(VALU_DEP_1) | instskip(NEXT) | instid1(VALU_DEP_4)
	v_mad_u32 v4, v2, s43, v4
	v_mad_u32 v5, v2, s37, v5
	s_delay_alu instid0(VALU_DEP_4)
	v_mad_u32 v6, v2, s36, v6
	s_cbranch_scc0 .LBB45_30
; %bb.31:
	s_bitcmp1_b32 s31, 0
	s_cselect_b32 s16, -1, 0
	s_delay_alu instid0(SALU_CYCLE_1)
	s_and_b32 vcc_lo, exec_lo, s16
	s_cbranch_vccnz .LBB45_35
; %bb.32:
	s_clause 0x1
	s_load_b96 s[36:38], s[24:25], 0x1c
	s_load_b96 s[40:42], s[24:25], 0xdc
	s_wait_kmcnt 0x0
	v_mul_hi_u32 v2, s37, v1
	s_delay_alu instid0(VALU_DEP_1) | instskip(NEXT) | instid1(VALU_DEP_1)
	v_add_nc_u32_e32 v2, v1, v2
	v_lshrrev_b32_e32 v2, s38, v2
	s_delay_alu instid0(VALU_DEP_1) | instskip(NEXT) | instid1(VALU_DEP_1)
	v_mul_lo_u32 v2, v2, s36
	v_sub_nc_u32_e32 v1, v1, v2
	s_delay_alu instid0(VALU_DEP_1)
	v_mad_u32 v4, v1, s40, v4
	v_mad_u32 v6, v1, s41, v6
	;; [unrolled: 1-line block ×3, first 2 shown]
	s_branch .LBB45_35
.LBB45_33:
                                        ; implicit-def: $vgpr5
                                        ; implicit-def: $vgpr6
                                        ; implicit-def: $vgpr4
	s_branch .LBB45_36
.LBB45_34:
	v_dual_mov_b32 v5, 0 :: v_dual_mov_b32 v6, 0
	v_mov_b32_e32 v4, 0
.LBB45_35:
	s_cbranch_execnz .LBB45_38
.LBB45_36:
	v_mov_b32_e32 v1, 0
	s_and_not1_b32 vcc_lo, exec_lo, s30
	s_delay_alu instid0(VALU_DEP_1) | instskip(NEXT) | instid1(VALU_DEP_1)
	v_mul_u64_e32 v[2:3], s[20:21], v[0:1]
	v_add_nc_u32_e32 v2, v0, v3
	s_delay_alu instid0(VALU_DEP_1) | instskip(NEXT) | instid1(VALU_DEP_1)
	v_lshrrev_b32_e32 v2, s6, v2
	v_mul_lo_u32 v3, v2, s4
	s_delay_alu instid0(VALU_DEP_1) | instskip(NEXT) | instid1(VALU_DEP_1)
	v_sub_nc_u32_e32 v3, v0, v3
	v_mul_lo_u32 v4, v3, s8
	v_mul_lo_u32 v5, v3, s10
	;; [unrolled: 1-line block ×3, first 2 shown]
	s_cbranch_vccnz .LBB45_38
; %bb.37:
	v_mov_b32_e32 v3, v1
	s_delay_alu instid0(VALU_DEP_1) | instskip(NEXT) | instid1(VALU_DEP_1)
	v_mul_u64_e32 v[8:9], s[22:23], v[2:3]
	v_add_nc_u32_e32 v1, v2, v9
	s_delay_alu instid0(VALU_DEP_1) | instskip(NEXT) | instid1(VALU_DEP_1)
	v_lshrrev_b32_e32 v1, s17, v1
	v_mul_lo_u32 v1, v1, s7
	s_delay_alu instid0(VALU_DEP_1) | instskip(NEXT) | instid1(VALU_DEP_1)
	v_sub_nc_u32_e32 v1, v2, v1
	v_mad_u32 v4, v1, s11, v4
	v_mad_u32 v6, v1, s18, v6
	;; [unrolled: 1-line block ×3, first 2 shown]
.LBB45_38:
	global_load_u8 v2, v6, s[2:3]
	global_load_u8 v1, v5, s[14:15]
	s_mov_b32 s24, 0
	s_mov_b32 s16, exec_lo
	s_wait_loadcnt 0x0
	v_mov_b32_e32 v3, v1
	s_wait_xcnt 0x0
	v_cmpx_ne_u16_e32 0, v2
	s_cbranch_execz .LBB45_42
; %bb.39:
	v_dual_mov_b32 v6, v2 :: v_dual_mov_b32 v5, v1
.LBB45_40:                              ; =>This Inner Loop Header: Depth=1
	s_delay_alu instid0(VALU_DEP_1) | instskip(NEXT) | instid1(VALU_DEP_2)
	v_cvt_f32_ubyte0_e32 v8, v5
	v_mov_b32_e32 v3, v6
	s_delay_alu instid0(VALU_DEP_1) | instskip(NEXT) | instid1(VALU_DEP_1)
	v_cvt_f32_ubyte0_e32 v6, v3
	v_rcp_iflag_f32_e32 v7, v6
	v_nop
	s_delay_alu instid0(TRANS32_DEP_1) | instskip(NEXT) | instid1(VALU_DEP_1)
	v_mul_f32_e32 v7, v8, v7
	v_trunc_f32_e32 v7, v7
	s_delay_alu instid0(VALU_DEP_1) | instskip(SKIP_1) | instid1(VALU_DEP_2)
	v_fma_f32 v8, -v7, v6, v8
	v_cvt_u32_f32_e32 v7, v7
	v_cmp_ge_f32_e64 vcc_lo, |v8|, v6
	s_delay_alu instid0(VALU_DEP_1) | instskip(NEXT) | instid1(VALU_DEP_1)
	v_add_co_ci_u32_e64 v6, null, 0, v7, vcc_lo
	v_mul_lo_u32 v6, v6, v3
	s_delay_alu instid0(VALU_DEP_1) | instskip(NEXT) | instid1(VALU_DEP_1)
	v_sub_nc_u32_e32 v5, v5, v6
	v_and_b32_e32 v6, 0xff, v5
	v_mov_b32_e32 v5, v3
	s_delay_alu instid0(VALU_DEP_2) | instskip(SKIP_1) | instid1(SALU_CYCLE_1)
	v_cmp_eq_u16_e32 vcc_lo, 0, v6
	s_or_b32 s24, vcc_lo, s24
	s_and_not1_b32 exec_lo, exec_lo, s24
	s_cbranch_execnz .LBB45_40
; %bb.41:
	s_or_b32 exec_lo, exec_lo, s24
.LBB45_42:
	s_delay_alu instid0(SALU_CYCLE_1) | instskip(SKIP_3) | instid1(VALU_DEP_2)
	s_or_b32 exec_lo, exec_lo, s16
	v_and_b32_e32 v6, 0xff, v3
	v_mov_b32_e32 v5, 0
	s_mov_b32 s16, exec_lo
	v_cmpx_ne_u16_e32 0, v6
	s_cbranch_execz .LBB45_44
; %bb.43:
	v_cvt_f32_ubyte0_e32 v3, v3
	v_cvt_f32_ubyte0_e32 v2, v2
	s_delay_alu instid0(VALU_DEP_2) | instskip(SKIP_1) | instid1(TRANS32_DEP_1)
	v_rcp_iflag_f32_e32 v5, v3
	v_nop
	v_mul_f32_e32 v5, v2, v5
	s_delay_alu instid0(VALU_DEP_1) | instskip(NEXT) | instid1(VALU_DEP_1)
	v_trunc_f32_e32 v5, v5
	v_fma_f32 v2, -v5, v3, v2
	v_cvt_u32_f32_e32 v5, v5
	s_delay_alu instid0(VALU_DEP_2) | instskip(NEXT) | instid1(VALU_DEP_1)
	v_cmp_ge_f32_e64 vcc_lo, |v2|, v3
	v_add_co_ci_u32_e64 v2, null, 0, v5, vcc_lo
	s_delay_alu instid0(VALU_DEP_1)
	v_mul_lo_u16 v5, v2, v1
.LBB45_44:
	s_or_b32 exec_lo, exec_lo, s16
	v_add_nc_u32_e32 v0, 0x80, v0
	global_store_b8 v4, v5, s[0:1]
	s_wait_xcnt 0x0
	s_or_b32 exec_lo, exec_lo, s5
	s_delay_alu instid0(SALU_CYCLE_1)
	s_mov_b32 s5, exec_lo
	v_cmpx_gt_i32_e64 s33, v0
	s_cbranch_execz .LBB45_4
.LBB45_45:
	s_and_not1_b32 vcc_lo, exec_lo, s28
	s_cbranch_vccnz .LBB45_51
; %bb.46:
	s_and_not1_b32 vcc_lo, exec_lo, s34
	s_cbranch_vccnz .LBB45_52
; %bb.47:
	v_dual_mov_b32 v4, 0 :: v_dual_mov_b32 v1, v0
	v_dual_mov_b32 v6, 0 :: v_dual_mov_b32 v5, 0
	s_add_co_i32 s16, s31, 1
	s_mov_b64 s[24:25], 0xffffffffffffffe8
	s_and_b32 s16, s16, 30
	s_add_nc_u64 s[24:25], s[12:13], s[24:25]
.LBB45_48:                              ; =>This Inner Loop Header: Depth=1
	s_clause 0x1
	s_load_b128 s[36:39], s[24:25], 0x1c
	s_load_b64 s[44:45], s[24:25], 0x2c
	s_add_co_i32 s16, s16, -2
	s_delay_alu instid0(SALU_CYCLE_1) | instskip(SKIP_2) | instid1(VALU_DEP_1)
	s_cmp_eq_u32 s16, 0
	s_wait_kmcnt 0x0
	v_mul_hi_u32 v2, s37, v1
	v_add_nc_u32_e32 v2, v1, v2
	s_delay_alu instid0(VALU_DEP_1) | instskip(NEXT) | instid1(VALU_DEP_1)
	v_lshrrev_b32_e32 v2, s38, v2
	v_mul_hi_u32 v3, s44, v2
	v_mul_lo_u32 v7, v2, s36
	s_clause 0x1
	s_load_b128 s[40:43], s[24:25], 0xdc
	s_load_b64 s[36:37], s[24:25], 0xec
	s_wait_xcnt 0x0
	s_add_nc_u64 s[24:25], s[24:25], 24
	s_delay_alu instid0(VALU_DEP_2) | instskip(NEXT) | instid1(VALU_DEP_2)
	v_add_nc_u32_e32 v3, v2, v3
	v_sub_nc_u32_e32 v7, v1, v7
	s_delay_alu instid0(VALU_DEP_2) | instskip(SKIP_1) | instid1(VALU_DEP_2)
	v_lshrrev_b32_e32 v1, s45, v3
	s_wait_kmcnt 0x0
	v_mad_u32 v4, v7, s40, v4
	s_delay_alu instid0(VALU_DEP_2) | instskip(SKIP_2) | instid1(VALU_DEP_3)
	v_mul_lo_u32 v3, v1, s39
	v_mad_u32 v5, v7, s42, v5
	v_mad_u32 v6, v7, s41, v6
	v_sub_nc_u32_e32 v2, v2, v3
	s_delay_alu instid0(VALU_DEP_1) | instskip(NEXT) | instid1(VALU_DEP_4)
	v_mad_u32 v4, v2, s43, v4
	v_mad_u32 v5, v2, s37, v5
	s_delay_alu instid0(VALU_DEP_4)
	v_mad_u32 v6, v2, s36, v6
	s_cbranch_scc0 .LBB45_48
; %bb.49:
	s_bitcmp1_b32 s31, 0
	s_cselect_b32 s16, -1, 0
	s_delay_alu instid0(SALU_CYCLE_1)
	s_and_b32 vcc_lo, exec_lo, s16
	s_cbranch_vccnz .LBB45_53
; %bb.50:
	s_clause 0x1
	s_load_b96 s[36:38], s[24:25], 0x1c
	s_load_b96 s[40:42], s[24:25], 0xdc
	s_wait_kmcnt 0x0
	v_mul_hi_u32 v2, s37, v1
	s_delay_alu instid0(VALU_DEP_1) | instskip(NEXT) | instid1(VALU_DEP_1)
	v_add_nc_u32_e32 v2, v1, v2
	v_lshrrev_b32_e32 v2, s38, v2
	s_delay_alu instid0(VALU_DEP_1) | instskip(NEXT) | instid1(VALU_DEP_1)
	v_mul_lo_u32 v2, v2, s36
	v_sub_nc_u32_e32 v1, v1, v2
	s_delay_alu instid0(VALU_DEP_1)
	v_mad_u32 v4, v1, s40, v4
	v_mad_u32 v6, v1, s41, v6
	;; [unrolled: 1-line block ×3, first 2 shown]
	s_branch .LBB45_53
.LBB45_51:
                                        ; implicit-def: $vgpr5
                                        ; implicit-def: $vgpr6
                                        ; implicit-def: $vgpr4
	s_branch .LBB45_54
.LBB45_52:
	v_dual_mov_b32 v5, 0 :: v_dual_mov_b32 v6, 0
	v_mov_b32_e32 v4, 0
.LBB45_53:
	s_cbranch_execnz .LBB45_56
.LBB45_54:
	v_mov_b32_e32 v1, 0
	s_and_not1_b32 vcc_lo, exec_lo, s30
	s_delay_alu instid0(VALU_DEP_1) | instskip(NEXT) | instid1(VALU_DEP_1)
	v_mul_u64_e32 v[2:3], s[20:21], v[0:1]
	v_add_nc_u32_e32 v2, v0, v3
	s_delay_alu instid0(VALU_DEP_1) | instskip(NEXT) | instid1(VALU_DEP_1)
	v_lshrrev_b32_e32 v2, s6, v2
	v_mul_lo_u32 v3, v2, s4
	s_delay_alu instid0(VALU_DEP_1) | instskip(NEXT) | instid1(VALU_DEP_1)
	v_sub_nc_u32_e32 v3, v0, v3
	v_mul_lo_u32 v4, v3, s8
	v_mul_lo_u32 v5, v3, s10
	;; [unrolled: 1-line block ×3, first 2 shown]
	s_cbranch_vccnz .LBB45_56
; %bb.55:
	v_mov_b32_e32 v3, v1
	s_delay_alu instid0(VALU_DEP_1) | instskip(NEXT) | instid1(VALU_DEP_1)
	v_mul_u64_e32 v[8:9], s[22:23], v[2:3]
	v_add_nc_u32_e32 v1, v2, v9
	s_delay_alu instid0(VALU_DEP_1) | instskip(NEXT) | instid1(VALU_DEP_1)
	v_lshrrev_b32_e32 v1, s17, v1
	v_mul_lo_u32 v1, v1, s7
	s_delay_alu instid0(VALU_DEP_1) | instskip(NEXT) | instid1(VALU_DEP_1)
	v_sub_nc_u32_e32 v1, v2, v1
	v_mad_u32 v4, v1, s11, v4
	v_mad_u32 v6, v1, s18, v6
	;; [unrolled: 1-line block ×3, first 2 shown]
.LBB45_56:
	global_load_u8 v2, v6, s[2:3]
	global_load_u8 v1, v5, s[14:15]
	s_mov_b32 s24, 0
	s_mov_b32 s16, exec_lo
	s_wait_loadcnt 0x0
	v_mov_b32_e32 v3, v1
	s_wait_xcnt 0x0
	v_cmpx_ne_u16_e32 0, v2
	s_cbranch_execz .LBB45_60
; %bb.57:
	v_dual_mov_b32 v6, v2 :: v_dual_mov_b32 v5, v1
.LBB45_58:                              ; =>This Inner Loop Header: Depth=1
	s_delay_alu instid0(VALU_DEP_1) | instskip(NEXT) | instid1(VALU_DEP_2)
	v_cvt_f32_ubyte0_e32 v8, v5
	v_mov_b32_e32 v3, v6
	s_delay_alu instid0(VALU_DEP_1) | instskip(NEXT) | instid1(VALU_DEP_1)
	v_cvt_f32_ubyte0_e32 v6, v3
	v_rcp_iflag_f32_e32 v7, v6
	v_nop
	s_delay_alu instid0(TRANS32_DEP_1) | instskip(NEXT) | instid1(VALU_DEP_1)
	v_mul_f32_e32 v7, v8, v7
	v_trunc_f32_e32 v7, v7
	s_delay_alu instid0(VALU_DEP_1) | instskip(SKIP_1) | instid1(VALU_DEP_2)
	v_fma_f32 v8, -v7, v6, v8
	v_cvt_u32_f32_e32 v7, v7
	v_cmp_ge_f32_e64 vcc_lo, |v8|, v6
	s_delay_alu instid0(VALU_DEP_1) | instskip(NEXT) | instid1(VALU_DEP_1)
	v_add_co_ci_u32_e64 v6, null, 0, v7, vcc_lo
	v_mul_lo_u32 v6, v6, v3
	s_delay_alu instid0(VALU_DEP_1) | instskip(NEXT) | instid1(VALU_DEP_1)
	v_sub_nc_u32_e32 v5, v5, v6
	v_and_b32_e32 v6, 0xff, v5
	v_mov_b32_e32 v5, v3
	s_delay_alu instid0(VALU_DEP_2) | instskip(SKIP_1) | instid1(SALU_CYCLE_1)
	v_cmp_eq_u16_e32 vcc_lo, 0, v6
	s_or_b32 s24, vcc_lo, s24
	s_and_not1_b32 exec_lo, exec_lo, s24
	s_cbranch_execnz .LBB45_58
; %bb.59:
	s_or_b32 exec_lo, exec_lo, s24
.LBB45_60:
	s_delay_alu instid0(SALU_CYCLE_1) | instskip(SKIP_3) | instid1(VALU_DEP_2)
	s_or_b32 exec_lo, exec_lo, s16
	v_and_b32_e32 v6, 0xff, v3
	v_mov_b32_e32 v5, 0
	s_mov_b32 s16, exec_lo
	v_cmpx_ne_u16_e32 0, v6
	s_cbranch_execz .LBB45_62
; %bb.61:
	v_cvt_f32_ubyte0_e32 v3, v3
	v_cvt_f32_ubyte0_e32 v2, v2
	s_delay_alu instid0(VALU_DEP_2) | instskip(SKIP_1) | instid1(TRANS32_DEP_1)
	v_rcp_iflag_f32_e32 v5, v3
	v_nop
	v_mul_f32_e32 v5, v2, v5
	s_delay_alu instid0(VALU_DEP_1) | instskip(NEXT) | instid1(VALU_DEP_1)
	v_trunc_f32_e32 v5, v5
	v_fma_f32 v2, -v5, v3, v2
	v_cvt_u32_f32_e32 v5, v5
	s_delay_alu instid0(VALU_DEP_2) | instskip(NEXT) | instid1(VALU_DEP_1)
	v_cmp_ge_f32_e64 vcc_lo, |v2|, v3
	v_add_co_ci_u32_e64 v2, null, 0, v5, vcc_lo
	s_delay_alu instid0(VALU_DEP_1)
	v_mul_lo_u16 v5, v2, v1
.LBB45_62:
	s_or_b32 exec_lo, exec_lo, s16
	v_add_nc_u32_e32 v0, 0x80, v0
	global_store_b8 v4, v5, s[0:1]
	s_wait_xcnt 0x0
	s_or_b32 exec_lo, exec_lo, s5
	s_delay_alu instid0(SALU_CYCLE_1)
	s_mov_b32 s5, exec_lo
	v_cmpx_gt_i32_e64 s33, v0
	s_cbranch_execz .LBB45_5
.LBB45_63:
	s_and_not1_b32 vcc_lo, exec_lo, s28
	s_cbranch_vccnz .LBB45_69
; %bb.64:
	s_and_not1_b32 vcc_lo, exec_lo, s34
	s_cbranch_vccnz .LBB45_70
; %bb.65:
	v_dual_mov_b32 v4, 0 :: v_dual_mov_b32 v1, v0
	v_dual_mov_b32 v6, 0 :: v_dual_mov_b32 v5, 0
	s_add_co_i32 s16, s31, 1
	s_mov_b64 s[24:25], 0xffffffffffffffe8
	s_and_b32 s16, s16, 30
	s_add_nc_u64 s[24:25], s[12:13], s[24:25]
.LBB45_66:                              ; =>This Inner Loop Header: Depth=1
	s_clause 0x1
	s_load_b128 s[36:39], s[24:25], 0x1c
	s_load_b64 s[44:45], s[24:25], 0x2c
	s_add_co_i32 s16, s16, -2
	s_delay_alu instid0(SALU_CYCLE_1) | instskip(SKIP_2) | instid1(VALU_DEP_1)
	s_cmp_eq_u32 s16, 0
	s_wait_kmcnt 0x0
	v_mul_hi_u32 v2, s37, v1
	v_add_nc_u32_e32 v2, v1, v2
	s_delay_alu instid0(VALU_DEP_1) | instskip(NEXT) | instid1(VALU_DEP_1)
	v_lshrrev_b32_e32 v2, s38, v2
	v_mul_hi_u32 v3, s44, v2
	v_mul_lo_u32 v7, v2, s36
	s_clause 0x1
	s_load_b128 s[40:43], s[24:25], 0xdc
	s_load_b64 s[36:37], s[24:25], 0xec
	s_wait_xcnt 0x0
	s_add_nc_u64 s[24:25], s[24:25], 24
	s_delay_alu instid0(VALU_DEP_2) | instskip(NEXT) | instid1(VALU_DEP_2)
	v_add_nc_u32_e32 v3, v2, v3
	v_sub_nc_u32_e32 v7, v1, v7
	s_delay_alu instid0(VALU_DEP_2) | instskip(SKIP_1) | instid1(VALU_DEP_2)
	v_lshrrev_b32_e32 v1, s45, v3
	s_wait_kmcnt 0x0
	v_mad_u32 v4, v7, s40, v4
	s_delay_alu instid0(VALU_DEP_2) | instskip(SKIP_2) | instid1(VALU_DEP_3)
	v_mul_lo_u32 v3, v1, s39
	v_mad_u32 v5, v7, s42, v5
	v_mad_u32 v6, v7, s41, v6
	v_sub_nc_u32_e32 v2, v2, v3
	s_delay_alu instid0(VALU_DEP_1) | instskip(NEXT) | instid1(VALU_DEP_4)
	v_mad_u32 v4, v2, s43, v4
	v_mad_u32 v5, v2, s37, v5
	s_delay_alu instid0(VALU_DEP_4)
	v_mad_u32 v6, v2, s36, v6
	s_cbranch_scc0 .LBB45_66
; %bb.67:
	s_bitcmp1_b32 s31, 0
	s_cselect_b32 s16, -1, 0
	s_delay_alu instid0(SALU_CYCLE_1)
	s_and_b32 vcc_lo, exec_lo, s16
	s_cbranch_vccnz .LBB45_71
; %bb.68:
	s_clause 0x1
	s_load_b96 s[36:38], s[24:25], 0x1c
	s_load_b96 s[40:42], s[24:25], 0xdc
	s_wait_kmcnt 0x0
	v_mul_hi_u32 v2, s37, v1
	s_delay_alu instid0(VALU_DEP_1) | instskip(NEXT) | instid1(VALU_DEP_1)
	v_add_nc_u32_e32 v2, v1, v2
	v_lshrrev_b32_e32 v2, s38, v2
	s_delay_alu instid0(VALU_DEP_1) | instskip(NEXT) | instid1(VALU_DEP_1)
	v_mul_lo_u32 v2, v2, s36
	v_sub_nc_u32_e32 v1, v1, v2
	s_delay_alu instid0(VALU_DEP_1)
	v_mad_u32 v4, v1, s40, v4
	v_mad_u32 v6, v1, s41, v6
	;; [unrolled: 1-line block ×3, first 2 shown]
	s_branch .LBB45_71
.LBB45_69:
                                        ; implicit-def: $vgpr5
                                        ; implicit-def: $vgpr6
                                        ; implicit-def: $vgpr4
	s_branch .LBB45_72
.LBB45_70:
	v_dual_mov_b32 v5, 0 :: v_dual_mov_b32 v6, 0
	v_mov_b32_e32 v4, 0
.LBB45_71:
	s_cbranch_execnz .LBB45_74
.LBB45_72:
	v_mov_b32_e32 v1, 0
	s_and_not1_b32 vcc_lo, exec_lo, s30
	s_delay_alu instid0(VALU_DEP_1) | instskip(NEXT) | instid1(VALU_DEP_1)
	v_mul_u64_e32 v[2:3], s[20:21], v[0:1]
	v_add_nc_u32_e32 v2, v0, v3
	s_delay_alu instid0(VALU_DEP_1) | instskip(NEXT) | instid1(VALU_DEP_1)
	v_lshrrev_b32_e32 v2, s6, v2
	v_mul_lo_u32 v3, v2, s4
	s_delay_alu instid0(VALU_DEP_1) | instskip(NEXT) | instid1(VALU_DEP_1)
	v_sub_nc_u32_e32 v3, v0, v3
	v_mul_lo_u32 v4, v3, s8
	v_mul_lo_u32 v5, v3, s10
	v_mul_lo_u32 v6, v3, s9
	s_cbranch_vccnz .LBB45_74
; %bb.73:
	v_mov_b32_e32 v3, v1
	s_delay_alu instid0(VALU_DEP_1) | instskip(NEXT) | instid1(VALU_DEP_1)
	v_mul_u64_e32 v[8:9], s[22:23], v[2:3]
	v_add_nc_u32_e32 v1, v2, v9
	s_delay_alu instid0(VALU_DEP_1) | instskip(NEXT) | instid1(VALU_DEP_1)
	v_lshrrev_b32_e32 v1, s17, v1
	v_mul_lo_u32 v1, v1, s7
	s_delay_alu instid0(VALU_DEP_1) | instskip(NEXT) | instid1(VALU_DEP_1)
	v_sub_nc_u32_e32 v1, v2, v1
	v_mad_u32 v4, v1, s11, v4
	v_mad_u32 v6, v1, s18, v6
	v_mad_u32 v5, v1, s19, v5
.LBB45_74:
	global_load_u8 v2, v6, s[2:3]
	global_load_u8 v1, v5, s[14:15]
	s_mov_b32 s24, 0
	s_mov_b32 s16, exec_lo
	s_wait_loadcnt 0x0
	v_mov_b32_e32 v3, v1
	s_wait_xcnt 0x0
	v_cmpx_ne_u16_e32 0, v2
	s_cbranch_execz .LBB45_78
; %bb.75:
	v_dual_mov_b32 v6, v2 :: v_dual_mov_b32 v5, v1
.LBB45_76:                              ; =>This Inner Loop Header: Depth=1
	s_delay_alu instid0(VALU_DEP_1) | instskip(NEXT) | instid1(VALU_DEP_2)
	v_cvt_f32_ubyte0_e32 v8, v5
	v_mov_b32_e32 v3, v6
	s_delay_alu instid0(VALU_DEP_1) | instskip(NEXT) | instid1(VALU_DEP_1)
	v_cvt_f32_ubyte0_e32 v6, v3
	v_rcp_iflag_f32_e32 v7, v6
	v_nop
	s_delay_alu instid0(TRANS32_DEP_1) | instskip(NEXT) | instid1(VALU_DEP_1)
	v_mul_f32_e32 v7, v8, v7
	v_trunc_f32_e32 v7, v7
	s_delay_alu instid0(VALU_DEP_1) | instskip(SKIP_1) | instid1(VALU_DEP_2)
	v_fma_f32 v8, -v7, v6, v8
	v_cvt_u32_f32_e32 v7, v7
	v_cmp_ge_f32_e64 vcc_lo, |v8|, v6
	s_delay_alu instid0(VALU_DEP_1) | instskip(NEXT) | instid1(VALU_DEP_1)
	v_add_co_ci_u32_e64 v6, null, 0, v7, vcc_lo
	v_mul_lo_u32 v6, v6, v3
	s_delay_alu instid0(VALU_DEP_1) | instskip(NEXT) | instid1(VALU_DEP_1)
	v_sub_nc_u32_e32 v5, v5, v6
	v_and_b32_e32 v6, 0xff, v5
	v_mov_b32_e32 v5, v3
	s_delay_alu instid0(VALU_DEP_2) | instskip(SKIP_1) | instid1(SALU_CYCLE_1)
	v_cmp_eq_u16_e32 vcc_lo, 0, v6
	s_or_b32 s24, vcc_lo, s24
	s_and_not1_b32 exec_lo, exec_lo, s24
	s_cbranch_execnz .LBB45_76
; %bb.77:
	s_or_b32 exec_lo, exec_lo, s24
.LBB45_78:
	s_delay_alu instid0(SALU_CYCLE_1) | instskip(SKIP_3) | instid1(VALU_DEP_2)
	s_or_b32 exec_lo, exec_lo, s16
	v_and_b32_e32 v6, 0xff, v3
	v_mov_b32_e32 v5, 0
	s_mov_b32 s16, exec_lo
	v_cmpx_ne_u16_e32 0, v6
	s_cbranch_execz .LBB45_80
; %bb.79:
	v_cvt_f32_ubyte0_e32 v3, v3
	v_cvt_f32_ubyte0_e32 v2, v2
	s_delay_alu instid0(VALU_DEP_2) | instskip(SKIP_1) | instid1(TRANS32_DEP_1)
	v_rcp_iflag_f32_e32 v5, v3
	v_nop
	v_mul_f32_e32 v5, v2, v5
	s_delay_alu instid0(VALU_DEP_1) | instskip(NEXT) | instid1(VALU_DEP_1)
	v_trunc_f32_e32 v5, v5
	v_fma_f32 v2, -v5, v3, v2
	v_cvt_u32_f32_e32 v5, v5
	s_delay_alu instid0(VALU_DEP_2) | instskip(NEXT) | instid1(VALU_DEP_1)
	v_cmp_ge_f32_e64 vcc_lo, |v2|, v3
	v_add_co_ci_u32_e64 v2, null, 0, v5, vcc_lo
	s_delay_alu instid0(VALU_DEP_1)
	v_mul_lo_u16 v5, v2, v1
.LBB45_80:
	s_or_b32 exec_lo, exec_lo, s16
	v_add_nc_u32_e32 v0, 0x80, v0
	global_store_b8 v4, v5, s[0:1]
	s_wait_xcnt 0x0
	s_or_b32 exec_lo, exec_lo, s5
	s_delay_alu instid0(SALU_CYCLE_1)
	s_mov_b32 s5, exec_lo
	v_cmpx_gt_i32_e64 s33, v0
	s_cbranch_execz .LBB45_6
.LBB45_81:
	s_and_not1_b32 vcc_lo, exec_lo, s28
	s_cbranch_vccnz .LBB45_87
; %bb.82:
	s_and_not1_b32 vcc_lo, exec_lo, s34
	s_cbranch_vccnz .LBB45_88
; %bb.83:
	v_dual_mov_b32 v4, 0 :: v_dual_mov_b32 v1, v0
	v_dual_mov_b32 v6, 0 :: v_dual_mov_b32 v5, 0
	s_add_co_i32 s16, s31, 1
	s_mov_b64 s[24:25], 0xffffffffffffffe8
	s_and_b32 s16, s16, 30
	s_add_nc_u64 s[24:25], s[12:13], s[24:25]
.LBB45_84:                              ; =>This Inner Loop Header: Depth=1
	s_clause 0x1
	s_load_b128 s[36:39], s[24:25], 0x1c
	s_load_b64 s[44:45], s[24:25], 0x2c
	s_add_co_i32 s16, s16, -2
	s_delay_alu instid0(SALU_CYCLE_1) | instskip(SKIP_2) | instid1(VALU_DEP_1)
	s_cmp_eq_u32 s16, 0
	s_wait_kmcnt 0x0
	v_mul_hi_u32 v2, s37, v1
	v_add_nc_u32_e32 v2, v1, v2
	s_delay_alu instid0(VALU_DEP_1) | instskip(NEXT) | instid1(VALU_DEP_1)
	v_lshrrev_b32_e32 v2, s38, v2
	v_mul_hi_u32 v3, s44, v2
	v_mul_lo_u32 v7, v2, s36
	s_clause 0x1
	s_load_b128 s[40:43], s[24:25], 0xdc
	s_load_b64 s[36:37], s[24:25], 0xec
	s_wait_xcnt 0x0
	s_add_nc_u64 s[24:25], s[24:25], 24
	s_delay_alu instid0(VALU_DEP_2) | instskip(NEXT) | instid1(VALU_DEP_2)
	v_add_nc_u32_e32 v3, v2, v3
	v_sub_nc_u32_e32 v7, v1, v7
	s_delay_alu instid0(VALU_DEP_2) | instskip(SKIP_1) | instid1(VALU_DEP_2)
	v_lshrrev_b32_e32 v1, s45, v3
	s_wait_kmcnt 0x0
	v_mad_u32 v4, v7, s40, v4
	s_delay_alu instid0(VALU_DEP_2) | instskip(SKIP_2) | instid1(VALU_DEP_3)
	v_mul_lo_u32 v3, v1, s39
	v_mad_u32 v5, v7, s42, v5
	v_mad_u32 v6, v7, s41, v6
	v_sub_nc_u32_e32 v2, v2, v3
	s_delay_alu instid0(VALU_DEP_1) | instskip(NEXT) | instid1(VALU_DEP_4)
	v_mad_u32 v4, v2, s43, v4
	v_mad_u32 v5, v2, s37, v5
	s_delay_alu instid0(VALU_DEP_4)
	v_mad_u32 v6, v2, s36, v6
	s_cbranch_scc0 .LBB45_84
; %bb.85:
	s_bitcmp1_b32 s31, 0
	s_cselect_b32 s16, -1, 0
	s_delay_alu instid0(SALU_CYCLE_1)
	s_and_b32 vcc_lo, exec_lo, s16
	s_cbranch_vccnz .LBB45_89
; %bb.86:
	s_clause 0x1
	s_load_b96 s[36:38], s[24:25], 0x1c
	s_load_b96 s[40:42], s[24:25], 0xdc
	s_wait_kmcnt 0x0
	v_mul_hi_u32 v2, s37, v1
	s_delay_alu instid0(VALU_DEP_1) | instskip(NEXT) | instid1(VALU_DEP_1)
	v_add_nc_u32_e32 v2, v1, v2
	v_lshrrev_b32_e32 v2, s38, v2
	s_delay_alu instid0(VALU_DEP_1) | instskip(NEXT) | instid1(VALU_DEP_1)
	v_mul_lo_u32 v2, v2, s36
	v_sub_nc_u32_e32 v1, v1, v2
	s_delay_alu instid0(VALU_DEP_1)
	v_mad_u32 v4, v1, s40, v4
	v_mad_u32 v6, v1, s41, v6
	;; [unrolled: 1-line block ×3, first 2 shown]
	s_branch .LBB45_89
.LBB45_87:
                                        ; implicit-def: $vgpr5
                                        ; implicit-def: $vgpr6
                                        ; implicit-def: $vgpr4
	s_branch .LBB45_90
.LBB45_88:
	v_dual_mov_b32 v5, 0 :: v_dual_mov_b32 v6, 0
	v_mov_b32_e32 v4, 0
.LBB45_89:
	s_cbranch_execnz .LBB45_92
.LBB45_90:
	v_mov_b32_e32 v1, 0
	s_and_not1_b32 vcc_lo, exec_lo, s30
	s_delay_alu instid0(VALU_DEP_1) | instskip(NEXT) | instid1(VALU_DEP_1)
	v_mul_u64_e32 v[2:3], s[20:21], v[0:1]
	v_add_nc_u32_e32 v2, v0, v3
	s_delay_alu instid0(VALU_DEP_1) | instskip(NEXT) | instid1(VALU_DEP_1)
	v_lshrrev_b32_e32 v2, s6, v2
	v_mul_lo_u32 v3, v2, s4
	s_delay_alu instid0(VALU_DEP_1) | instskip(NEXT) | instid1(VALU_DEP_1)
	v_sub_nc_u32_e32 v3, v0, v3
	v_mul_lo_u32 v4, v3, s8
	v_mul_lo_u32 v5, v3, s10
	;; [unrolled: 1-line block ×3, first 2 shown]
	s_cbranch_vccnz .LBB45_92
; %bb.91:
	v_mov_b32_e32 v3, v1
	s_delay_alu instid0(VALU_DEP_1) | instskip(NEXT) | instid1(VALU_DEP_1)
	v_mul_u64_e32 v[8:9], s[22:23], v[2:3]
	v_add_nc_u32_e32 v1, v2, v9
	s_delay_alu instid0(VALU_DEP_1) | instskip(NEXT) | instid1(VALU_DEP_1)
	v_lshrrev_b32_e32 v1, s17, v1
	v_mul_lo_u32 v1, v1, s7
	s_delay_alu instid0(VALU_DEP_1) | instskip(NEXT) | instid1(VALU_DEP_1)
	v_sub_nc_u32_e32 v1, v2, v1
	v_mad_u32 v4, v1, s11, v4
	v_mad_u32 v6, v1, s18, v6
	;; [unrolled: 1-line block ×3, first 2 shown]
.LBB45_92:
	global_load_u8 v2, v6, s[2:3]
	global_load_u8 v1, v5, s[14:15]
	s_mov_b32 s24, 0
	s_mov_b32 s16, exec_lo
	s_wait_loadcnt 0x0
	v_mov_b32_e32 v3, v1
	s_wait_xcnt 0x0
	v_cmpx_ne_u16_e32 0, v2
	s_cbranch_execz .LBB45_96
; %bb.93:
	v_dual_mov_b32 v6, v2 :: v_dual_mov_b32 v5, v1
.LBB45_94:                              ; =>This Inner Loop Header: Depth=1
	s_delay_alu instid0(VALU_DEP_1) | instskip(NEXT) | instid1(VALU_DEP_2)
	v_cvt_f32_ubyte0_e32 v8, v5
	v_mov_b32_e32 v3, v6
	s_delay_alu instid0(VALU_DEP_1) | instskip(NEXT) | instid1(VALU_DEP_1)
	v_cvt_f32_ubyte0_e32 v6, v3
	v_rcp_iflag_f32_e32 v7, v6
	v_nop
	s_delay_alu instid0(TRANS32_DEP_1) | instskip(NEXT) | instid1(VALU_DEP_1)
	v_mul_f32_e32 v7, v8, v7
	v_trunc_f32_e32 v7, v7
	s_delay_alu instid0(VALU_DEP_1) | instskip(SKIP_1) | instid1(VALU_DEP_2)
	v_fma_f32 v8, -v7, v6, v8
	v_cvt_u32_f32_e32 v7, v7
	v_cmp_ge_f32_e64 vcc_lo, |v8|, v6
	s_delay_alu instid0(VALU_DEP_1) | instskip(NEXT) | instid1(VALU_DEP_1)
	v_add_co_ci_u32_e64 v6, null, 0, v7, vcc_lo
	v_mul_lo_u32 v6, v6, v3
	s_delay_alu instid0(VALU_DEP_1) | instskip(NEXT) | instid1(VALU_DEP_1)
	v_sub_nc_u32_e32 v5, v5, v6
	v_and_b32_e32 v6, 0xff, v5
	v_mov_b32_e32 v5, v3
	s_delay_alu instid0(VALU_DEP_2) | instskip(SKIP_1) | instid1(SALU_CYCLE_1)
	v_cmp_eq_u16_e32 vcc_lo, 0, v6
	s_or_b32 s24, vcc_lo, s24
	s_and_not1_b32 exec_lo, exec_lo, s24
	s_cbranch_execnz .LBB45_94
; %bb.95:
	s_or_b32 exec_lo, exec_lo, s24
.LBB45_96:
	s_delay_alu instid0(SALU_CYCLE_1) | instskip(SKIP_3) | instid1(VALU_DEP_2)
	s_or_b32 exec_lo, exec_lo, s16
	v_and_b32_e32 v6, 0xff, v3
	v_mov_b32_e32 v5, 0
	s_mov_b32 s16, exec_lo
	v_cmpx_ne_u16_e32 0, v6
	s_cbranch_execz .LBB45_98
; %bb.97:
	v_cvt_f32_ubyte0_e32 v3, v3
	v_cvt_f32_ubyte0_e32 v2, v2
	s_delay_alu instid0(VALU_DEP_2) | instskip(SKIP_1) | instid1(TRANS32_DEP_1)
	v_rcp_iflag_f32_e32 v5, v3
	v_nop
	v_mul_f32_e32 v5, v2, v5
	s_delay_alu instid0(VALU_DEP_1) | instskip(NEXT) | instid1(VALU_DEP_1)
	v_trunc_f32_e32 v5, v5
	v_fma_f32 v2, -v5, v3, v2
	v_cvt_u32_f32_e32 v5, v5
	s_delay_alu instid0(VALU_DEP_2) | instskip(NEXT) | instid1(VALU_DEP_1)
	v_cmp_ge_f32_e64 vcc_lo, |v2|, v3
	v_add_co_ci_u32_e64 v2, null, 0, v5, vcc_lo
	s_delay_alu instid0(VALU_DEP_1)
	v_mul_lo_u16 v5, v2, v1
.LBB45_98:
	s_or_b32 exec_lo, exec_lo, s16
	v_add_nc_u32_e32 v0, 0x80, v0
	global_store_b8 v4, v5, s[0:1]
	s_wait_xcnt 0x0
	s_or_b32 exec_lo, exec_lo, s5
	s_delay_alu instid0(SALU_CYCLE_1)
	s_mov_b32 s5, exec_lo
	v_cmpx_gt_i32_e64 s33, v0
	s_cbranch_execz .LBB45_7
.LBB45_99:
	s_and_not1_b32 vcc_lo, exec_lo, s28
	s_cbranch_vccnz .LBB45_105
; %bb.100:
	s_and_not1_b32 vcc_lo, exec_lo, s34
	s_cbranch_vccnz .LBB45_106
; %bb.101:
	v_dual_mov_b32 v4, 0 :: v_dual_mov_b32 v1, v0
	v_dual_mov_b32 v6, 0 :: v_dual_mov_b32 v5, 0
	s_add_co_i32 s16, s31, 1
	s_mov_b64 s[24:25], 0xffffffffffffffe8
	s_and_b32 s16, s16, 30
	s_add_nc_u64 s[24:25], s[12:13], s[24:25]
.LBB45_102:                             ; =>This Inner Loop Header: Depth=1
	s_clause 0x1
	s_load_b128 s[36:39], s[24:25], 0x1c
	s_load_b64 s[44:45], s[24:25], 0x2c
	s_add_co_i32 s16, s16, -2
	s_delay_alu instid0(SALU_CYCLE_1) | instskip(SKIP_2) | instid1(VALU_DEP_1)
	s_cmp_eq_u32 s16, 0
	s_wait_kmcnt 0x0
	v_mul_hi_u32 v2, s37, v1
	v_add_nc_u32_e32 v2, v1, v2
	s_delay_alu instid0(VALU_DEP_1) | instskip(NEXT) | instid1(VALU_DEP_1)
	v_lshrrev_b32_e32 v2, s38, v2
	v_mul_hi_u32 v3, s44, v2
	v_mul_lo_u32 v7, v2, s36
	s_clause 0x1
	s_load_b128 s[40:43], s[24:25], 0xdc
	s_load_b64 s[36:37], s[24:25], 0xec
	s_wait_xcnt 0x0
	s_add_nc_u64 s[24:25], s[24:25], 24
	s_delay_alu instid0(VALU_DEP_2) | instskip(NEXT) | instid1(VALU_DEP_2)
	v_add_nc_u32_e32 v3, v2, v3
	v_sub_nc_u32_e32 v7, v1, v7
	s_delay_alu instid0(VALU_DEP_2) | instskip(SKIP_1) | instid1(VALU_DEP_2)
	v_lshrrev_b32_e32 v1, s45, v3
	s_wait_kmcnt 0x0
	v_mad_u32 v4, v7, s40, v4
	s_delay_alu instid0(VALU_DEP_2) | instskip(SKIP_2) | instid1(VALU_DEP_3)
	v_mul_lo_u32 v3, v1, s39
	v_mad_u32 v5, v7, s42, v5
	v_mad_u32 v6, v7, s41, v6
	v_sub_nc_u32_e32 v2, v2, v3
	s_delay_alu instid0(VALU_DEP_1) | instskip(NEXT) | instid1(VALU_DEP_4)
	v_mad_u32 v4, v2, s43, v4
	v_mad_u32 v5, v2, s37, v5
	s_delay_alu instid0(VALU_DEP_4)
	v_mad_u32 v6, v2, s36, v6
	s_cbranch_scc0 .LBB45_102
; %bb.103:
	s_bitcmp1_b32 s31, 0
	s_cselect_b32 s16, -1, 0
	s_delay_alu instid0(SALU_CYCLE_1)
	s_and_b32 vcc_lo, exec_lo, s16
	s_cbranch_vccnz .LBB45_107
; %bb.104:
	s_clause 0x1
	s_load_b96 s[36:38], s[24:25], 0x1c
	s_load_b96 s[40:42], s[24:25], 0xdc
	s_wait_kmcnt 0x0
	v_mul_hi_u32 v2, s37, v1
	s_delay_alu instid0(VALU_DEP_1) | instskip(NEXT) | instid1(VALU_DEP_1)
	v_add_nc_u32_e32 v2, v1, v2
	v_lshrrev_b32_e32 v2, s38, v2
	s_delay_alu instid0(VALU_DEP_1) | instskip(NEXT) | instid1(VALU_DEP_1)
	v_mul_lo_u32 v2, v2, s36
	v_sub_nc_u32_e32 v1, v1, v2
	s_delay_alu instid0(VALU_DEP_1)
	v_mad_u32 v4, v1, s40, v4
	v_mad_u32 v6, v1, s41, v6
	;; [unrolled: 1-line block ×3, first 2 shown]
	s_branch .LBB45_107
.LBB45_105:
                                        ; implicit-def: $vgpr5
                                        ; implicit-def: $vgpr6
                                        ; implicit-def: $vgpr4
	s_branch .LBB45_108
.LBB45_106:
	v_dual_mov_b32 v5, 0 :: v_dual_mov_b32 v6, 0
	v_mov_b32_e32 v4, 0
.LBB45_107:
	s_cbranch_execnz .LBB45_110
.LBB45_108:
	v_mov_b32_e32 v1, 0
	s_and_not1_b32 vcc_lo, exec_lo, s30
	s_delay_alu instid0(VALU_DEP_1) | instskip(NEXT) | instid1(VALU_DEP_1)
	v_mul_u64_e32 v[2:3], s[20:21], v[0:1]
	v_add_nc_u32_e32 v2, v0, v3
	s_delay_alu instid0(VALU_DEP_1) | instskip(NEXT) | instid1(VALU_DEP_1)
	v_lshrrev_b32_e32 v2, s6, v2
	v_mul_lo_u32 v3, v2, s4
	s_delay_alu instid0(VALU_DEP_1) | instskip(NEXT) | instid1(VALU_DEP_1)
	v_sub_nc_u32_e32 v3, v0, v3
	v_mul_lo_u32 v4, v3, s8
	v_mul_lo_u32 v5, v3, s10
	;; [unrolled: 1-line block ×3, first 2 shown]
	s_cbranch_vccnz .LBB45_110
; %bb.109:
	v_mov_b32_e32 v3, v1
	s_delay_alu instid0(VALU_DEP_1) | instskip(NEXT) | instid1(VALU_DEP_1)
	v_mul_u64_e32 v[8:9], s[22:23], v[2:3]
	v_add_nc_u32_e32 v1, v2, v9
	s_delay_alu instid0(VALU_DEP_1) | instskip(NEXT) | instid1(VALU_DEP_1)
	v_lshrrev_b32_e32 v1, s17, v1
	v_mul_lo_u32 v1, v1, s7
	s_delay_alu instid0(VALU_DEP_1) | instskip(NEXT) | instid1(VALU_DEP_1)
	v_sub_nc_u32_e32 v1, v2, v1
	v_mad_u32 v4, v1, s11, v4
	v_mad_u32 v6, v1, s18, v6
	;; [unrolled: 1-line block ×3, first 2 shown]
.LBB45_110:
	global_load_u8 v2, v6, s[2:3]
	global_load_u8 v1, v5, s[14:15]
	s_mov_b32 s24, 0
	s_mov_b32 s16, exec_lo
	s_wait_loadcnt 0x0
	v_mov_b32_e32 v3, v1
	s_wait_xcnt 0x0
	v_cmpx_ne_u16_e32 0, v2
	s_cbranch_execz .LBB45_114
; %bb.111:
	v_dual_mov_b32 v6, v2 :: v_dual_mov_b32 v5, v1
.LBB45_112:                             ; =>This Inner Loop Header: Depth=1
	s_delay_alu instid0(VALU_DEP_1) | instskip(NEXT) | instid1(VALU_DEP_2)
	v_cvt_f32_ubyte0_e32 v8, v5
	v_mov_b32_e32 v3, v6
	s_delay_alu instid0(VALU_DEP_1) | instskip(NEXT) | instid1(VALU_DEP_1)
	v_cvt_f32_ubyte0_e32 v6, v3
	v_rcp_iflag_f32_e32 v7, v6
	v_nop
	s_delay_alu instid0(TRANS32_DEP_1) | instskip(NEXT) | instid1(VALU_DEP_1)
	v_mul_f32_e32 v7, v8, v7
	v_trunc_f32_e32 v7, v7
	s_delay_alu instid0(VALU_DEP_1) | instskip(SKIP_1) | instid1(VALU_DEP_2)
	v_fma_f32 v8, -v7, v6, v8
	v_cvt_u32_f32_e32 v7, v7
	v_cmp_ge_f32_e64 vcc_lo, |v8|, v6
	s_delay_alu instid0(VALU_DEP_1) | instskip(NEXT) | instid1(VALU_DEP_1)
	v_add_co_ci_u32_e64 v6, null, 0, v7, vcc_lo
	v_mul_lo_u32 v6, v6, v3
	s_delay_alu instid0(VALU_DEP_1) | instskip(NEXT) | instid1(VALU_DEP_1)
	v_sub_nc_u32_e32 v5, v5, v6
	v_and_b32_e32 v6, 0xff, v5
	v_mov_b32_e32 v5, v3
	s_delay_alu instid0(VALU_DEP_2) | instskip(SKIP_1) | instid1(SALU_CYCLE_1)
	v_cmp_eq_u16_e32 vcc_lo, 0, v6
	s_or_b32 s24, vcc_lo, s24
	s_and_not1_b32 exec_lo, exec_lo, s24
	s_cbranch_execnz .LBB45_112
; %bb.113:
	s_or_b32 exec_lo, exec_lo, s24
.LBB45_114:
	s_delay_alu instid0(SALU_CYCLE_1) | instskip(SKIP_3) | instid1(VALU_DEP_2)
	s_or_b32 exec_lo, exec_lo, s16
	v_and_b32_e32 v6, 0xff, v3
	v_mov_b32_e32 v5, 0
	s_mov_b32 s16, exec_lo
	v_cmpx_ne_u16_e32 0, v6
	s_cbranch_execz .LBB45_116
; %bb.115:
	v_cvt_f32_ubyte0_e32 v3, v3
	v_cvt_f32_ubyte0_e32 v2, v2
	s_delay_alu instid0(VALU_DEP_2) | instskip(SKIP_1) | instid1(TRANS32_DEP_1)
	v_rcp_iflag_f32_e32 v5, v3
	v_nop
	v_mul_f32_e32 v5, v2, v5
	s_delay_alu instid0(VALU_DEP_1) | instskip(NEXT) | instid1(VALU_DEP_1)
	v_trunc_f32_e32 v5, v5
	v_fma_f32 v2, -v5, v3, v2
	v_cvt_u32_f32_e32 v5, v5
	s_delay_alu instid0(VALU_DEP_2) | instskip(NEXT) | instid1(VALU_DEP_1)
	v_cmp_ge_f32_e64 vcc_lo, |v2|, v3
	v_add_co_ci_u32_e64 v2, null, 0, v5, vcc_lo
	s_delay_alu instid0(VALU_DEP_1)
	v_mul_lo_u16 v5, v2, v1
.LBB45_116:
	s_or_b32 exec_lo, exec_lo, s16
	v_add_nc_u32_e32 v0, 0x80, v0
	global_store_b8 v4, v5, s[0:1]
	s_wait_xcnt 0x0
	s_or_b32 exec_lo, exec_lo, s5
	s_delay_alu instid0(SALU_CYCLE_1)
	s_mov_b32 s5, exec_lo
	v_cmpx_gt_i32_e64 s33, v0
	s_cbranch_execz .LBB45_8
.LBB45_117:
	s_and_not1_b32 vcc_lo, exec_lo, s28
	s_cbranch_vccnz .LBB45_123
; %bb.118:
	s_and_not1_b32 vcc_lo, exec_lo, s34
	s_cbranch_vccnz .LBB45_124
; %bb.119:
	v_dual_mov_b32 v4, 0 :: v_dual_mov_b32 v1, v0
	v_dual_mov_b32 v6, 0 :: v_dual_mov_b32 v5, 0
	s_add_co_i32 s16, s31, 1
	s_mov_b64 s[24:25], 0xffffffffffffffe8
	s_and_b32 s16, s16, 30
	s_add_nc_u64 s[24:25], s[12:13], s[24:25]
.LBB45_120:                             ; =>This Inner Loop Header: Depth=1
	s_clause 0x1
	s_load_b128 s[36:39], s[24:25], 0x1c
	s_load_b64 s[44:45], s[24:25], 0x2c
	s_add_co_i32 s16, s16, -2
	s_delay_alu instid0(SALU_CYCLE_1) | instskip(SKIP_2) | instid1(VALU_DEP_1)
	s_cmp_eq_u32 s16, 0
	s_wait_kmcnt 0x0
	v_mul_hi_u32 v2, s37, v1
	v_add_nc_u32_e32 v2, v1, v2
	s_delay_alu instid0(VALU_DEP_1) | instskip(NEXT) | instid1(VALU_DEP_1)
	v_lshrrev_b32_e32 v2, s38, v2
	v_mul_hi_u32 v3, s44, v2
	v_mul_lo_u32 v7, v2, s36
	s_clause 0x1
	s_load_b128 s[40:43], s[24:25], 0xdc
	s_load_b64 s[36:37], s[24:25], 0xec
	s_wait_xcnt 0x0
	s_add_nc_u64 s[24:25], s[24:25], 24
	s_delay_alu instid0(VALU_DEP_2) | instskip(NEXT) | instid1(VALU_DEP_2)
	v_add_nc_u32_e32 v3, v2, v3
	v_sub_nc_u32_e32 v7, v1, v7
	s_delay_alu instid0(VALU_DEP_2) | instskip(SKIP_1) | instid1(VALU_DEP_2)
	v_lshrrev_b32_e32 v1, s45, v3
	s_wait_kmcnt 0x0
	v_mad_u32 v4, v7, s40, v4
	s_delay_alu instid0(VALU_DEP_2) | instskip(SKIP_2) | instid1(VALU_DEP_3)
	v_mul_lo_u32 v3, v1, s39
	v_mad_u32 v5, v7, s42, v5
	v_mad_u32 v6, v7, s41, v6
	v_sub_nc_u32_e32 v2, v2, v3
	s_delay_alu instid0(VALU_DEP_1) | instskip(NEXT) | instid1(VALU_DEP_4)
	v_mad_u32 v4, v2, s43, v4
	v_mad_u32 v5, v2, s37, v5
	s_delay_alu instid0(VALU_DEP_4)
	v_mad_u32 v6, v2, s36, v6
	s_cbranch_scc0 .LBB45_120
; %bb.121:
	s_bitcmp1_b32 s31, 0
	s_cselect_b32 s16, -1, 0
	s_delay_alu instid0(SALU_CYCLE_1)
	s_and_b32 vcc_lo, exec_lo, s16
	s_cbranch_vccnz .LBB45_125
; %bb.122:
	s_clause 0x1
	s_load_b96 s[36:38], s[24:25], 0x1c
	s_load_b96 s[40:42], s[24:25], 0xdc
	s_wait_kmcnt 0x0
	v_mul_hi_u32 v2, s37, v1
	s_delay_alu instid0(VALU_DEP_1) | instskip(NEXT) | instid1(VALU_DEP_1)
	v_add_nc_u32_e32 v2, v1, v2
	v_lshrrev_b32_e32 v2, s38, v2
	s_delay_alu instid0(VALU_DEP_1) | instskip(NEXT) | instid1(VALU_DEP_1)
	v_mul_lo_u32 v2, v2, s36
	v_sub_nc_u32_e32 v1, v1, v2
	s_delay_alu instid0(VALU_DEP_1)
	v_mad_u32 v4, v1, s40, v4
	v_mad_u32 v6, v1, s41, v6
	;; [unrolled: 1-line block ×3, first 2 shown]
	s_branch .LBB45_125
.LBB45_123:
                                        ; implicit-def: $vgpr5
                                        ; implicit-def: $vgpr6
                                        ; implicit-def: $vgpr4
	s_branch .LBB45_126
.LBB45_124:
	v_dual_mov_b32 v5, 0 :: v_dual_mov_b32 v6, 0
	v_mov_b32_e32 v4, 0
.LBB45_125:
	s_cbranch_execnz .LBB45_128
.LBB45_126:
	v_mov_b32_e32 v1, 0
	s_and_not1_b32 vcc_lo, exec_lo, s30
	s_delay_alu instid0(VALU_DEP_1) | instskip(NEXT) | instid1(VALU_DEP_1)
	v_mul_u64_e32 v[2:3], s[20:21], v[0:1]
	v_add_nc_u32_e32 v2, v0, v3
	s_delay_alu instid0(VALU_DEP_1) | instskip(NEXT) | instid1(VALU_DEP_1)
	v_lshrrev_b32_e32 v2, s6, v2
	v_mul_lo_u32 v3, v2, s4
	s_delay_alu instid0(VALU_DEP_1) | instskip(NEXT) | instid1(VALU_DEP_1)
	v_sub_nc_u32_e32 v3, v0, v3
	v_mul_lo_u32 v4, v3, s8
	v_mul_lo_u32 v5, v3, s10
	v_mul_lo_u32 v6, v3, s9
	s_cbranch_vccnz .LBB45_128
; %bb.127:
	v_mov_b32_e32 v3, v1
	s_delay_alu instid0(VALU_DEP_1) | instskip(NEXT) | instid1(VALU_DEP_1)
	v_mul_u64_e32 v[8:9], s[22:23], v[2:3]
	v_add_nc_u32_e32 v1, v2, v9
	s_delay_alu instid0(VALU_DEP_1) | instskip(NEXT) | instid1(VALU_DEP_1)
	v_lshrrev_b32_e32 v1, s17, v1
	v_mul_lo_u32 v1, v1, s7
	s_delay_alu instid0(VALU_DEP_1) | instskip(NEXT) | instid1(VALU_DEP_1)
	v_sub_nc_u32_e32 v1, v2, v1
	v_mad_u32 v4, v1, s11, v4
	v_mad_u32 v6, v1, s18, v6
	;; [unrolled: 1-line block ×3, first 2 shown]
.LBB45_128:
	global_load_u8 v2, v6, s[2:3]
	global_load_u8 v1, v5, s[14:15]
	s_mov_b32 s24, 0
	s_mov_b32 s16, exec_lo
	s_wait_loadcnt 0x0
	v_mov_b32_e32 v3, v1
	s_wait_xcnt 0x0
	v_cmpx_ne_u16_e32 0, v2
	s_cbranch_execz .LBB45_132
; %bb.129:
	v_dual_mov_b32 v6, v2 :: v_dual_mov_b32 v5, v1
.LBB45_130:                             ; =>This Inner Loop Header: Depth=1
	s_delay_alu instid0(VALU_DEP_1) | instskip(NEXT) | instid1(VALU_DEP_2)
	v_cvt_f32_ubyte0_e32 v8, v5
	v_mov_b32_e32 v3, v6
	s_delay_alu instid0(VALU_DEP_1) | instskip(NEXT) | instid1(VALU_DEP_1)
	v_cvt_f32_ubyte0_e32 v6, v3
	v_rcp_iflag_f32_e32 v7, v6
	v_nop
	s_delay_alu instid0(TRANS32_DEP_1) | instskip(NEXT) | instid1(VALU_DEP_1)
	v_mul_f32_e32 v7, v8, v7
	v_trunc_f32_e32 v7, v7
	s_delay_alu instid0(VALU_DEP_1) | instskip(SKIP_1) | instid1(VALU_DEP_2)
	v_fma_f32 v8, -v7, v6, v8
	v_cvt_u32_f32_e32 v7, v7
	v_cmp_ge_f32_e64 vcc_lo, |v8|, v6
	s_delay_alu instid0(VALU_DEP_1) | instskip(NEXT) | instid1(VALU_DEP_1)
	v_add_co_ci_u32_e64 v6, null, 0, v7, vcc_lo
	v_mul_lo_u32 v6, v6, v3
	s_delay_alu instid0(VALU_DEP_1) | instskip(NEXT) | instid1(VALU_DEP_1)
	v_sub_nc_u32_e32 v5, v5, v6
	v_and_b32_e32 v6, 0xff, v5
	v_mov_b32_e32 v5, v3
	s_delay_alu instid0(VALU_DEP_2) | instskip(SKIP_1) | instid1(SALU_CYCLE_1)
	v_cmp_eq_u16_e32 vcc_lo, 0, v6
	s_or_b32 s24, vcc_lo, s24
	s_and_not1_b32 exec_lo, exec_lo, s24
	s_cbranch_execnz .LBB45_130
; %bb.131:
	s_or_b32 exec_lo, exec_lo, s24
.LBB45_132:
	s_delay_alu instid0(SALU_CYCLE_1) | instskip(SKIP_3) | instid1(VALU_DEP_2)
	s_or_b32 exec_lo, exec_lo, s16
	v_and_b32_e32 v6, 0xff, v3
	v_mov_b32_e32 v5, 0
	s_mov_b32 s16, exec_lo
	v_cmpx_ne_u16_e32 0, v6
	s_cbranch_execz .LBB45_134
; %bb.133:
	v_cvt_f32_ubyte0_e32 v3, v3
	v_cvt_f32_ubyte0_e32 v2, v2
	s_delay_alu instid0(VALU_DEP_2) | instskip(SKIP_1) | instid1(TRANS32_DEP_1)
	v_rcp_iflag_f32_e32 v5, v3
	v_nop
	v_mul_f32_e32 v5, v2, v5
	s_delay_alu instid0(VALU_DEP_1) | instskip(NEXT) | instid1(VALU_DEP_1)
	v_trunc_f32_e32 v5, v5
	v_fma_f32 v2, -v5, v3, v2
	v_cvt_u32_f32_e32 v5, v5
	s_delay_alu instid0(VALU_DEP_2) | instskip(NEXT) | instid1(VALU_DEP_1)
	v_cmp_ge_f32_e64 vcc_lo, |v2|, v3
	v_add_co_ci_u32_e64 v2, null, 0, v5, vcc_lo
	s_delay_alu instid0(VALU_DEP_1)
	v_mul_lo_u16 v5, v2, v1
.LBB45_134:
	s_or_b32 exec_lo, exec_lo, s16
	v_add_nc_u32_e32 v0, 0x80, v0
	global_store_b8 v4, v5, s[0:1]
	s_wait_xcnt 0x0
	s_or_b32 exec_lo, exec_lo, s5
	s_delay_alu instid0(SALU_CYCLE_1)
	s_mov_b32 s5, exec_lo
	v_cmpx_gt_i32_e64 s33, v0
	s_cbranch_execz .LBB45_153
.LBB45_135:
	s_and_not1_b32 vcc_lo, exec_lo, s28
	s_cbranch_vccnz .LBB45_141
; %bb.136:
	s_and_not1_b32 vcc_lo, exec_lo, s34
	s_cbranch_vccnz .LBB45_142
; %bb.137:
	v_dual_mov_b32 v4, 0 :: v_dual_mov_b32 v1, v0
	v_dual_mov_b32 v6, 0 :: v_dual_mov_b32 v5, 0
	s_add_co_i32 s16, s31, 1
	s_mov_b64 s[24:25], 0xffffffffffffffe8
	s_and_b32 s16, s16, 30
	s_add_nc_u64 s[24:25], s[12:13], s[24:25]
.LBB45_138:                             ; =>This Inner Loop Header: Depth=1
	s_clause 0x1
	s_load_b128 s[36:39], s[24:25], 0x1c
	s_load_b64 s[34:35], s[24:25], 0x2c
	s_add_co_i32 s16, s16, -2
	s_delay_alu instid0(SALU_CYCLE_1) | instskip(SKIP_2) | instid1(VALU_DEP_1)
	s_cmp_eq_u32 s16, 0
	s_wait_kmcnt 0x0
	v_mul_hi_u32 v2, s37, v1
	v_add_nc_u32_e32 v2, v1, v2
	s_delay_alu instid0(VALU_DEP_1) | instskip(NEXT) | instid1(VALU_DEP_1)
	v_lshrrev_b32_e32 v2, s38, v2
	v_mul_hi_u32 v3, s34, v2
	v_mul_lo_u32 v7, v2, s36
	s_clause 0x1
	s_load_b128 s[40:43], s[24:25], 0xdc
	s_load_b64 s[36:37], s[24:25], 0xec
	s_wait_xcnt 0x0
	s_add_nc_u64 s[24:25], s[24:25], 24
	s_delay_alu instid0(VALU_DEP_2) | instskip(NEXT) | instid1(VALU_DEP_2)
	v_add_nc_u32_e32 v3, v2, v3
	v_sub_nc_u32_e32 v7, v1, v7
	s_delay_alu instid0(VALU_DEP_2) | instskip(SKIP_1) | instid1(VALU_DEP_2)
	v_lshrrev_b32_e32 v1, s35, v3
	s_wait_kmcnt 0x0
	v_mad_u32 v4, v7, s40, v4
	s_delay_alu instid0(VALU_DEP_2) | instskip(SKIP_2) | instid1(VALU_DEP_3)
	v_mul_lo_u32 v3, v1, s39
	v_mad_u32 v5, v7, s42, v5
	v_mad_u32 v6, v7, s41, v6
	v_sub_nc_u32_e32 v2, v2, v3
	s_delay_alu instid0(VALU_DEP_1) | instskip(NEXT) | instid1(VALU_DEP_4)
	v_mad_u32 v4, v2, s43, v4
	v_mad_u32 v5, v2, s37, v5
	s_delay_alu instid0(VALU_DEP_4)
	v_mad_u32 v6, v2, s36, v6
	s_cbranch_scc0 .LBB45_138
; %bb.139:
	s_bitcmp1_b32 s31, 0
	s_cselect_b32 s16, -1, 0
	s_delay_alu instid0(SALU_CYCLE_1)
	s_and_b32 vcc_lo, exec_lo, s16
	s_cbranch_vccnz .LBB45_143
; %bb.140:
	s_clause 0x1
	s_load_b96 s[36:38], s[24:25], 0x1c
	s_load_b96 s[40:42], s[24:25], 0xdc
	s_wait_kmcnt 0x0
	v_mul_hi_u32 v2, s37, v1
	s_delay_alu instid0(VALU_DEP_1) | instskip(NEXT) | instid1(VALU_DEP_1)
	v_add_nc_u32_e32 v2, v1, v2
	v_lshrrev_b32_e32 v2, s38, v2
	s_delay_alu instid0(VALU_DEP_1) | instskip(NEXT) | instid1(VALU_DEP_1)
	v_mul_lo_u32 v2, v2, s36
	v_sub_nc_u32_e32 v1, v1, v2
	s_delay_alu instid0(VALU_DEP_1)
	v_mad_u32 v4, v1, s40, v4
	v_mad_u32 v6, v1, s41, v6
	;; [unrolled: 1-line block ×3, first 2 shown]
	s_branch .LBB45_143
.LBB45_141:
                                        ; implicit-def: $vgpr5
                                        ; implicit-def: $vgpr6
                                        ; implicit-def: $vgpr4
	s_branch .LBB45_144
.LBB45_142:
	v_dual_mov_b32 v5, 0 :: v_dual_mov_b32 v6, 0
	v_mov_b32_e32 v4, 0
.LBB45_143:
	s_cbranch_execnz .LBB45_146
.LBB45_144:
	v_mov_b32_e32 v1, 0
	s_and_not1_b32 vcc_lo, exec_lo, s30
	s_delay_alu instid0(VALU_DEP_1) | instskip(NEXT) | instid1(VALU_DEP_1)
	v_mul_u64_e32 v[2:3], s[20:21], v[0:1]
	v_add_nc_u32_e32 v2, v0, v3
	s_delay_alu instid0(VALU_DEP_1) | instskip(NEXT) | instid1(VALU_DEP_1)
	v_lshrrev_b32_e32 v2, s6, v2
	v_mul_lo_u32 v3, v2, s4
	s_delay_alu instid0(VALU_DEP_1) | instskip(NEXT) | instid1(VALU_DEP_1)
	v_sub_nc_u32_e32 v0, v0, v3
	v_mul_lo_u32 v4, v0, s8
	v_mul_lo_u32 v5, v0, s10
	;; [unrolled: 1-line block ×3, first 2 shown]
	s_cbranch_vccnz .LBB45_146
; %bb.145:
	v_mov_b32_e32 v3, v1
	s_delay_alu instid0(VALU_DEP_1) | instskip(NEXT) | instid1(VALU_DEP_1)
	v_mul_u64_e32 v[0:1], s[22:23], v[2:3]
	v_add_nc_u32_e32 v0, v2, v1
	s_delay_alu instid0(VALU_DEP_1) | instskip(NEXT) | instid1(VALU_DEP_1)
	v_lshrrev_b32_e32 v0, s17, v0
	v_mul_lo_u32 v0, v0, s7
	s_delay_alu instid0(VALU_DEP_1) | instskip(NEXT) | instid1(VALU_DEP_1)
	v_sub_nc_u32_e32 v0, v2, v0
	v_mad_u32 v4, v0, s11, v4
	v_mad_u32 v6, v0, s18, v6
	;; [unrolled: 1-line block ×3, first 2 shown]
.LBB45_146:
	global_load_u8 v1, v6, s[2:3]
	global_load_u8 v0, v5, s[14:15]
	s_wait_xcnt 0x1
	s_mov_b32 s3, 0
	s_mov_b32 s2, exec_lo
	s_wait_loadcnt 0x0
	v_mov_b32_e32 v2, v0
	s_wait_xcnt 0x0
	v_cmpx_ne_u16_e32 0, v1
	s_cbranch_execz .LBB45_150
; %bb.147:
	v_dual_mov_b32 v5, v1 :: v_dual_mov_b32 v3, v0
.LBB45_148:                             ; =>This Inner Loop Header: Depth=1
	s_delay_alu instid0(VALU_DEP_1) | instskip(NEXT) | instid1(VALU_DEP_2)
	v_cvt_f32_ubyte0_e32 v7, v3
	v_mov_b32_e32 v2, v5
	s_delay_alu instid0(VALU_DEP_1) | instskip(NEXT) | instid1(VALU_DEP_1)
	v_cvt_f32_ubyte0_e32 v5, v2
	v_rcp_iflag_f32_e32 v6, v5
	v_nop
	s_delay_alu instid0(TRANS32_DEP_1) | instskip(NEXT) | instid1(VALU_DEP_1)
	v_mul_f32_e32 v6, v7, v6
	v_trunc_f32_e32 v6, v6
	s_delay_alu instid0(VALU_DEP_1) | instskip(SKIP_1) | instid1(VALU_DEP_2)
	v_fma_f32 v7, -v6, v5, v7
	v_cvt_u32_f32_e32 v6, v6
	v_cmp_ge_f32_e64 vcc_lo, |v7|, v5
	s_delay_alu instid0(VALU_DEP_1) | instskip(NEXT) | instid1(VALU_DEP_1)
	v_add_co_ci_u32_e64 v5, null, 0, v6, vcc_lo
	v_mul_lo_u32 v5, v5, v2
	s_delay_alu instid0(VALU_DEP_1) | instskip(NEXT) | instid1(VALU_DEP_1)
	v_sub_nc_u32_e32 v3, v3, v5
	v_and_b32_e32 v5, 0xff, v3
	v_mov_b32_e32 v3, v2
	s_delay_alu instid0(VALU_DEP_2) | instskip(SKIP_1) | instid1(SALU_CYCLE_1)
	v_cmp_eq_u16_e32 vcc_lo, 0, v5
	s_or_b32 s3, vcc_lo, s3
	s_and_not1_b32 exec_lo, exec_lo, s3
	s_cbranch_execnz .LBB45_148
; %bb.149:
	s_or_b32 exec_lo, exec_lo, s3
.LBB45_150:
	s_delay_alu instid0(SALU_CYCLE_1) | instskip(SKIP_3) | instid1(VALU_DEP_2)
	s_or_b32 exec_lo, exec_lo, s2
	v_and_b32_e32 v5, 0xff, v2
	v_mov_b32_e32 v3, 0
	s_mov_b32 s2, exec_lo
	v_cmpx_ne_u16_e32 0, v5
	s_cbranch_execz .LBB45_152
; %bb.151:
	v_cvt_f32_ubyte0_e32 v2, v2
	v_cvt_f32_ubyte0_e32 v1, v1
	s_delay_alu instid0(VALU_DEP_2) | instskip(SKIP_1) | instid1(TRANS32_DEP_1)
	v_rcp_iflag_f32_e32 v3, v2
	v_nop
	v_mul_f32_e32 v3, v1, v3
	s_delay_alu instid0(VALU_DEP_1) | instskip(NEXT) | instid1(VALU_DEP_1)
	v_trunc_f32_e32 v3, v3
	v_fma_f32 v1, -v3, v2, v1
	v_cvt_u32_f32_e32 v3, v3
	s_delay_alu instid0(VALU_DEP_2) | instskip(NEXT) | instid1(VALU_DEP_1)
	v_cmp_ge_f32_e64 vcc_lo, |v1|, v2
	v_add_co_ci_u32_e64 v1, null, 0, v3, vcc_lo
	s_delay_alu instid0(VALU_DEP_1)
	v_mul_lo_u16 v3, v1, v0
.LBB45_152:
	s_or_b32 exec_lo, exec_lo, s2
	global_store_b8 v4, v3, s[0:1]
.LBB45_153:
	s_wait_xcnt 0x0
	s_or_b32 exec_lo, exec_lo, s5
                                        ; implicit-def: $vgpr5
                                        ; implicit-def: $vgpr0
.LBB45_154:
	s_and_not1_saveexec_b32 s0, s29
	s_cbranch_execz .LBB45_161
; %bb.155:
	v_cndmask_b32_e64 v10, 0, 1, s28
	s_and_not1_b32 vcc_lo, exec_lo, s28
	s_cbranch_vccnz .LBB45_162
; %bb.156:
	s_cmp_lg_u32 s26, 0
	s_mov_b32 s2, 0
	s_cbranch_scc0 .LBB45_166
; %bb.157:
	s_min_u32 s3, s27, 15
	v_dual_mov_b32 v1, 0 :: v_dual_mov_b32 v2, v0
	v_dual_mov_b32 v7, 0 :: v_dual_mov_b32 v6, 0
	s_add_co_i32 s4, s3, 1
	s_mov_b64 s[0:1], 0xffffffffffffffe8
	s_and_b32 s4, s4, 30
	s_add_nc_u64 s[0:1], s[12:13], s[0:1]
.LBB45_158:                             ; =>This Inner Loop Header: Depth=1
	s_clause 0x1
	s_load_b128 s[8:11], s[0:1], 0x1c
	s_load_b64 s[6:7], s[0:1], 0x2c
	s_add_co_i32 s4, s4, -2
	s_delay_alu instid0(SALU_CYCLE_1) | instskip(SKIP_2) | instid1(VALU_DEP_1)
	s_cmp_lg_u32 s4, 0
	s_wait_kmcnt 0x0
	v_mul_hi_u32 v3, s9, v2
	v_add_nc_u32_e32 v3, v2, v3
	s_delay_alu instid0(VALU_DEP_1) | instskip(NEXT) | instid1(VALU_DEP_1)
	v_lshrrev_b32_e32 v3, s10, v3
	v_mul_hi_u32 v4, s6, v3
	v_mul_lo_u32 v8, v3, s8
	s_clause 0x1
	s_load_b128 s[16:19], s[0:1], 0xdc
	s_load_b64 s[8:9], s[0:1], 0xec
	s_wait_xcnt 0x0
	s_add_nc_u64 s[0:1], s[0:1], 24
	s_delay_alu instid0(VALU_DEP_2) | instskip(NEXT) | instid1(VALU_DEP_2)
	v_add_nc_u32_e32 v4, v3, v4
	v_sub_nc_u32_e32 v8, v2, v8
	s_delay_alu instid0(VALU_DEP_2) | instskip(SKIP_1) | instid1(VALU_DEP_2)
	v_lshrrev_b32_e32 v2, s7, v4
	s_wait_kmcnt 0x0
	v_mad_u32 v1, v8, s16, v1
	s_delay_alu instid0(VALU_DEP_2) | instskip(SKIP_2) | instid1(VALU_DEP_3)
	v_mul_lo_u32 v4, v2, s11
	v_mad_u32 v6, v8, s18, v6
	v_mad_u32 v7, v8, s17, v7
	v_sub_nc_u32_e32 v3, v3, v4
	s_delay_alu instid0(VALU_DEP_1) | instskip(NEXT) | instid1(VALU_DEP_4)
	v_mad_u32 v1, v3, s19, v1
	v_mad_u32 v6, v3, s9, v6
	s_delay_alu instid0(VALU_DEP_4)
	v_mad_u32 v7, v3, s8, v7
	s_cbranch_scc1 .LBB45_158
; %bb.159:
	s_bitcmp1_b32 s3, 0
	s_cselect_b32 s3, -1, 0
	s_delay_alu instid0(SALU_CYCLE_1)
	s_and_b32 vcc_lo, exec_lo, s3
	s_cbranch_vccnz .LBB45_163
; %bb.160:
	s_clause 0x1
	s_load_b96 s[4:6], s[0:1], 0x1c
	s_load_b96 s[8:10], s[0:1], 0xdc
	s_wait_kmcnt 0x0
	v_mul_hi_u32 v3, s5, v2
	s_delay_alu instid0(VALU_DEP_1) | instskip(NEXT) | instid1(VALU_DEP_1)
	v_add_nc_u32_e32 v3, v2, v3
	v_lshrrev_b32_e32 v3, s6, v3
	s_delay_alu instid0(VALU_DEP_1) | instskip(NEXT) | instid1(VALU_DEP_1)
	v_mul_lo_u32 v3, v3, s4
	v_sub_nc_u32_e32 v2, v2, v3
	s_delay_alu instid0(VALU_DEP_1)
	v_mad_u32 v1, v2, s8, v1
	v_mad_u32 v7, v2, s9, v7
	;; [unrolled: 1-line block ×3, first 2 shown]
	s_and_not1_b32 vcc_lo, exec_lo, s2
	s_cbranch_vccz .LBB45_164
	s_branch .LBB45_167
.LBB45_161:
	s_endpgm
.LBB45_162:
	s_mov_b32 s2, -1
                                        ; implicit-def: $vgpr6
                                        ; implicit-def: $vgpr7
                                        ; implicit-def: $vgpr1
.LBB45_163:
	s_delay_alu instid0(SALU_CYCLE_1)
	s_and_not1_b32 vcc_lo, exec_lo, s2
	s_cbranch_vccnz .LBB45_167
.LBB45_164:
	s_clause 0x1
	s_load_b96 s[0:2], s[12:13], 0x4
	s_load_b96 s[4:6], s[12:13], 0xc4
	s_cmp_lt_u32 s26, 2
	s_wait_kmcnt 0x0
	v_mul_hi_u32 v1, s1, v0
	s_delay_alu instid0(VALU_DEP_1) | instskip(NEXT) | instid1(VALU_DEP_1)
	v_add_nc_u32_e32 v1, v0, v1
	v_lshrrev_b32_e32 v2, s2, v1
	s_delay_alu instid0(VALU_DEP_1) | instskip(NEXT) | instid1(VALU_DEP_1)
	v_mul_lo_u32 v1, v2, s0
	v_sub_nc_u32_e32 v3, v0, v1
	s_delay_alu instid0(VALU_DEP_1)
	v_mul_lo_u32 v1, v3, s4
	v_mul_lo_u32 v6, v3, s6
	;; [unrolled: 1-line block ×3, first 2 shown]
	s_cbranch_scc1 .LBB45_167
; %bb.165:
	s_clause 0x1
	s_load_b96 s[0:2], s[12:13], 0x10
	s_load_b96 s[4:6], s[12:13], 0xd0
	s_wait_kmcnt 0x0
	v_mul_hi_u32 v3, s1, v2
	s_delay_alu instid0(VALU_DEP_1) | instskip(NEXT) | instid1(VALU_DEP_1)
	v_add_nc_u32_e32 v3, v2, v3
	v_lshrrev_b32_e32 v3, s2, v3
	s_delay_alu instid0(VALU_DEP_1) | instskip(NEXT) | instid1(VALU_DEP_1)
	v_mul_lo_u32 v3, v3, s0
	v_sub_nc_u32_e32 v2, v2, v3
	s_delay_alu instid0(VALU_DEP_1)
	v_mad_u32 v1, v2, s4, v1
	v_mad_u32 v7, v2, s5, v7
	;; [unrolled: 1-line block ×3, first 2 shown]
	s_branch .LBB45_167
.LBB45_166:
	v_dual_mov_b32 v6, 0 :: v_dual_mov_b32 v7, 0
	v_mov_b32_e32 v1, 0
	s_and_not1_b32 vcc_lo, exec_lo, s2
	s_cbranch_vccz .LBB45_164
.LBB45_167:
	v_cmp_ne_u32_e32 vcc_lo, 1, v10
	v_add_nc_u32_e32 v3, 0x80, v0
	s_cbranch_vccnz .LBB45_173
; %bb.168:
	s_cmp_lg_u32 s26, 0
	s_mov_b32 s2, 0
	s_cbranch_scc0 .LBB45_177
; %bb.169:
	s_min_u32 s3, s27, 15
	v_dual_mov_b32 v2, 0 :: v_dual_mov_b32 v4, v3
	v_dual_mov_b32 v9, 0 :: v_dual_mov_b32 v8, 0
	s_add_co_i32 s4, s3, 1
	s_mov_b64 s[0:1], 0xffffffffffffffe8
	s_and_b32 s4, s4, 30
	s_add_nc_u64 s[0:1], s[12:13], s[0:1]
.LBB45_170:                             ; =>This Inner Loop Header: Depth=1
	s_clause 0x1
	s_load_b128 s[8:11], s[0:1], 0x1c
	s_load_b64 s[6:7], s[0:1], 0x2c
	s_add_co_i32 s4, s4, -2
	s_delay_alu instid0(SALU_CYCLE_1) | instskip(SKIP_2) | instid1(VALU_DEP_1)
	s_cmp_lg_u32 s4, 0
	s_wait_kmcnt 0x0
	v_mul_hi_u32 v11, s9, v4
	v_add_nc_u32_e32 v11, v4, v11
	s_delay_alu instid0(VALU_DEP_1) | instskip(NEXT) | instid1(VALU_DEP_1)
	v_lshrrev_b32_e32 v11, s10, v11
	v_mul_hi_u32 v12, s6, v11
	v_mul_lo_u32 v13, v11, s8
	s_clause 0x1
	s_load_b128 s[16:19], s[0:1], 0xdc
	s_load_b64 s[8:9], s[0:1], 0xec
	s_wait_xcnt 0x0
	s_add_nc_u64 s[0:1], s[0:1], 24
	s_delay_alu instid0(VALU_DEP_1) | instskip(NEXT) | instid1(VALU_DEP_1)
	v_dual_add_nc_u32 v12, v11, v12 :: v_dual_sub_nc_u32 v13, v4, v13
	v_lshrrev_b32_e32 v4, s7, v12
	s_wait_kmcnt 0x0
	s_delay_alu instid0(VALU_DEP_2) | instskip(NEXT) | instid1(VALU_DEP_2)
	v_mad_u32 v2, v13, s16, v2
	v_mul_lo_u32 v12, v4, s11
	v_mad_u32 v8, v13, s18, v8
	v_mad_u32 v9, v13, s17, v9
	s_delay_alu instid0(VALU_DEP_3) | instskip(NEXT) | instid1(VALU_DEP_1)
	v_sub_nc_u32_e32 v11, v11, v12
	v_mad_u32 v2, v11, s19, v2
	s_delay_alu instid0(VALU_DEP_4) | instskip(NEXT) | instid1(VALU_DEP_4)
	v_mad_u32 v8, v11, s9, v8
	v_mad_u32 v9, v11, s8, v9
	s_cbranch_scc1 .LBB45_170
; %bb.171:
	s_bitcmp1_b32 s3, 0
	s_cselect_b32 s3, -1, 0
	s_delay_alu instid0(SALU_CYCLE_1)
	s_and_b32 vcc_lo, exec_lo, s3
	s_cbranch_vccnz .LBB45_174
; %bb.172:
	s_clause 0x1
	s_load_b96 s[4:6], s[0:1], 0x1c
	s_load_b96 s[8:10], s[0:1], 0xdc
	s_wait_kmcnt 0x0
	v_mul_hi_u32 v11, s5, v4
	s_delay_alu instid0(VALU_DEP_1) | instskip(NEXT) | instid1(VALU_DEP_1)
	v_add_nc_u32_e32 v11, v4, v11
	v_lshrrev_b32_e32 v11, s6, v11
	s_delay_alu instid0(VALU_DEP_1) | instskip(NEXT) | instid1(VALU_DEP_1)
	v_mul_lo_u32 v11, v11, s4
	v_sub_nc_u32_e32 v4, v4, v11
	s_delay_alu instid0(VALU_DEP_1)
	v_mad_u32 v2, v4, s8, v2
	v_mad_u32 v9, v4, s9, v9
	;; [unrolled: 1-line block ×3, first 2 shown]
	s_and_not1_b32 vcc_lo, exec_lo, s2
	s_cbranch_vccz .LBB45_175
	s_branch .LBB45_178
.LBB45_173:
	s_mov_b32 s2, -1
                                        ; implicit-def: $vgpr8
                                        ; implicit-def: $vgpr9
                                        ; implicit-def: $vgpr2
.LBB45_174:
	s_delay_alu instid0(SALU_CYCLE_1)
	s_and_not1_b32 vcc_lo, exec_lo, s2
	s_cbranch_vccnz .LBB45_178
.LBB45_175:
	s_clause 0x1
	s_load_b96 s[0:2], s[12:13], 0x4
	s_load_b96 s[4:6], s[12:13], 0xc4
	s_cmp_lt_u32 s26, 2
	s_wait_kmcnt 0x0
	v_mul_hi_u32 v2, s1, v3
	s_delay_alu instid0(VALU_DEP_1) | instskip(NEXT) | instid1(VALU_DEP_1)
	v_add_nc_u32_e32 v2, v3, v2
	v_lshrrev_b32_e32 v4, s2, v2
	s_delay_alu instid0(VALU_DEP_1) | instskip(NEXT) | instid1(VALU_DEP_1)
	v_mul_lo_u32 v2, v4, s0
	v_sub_nc_u32_e32 v3, v3, v2
	s_delay_alu instid0(VALU_DEP_1)
	v_mul_lo_u32 v2, v3, s4
	v_mul_lo_u32 v8, v3, s6
	;; [unrolled: 1-line block ×3, first 2 shown]
	s_cbranch_scc1 .LBB45_178
; %bb.176:
	s_clause 0x1
	s_load_b96 s[0:2], s[12:13], 0x10
	s_load_b96 s[4:6], s[12:13], 0xd0
	s_wait_kmcnt 0x0
	v_mul_hi_u32 v3, s1, v4
	s_delay_alu instid0(VALU_DEP_1) | instskip(NEXT) | instid1(VALU_DEP_1)
	v_add_nc_u32_e32 v3, v4, v3
	v_lshrrev_b32_e32 v3, s2, v3
	s_delay_alu instid0(VALU_DEP_1) | instskip(NEXT) | instid1(VALU_DEP_1)
	v_mul_lo_u32 v3, v3, s0
	v_sub_nc_u32_e32 v3, v4, v3
	s_delay_alu instid0(VALU_DEP_1)
	v_mad_u32 v2, v3, s4, v2
	v_mad_u32 v9, v3, s5, v9
	;; [unrolled: 1-line block ×3, first 2 shown]
	s_branch .LBB45_178
.LBB45_177:
	v_dual_mov_b32 v8, 0 :: v_dual_mov_b32 v9, 0
	v_mov_b32_e32 v2, 0
	s_and_not1_b32 vcc_lo, exec_lo, s2
	s_cbranch_vccz .LBB45_175
.LBB45_178:
	v_cmp_ne_u32_e32 vcc_lo, 1, v10
	v_add_nc_u32_e32 v4, 0x100, v0
	s_cbranch_vccnz .LBB45_184
; %bb.179:
	s_cmp_lg_u32 s26, 0
	s_mov_b32 s2, 0
	s_cbranch_scc0 .LBB45_188
; %bb.180:
	s_min_u32 s3, s27, 15
	v_dual_mov_b32 v3, 0 :: v_dual_mov_b32 v11, v4
	v_dual_mov_b32 v13, 0 :: v_dual_mov_b32 v12, 0
	s_add_co_i32 s4, s3, 1
	s_mov_b64 s[0:1], 0xffffffffffffffe8
	s_and_b32 s4, s4, 30
	s_add_nc_u64 s[0:1], s[12:13], s[0:1]
.LBB45_181:                             ; =>This Inner Loop Header: Depth=1
	s_clause 0x1
	s_load_b128 s[8:11], s[0:1], 0x1c
	s_load_b64 s[6:7], s[0:1], 0x2c
	s_add_co_i32 s4, s4, -2
	s_delay_alu instid0(SALU_CYCLE_1) | instskip(SKIP_2) | instid1(VALU_DEP_1)
	s_cmp_lg_u32 s4, 0
	s_wait_kmcnt 0x0
	v_mul_hi_u32 v14, s9, v11
	v_add_nc_u32_e32 v14, v11, v14
	s_delay_alu instid0(VALU_DEP_1) | instskip(NEXT) | instid1(VALU_DEP_1)
	v_lshrrev_b32_e32 v14, s10, v14
	v_mul_hi_u32 v15, s6, v14
	v_mul_lo_u32 v16, v14, s8
	s_clause 0x1
	s_load_b128 s[16:19], s[0:1], 0xdc
	s_load_b64 s[8:9], s[0:1], 0xec
	s_wait_xcnt 0x0
	s_add_nc_u64 s[0:1], s[0:1], 24
	s_delay_alu instid0(VALU_DEP_1) | instskip(NEXT) | instid1(VALU_DEP_1)
	v_dual_add_nc_u32 v15, v14, v15 :: v_dual_sub_nc_u32 v16, v11, v16
	v_lshrrev_b32_e32 v11, s7, v15
	s_wait_kmcnt 0x0
	s_delay_alu instid0(VALU_DEP_2) | instskip(NEXT) | instid1(VALU_DEP_2)
	v_mad_u32 v3, v16, s16, v3
	v_mul_lo_u32 v15, v11, s11
	v_mad_u32 v12, v16, s18, v12
	v_mad_u32 v13, v16, s17, v13
	s_delay_alu instid0(VALU_DEP_3) | instskip(NEXT) | instid1(VALU_DEP_1)
	v_sub_nc_u32_e32 v14, v14, v15
	v_mad_u32 v3, v14, s19, v3
	s_delay_alu instid0(VALU_DEP_4) | instskip(NEXT) | instid1(VALU_DEP_4)
	v_mad_u32 v12, v14, s9, v12
	v_mad_u32 v13, v14, s8, v13
	s_cbranch_scc1 .LBB45_181
; %bb.182:
	s_bitcmp1_b32 s3, 0
	s_cselect_b32 s3, -1, 0
	s_delay_alu instid0(SALU_CYCLE_1)
	s_and_b32 vcc_lo, exec_lo, s3
	s_cbranch_vccnz .LBB45_185
; %bb.183:
	s_clause 0x1
	s_load_b96 s[4:6], s[0:1], 0x1c
	s_load_b96 s[8:10], s[0:1], 0xdc
	s_wait_kmcnt 0x0
	v_mul_hi_u32 v14, s5, v11
	s_delay_alu instid0(VALU_DEP_1) | instskip(NEXT) | instid1(VALU_DEP_1)
	v_add_nc_u32_e32 v14, v11, v14
	v_lshrrev_b32_e32 v14, s6, v14
	s_delay_alu instid0(VALU_DEP_1) | instskip(NEXT) | instid1(VALU_DEP_1)
	v_mul_lo_u32 v14, v14, s4
	v_sub_nc_u32_e32 v11, v11, v14
	s_delay_alu instid0(VALU_DEP_1)
	v_mad_u32 v3, v11, s8, v3
	v_mad_u32 v13, v11, s9, v13
	;; [unrolled: 1-line block ×3, first 2 shown]
	s_and_not1_b32 vcc_lo, exec_lo, s2
	s_cbranch_vccz .LBB45_186
	s_branch .LBB45_189
.LBB45_184:
	s_mov_b32 s2, -1
                                        ; implicit-def: $vgpr12
                                        ; implicit-def: $vgpr13
                                        ; implicit-def: $vgpr3
.LBB45_185:
	s_delay_alu instid0(SALU_CYCLE_1)
	s_and_not1_b32 vcc_lo, exec_lo, s2
	s_cbranch_vccnz .LBB45_189
.LBB45_186:
	s_clause 0x1
	s_load_b96 s[0:2], s[12:13], 0x4
	s_load_b96 s[4:6], s[12:13], 0xc4
	s_cmp_lt_u32 s26, 2
	s_wait_kmcnt 0x0
	v_mul_hi_u32 v3, s1, v4
	s_delay_alu instid0(VALU_DEP_1) | instskip(NEXT) | instid1(VALU_DEP_1)
	v_add_nc_u32_e32 v3, v4, v3
	v_lshrrev_b32_e32 v11, s2, v3
	s_delay_alu instid0(VALU_DEP_1) | instskip(NEXT) | instid1(VALU_DEP_1)
	v_mul_lo_u32 v3, v11, s0
	v_sub_nc_u32_e32 v4, v4, v3
	s_delay_alu instid0(VALU_DEP_1)
	v_mul_lo_u32 v3, v4, s4
	v_mul_lo_u32 v12, v4, s6
	;; [unrolled: 1-line block ×3, first 2 shown]
	s_cbranch_scc1 .LBB45_189
; %bb.187:
	s_clause 0x1
	s_load_b96 s[0:2], s[12:13], 0x10
	s_load_b96 s[4:6], s[12:13], 0xd0
	s_wait_kmcnt 0x0
	v_mul_hi_u32 v4, s1, v11
	s_delay_alu instid0(VALU_DEP_1) | instskip(NEXT) | instid1(VALU_DEP_1)
	v_add_nc_u32_e32 v4, v11, v4
	v_lshrrev_b32_e32 v4, s2, v4
	s_delay_alu instid0(VALU_DEP_1) | instskip(NEXT) | instid1(VALU_DEP_1)
	v_mul_lo_u32 v4, v4, s0
	v_sub_nc_u32_e32 v4, v11, v4
	s_delay_alu instid0(VALU_DEP_1)
	v_mad_u32 v3, v4, s4, v3
	v_mad_u32 v13, v4, s5, v13
	v_mad_u32 v12, v4, s6, v12
	s_branch .LBB45_189
.LBB45_188:
	v_dual_mov_b32 v12, 0 :: v_dual_mov_b32 v13, 0
	v_mov_b32_e32 v3, 0
	s_and_not1_b32 vcc_lo, exec_lo, s2
	s_cbranch_vccz .LBB45_186
.LBB45_189:
	v_cmp_ne_u32_e32 vcc_lo, 1, v10
	v_add_nc_u32_e32 v11, 0x180, v0
	s_cbranch_vccnz .LBB45_195
; %bb.190:
	s_cmp_lg_u32 s26, 0
	s_mov_b32 s2, 0
	s_cbranch_scc0 .LBB45_199
; %bb.191:
	s_min_u32 s3, s27, 15
	v_dual_mov_b32 v4, 0 :: v_dual_mov_b32 v16, v11
	v_dual_mov_b32 v15, 0 :: v_dual_mov_b32 v14, 0
	s_add_co_i32 s4, s3, 1
	s_mov_b64 s[0:1], 0xffffffffffffffe8
	s_and_b32 s4, s4, 30
	s_add_nc_u64 s[0:1], s[12:13], s[0:1]
.LBB45_192:                             ; =>This Inner Loop Header: Depth=1
	s_clause 0x1
	s_load_b128 s[8:11], s[0:1], 0x1c
	s_load_b64 s[6:7], s[0:1], 0x2c
	s_add_co_i32 s4, s4, -2
	s_delay_alu instid0(SALU_CYCLE_1) | instskip(SKIP_2) | instid1(VALU_DEP_1)
	s_cmp_lg_u32 s4, 0
	s_wait_kmcnt 0x0
	v_mul_hi_u32 v17, s9, v16
	v_add_nc_u32_e32 v17, v16, v17
	s_delay_alu instid0(VALU_DEP_1) | instskip(NEXT) | instid1(VALU_DEP_1)
	v_lshrrev_b32_e32 v17, s10, v17
	v_mul_hi_u32 v18, s6, v17
	v_mul_lo_u32 v19, v17, s8
	s_clause 0x1
	s_load_b128 s[16:19], s[0:1], 0xdc
	s_load_b64 s[8:9], s[0:1], 0xec
	s_wait_xcnt 0x0
	s_add_nc_u64 s[0:1], s[0:1], 24
	s_delay_alu instid0(VALU_DEP_1) | instskip(NEXT) | instid1(VALU_DEP_1)
	v_dual_add_nc_u32 v18, v17, v18 :: v_dual_sub_nc_u32 v19, v16, v19
	v_lshrrev_b32_e32 v16, s7, v18
	s_wait_kmcnt 0x0
	s_delay_alu instid0(VALU_DEP_2) | instskip(NEXT) | instid1(VALU_DEP_2)
	v_mad_u32 v4, v19, s16, v4
	v_mul_lo_u32 v18, v16, s11
	v_mad_u32 v14, v19, s18, v14
	v_mad_u32 v15, v19, s17, v15
	s_delay_alu instid0(VALU_DEP_3) | instskip(NEXT) | instid1(VALU_DEP_1)
	v_sub_nc_u32_e32 v17, v17, v18
	v_mad_u32 v4, v17, s19, v4
	s_delay_alu instid0(VALU_DEP_4) | instskip(NEXT) | instid1(VALU_DEP_4)
	v_mad_u32 v14, v17, s9, v14
	v_mad_u32 v15, v17, s8, v15
	s_cbranch_scc1 .LBB45_192
; %bb.193:
	s_bitcmp1_b32 s3, 0
	s_cselect_b32 s3, -1, 0
	s_delay_alu instid0(SALU_CYCLE_1)
	s_and_b32 vcc_lo, exec_lo, s3
	s_cbranch_vccnz .LBB45_196
; %bb.194:
	s_clause 0x1
	s_load_b96 s[4:6], s[0:1], 0x1c
	s_load_b96 s[8:10], s[0:1], 0xdc
	s_wait_kmcnt 0x0
	v_mul_hi_u32 v17, s5, v16
	s_delay_alu instid0(VALU_DEP_1) | instskip(NEXT) | instid1(VALU_DEP_1)
	v_add_nc_u32_e32 v17, v16, v17
	v_lshrrev_b32_e32 v17, s6, v17
	s_delay_alu instid0(VALU_DEP_1) | instskip(NEXT) | instid1(VALU_DEP_1)
	v_mul_lo_u32 v17, v17, s4
	v_sub_nc_u32_e32 v16, v16, v17
	s_delay_alu instid0(VALU_DEP_1)
	v_mad_u32 v4, v16, s8, v4
	v_mad_u32 v15, v16, s9, v15
	;; [unrolled: 1-line block ×3, first 2 shown]
	s_and_not1_b32 vcc_lo, exec_lo, s2
	s_cbranch_vccz .LBB45_197
	s_branch .LBB45_200
.LBB45_195:
	s_mov_b32 s2, -1
                                        ; implicit-def: $vgpr14
                                        ; implicit-def: $vgpr15
                                        ; implicit-def: $vgpr4
.LBB45_196:
	s_delay_alu instid0(SALU_CYCLE_1)
	s_and_not1_b32 vcc_lo, exec_lo, s2
	s_cbranch_vccnz .LBB45_200
.LBB45_197:
	s_clause 0x1
	s_load_b96 s[0:2], s[12:13], 0x4
	s_load_b96 s[4:6], s[12:13], 0xc4
	s_cmp_lt_u32 s26, 2
	s_wait_kmcnt 0x0
	v_mul_hi_u32 v4, s1, v11
	s_delay_alu instid0(VALU_DEP_1) | instskip(NEXT) | instid1(VALU_DEP_1)
	v_add_nc_u32_e32 v4, v11, v4
	v_lshrrev_b32_e32 v16, s2, v4
	s_delay_alu instid0(VALU_DEP_1) | instskip(NEXT) | instid1(VALU_DEP_1)
	v_mul_lo_u32 v4, v16, s0
	v_sub_nc_u32_e32 v11, v11, v4
	s_delay_alu instid0(VALU_DEP_1)
	v_mul_lo_u32 v4, v11, s4
	v_mul_lo_u32 v14, v11, s6
	;; [unrolled: 1-line block ×3, first 2 shown]
	s_cbranch_scc1 .LBB45_200
; %bb.198:
	s_clause 0x1
	s_load_b96 s[0:2], s[12:13], 0x10
	s_load_b96 s[4:6], s[12:13], 0xd0
	s_wait_kmcnt 0x0
	v_mul_hi_u32 v11, s1, v16
	s_delay_alu instid0(VALU_DEP_1) | instskip(NEXT) | instid1(VALU_DEP_1)
	v_add_nc_u32_e32 v11, v16, v11
	v_lshrrev_b32_e32 v11, s2, v11
	s_delay_alu instid0(VALU_DEP_1) | instskip(NEXT) | instid1(VALU_DEP_1)
	v_mul_lo_u32 v11, v11, s0
	v_sub_nc_u32_e32 v11, v16, v11
	s_delay_alu instid0(VALU_DEP_1)
	v_mad_u32 v4, v11, s4, v4
	v_mad_u32 v15, v11, s5, v15
	;; [unrolled: 1-line block ×3, first 2 shown]
	s_branch .LBB45_200
.LBB45_199:
	v_dual_mov_b32 v14, 0 :: v_dual_mov_b32 v15, 0
	v_mov_b32_e32 v4, 0
	s_and_not1_b32 vcc_lo, exec_lo, s2
	s_cbranch_vccz .LBB45_197
.LBB45_200:
	v_cmp_ne_u32_e32 vcc_lo, 1, v10
	v_add_nc_u32_e32 v16, 0x200, v0
	s_cbranch_vccnz .LBB45_206
; %bb.201:
	s_cmp_lg_u32 s26, 0
	s_mov_b32 s2, 0
	s_cbranch_scc0 .LBB45_210
; %bb.202:
	s_min_u32 s3, s27, 15
	v_dual_mov_b32 v11, 0 :: v_dual_mov_b32 v19, v16
	v_dual_mov_b32 v18, 0 :: v_dual_mov_b32 v17, 0
	s_add_co_i32 s4, s3, 1
	s_mov_b64 s[0:1], 0xffffffffffffffe8
	s_and_b32 s4, s4, 30
	s_add_nc_u64 s[0:1], s[12:13], s[0:1]
.LBB45_203:                             ; =>This Inner Loop Header: Depth=1
	s_clause 0x1
	s_load_b128 s[8:11], s[0:1], 0x1c
	s_load_b64 s[6:7], s[0:1], 0x2c
	s_add_co_i32 s4, s4, -2
	s_delay_alu instid0(SALU_CYCLE_1) | instskip(SKIP_2) | instid1(VALU_DEP_1)
	s_cmp_lg_u32 s4, 0
	s_wait_kmcnt 0x0
	v_mul_hi_u32 v20, s9, v19
	v_add_nc_u32_e32 v20, v19, v20
	s_delay_alu instid0(VALU_DEP_1) | instskip(NEXT) | instid1(VALU_DEP_1)
	v_lshrrev_b32_e32 v20, s10, v20
	v_mul_hi_u32 v21, s6, v20
	v_mul_lo_u32 v22, v20, s8
	s_clause 0x1
	s_load_b128 s[16:19], s[0:1], 0xdc
	s_load_b64 s[8:9], s[0:1], 0xec
	s_wait_xcnt 0x0
	s_add_nc_u64 s[0:1], s[0:1], 24
	s_delay_alu instid0(VALU_DEP_1) | instskip(NEXT) | instid1(VALU_DEP_1)
	v_dual_add_nc_u32 v21, v20, v21 :: v_dual_sub_nc_u32 v22, v19, v22
	v_lshrrev_b32_e32 v19, s7, v21
	s_wait_kmcnt 0x0
	s_delay_alu instid0(VALU_DEP_2) | instskip(NEXT) | instid1(VALU_DEP_2)
	v_mad_u32 v11, v22, s16, v11
	v_mul_lo_u32 v21, v19, s11
	v_mad_u32 v17, v22, s18, v17
	v_mad_u32 v18, v22, s17, v18
	s_delay_alu instid0(VALU_DEP_3) | instskip(NEXT) | instid1(VALU_DEP_1)
	v_sub_nc_u32_e32 v20, v20, v21
	v_mad_u32 v11, v20, s19, v11
	s_delay_alu instid0(VALU_DEP_4) | instskip(NEXT) | instid1(VALU_DEP_4)
	v_mad_u32 v17, v20, s9, v17
	v_mad_u32 v18, v20, s8, v18
	s_cbranch_scc1 .LBB45_203
; %bb.204:
	s_bitcmp1_b32 s3, 0
	s_cselect_b32 s3, -1, 0
	s_delay_alu instid0(SALU_CYCLE_1)
	s_and_b32 vcc_lo, exec_lo, s3
	s_cbranch_vccnz .LBB45_207
; %bb.205:
	s_clause 0x1
	s_load_b96 s[4:6], s[0:1], 0x1c
	s_load_b96 s[8:10], s[0:1], 0xdc
	s_wait_kmcnt 0x0
	v_mul_hi_u32 v20, s5, v19
	s_delay_alu instid0(VALU_DEP_1) | instskip(NEXT) | instid1(VALU_DEP_1)
	v_add_nc_u32_e32 v20, v19, v20
	v_lshrrev_b32_e32 v20, s6, v20
	s_delay_alu instid0(VALU_DEP_1) | instskip(NEXT) | instid1(VALU_DEP_1)
	v_mul_lo_u32 v20, v20, s4
	v_sub_nc_u32_e32 v19, v19, v20
	s_delay_alu instid0(VALU_DEP_1)
	v_mad_u32 v11, v19, s8, v11
	v_mad_u32 v18, v19, s9, v18
	;; [unrolled: 1-line block ×3, first 2 shown]
	s_and_not1_b32 vcc_lo, exec_lo, s2
	s_cbranch_vccz .LBB45_208
	s_branch .LBB45_211
.LBB45_206:
	s_mov_b32 s2, -1
                                        ; implicit-def: $vgpr17
                                        ; implicit-def: $vgpr18
                                        ; implicit-def: $vgpr11
.LBB45_207:
	s_delay_alu instid0(SALU_CYCLE_1)
	s_and_not1_b32 vcc_lo, exec_lo, s2
	s_cbranch_vccnz .LBB45_211
.LBB45_208:
	s_clause 0x1
	s_load_b96 s[0:2], s[12:13], 0x4
	s_load_b96 s[4:6], s[12:13], 0xc4
	s_cmp_lt_u32 s26, 2
	s_wait_kmcnt 0x0
	v_mul_hi_u32 v11, s1, v16
	s_delay_alu instid0(VALU_DEP_1) | instskip(NEXT) | instid1(VALU_DEP_1)
	v_add_nc_u32_e32 v11, v16, v11
	v_lshrrev_b32_e32 v19, s2, v11
	s_delay_alu instid0(VALU_DEP_1) | instskip(NEXT) | instid1(VALU_DEP_1)
	v_mul_lo_u32 v11, v19, s0
	v_sub_nc_u32_e32 v16, v16, v11
	s_delay_alu instid0(VALU_DEP_1)
	v_mul_lo_u32 v11, v16, s4
	v_mul_lo_u32 v17, v16, s6
	;; [unrolled: 1-line block ×3, first 2 shown]
	s_cbranch_scc1 .LBB45_211
; %bb.209:
	s_clause 0x1
	s_load_b96 s[0:2], s[12:13], 0x10
	s_load_b96 s[4:6], s[12:13], 0xd0
	s_wait_kmcnt 0x0
	v_mul_hi_u32 v16, s1, v19
	s_delay_alu instid0(VALU_DEP_1) | instskip(NEXT) | instid1(VALU_DEP_1)
	v_add_nc_u32_e32 v16, v19, v16
	v_lshrrev_b32_e32 v16, s2, v16
	s_delay_alu instid0(VALU_DEP_1) | instskip(NEXT) | instid1(VALU_DEP_1)
	v_mul_lo_u32 v16, v16, s0
	v_sub_nc_u32_e32 v16, v19, v16
	s_delay_alu instid0(VALU_DEP_1)
	v_mad_u32 v11, v16, s4, v11
	v_mad_u32 v18, v16, s5, v18
	;; [unrolled: 1-line block ×3, first 2 shown]
	s_branch .LBB45_211
.LBB45_210:
	v_dual_mov_b32 v17, 0 :: v_dual_mov_b32 v18, 0
	v_mov_b32_e32 v11, 0
	s_and_not1_b32 vcc_lo, exec_lo, s2
	s_cbranch_vccz .LBB45_208
.LBB45_211:
	v_cmp_ne_u32_e32 vcc_lo, 1, v10
	v_add_nc_u32_e32 v21, 0x280, v0
	s_cbranch_vccnz .LBB45_217
; %bb.212:
	s_cmp_lg_u32 s26, 0
	s_mov_b32 s2, 0
	s_cbranch_scc0 .LBB45_221
; %bb.213:
	s_min_u32 s3, s27, 15
	v_dual_mov_b32 v16, 0 :: v_dual_mov_b32 v22, v21
	v_dual_mov_b32 v20, 0 :: v_dual_mov_b32 v19, 0
	s_add_co_i32 s4, s3, 1
	s_mov_b64 s[0:1], 0xffffffffffffffe8
	s_and_b32 s4, s4, 30
	s_add_nc_u64 s[0:1], s[12:13], s[0:1]
.LBB45_214:                             ; =>This Inner Loop Header: Depth=1
	s_clause 0x1
	s_load_b128 s[8:11], s[0:1], 0x1c
	s_load_b64 s[6:7], s[0:1], 0x2c
	s_add_co_i32 s4, s4, -2
	s_delay_alu instid0(SALU_CYCLE_1) | instskip(SKIP_2) | instid1(VALU_DEP_1)
	s_cmp_lg_u32 s4, 0
	s_wait_kmcnt 0x0
	v_mul_hi_u32 v23, s9, v22
	v_add_nc_u32_e32 v23, v22, v23
	s_delay_alu instid0(VALU_DEP_1) | instskip(NEXT) | instid1(VALU_DEP_1)
	v_lshrrev_b32_e32 v23, s10, v23
	v_mul_hi_u32 v24, s6, v23
	v_mul_lo_u32 v25, v23, s8
	s_clause 0x1
	s_load_b128 s[16:19], s[0:1], 0xdc
	s_load_b64 s[8:9], s[0:1], 0xec
	s_wait_xcnt 0x0
	s_add_nc_u64 s[0:1], s[0:1], 24
	s_delay_alu instid0(VALU_DEP_1) | instskip(NEXT) | instid1(VALU_DEP_1)
	v_dual_add_nc_u32 v24, v23, v24 :: v_dual_sub_nc_u32 v25, v22, v25
	v_lshrrev_b32_e32 v22, s7, v24
	s_wait_kmcnt 0x0
	s_delay_alu instid0(VALU_DEP_2) | instskip(NEXT) | instid1(VALU_DEP_2)
	v_mad_u32 v16, v25, s16, v16
	v_mul_lo_u32 v24, v22, s11
	v_mad_u32 v19, v25, s18, v19
	v_mad_u32 v20, v25, s17, v20
	s_delay_alu instid0(VALU_DEP_3) | instskip(NEXT) | instid1(VALU_DEP_1)
	v_sub_nc_u32_e32 v23, v23, v24
	v_mad_u32 v16, v23, s19, v16
	s_delay_alu instid0(VALU_DEP_4) | instskip(NEXT) | instid1(VALU_DEP_4)
	v_mad_u32 v19, v23, s9, v19
	v_mad_u32 v20, v23, s8, v20
	s_cbranch_scc1 .LBB45_214
; %bb.215:
	s_bitcmp1_b32 s3, 0
	s_cselect_b32 s3, -1, 0
	s_delay_alu instid0(SALU_CYCLE_1)
	s_and_b32 vcc_lo, exec_lo, s3
	s_cbranch_vccnz .LBB45_218
; %bb.216:
	s_clause 0x1
	s_load_b96 s[4:6], s[0:1], 0x1c
	s_load_b96 s[8:10], s[0:1], 0xdc
	s_wait_kmcnt 0x0
	v_mul_hi_u32 v23, s5, v22
	s_delay_alu instid0(VALU_DEP_1) | instskip(NEXT) | instid1(VALU_DEP_1)
	v_add_nc_u32_e32 v23, v22, v23
	v_lshrrev_b32_e32 v23, s6, v23
	s_delay_alu instid0(VALU_DEP_1) | instskip(NEXT) | instid1(VALU_DEP_1)
	v_mul_lo_u32 v23, v23, s4
	v_sub_nc_u32_e32 v22, v22, v23
	s_delay_alu instid0(VALU_DEP_1)
	v_mad_u32 v16, v22, s8, v16
	v_mad_u32 v20, v22, s9, v20
	;; [unrolled: 1-line block ×3, first 2 shown]
	s_and_not1_b32 vcc_lo, exec_lo, s2
	s_cbranch_vccz .LBB45_219
	s_branch .LBB45_222
.LBB45_217:
	s_mov_b32 s2, -1
                                        ; implicit-def: $vgpr19
                                        ; implicit-def: $vgpr20
                                        ; implicit-def: $vgpr16
.LBB45_218:
	s_delay_alu instid0(SALU_CYCLE_1)
	s_and_not1_b32 vcc_lo, exec_lo, s2
	s_cbranch_vccnz .LBB45_222
.LBB45_219:
	s_clause 0x1
	s_load_b96 s[0:2], s[12:13], 0x4
	s_load_b96 s[4:6], s[12:13], 0xc4
	s_cmp_lt_u32 s26, 2
	s_wait_kmcnt 0x0
	v_mul_hi_u32 v16, s1, v21
	s_delay_alu instid0(VALU_DEP_1) | instskip(NEXT) | instid1(VALU_DEP_1)
	v_add_nc_u32_e32 v16, v21, v16
	v_lshrrev_b32_e32 v22, s2, v16
	s_delay_alu instid0(VALU_DEP_1) | instskip(NEXT) | instid1(VALU_DEP_1)
	v_mul_lo_u32 v16, v22, s0
	v_sub_nc_u32_e32 v20, v21, v16
	s_delay_alu instid0(VALU_DEP_1)
	v_mul_lo_u32 v16, v20, s4
	v_mul_lo_u32 v19, v20, s6
	;; [unrolled: 1-line block ×3, first 2 shown]
	s_cbranch_scc1 .LBB45_222
; %bb.220:
	s_clause 0x1
	s_load_b96 s[0:2], s[12:13], 0x10
	s_load_b96 s[4:6], s[12:13], 0xd0
	s_wait_kmcnt 0x0
	v_mul_hi_u32 v21, s1, v22
	s_delay_alu instid0(VALU_DEP_1) | instskip(NEXT) | instid1(VALU_DEP_1)
	v_add_nc_u32_e32 v21, v22, v21
	v_lshrrev_b32_e32 v21, s2, v21
	s_delay_alu instid0(VALU_DEP_1) | instskip(NEXT) | instid1(VALU_DEP_1)
	v_mul_lo_u32 v21, v21, s0
	v_sub_nc_u32_e32 v21, v22, v21
	s_delay_alu instid0(VALU_DEP_1)
	v_mad_u32 v16, v21, s4, v16
	v_mad_u32 v20, v21, s5, v20
	;; [unrolled: 1-line block ×3, first 2 shown]
	s_branch .LBB45_222
.LBB45_221:
	v_dual_mov_b32 v19, 0 :: v_dual_mov_b32 v20, 0
	v_mov_b32_e32 v16, 0
	s_and_not1_b32 vcc_lo, exec_lo, s2
	s_cbranch_vccz .LBB45_219
.LBB45_222:
	v_cmp_ne_u32_e32 vcc_lo, 1, v10
	v_add_nc_u32_e32 v23, 0x300, v0
	s_cbranch_vccnz .LBB45_228
; %bb.223:
	s_cmp_lg_u32 s26, 0
	s_mov_b32 s2, 0
	s_cbranch_scc0 .LBB45_232
; %bb.224:
	s_min_u32 s3, s27, 15
	v_dual_mov_b32 v0, 0 :: v_dual_mov_b32 v24, v23
	v_dual_mov_b32 v22, 0 :: v_dual_mov_b32 v21, 0
	s_add_co_i32 s4, s3, 1
	s_mov_b64 s[0:1], 0xffffffffffffffe8
	s_and_b32 s4, s4, 30
	s_add_nc_u64 s[0:1], s[12:13], s[0:1]
.LBB45_225:                             ; =>This Inner Loop Header: Depth=1
	s_clause 0x1
	s_load_b128 s[8:11], s[0:1], 0x1c
	s_load_b64 s[6:7], s[0:1], 0x2c
	s_add_co_i32 s4, s4, -2
	s_delay_alu instid0(SALU_CYCLE_1) | instskip(SKIP_2) | instid1(VALU_DEP_1)
	s_cmp_lg_u32 s4, 0
	s_wait_kmcnt 0x0
	v_mul_hi_u32 v25, s9, v24
	v_add_nc_u32_e32 v25, v24, v25
	s_delay_alu instid0(VALU_DEP_1) | instskip(NEXT) | instid1(VALU_DEP_1)
	v_lshrrev_b32_e32 v25, s10, v25
	v_mul_hi_u32 v26, s6, v25
	v_mul_lo_u32 v27, v25, s8
	s_clause 0x1
	s_load_b128 s[16:19], s[0:1], 0xdc
	s_load_b64 s[8:9], s[0:1], 0xec
	s_wait_xcnt 0x0
	s_add_nc_u64 s[0:1], s[0:1], 24
	s_delay_alu instid0(VALU_DEP_1) | instskip(NEXT) | instid1(VALU_DEP_1)
	v_dual_add_nc_u32 v26, v25, v26 :: v_dual_sub_nc_u32 v27, v24, v27
	v_lshrrev_b32_e32 v24, s7, v26
	s_wait_kmcnt 0x0
	s_delay_alu instid0(VALU_DEP_2) | instskip(NEXT) | instid1(VALU_DEP_2)
	v_mad_u32 v0, v27, s16, v0
	v_mul_lo_u32 v26, v24, s11
	v_mad_u32 v21, v27, s18, v21
	v_mad_u32 v22, v27, s17, v22
	s_delay_alu instid0(VALU_DEP_3) | instskip(NEXT) | instid1(VALU_DEP_1)
	v_sub_nc_u32_e32 v25, v25, v26
	v_mad_u32 v0, v25, s19, v0
	s_delay_alu instid0(VALU_DEP_4) | instskip(NEXT) | instid1(VALU_DEP_4)
	v_mad_u32 v21, v25, s9, v21
	v_mad_u32 v22, v25, s8, v22
	s_cbranch_scc1 .LBB45_225
; %bb.226:
	s_bitcmp1_b32 s3, 0
	s_cselect_b32 s3, -1, 0
	s_delay_alu instid0(SALU_CYCLE_1)
	s_and_b32 vcc_lo, exec_lo, s3
	s_cbranch_vccnz .LBB45_229
; %bb.227:
	s_clause 0x1
	s_load_b96 s[4:6], s[0:1], 0x1c
	s_load_b96 s[8:10], s[0:1], 0xdc
	s_wait_kmcnt 0x0
	v_mul_hi_u32 v25, s5, v24
	s_delay_alu instid0(VALU_DEP_1) | instskip(NEXT) | instid1(VALU_DEP_1)
	v_add_nc_u32_e32 v25, v24, v25
	v_lshrrev_b32_e32 v25, s6, v25
	s_delay_alu instid0(VALU_DEP_1) | instskip(NEXT) | instid1(VALU_DEP_1)
	v_mul_lo_u32 v25, v25, s4
	v_sub_nc_u32_e32 v24, v24, v25
	s_delay_alu instid0(VALU_DEP_1)
	v_mad_u32 v0, v24, s8, v0
	v_mad_u32 v22, v24, s9, v22
	;; [unrolled: 1-line block ×3, first 2 shown]
	s_and_not1_b32 vcc_lo, exec_lo, s2
	s_cbranch_vccz .LBB45_230
	s_branch .LBB45_233
.LBB45_228:
	s_mov_b32 s2, -1
                                        ; implicit-def: $vgpr21
                                        ; implicit-def: $vgpr22
                                        ; implicit-def: $vgpr0
.LBB45_229:
	s_delay_alu instid0(SALU_CYCLE_1)
	s_and_not1_b32 vcc_lo, exec_lo, s2
	s_cbranch_vccnz .LBB45_233
.LBB45_230:
	s_clause 0x1
	s_load_b96 s[0:2], s[12:13], 0x4
	s_load_b96 s[4:6], s[12:13], 0xc4
	s_cmp_lt_u32 s26, 2
	s_wait_kmcnt 0x0
	v_mul_hi_u32 v0, s1, v23
	s_delay_alu instid0(VALU_DEP_1) | instskip(NEXT) | instid1(VALU_DEP_1)
	v_add_nc_u32_e32 v0, v23, v0
	v_lshrrev_b32_e32 v24, s2, v0
	s_delay_alu instid0(VALU_DEP_1) | instskip(NEXT) | instid1(VALU_DEP_1)
	v_mul_lo_u32 v0, v24, s0
	v_sub_nc_u32_e32 v22, v23, v0
	s_delay_alu instid0(VALU_DEP_1)
	v_mul_lo_u32 v0, v22, s4
	v_mul_lo_u32 v21, v22, s6
	;; [unrolled: 1-line block ×3, first 2 shown]
	s_cbranch_scc1 .LBB45_233
; %bb.231:
	s_clause 0x1
	s_load_b96 s[0:2], s[12:13], 0x10
	s_load_b96 s[4:6], s[12:13], 0xd0
	s_wait_kmcnt 0x0
	v_mul_hi_u32 v23, s1, v24
	s_delay_alu instid0(VALU_DEP_1) | instskip(NEXT) | instid1(VALU_DEP_1)
	v_add_nc_u32_e32 v23, v24, v23
	v_lshrrev_b32_e32 v23, s2, v23
	s_delay_alu instid0(VALU_DEP_1) | instskip(NEXT) | instid1(VALU_DEP_1)
	v_mul_lo_u32 v23, v23, s0
	v_sub_nc_u32_e32 v23, v24, v23
	s_delay_alu instid0(VALU_DEP_1)
	v_mad_u32 v0, v23, s4, v0
	v_mad_u32 v22, v23, s5, v22
	;; [unrolled: 1-line block ×3, first 2 shown]
	s_branch .LBB45_233
.LBB45_232:
	v_dual_mov_b32 v21, 0 :: v_dual_mov_b32 v22, 0
	v_mov_b32_e32 v0, 0
	s_and_not1_b32 vcc_lo, exec_lo, s2
	s_cbranch_vccz .LBB45_230
.LBB45_233:
	v_cmp_ne_u32_e32 vcc_lo, 1, v10
	s_cbranch_vccnz .LBB45_239
; %bb.234:
	s_cmp_lg_u32 s26, 0
	s_mov_b32 s2, 0
	s_cbranch_scc0 .LBB45_243
; %bb.235:
	s_min_u32 s3, s27, 15
	v_dual_mov_b32 v10, 0 :: v_dual_mov_b32 v25, v5
	v_dual_mov_b32 v24, 0 :: v_dual_mov_b32 v23, 0
	s_add_co_i32 s4, s3, 1
	s_mov_b64 s[0:1], 0xffffffffffffffe8
	s_and_b32 s4, s4, 30
	s_add_nc_u64 s[0:1], s[12:13], s[0:1]
.LBB45_236:                             ; =>This Inner Loop Header: Depth=1
	s_clause 0x1
	s_load_b128 s[8:11], s[0:1], 0x1c
	s_load_b64 s[6:7], s[0:1], 0x2c
	s_add_co_i32 s4, s4, -2
	s_delay_alu instid0(SALU_CYCLE_1) | instskip(SKIP_2) | instid1(VALU_DEP_1)
	s_cmp_lg_u32 s4, 0
	s_wait_kmcnt 0x0
	v_mul_hi_u32 v26, s9, v25
	v_add_nc_u32_e32 v26, v25, v26
	s_delay_alu instid0(VALU_DEP_1) | instskip(NEXT) | instid1(VALU_DEP_1)
	v_lshrrev_b32_e32 v26, s10, v26
	v_mul_hi_u32 v27, s6, v26
	v_mul_lo_u32 v28, v26, s8
	s_clause 0x1
	s_load_b128 s[16:19], s[0:1], 0xdc
	s_load_b64 s[8:9], s[0:1], 0xec
	s_wait_xcnt 0x0
	s_add_nc_u64 s[0:1], s[0:1], 24
	s_delay_alu instid0(VALU_DEP_1) | instskip(NEXT) | instid1(VALU_DEP_1)
	v_dual_add_nc_u32 v27, v26, v27 :: v_dual_sub_nc_u32 v28, v25, v28
	v_lshrrev_b32_e32 v25, s7, v27
	s_wait_kmcnt 0x0
	s_delay_alu instid0(VALU_DEP_2) | instskip(NEXT) | instid1(VALU_DEP_2)
	v_mad_u32 v10, v28, s16, v10
	v_mul_lo_u32 v27, v25, s11
	v_mad_u32 v23, v28, s18, v23
	v_mad_u32 v24, v28, s17, v24
	s_delay_alu instid0(VALU_DEP_3) | instskip(NEXT) | instid1(VALU_DEP_1)
	v_sub_nc_u32_e32 v26, v26, v27
	v_mad_u32 v10, v26, s19, v10
	s_delay_alu instid0(VALU_DEP_4) | instskip(NEXT) | instid1(VALU_DEP_4)
	v_mad_u32 v23, v26, s9, v23
	v_mad_u32 v24, v26, s8, v24
	s_cbranch_scc1 .LBB45_236
; %bb.237:
	s_bitcmp1_b32 s3, 0
	s_cselect_b32 s3, -1, 0
	s_delay_alu instid0(SALU_CYCLE_1)
	s_and_b32 vcc_lo, exec_lo, s3
	s_cbranch_vccnz .LBB45_240
; %bb.238:
	s_clause 0x1
	s_load_b96 s[4:6], s[0:1], 0x1c
	s_load_b96 s[8:10], s[0:1], 0xdc
	s_wait_kmcnt 0x0
	v_mul_hi_u32 v26, s5, v25
	s_delay_alu instid0(VALU_DEP_1) | instskip(NEXT) | instid1(VALU_DEP_1)
	v_add_nc_u32_e32 v26, v25, v26
	v_lshrrev_b32_e32 v26, s6, v26
	s_delay_alu instid0(VALU_DEP_1) | instskip(NEXT) | instid1(VALU_DEP_1)
	v_mul_lo_u32 v26, v26, s4
	v_sub_nc_u32_e32 v25, v25, v26
	s_delay_alu instid0(VALU_DEP_1)
	v_mad_u32 v10, v25, s8, v10
	v_mad_u32 v24, v25, s9, v24
	;; [unrolled: 1-line block ×3, first 2 shown]
	s_and_not1_b32 vcc_lo, exec_lo, s2
	s_cbranch_vccz .LBB45_241
	s_branch .LBB45_244
.LBB45_239:
	s_mov_b32 s2, -1
                                        ; implicit-def: $vgpr23
                                        ; implicit-def: $vgpr24
                                        ; implicit-def: $vgpr10
.LBB45_240:
	s_delay_alu instid0(SALU_CYCLE_1)
	s_and_not1_b32 vcc_lo, exec_lo, s2
	s_cbranch_vccnz .LBB45_244
.LBB45_241:
	s_clause 0x1
	s_load_b96 s[0:2], s[12:13], 0x4
	s_load_b96 s[4:6], s[12:13], 0xc4
	s_cmp_lt_u32 s26, 2
	s_wait_kmcnt 0x0
	v_mul_hi_u32 v10, s1, v5
	s_delay_alu instid0(VALU_DEP_1) | instskip(NEXT) | instid1(VALU_DEP_1)
	v_add_nc_u32_e32 v10, v5, v10
	v_lshrrev_b32_e32 v25, s2, v10
	s_delay_alu instid0(VALU_DEP_1) | instskip(NEXT) | instid1(VALU_DEP_1)
	v_mul_lo_u32 v10, v25, s0
	v_sub_nc_u32_e32 v5, v5, v10
	s_delay_alu instid0(VALU_DEP_1)
	v_mul_lo_u32 v10, v5, s4
	v_mul_lo_u32 v23, v5, s6
	v_mul_lo_u32 v24, v5, s5
	s_cbranch_scc1 .LBB45_244
; %bb.242:
	s_clause 0x1
	s_load_b96 s[0:2], s[12:13], 0x10
	s_load_b96 s[4:6], s[12:13], 0xd0
	s_wait_kmcnt 0x0
	v_mul_hi_u32 v5, s1, v25
	s_delay_alu instid0(VALU_DEP_1) | instskip(NEXT) | instid1(VALU_DEP_1)
	v_add_nc_u32_e32 v5, v25, v5
	v_lshrrev_b32_e32 v5, s2, v5
	s_delay_alu instid0(VALU_DEP_1) | instskip(NEXT) | instid1(VALU_DEP_1)
	v_mul_lo_u32 v5, v5, s0
	v_sub_nc_u32_e32 v5, v25, v5
	s_delay_alu instid0(VALU_DEP_1)
	v_mad_u32 v10, v5, s4, v10
	v_mad_u32 v24, v5, s5, v24
	v_mad_u32 v23, v5, s6, v23
	s_branch .LBB45_244
.LBB45_243:
	v_dual_mov_b32 v23, 0 :: v_dual_mov_b32 v24, 0
	v_mov_b32_e32 v10, 0
	s_and_not1_b32 vcc_lo, exec_lo, s2
	s_cbranch_vccz .LBB45_241
.LBB45_244:
	s_clause 0x1
	s_load_b128 s[0:3], s[12:13], 0x188
	s_load_b64 s[4:5], s[12:13], 0x198
	s_mov_b32 s7, 0
	s_mov_b32 s6, exec_lo
	s_wait_kmcnt 0x0
	global_load_u8 v26, v7, s[2:3]
	global_load_u8 v25, v6, s[4:5]
	s_wait_loadcnt 0x0
	v_mov_b32_e32 v6, v25
	v_cmpx_ne_u16_e32 0, v26
	s_cbranch_execz .LBB45_248
; %bb.245:
	v_dual_mov_b32 v7, v26 :: v_dual_mov_b32 v5, v25
.LBB45_246:                             ; =>This Inner Loop Header: Depth=1
	s_delay_alu instid0(VALU_DEP_1) | instskip(NEXT) | instid1(VALU_DEP_2)
	v_cvt_f32_ubyte0_e32 v28, v5
	v_mov_b32_e32 v6, v7
	s_delay_alu instid0(VALU_DEP_1) | instskip(NEXT) | instid1(VALU_DEP_1)
	v_cvt_f32_ubyte0_e32 v7, v6
	v_rcp_iflag_f32_e32 v27, v7
	v_nop
	s_delay_alu instid0(TRANS32_DEP_1) | instskip(NEXT) | instid1(VALU_DEP_1)
	v_mul_f32_e32 v27, v28, v27
	v_trunc_f32_e32 v27, v27
	s_delay_alu instid0(VALU_DEP_1) | instskip(SKIP_1) | instid1(VALU_DEP_2)
	v_fma_f32 v28, -v27, v7, v28
	v_cvt_u32_f32_e32 v27, v27
	v_cmp_ge_f32_e64 vcc_lo, |v28|, v7
	s_delay_alu instid0(VALU_DEP_1) | instskip(NEXT) | instid1(VALU_DEP_1)
	v_add_co_ci_u32_e64 v7, null, 0, v27, vcc_lo
	v_mul_lo_u32 v7, v7, v6
	s_delay_alu instid0(VALU_DEP_1) | instskip(NEXT) | instid1(VALU_DEP_1)
	v_sub_nc_u32_e32 v5, v5, v7
	v_and_b32_e32 v7, 0xff, v5
	v_mov_b32_e32 v5, v6
	s_delay_alu instid0(VALU_DEP_2) | instskip(SKIP_1) | instid1(SALU_CYCLE_1)
	v_cmp_eq_u16_e32 vcc_lo, 0, v7
	s_or_b32 s7, vcc_lo, s7
	s_and_not1_b32 exec_lo, exec_lo, s7
	s_cbranch_execnz .LBB45_246
; %bb.247:
	s_or_b32 exec_lo, exec_lo, s7
.LBB45_248:
	s_delay_alu instid0(SALU_CYCLE_1) | instskip(NEXT) | instid1(VALU_DEP_2)
	s_or_b32 exec_lo, exec_lo, s6
	v_and_b32_e32 v7, 0xff, v6
	v_mov_b32_e32 v5, 0
	s_mov_b32 s6, exec_lo
	s_delay_alu instid0(VALU_DEP_2)
	v_cmpx_ne_u16_e32 0, v7
	s_cbranch_execz .LBB45_250
; %bb.249:
	v_cvt_f32_ubyte0_e32 v5, v6
	v_cvt_f32_ubyte0_e32 v7, v26
	s_delay_alu instid0(VALU_DEP_2) | instskip(SKIP_1) | instid1(TRANS32_DEP_1)
	v_rcp_iflag_f32_e32 v6, v5
	v_nop
	v_mul_f32_e32 v6, v7, v6
	s_delay_alu instid0(VALU_DEP_1) | instskip(NEXT) | instid1(VALU_DEP_1)
	v_trunc_f32_e32 v6, v6
	v_fma_f32 v7, -v6, v5, v7
	v_cvt_u32_f32_e32 v6, v6
	s_delay_alu instid0(VALU_DEP_2) | instskip(NEXT) | instid1(VALU_DEP_1)
	v_cmp_ge_f32_e64 vcc_lo, |v7|, v5
	v_add_co_ci_u32_e64 v5, null, 0, v6, vcc_lo
	s_delay_alu instid0(VALU_DEP_1)
	v_mul_lo_u16 v5, v5, v25
.LBB45_250:
	s_or_b32 exec_lo, exec_lo, s6
	global_load_u8 v25, v9, s[2:3]
	global_load_u8 v7, v8, s[4:5]
	s_mov_b32 s7, 0
	s_mov_b32 s6, exec_lo
	s_wait_loadcnt 0x0
	v_mov_b32_e32 v8, v7
	v_cmpx_ne_u16_e32 0, v25
	s_cbranch_execz .LBB45_254
; %bb.251:
	v_dual_mov_b32 v9, v25 :: v_dual_mov_b32 v6, v7
.LBB45_252:                             ; =>This Inner Loop Header: Depth=1
	s_delay_alu instid0(VALU_DEP_1) | instskip(NEXT) | instid1(VALU_DEP_2)
	v_cvt_f32_ubyte0_e32 v27, v6
	v_mov_b32_e32 v8, v9
	s_delay_alu instid0(VALU_DEP_1) | instskip(NEXT) | instid1(VALU_DEP_1)
	v_cvt_f32_ubyte0_e32 v9, v8
	v_rcp_iflag_f32_e32 v26, v9
	v_nop
	s_delay_alu instid0(TRANS32_DEP_1) | instskip(NEXT) | instid1(VALU_DEP_1)
	v_mul_f32_e32 v26, v27, v26
	v_trunc_f32_e32 v26, v26
	s_delay_alu instid0(VALU_DEP_1) | instskip(SKIP_1) | instid1(VALU_DEP_2)
	v_fma_f32 v27, -v26, v9, v27
	v_cvt_u32_f32_e32 v26, v26
	v_cmp_ge_f32_e64 vcc_lo, |v27|, v9
	s_delay_alu instid0(VALU_DEP_1) | instskip(NEXT) | instid1(VALU_DEP_1)
	v_add_co_ci_u32_e64 v9, null, 0, v26, vcc_lo
	v_mul_lo_u32 v9, v9, v8
	s_delay_alu instid0(VALU_DEP_1) | instskip(NEXT) | instid1(VALU_DEP_1)
	v_sub_nc_u32_e32 v6, v6, v9
	v_and_b32_e32 v9, 0xff, v6
	v_mov_b32_e32 v6, v8
	s_delay_alu instid0(VALU_DEP_2) | instskip(SKIP_1) | instid1(SALU_CYCLE_1)
	v_cmp_eq_u16_e32 vcc_lo, 0, v9
	s_or_b32 s7, vcc_lo, s7
	s_and_not1_b32 exec_lo, exec_lo, s7
	s_cbranch_execnz .LBB45_252
; %bb.253:
	s_or_b32 exec_lo, exec_lo, s7
.LBB45_254:
	s_delay_alu instid0(SALU_CYCLE_1) | instskip(NEXT) | instid1(VALU_DEP_2)
	s_or_b32 exec_lo, exec_lo, s6
	v_and_b32_e32 v9, 0xff, v8
	v_mov_b32_e32 v6, 0
	s_mov_b32 s6, exec_lo
	s_delay_alu instid0(VALU_DEP_2)
	v_cmpx_ne_u16_e32 0, v9
	s_cbranch_execz .LBB45_256
; %bb.255:
	v_cvt_f32_ubyte0_e32 v6, v8
	v_cvt_f32_ubyte0_e32 v9, v25
	s_delay_alu instid0(VALU_DEP_2) | instskip(SKIP_1) | instid1(TRANS32_DEP_1)
	v_rcp_iflag_f32_e32 v8, v6
	v_nop
	v_mul_f32_e32 v8, v9, v8
	s_delay_alu instid0(VALU_DEP_1) | instskip(NEXT) | instid1(VALU_DEP_1)
	v_trunc_f32_e32 v8, v8
	v_fma_f32 v9, -v8, v6, v9
	v_cvt_u32_f32_e32 v8, v8
	s_delay_alu instid0(VALU_DEP_2) | instskip(NEXT) | instid1(VALU_DEP_1)
	v_cmp_ge_f32_e64 vcc_lo, |v9|, v6
	v_add_co_ci_u32_e64 v6, null, 0, v8, vcc_lo
	s_delay_alu instid0(VALU_DEP_1)
	v_mul_lo_u16 v6, v6, v7
.LBB45_256:
	s_or_b32 exec_lo, exec_lo, s6
	global_load_u8 v9, v13, s[2:3]
	global_load_u8 v8, v12, s[4:5]
	s_mov_b32 s7, 0
	s_mov_b32 s6, exec_lo
	s_wait_loadcnt 0x0
	v_mov_b32_e32 v12, v8
	v_cmpx_ne_u16_e32 0, v9
	s_cbranch_execz .LBB45_260
; %bb.257:
	v_dual_mov_b32 v13, v9 :: v_dual_mov_b32 v7, v8
.LBB45_258:                             ; =>This Inner Loop Header: Depth=1
	s_delay_alu instid0(VALU_DEP_1) | instskip(NEXT) | instid1(VALU_DEP_2)
	v_cvt_f32_ubyte0_e32 v26, v7
	v_mov_b32_e32 v12, v13
	s_delay_alu instid0(VALU_DEP_1) | instskip(NEXT) | instid1(VALU_DEP_1)
	v_cvt_f32_ubyte0_e32 v13, v12
	v_rcp_iflag_f32_e32 v25, v13
	v_nop
	s_delay_alu instid0(TRANS32_DEP_1) | instskip(NEXT) | instid1(VALU_DEP_1)
	v_mul_f32_e32 v25, v26, v25
	v_trunc_f32_e32 v25, v25
	s_delay_alu instid0(VALU_DEP_1) | instskip(SKIP_1) | instid1(VALU_DEP_2)
	v_fma_f32 v26, -v25, v13, v26
	v_cvt_u32_f32_e32 v25, v25
	v_cmp_ge_f32_e64 vcc_lo, |v26|, v13
	s_delay_alu instid0(VALU_DEP_1) | instskip(NEXT) | instid1(VALU_DEP_1)
	v_add_co_ci_u32_e64 v13, null, 0, v25, vcc_lo
	v_mul_lo_u32 v13, v13, v12
	s_delay_alu instid0(VALU_DEP_1) | instskip(NEXT) | instid1(VALU_DEP_1)
	v_sub_nc_u32_e32 v7, v7, v13
	v_and_b32_e32 v13, 0xff, v7
	v_mov_b32_e32 v7, v12
	s_delay_alu instid0(VALU_DEP_2) | instskip(SKIP_1) | instid1(SALU_CYCLE_1)
	v_cmp_eq_u16_e32 vcc_lo, 0, v13
	s_or_b32 s7, vcc_lo, s7
	s_and_not1_b32 exec_lo, exec_lo, s7
	s_cbranch_execnz .LBB45_258
; %bb.259:
	s_or_b32 exec_lo, exec_lo, s7
.LBB45_260:
	s_delay_alu instid0(SALU_CYCLE_1) | instskip(NEXT) | instid1(VALU_DEP_2)
	s_or_b32 exec_lo, exec_lo, s6
	v_and_b32_e32 v13, 0xff, v12
	v_mov_b32_e32 v7, 0
	s_mov_b32 s6, exec_lo
	s_delay_alu instid0(VALU_DEP_2)
	v_cmpx_ne_u16_e32 0, v13
	s_cbranch_execz .LBB45_262
; %bb.261:
	v_cvt_f32_ubyte0_e32 v7, v12
	v_cvt_f32_ubyte0_e32 v9, v9
	s_delay_alu instid0(VALU_DEP_2) | instskip(SKIP_1) | instid1(TRANS32_DEP_1)
	v_rcp_iflag_f32_e32 v12, v7
	v_nop
	v_mul_f32_e32 v12, v9, v12
	s_delay_alu instid0(VALU_DEP_1) | instskip(NEXT) | instid1(VALU_DEP_1)
	v_trunc_f32_e32 v12, v12
	v_fma_f32 v9, -v12, v7, v9
	v_cvt_u32_f32_e32 v12, v12
	s_delay_alu instid0(VALU_DEP_2) | instskip(NEXT) | instid1(VALU_DEP_1)
	v_cmp_ge_f32_e64 vcc_lo, |v9|, v7
	v_add_co_ci_u32_e64 v7, null, 0, v12, vcc_lo
	s_delay_alu instid0(VALU_DEP_1)
	v_mul_lo_u16 v7, v7, v8
.LBB45_262:
	s_or_b32 exec_lo, exec_lo, s6
	global_load_u8 v12, v15, s[2:3]
	global_load_u8 v9, v14, s[4:5]
	s_mov_b32 s7, 0
	s_mov_b32 s6, exec_lo
	s_wait_loadcnt 0x0
	v_mov_b32_e32 v13, v9
	s_wait_xcnt 0x0
	v_cmpx_ne_u16_e32 0, v12
	s_cbranch_execz .LBB45_266
; %bb.263:
	v_dual_mov_b32 v14, v12 :: v_dual_mov_b32 v8, v9
.LBB45_264:                             ; =>This Inner Loop Header: Depth=1
	s_delay_alu instid0(VALU_DEP_1) | instskip(NEXT) | instid1(VALU_DEP_2)
	v_cvt_f32_ubyte0_e32 v25, v8
	v_mov_b32_e32 v13, v14
	s_delay_alu instid0(VALU_DEP_1) | instskip(NEXT) | instid1(VALU_DEP_1)
	v_cvt_f32_ubyte0_e32 v14, v13
	v_rcp_iflag_f32_e32 v15, v14
	v_nop
	s_delay_alu instid0(TRANS32_DEP_1) | instskip(NEXT) | instid1(VALU_DEP_1)
	v_mul_f32_e32 v15, v25, v15
	v_trunc_f32_e32 v15, v15
	s_delay_alu instid0(VALU_DEP_1) | instskip(SKIP_1) | instid1(VALU_DEP_2)
	v_fma_f32 v25, -v15, v14, v25
	v_cvt_u32_f32_e32 v15, v15
	v_cmp_ge_f32_e64 vcc_lo, |v25|, v14
	s_delay_alu instid0(VALU_DEP_1) | instskip(NEXT) | instid1(VALU_DEP_1)
	v_add_co_ci_u32_e64 v14, null, 0, v15, vcc_lo
	v_mul_lo_u32 v14, v14, v13
	s_delay_alu instid0(VALU_DEP_1) | instskip(NEXT) | instid1(VALU_DEP_1)
	v_sub_nc_u32_e32 v8, v8, v14
	v_and_b32_e32 v14, 0xff, v8
	v_mov_b32_e32 v8, v13
	s_delay_alu instid0(VALU_DEP_2) | instskip(SKIP_1) | instid1(SALU_CYCLE_1)
	v_cmp_eq_u16_e32 vcc_lo, 0, v14
	s_or_b32 s7, vcc_lo, s7
	s_and_not1_b32 exec_lo, exec_lo, s7
	s_cbranch_execnz .LBB45_264
; %bb.265:
	s_or_b32 exec_lo, exec_lo, s7
.LBB45_266:
	s_delay_alu instid0(SALU_CYCLE_1) | instskip(SKIP_3) | instid1(VALU_DEP_2)
	s_or_b32 exec_lo, exec_lo, s6
	v_and_b32_e32 v14, 0xff, v13
	v_mov_b32_e32 v8, 0
	s_mov_b32 s6, exec_lo
	v_cmpx_ne_u16_e32 0, v14
	s_cbranch_execz .LBB45_268
; %bb.267:
	v_cvt_f32_ubyte0_e32 v8, v13
	v_cvt_f32_ubyte0_e32 v12, v12
	s_delay_alu instid0(VALU_DEP_2) | instskip(SKIP_1) | instid1(TRANS32_DEP_1)
	v_rcp_iflag_f32_e32 v13, v8
	v_nop
	v_mul_f32_e32 v13, v12, v13
	s_delay_alu instid0(VALU_DEP_1) | instskip(NEXT) | instid1(VALU_DEP_1)
	v_trunc_f32_e32 v13, v13
	v_fma_f32 v12, -v13, v8, v12
	v_cvt_u32_f32_e32 v13, v13
	s_delay_alu instid0(VALU_DEP_2) | instskip(NEXT) | instid1(VALU_DEP_1)
	v_cmp_ge_f32_e64 vcc_lo, |v12|, v8
	v_add_co_ci_u32_e64 v8, null, 0, v13, vcc_lo
	s_delay_alu instid0(VALU_DEP_1)
	v_mul_lo_u16 v8, v8, v9
.LBB45_268:
	s_or_b32 exec_lo, exec_lo, s6
	global_load_u8 v13, v18, s[2:3]
	global_load_u8 v12, v17, s[4:5]
	s_mov_b32 s7, 0
	s_mov_b32 s6, exec_lo
	s_wait_loadcnt 0x0
	v_mov_b32_e32 v14, v12
	s_wait_xcnt 0x0
	v_cmpx_ne_u16_e32 0, v13
	s_cbranch_execz .LBB45_272
; %bb.269:
	v_dual_mov_b32 v15, v13 :: v_dual_mov_b32 v9, v12
.LBB45_270:                             ; =>This Inner Loop Header: Depth=1
	s_delay_alu instid0(VALU_DEP_1) | instskip(NEXT) | instid1(VALU_DEP_2)
	v_cvt_f32_ubyte0_e32 v18, v9
	v_mov_b32_e32 v14, v15
	s_delay_alu instid0(VALU_DEP_1) | instskip(NEXT) | instid1(VALU_DEP_1)
	v_cvt_f32_ubyte0_e32 v15, v14
	v_rcp_iflag_f32_e32 v17, v15
	v_nop
	s_delay_alu instid0(TRANS32_DEP_1) | instskip(NEXT) | instid1(VALU_DEP_1)
	v_mul_f32_e32 v17, v18, v17
	v_trunc_f32_e32 v17, v17
	s_delay_alu instid0(VALU_DEP_1) | instskip(SKIP_1) | instid1(VALU_DEP_2)
	v_fma_f32 v18, -v17, v15, v18
	v_cvt_u32_f32_e32 v17, v17
	v_cmp_ge_f32_e64 vcc_lo, |v18|, v15
	s_delay_alu instid0(VALU_DEP_1) | instskip(NEXT) | instid1(VALU_DEP_1)
	v_add_co_ci_u32_e64 v15, null, 0, v17, vcc_lo
	v_mul_lo_u32 v15, v15, v14
	s_delay_alu instid0(VALU_DEP_1) | instskip(NEXT) | instid1(VALU_DEP_1)
	v_sub_nc_u32_e32 v9, v9, v15
	v_and_b32_e32 v15, 0xff, v9
	v_mov_b32_e32 v9, v14
	s_delay_alu instid0(VALU_DEP_2) | instskip(SKIP_1) | instid1(SALU_CYCLE_1)
	v_cmp_eq_u16_e32 vcc_lo, 0, v15
	s_or_b32 s7, vcc_lo, s7
	s_and_not1_b32 exec_lo, exec_lo, s7
	s_cbranch_execnz .LBB45_270
; %bb.271:
	s_or_b32 exec_lo, exec_lo, s7
.LBB45_272:
	s_delay_alu instid0(SALU_CYCLE_1) | instskip(SKIP_3) | instid1(VALU_DEP_2)
	s_or_b32 exec_lo, exec_lo, s6
	v_and_b32_e32 v15, 0xff, v14
	v_mov_b32_e32 v9, 0
	s_mov_b32 s6, exec_lo
	v_cmpx_ne_u16_e32 0, v15
	s_cbranch_execz .LBB45_274
; %bb.273:
	v_cvt_f32_ubyte0_e32 v9, v14
	v_cvt_f32_ubyte0_e32 v13, v13
	s_delay_alu instid0(VALU_DEP_2) | instskip(SKIP_1) | instid1(TRANS32_DEP_1)
	v_rcp_iflag_f32_e32 v14, v9
	v_nop
	v_mul_f32_e32 v14, v13, v14
	s_delay_alu instid0(VALU_DEP_1) | instskip(NEXT) | instid1(VALU_DEP_1)
	v_trunc_f32_e32 v14, v14
	v_fma_f32 v13, -v14, v9, v13
	v_cvt_u32_f32_e32 v14, v14
	s_delay_alu instid0(VALU_DEP_2) | instskip(NEXT) | instid1(VALU_DEP_1)
	v_cmp_ge_f32_e64 vcc_lo, |v13|, v9
	v_add_co_ci_u32_e64 v9, null, 0, v14, vcc_lo
	s_delay_alu instid0(VALU_DEP_1)
	v_mul_lo_u16 v9, v9, v12
.LBB45_274:
	s_or_b32 exec_lo, exec_lo, s6
	global_load_u8 v14, v20, s[2:3]
	global_load_u8 v13, v19, s[4:5]
	s_mov_b32 s7, 0
	s_mov_b32 s6, exec_lo
	s_wait_loadcnt 0x0
	v_mov_b32_e32 v15, v13
	s_wait_xcnt 0x0
	v_cmpx_ne_u16_e32 0, v14
	s_cbranch_execz .LBB45_278
; %bb.275:
	v_dual_mov_b32 v17, v14 :: v_dual_mov_b32 v12, v13
.LBB45_276:                             ; =>This Inner Loop Header: Depth=1
	s_delay_alu instid0(VALU_DEP_1) | instskip(NEXT) | instid1(VALU_DEP_2)
	v_cvt_f32_ubyte0_e32 v19, v12
	v_mov_b32_e32 v15, v17
	s_delay_alu instid0(VALU_DEP_1) | instskip(NEXT) | instid1(VALU_DEP_1)
	v_cvt_f32_ubyte0_e32 v17, v15
	v_rcp_iflag_f32_e32 v18, v17
	v_nop
	s_delay_alu instid0(TRANS32_DEP_1) | instskip(NEXT) | instid1(VALU_DEP_1)
	v_mul_f32_e32 v18, v19, v18
	v_trunc_f32_e32 v18, v18
	s_delay_alu instid0(VALU_DEP_1) | instskip(SKIP_1) | instid1(VALU_DEP_2)
	v_fma_f32 v19, -v18, v17, v19
	v_cvt_u32_f32_e32 v18, v18
	v_cmp_ge_f32_e64 vcc_lo, |v19|, v17
	s_delay_alu instid0(VALU_DEP_1) | instskip(NEXT) | instid1(VALU_DEP_1)
	v_add_co_ci_u32_e64 v17, null, 0, v18, vcc_lo
	v_mul_lo_u32 v17, v17, v15
	s_delay_alu instid0(VALU_DEP_1) | instskip(NEXT) | instid1(VALU_DEP_1)
	v_sub_nc_u32_e32 v12, v12, v17
	v_and_b32_e32 v17, 0xff, v12
	v_mov_b32_e32 v12, v15
	s_delay_alu instid0(VALU_DEP_2) | instskip(SKIP_1) | instid1(SALU_CYCLE_1)
	v_cmp_eq_u16_e32 vcc_lo, 0, v17
	s_or_b32 s7, vcc_lo, s7
	s_and_not1_b32 exec_lo, exec_lo, s7
	s_cbranch_execnz .LBB45_276
; %bb.277:
	s_or_b32 exec_lo, exec_lo, s7
.LBB45_278:
	s_delay_alu instid0(SALU_CYCLE_1) | instskip(SKIP_3) | instid1(VALU_DEP_2)
	s_or_b32 exec_lo, exec_lo, s6
	v_and_b32_e32 v17, 0xff, v15
	v_mov_b32_e32 v12, 0
	s_mov_b32 s6, exec_lo
	v_cmpx_ne_u16_e32 0, v17
	s_cbranch_execz .LBB45_280
; %bb.279:
	v_cvt_f32_ubyte0_e32 v12, v15
	v_cvt_f32_ubyte0_e32 v14, v14
	s_delay_alu instid0(VALU_DEP_2) | instskip(SKIP_1) | instid1(TRANS32_DEP_1)
	v_rcp_iflag_f32_e32 v15, v12
	v_nop
	v_mul_f32_e32 v15, v14, v15
	s_delay_alu instid0(VALU_DEP_1) | instskip(NEXT) | instid1(VALU_DEP_1)
	v_trunc_f32_e32 v15, v15
	v_fma_f32 v14, -v15, v12, v14
	v_cvt_u32_f32_e32 v15, v15
	s_delay_alu instid0(VALU_DEP_2) | instskip(NEXT) | instid1(VALU_DEP_1)
	v_cmp_ge_f32_e64 vcc_lo, |v14|, v12
	v_add_co_ci_u32_e64 v12, null, 0, v15, vcc_lo
	s_delay_alu instid0(VALU_DEP_1)
	v_mul_lo_u16 v12, v12, v13
.LBB45_280:
	s_or_b32 exec_lo, exec_lo, s6
	global_load_u8 v15, v22, s[2:3]
	global_load_u8 v14, v21, s[4:5]
	s_mov_b32 s7, 0
	s_mov_b32 s6, exec_lo
	s_wait_loadcnt 0x0
	v_mov_b32_e32 v17, v14
	s_wait_xcnt 0x0
	v_cmpx_ne_u16_e32 0, v15
	s_cbranch_execz .LBB45_284
; %bb.281:
	v_dual_mov_b32 v18, v15 :: v_dual_mov_b32 v13, v14
.LBB45_282:                             ; =>This Inner Loop Header: Depth=1
	s_delay_alu instid0(VALU_DEP_1) | instskip(NEXT) | instid1(VALU_DEP_2)
	v_cvt_f32_ubyte0_e32 v20, v13
	v_mov_b32_e32 v17, v18
	s_delay_alu instid0(VALU_DEP_1) | instskip(NEXT) | instid1(VALU_DEP_1)
	v_cvt_f32_ubyte0_e32 v18, v17
	v_rcp_iflag_f32_e32 v19, v18
	v_nop
	s_delay_alu instid0(TRANS32_DEP_1) | instskip(NEXT) | instid1(VALU_DEP_1)
	v_mul_f32_e32 v19, v20, v19
	v_trunc_f32_e32 v19, v19
	s_delay_alu instid0(VALU_DEP_1) | instskip(SKIP_1) | instid1(VALU_DEP_2)
	v_fma_f32 v20, -v19, v18, v20
	v_cvt_u32_f32_e32 v19, v19
	v_cmp_ge_f32_e64 vcc_lo, |v20|, v18
	s_delay_alu instid0(VALU_DEP_1) | instskip(NEXT) | instid1(VALU_DEP_1)
	v_add_co_ci_u32_e64 v18, null, 0, v19, vcc_lo
	v_mul_lo_u32 v18, v18, v17
	s_delay_alu instid0(VALU_DEP_1) | instskip(NEXT) | instid1(VALU_DEP_1)
	v_sub_nc_u32_e32 v13, v13, v18
	v_and_b32_e32 v18, 0xff, v13
	v_mov_b32_e32 v13, v17
	s_delay_alu instid0(VALU_DEP_2) | instskip(SKIP_1) | instid1(SALU_CYCLE_1)
	v_cmp_eq_u16_e32 vcc_lo, 0, v18
	s_or_b32 s7, vcc_lo, s7
	s_and_not1_b32 exec_lo, exec_lo, s7
	s_cbranch_execnz .LBB45_282
; %bb.283:
	s_or_b32 exec_lo, exec_lo, s7
.LBB45_284:
	s_delay_alu instid0(SALU_CYCLE_1) | instskip(SKIP_3) | instid1(VALU_DEP_2)
	s_or_b32 exec_lo, exec_lo, s6
	v_and_b32_e32 v18, 0xff, v17
	v_mov_b32_e32 v13, 0
	s_mov_b32 s6, exec_lo
	v_cmpx_ne_u16_e32 0, v18
	s_cbranch_execz .LBB45_286
; %bb.285:
	v_cvt_f32_ubyte0_e32 v13, v17
	v_cvt_f32_ubyte0_e32 v15, v15
	s_delay_alu instid0(VALU_DEP_2) | instskip(SKIP_1) | instid1(TRANS32_DEP_1)
	v_rcp_iflag_f32_e32 v17, v13
	v_nop
	v_mul_f32_e32 v17, v15, v17
	s_delay_alu instid0(VALU_DEP_1) | instskip(NEXT) | instid1(VALU_DEP_1)
	v_trunc_f32_e32 v17, v17
	v_fma_f32 v15, -v17, v13, v15
	v_cvt_u32_f32_e32 v17, v17
	s_delay_alu instid0(VALU_DEP_2) | instskip(NEXT) | instid1(VALU_DEP_1)
	v_cmp_ge_f32_e64 vcc_lo, |v15|, v13
	v_add_co_ci_u32_e64 v13, null, 0, v17, vcc_lo
	s_delay_alu instid0(VALU_DEP_1)
	v_mul_lo_u16 v13, v13, v14
.LBB45_286:
	s_or_b32 exec_lo, exec_lo, s6
	global_load_u8 v15, v24, s[2:3]
	global_load_u8 v14, v23, s[4:5]
	s_wait_xcnt 0x1
	s_mov_b32 s3, 0
	s_mov_b32 s2, exec_lo
	s_wait_loadcnt 0x0
	v_mov_b32_e32 v17, v14
	s_wait_xcnt 0x0
	v_cmpx_ne_u16_e32 0, v15
	s_cbranch_execz .LBB45_290
; %bb.287:
	v_dual_mov_b32 v19, v15 :: v_dual_mov_b32 v18, v14
.LBB45_288:                             ; =>This Inner Loop Header: Depth=1
	s_delay_alu instid0(VALU_DEP_1) | instskip(NEXT) | instid1(VALU_DEP_2)
	v_cvt_f32_ubyte0_e32 v21, v18
	v_mov_b32_e32 v17, v19
	s_delay_alu instid0(VALU_DEP_1) | instskip(NEXT) | instid1(VALU_DEP_1)
	v_cvt_f32_ubyte0_e32 v19, v17
	v_rcp_iflag_f32_e32 v20, v19
	v_nop
	s_delay_alu instid0(TRANS32_DEP_1) | instskip(NEXT) | instid1(VALU_DEP_1)
	v_mul_f32_e32 v20, v21, v20
	v_trunc_f32_e32 v20, v20
	s_delay_alu instid0(VALU_DEP_1) | instskip(SKIP_1) | instid1(VALU_DEP_2)
	v_fma_f32 v21, -v20, v19, v21
	v_cvt_u32_f32_e32 v20, v20
	v_cmp_ge_f32_e64 vcc_lo, |v21|, v19
	s_delay_alu instid0(VALU_DEP_1) | instskip(NEXT) | instid1(VALU_DEP_1)
	v_add_co_ci_u32_e64 v19, null, 0, v20, vcc_lo
	v_mul_lo_u32 v19, v19, v17
	s_delay_alu instid0(VALU_DEP_1) | instskip(NEXT) | instid1(VALU_DEP_1)
	v_sub_nc_u32_e32 v18, v18, v19
	v_and_b32_e32 v19, 0xff, v18
	v_mov_b32_e32 v18, v17
	s_delay_alu instid0(VALU_DEP_2) | instskip(SKIP_1) | instid1(SALU_CYCLE_1)
	v_cmp_eq_u16_e32 vcc_lo, 0, v19
	s_or_b32 s3, vcc_lo, s3
	s_and_not1_b32 exec_lo, exec_lo, s3
	s_cbranch_execnz .LBB45_288
; %bb.289:
	s_or_b32 exec_lo, exec_lo, s3
.LBB45_290:
	s_delay_alu instid0(SALU_CYCLE_1) | instskip(SKIP_3) | instid1(VALU_DEP_2)
	s_or_b32 exec_lo, exec_lo, s2
	v_and_b32_e32 v19, 0xff, v17
	v_mov_b32_e32 v18, 0
	s_mov_b32 s2, exec_lo
	v_cmpx_ne_u16_e32 0, v19
	s_cbranch_execz .LBB45_292
; %bb.291:
	v_cvt_f32_ubyte0_e32 v17, v17
	v_cvt_f32_ubyte0_e32 v15, v15
	s_delay_alu instid0(VALU_DEP_2) | instskip(SKIP_1) | instid1(TRANS32_DEP_1)
	v_rcp_iflag_f32_e32 v18, v17
	v_nop
	v_mul_f32_e32 v18, v15, v18
	s_delay_alu instid0(VALU_DEP_1) | instskip(NEXT) | instid1(VALU_DEP_1)
	v_trunc_f32_e32 v18, v18
	v_fma_f32 v15, -v18, v17, v15
	v_cvt_u32_f32_e32 v18, v18
	s_delay_alu instid0(VALU_DEP_2) | instskip(NEXT) | instid1(VALU_DEP_1)
	v_cmp_ge_f32_e64 vcc_lo, |v15|, v17
	v_add_co_ci_u32_e64 v15, null, 0, v18, vcc_lo
	s_delay_alu instid0(VALU_DEP_1)
	v_mul_lo_u16 v18, v15, v14
.LBB45_292:
	s_or_b32 exec_lo, exec_lo, s2
	s_clause 0x7
	global_store_b8 v1, v5, s[0:1]
	global_store_b8 v2, v6, s[0:1]
	;; [unrolled: 1-line block ×8, first 2 shown]
	s_endpgm
	.section	.rodata,"a",@progbits
	.p2align	6, 0x0
	.amdhsa_kernel _ZN2at6native32elementwise_kernel_manual_unrollILi128ELi8EZNS0_22gpu_kernel_impl_nocastIZZZNS0_15lcm_kernel_cudaERNS_18TensorIteratorBaseEENKUlvE_clEvENKUlvE_clEvEUlhhE_EEvS4_RKT_EUlibE_EEviT1_
		.amdhsa_group_segment_fixed_size 0
		.amdhsa_private_segment_fixed_size 0
		.amdhsa_kernarg_size 432
		.amdhsa_user_sgpr_count 2
		.amdhsa_user_sgpr_dispatch_ptr 0
		.amdhsa_user_sgpr_queue_ptr 0
		.amdhsa_user_sgpr_kernarg_segment_ptr 1
		.amdhsa_user_sgpr_dispatch_id 0
		.amdhsa_user_sgpr_kernarg_preload_length 0
		.amdhsa_user_sgpr_kernarg_preload_offset 0
		.amdhsa_user_sgpr_private_segment_size 0
		.amdhsa_wavefront_size32 1
		.amdhsa_uses_dynamic_stack 0
		.amdhsa_enable_private_segment 0
		.amdhsa_system_sgpr_workgroup_id_x 1
		.amdhsa_system_sgpr_workgroup_id_y 0
		.amdhsa_system_sgpr_workgroup_id_z 0
		.amdhsa_system_sgpr_workgroup_info 0
		.amdhsa_system_vgpr_workitem_id 0
		.amdhsa_next_free_vgpr 29
		.amdhsa_next_free_sgpr 46
		.amdhsa_named_barrier_count 0
		.amdhsa_reserve_vcc 1
		.amdhsa_float_round_mode_32 0
		.amdhsa_float_round_mode_16_64 0
		.amdhsa_float_denorm_mode_32 3
		.amdhsa_float_denorm_mode_16_64 3
		.amdhsa_fp16_overflow 0
		.amdhsa_memory_ordered 1
		.amdhsa_forward_progress 1
		.amdhsa_inst_pref_size 116
		.amdhsa_round_robin_scheduling 0
		.amdhsa_exception_fp_ieee_invalid_op 0
		.amdhsa_exception_fp_denorm_src 0
		.amdhsa_exception_fp_ieee_div_zero 0
		.amdhsa_exception_fp_ieee_overflow 0
		.amdhsa_exception_fp_ieee_underflow 0
		.amdhsa_exception_fp_ieee_inexact 0
		.amdhsa_exception_int_div_zero 0
	.end_amdhsa_kernel
	.section	.text._ZN2at6native32elementwise_kernel_manual_unrollILi128ELi8EZNS0_22gpu_kernel_impl_nocastIZZZNS0_15lcm_kernel_cudaERNS_18TensorIteratorBaseEENKUlvE_clEvENKUlvE_clEvEUlhhE_EEvS4_RKT_EUlibE_EEviT1_,"axG",@progbits,_ZN2at6native32elementwise_kernel_manual_unrollILi128ELi8EZNS0_22gpu_kernel_impl_nocastIZZZNS0_15lcm_kernel_cudaERNS_18TensorIteratorBaseEENKUlvE_clEvENKUlvE_clEvEUlhhE_EEvS4_RKT_EUlibE_EEviT1_,comdat
.Lfunc_end45:
	.size	_ZN2at6native32elementwise_kernel_manual_unrollILi128ELi8EZNS0_22gpu_kernel_impl_nocastIZZZNS0_15lcm_kernel_cudaERNS_18TensorIteratorBaseEENKUlvE_clEvENKUlvE_clEvEUlhhE_EEvS4_RKT_EUlibE_EEviT1_, .Lfunc_end45-_ZN2at6native32elementwise_kernel_manual_unrollILi128ELi8EZNS0_22gpu_kernel_impl_nocastIZZZNS0_15lcm_kernel_cudaERNS_18TensorIteratorBaseEENKUlvE_clEvENKUlvE_clEvEUlhhE_EEvS4_RKT_EUlibE_EEviT1_
                                        ; -- End function
	.set _ZN2at6native32elementwise_kernel_manual_unrollILi128ELi8EZNS0_22gpu_kernel_impl_nocastIZZZNS0_15lcm_kernel_cudaERNS_18TensorIteratorBaseEENKUlvE_clEvENKUlvE_clEvEUlhhE_EEvS4_RKT_EUlibE_EEviT1_.num_vgpr, 29
	.set _ZN2at6native32elementwise_kernel_manual_unrollILi128ELi8EZNS0_22gpu_kernel_impl_nocastIZZZNS0_15lcm_kernel_cudaERNS_18TensorIteratorBaseEENKUlvE_clEvENKUlvE_clEvEUlhhE_EEvS4_RKT_EUlibE_EEviT1_.num_agpr, 0
	.set _ZN2at6native32elementwise_kernel_manual_unrollILi128ELi8EZNS0_22gpu_kernel_impl_nocastIZZZNS0_15lcm_kernel_cudaERNS_18TensorIteratorBaseEENKUlvE_clEvENKUlvE_clEvEUlhhE_EEvS4_RKT_EUlibE_EEviT1_.numbered_sgpr, 46
	.set _ZN2at6native32elementwise_kernel_manual_unrollILi128ELi8EZNS0_22gpu_kernel_impl_nocastIZZZNS0_15lcm_kernel_cudaERNS_18TensorIteratorBaseEENKUlvE_clEvENKUlvE_clEvEUlhhE_EEvS4_RKT_EUlibE_EEviT1_.num_named_barrier, 0
	.set _ZN2at6native32elementwise_kernel_manual_unrollILi128ELi8EZNS0_22gpu_kernel_impl_nocastIZZZNS0_15lcm_kernel_cudaERNS_18TensorIteratorBaseEENKUlvE_clEvENKUlvE_clEvEUlhhE_EEvS4_RKT_EUlibE_EEviT1_.private_seg_size, 0
	.set _ZN2at6native32elementwise_kernel_manual_unrollILi128ELi8EZNS0_22gpu_kernel_impl_nocastIZZZNS0_15lcm_kernel_cudaERNS_18TensorIteratorBaseEENKUlvE_clEvENKUlvE_clEvEUlhhE_EEvS4_RKT_EUlibE_EEviT1_.uses_vcc, 1
	.set _ZN2at6native32elementwise_kernel_manual_unrollILi128ELi8EZNS0_22gpu_kernel_impl_nocastIZZZNS0_15lcm_kernel_cudaERNS_18TensorIteratorBaseEENKUlvE_clEvENKUlvE_clEvEUlhhE_EEvS4_RKT_EUlibE_EEviT1_.uses_flat_scratch, 0
	.set _ZN2at6native32elementwise_kernel_manual_unrollILi128ELi8EZNS0_22gpu_kernel_impl_nocastIZZZNS0_15lcm_kernel_cudaERNS_18TensorIteratorBaseEENKUlvE_clEvENKUlvE_clEvEUlhhE_EEvS4_RKT_EUlibE_EEviT1_.has_dyn_sized_stack, 0
	.set _ZN2at6native32elementwise_kernel_manual_unrollILi128ELi8EZNS0_22gpu_kernel_impl_nocastIZZZNS0_15lcm_kernel_cudaERNS_18TensorIteratorBaseEENKUlvE_clEvENKUlvE_clEvEUlhhE_EEvS4_RKT_EUlibE_EEviT1_.has_recursion, 0
	.set _ZN2at6native32elementwise_kernel_manual_unrollILi128ELi8EZNS0_22gpu_kernel_impl_nocastIZZZNS0_15lcm_kernel_cudaERNS_18TensorIteratorBaseEENKUlvE_clEvENKUlvE_clEvEUlhhE_EEvS4_RKT_EUlibE_EEviT1_.has_indirect_call, 0
	.section	.AMDGPU.csdata,"",@progbits
; Kernel info:
; codeLenInByte = 14800
; TotalNumSgprs: 48
; NumVgprs: 29
; ScratchSize: 0
; MemoryBound: 0
; FloatMode: 240
; IeeeMode: 1
; LDSByteSize: 0 bytes/workgroup (compile time only)
; SGPRBlocks: 0
; VGPRBlocks: 1
; NumSGPRsForWavesPerEU: 48
; NumVGPRsForWavesPerEU: 29
; NamedBarCnt: 0
; Occupancy: 16
; WaveLimiterHint : 1
; COMPUTE_PGM_RSRC2:SCRATCH_EN: 0
; COMPUTE_PGM_RSRC2:USER_SGPR: 2
; COMPUTE_PGM_RSRC2:TRAP_HANDLER: 0
; COMPUTE_PGM_RSRC2:TGID_X_EN: 1
; COMPUTE_PGM_RSRC2:TGID_Y_EN: 0
; COMPUTE_PGM_RSRC2:TGID_Z_EN: 0
; COMPUTE_PGM_RSRC2:TIDIG_COMP_CNT: 0
	.section	.text._ZN2at6native32elementwise_kernel_manual_unrollILi128ELi4EZNS0_15gpu_kernel_implIZZZNS0_15lcm_kernel_cudaERNS_18TensorIteratorBaseEENKUlvE_clEvENKUlvE_clEvEUlhhE_EEvS4_RKT_EUlibE_EEviT1_,"axG",@progbits,_ZN2at6native32elementwise_kernel_manual_unrollILi128ELi4EZNS0_15gpu_kernel_implIZZZNS0_15lcm_kernel_cudaERNS_18TensorIteratorBaseEENKUlvE_clEvENKUlvE_clEvEUlhhE_EEvS4_RKT_EUlibE_EEviT1_,comdat
	.globl	_ZN2at6native32elementwise_kernel_manual_unrollILi128ELi4EZNS0_15gpu_kernel_implIZZZNS0_15lcm_kernel_cudaERNS_18TensorIteratorBaseEENKUlvE_clEvENKUlvE_clEvEUlhhE_EEvS4_RKT_EUlibE_EEviT1_ ; -- Begin function _ZN2at6native32elementwise_kernel_manual_unrollILi128ELi4EZNS0_15gpu_kernel_implIZZZNS0_15lcm_kernel_cudaERNS_18TensorIteratorBaseEENKUlvE_clEvENKUlvE_clEvEUlhhE_EEvS4_RKT_EUlibE_EEviT1_
	.p2align	8
	.type	_ZN2at6native32elementwise_kernel_manual_unrollILi128ELi4EZNS0_15gpu_kernel_implIZZZNS0_15lcm_kernel_cudaERNS_18TensorIteratorBaseEENKUlvE_clEvENKUlvE_clEvEUlhhE_EEvS4_RKT_EUlibE_EEviT1_,@function
_ZN2at6native32elementwise_kernel_manual_unrollILi128ELi4EZNS0_15gpu_kernel_implIZZZNS0_15lcm_kernel_cudaERNS_18TensorIteratorBaseEENKUlvE_clEvENKUlvE_clEvEUlhhE_EEvS4_RKT_EUlibE_EEviT1_: ; @_ZN2at6native32elementwise_kernel_manual_unrollILi128ELi4EZNS0_15gpu_kernel_implIZZZNS0_15lcm_kernel_cudaERNS_18TensorIteratorBaseEENKUlvE_clEvENKUlvE_clEvEUlhhE_EEvS4_RKT_EUlibE_EEviT1_
; %bb.0:
	v_mov_b32_e32 v1, 0
	s_bfe_u32 s4, ttmp6, 0x4000c
	s_load_b32 s16, s[0:1], 0x0
	s_add_co_i32 s13, s4, 1
	s_load_b128 s[4:7], s[0:1], 0x8
	s_clause 0x1
	global_load_u16 v2, v1, s[0:1] offset:45
	global_load_i8 v3, v1, s[0:1] offset:47
	s_clause 0x1
	s_load_b64 s[2:3], s[0:1], 0x18
	s_load_b96 s[8:10], s[0:1], 0x20
	s_and_b32 s12, ttmp6, 15
	s_wait_xcnt 0x0
	s_mul_i32 s0, ttmp9, s13
	s_getreg_b32 s14, hwreg(HW_REG_IB_STS2, 6, 4)
	s_add_co_i32 s12, s12, s0
	s_mov_b32 s15, 0
	s_wait_loadcnt 0x1
	v_readfirstlane_b32 s11, v2
	s_wait_loadcnt 0x0
	v_readfirstlane_b32 s1, v3
	s_lshr_b32 s13, s11, 8
	s_cmp_eq_u32 s14, 0
	s_cselect_b32 s0, ttmp9, s12
	s_mov_b32 s12, 0
	v_lshl_or_b32 v10, s0, 9, v0
	s_mov_b32 s0, exec_lo
	s_delay_alu instid0(VALU_DEP_1) | instskip(SKIP_1) | instid1(VALU_DEP_1)
	v_or_b32_e32 v0, 0x180, v10
	s_wait_kmcnt 0x0
	v_cmpx_le_i32_e64 s16, v0
	s_xor_b32 s14, exec_lo, s0
	s_cbranch_execz .LBB46_1539
; %bb.1:
	s_mov_b32 s23, -1
	s_mov_b32 s20, 0
	s_mov_b32 s18, 0
	s_mov_b32 s17, 0
	s_mov_b32 s19, exec_lo
	v_cmpx_gt_i32_e64 s16, v10
	s_cbranch_execz .LBB46_380
; %bb.2:
	v_mul_lo_u32 v0, v10, s9
	s_and_b32 s0, s13, 0xff
	s_delay_alu instid0(SALU_CYCLE_1) | instskip(NEXT) | instid1(VALU_DEP_1)
	s_cmp_lt_i32 s0, 11
	v_ashrrev_i32_e32 v1, 31, v0
	s_delay_alu instid0(VALU_DEP_1)
	v_add_nc_u64_e32 v[2:3], s[6:7], v[0:1]
	s_cbranch_scc1 .LBB46_9
; %bb.3:
	s_and_b32 s15, 0xffff, s0
	s_delay_alu instid0(SALU_CYCLE_1)
	s_cmp_gt_i32 s15, 25
	s_cbranch_scc0 .LBB46_18
; %bb.4:
	s_cmp_gt_i32 s15, 28
	s_cbranch_scc0 .LBB46_34
; %bb.5:
	;; [unrolled: 3-line block ×4, first 2 shown]
	s_cmp_eq_u32 s15, 46
	s_mov_b32 s21, 0
	s_cbranch_scc0 .LBB46_43
; %bb.8:
	global_load_b32 v0, v[2:3], off
	s_mov_b32 s17, -1
	s_wait_loadcnt 0x0
	v_lshlrev_b32_e32 v0, 16, v0
	s_delay_alu instid0(VALU_DEP_1) | instskip(NEXT) | instid1(VALU_DEP_1)
	v_trunc_f32_e32 v0, v0
	v_mul_f32_e64 v1, 0x2f800000, |v0|
	s_delay_alu instid0(VALU_DEP_1) | instskip(NEXT) | instid1(VALU_DEP_1)
	v_floor_f32_e32 v1, v1
	v_fma_f32 v1, 0xcf800000, v1, |v0|
	v_ashrrev_i32_e32 v0, 31, v0
	s_delay_alu instid0(VALU_DEP_2) | instskip(NEXT) | instid1(VALU_DEP_1)
	v_cvt_u32_f32_e32 v1, v1
	v_xor_b32_e32 v1, v1, v0
	s_delay_alu instid0(VALU_DEP_1)
	v_sub_nc_u32_e32 v0, v1, v0
	s_branch .LBB46_45
.LBB46_9:
                                        ; implicit-def: $vgpr0
	s_cbranch_execnz .LBB46_107
.LBB46_10:
	s_and_not1_b32 vcc_lo, exec_lo, s17
	s_cbranch_vccnz .LBB46_154
.LBB46_11:
	s_wait_xcnt 0x0
	v_mul_lo_u32 v2, v10, s10
	s_and_b32 s0, s1, 0xff
	s_delay_alu instid0(SALU_CYCLE_1) | instskip(NEXT) | instid1(VALU_DEP_1)
	s_cmp_lt_i32 s0, 11
	v_ashrrev_i32_e32 v3, 31, v2
	s_delay_alu instid0(VALU_DEP_1)
	v_add_nc_u64_e32 v[2:3], s[2:3], v[2:3]
	s_cbranch_scc1 .LBB46_19
; %bb.12:
	s_and_b32 s15, 0xffff, s0
	s_delay_alu instid0(SALU_CYCLE_1)
	s_cmp_gt_i32 s15, 25
	s_cbranch_scc0 .LBB46_35
; %bb.13:
	s_cmp_gt_i32 s15, 28
	s_cbranch_scc0 .LBB46_38
; %bb.14:
	s_cmp_gt_i32 s15, 43
	s_cbranch_scc0 .LBB46_41
; %bb.15:
	s_cmp_gt_i32 s15, 45
	s_cbranch_scc0 .LBB46_48
; %bb.16:
	s_cmp_eq_u32 s15, 46
	s_mov_b32 s22, 0
	s_cbranch_scc0 .LBB46_155
; %bb.17:
	s_wait_loadcnt 0x0
	global_load_b32 v1, v[2:3], off
	s_mov_b32 s21, -1
	s_mov_b32 s17, 0
	s_wait_loadcnt 0x0
	v_lshlrev_b32_e32 v1, 16, v1
	s_delay_alu instid0(VALU_DEP_1) | instskip(NEXT) | instid1(VALU_DEP_1)
	v_trunc_f32_e32 v1, v1
	v_mul_f32_e64 v4, 0x2f800000, |v1|
	s_delay_alu instid0(VALU_DEP_1) | instskip(NEXT) | instid1(VALU_DEP_1)
	v_floor_f32_e32 v4, v4
	v_fma_f32 v4, 0xcf800000, v4, |v1|
	v_ashrrev_i32_e32 v1, 31, v1
	s_delay_alu instid0(VALU_DEP_2) | instskip(NEXT) | instid1(VALU_DEP_1)
	v_cvt_u32_f32_e32 v4, v4
	v_xor_b32_e32 v4, v4, v1
	s_delay_alu instid0(VALU_DEP_1)
	v_sub_nc_u32_e32 v4, v4, v1
	s_branch .LBB46_157
.LBB46_18:
                                        ; implicit-def: $vgpr0
	s_cbranch_execnz .LBB46_74
	s_branch .LBB46_106
.LBB46_19:
	s_mov_b32 s17, 0
	s_mov_b32 s21, 0
                                        ; implicit-def: $vgpr4
	s_cbranch_execnz .LBB46_329
.LBB46_20:
	s_and_not1_b32 vcc_lo, exec_lo, s21
	s_cbranch_vccnz .LBB46_377
.LBB46_21:
	s_wait_loadcnt 0x0
	s_delay_alu instid0(VALU_DEP_4) | instskip(SKIP_1) | instid1(VALU_DEP_1)
	v_and_b32_e32 v1, 0xff, v0
	s_mov_b32 s15, 0
	v_cmp_ne_u16_e32 vcc_lo, 0, v1
	s_delay_alu instid0(VALU_DEP_3)
	v_mov_b32_e32 v1, v4
	s_and_saveexec_b32 s0, vcc_lo
	s_cbranch_execz .LBB46_25
; %bb.22:
	v_dual_mov_b32 v3, v0 :: v_dual_mov_b32 v2, v4
.LBB46_23:                              ; =>This Inner Loop Header: Depth=1
	s_delay_alu instid0(VALU_DEP_1) | instskip(NEXT) | instid1(VALU_DEP_2)
	v_cvt_f32_ubyte0_e32 v6, v2
	v_mov_b32_e32 v1, v3
	s_delay_alu instid0(VALU_DEP_1) | instskip(NEXT) | instid1(VALU_DEP_1)
	v_cvt_f32_ubyte0_e32 v3, v1
	v_rcp_iflag_f32_e32 v5, v3
	v_nop
	s_delay_alu instid0(TRANS32_DEP_1) | instskip(NEXT) | instid1(VALU_DEP_1)
	v_mul_f32_e32 v5, v6, v5
	v_trunc_f32_e32 v5, v5
	s_delay_alu instid0(VALU_DEP_1) | instskip(SKIP_1) | instid1(VALU_DEP_2)
	v_fma_f32 v6, -v5, v3, v6
	v_cvt_u32_f32_e32 v5, v5
	v_cmp_ge_f32_e64 vcc_lo, |v6|, v3
	s_delay_alu instid0(VALU_DEP_1) | instskip(NEXT) | instid1(VALU_DEP_1)
	v_add_co_ci_u32_e64 v3, null, 0, v5, vcc_lo
	v_mul_lo_u32 v3, v3, v1
	s_delay_alu instid0(VALU_DEP_1) | instskip(NEXT) | instid1(VALU_DEP_1)
	v_sub_nc_u32_e32 v2, v2, v3
	v_and_b32_e32 v3, 0xff, v2
	v_mov_b32_e32 v2, v1
	s_delay_alu instid0(VALU_DEP_2) | instskip(SKIP_1) | instid1(SALU_CYCLE_1)
	v_cmp_eq_u16_e32 vcc_lo, 0, v3
	s_or_b32 s15, vcc_lo, s15
	s_and_not1_b32 exec_lo, exec_lo, s15
	s_cbranch_execnz .LBB46_23
; %bb.24:
	s_or_b32 exec_lo, exec_lo, s15
.LBB46_25:
	s_delay_alu instid0(SALU_CYCLE_1) | instskip(NEXT) | instid1(VALU_DEP_1)
	s_or_b32 exec_lo, exec_lo, s0
	v_and_b32_e32 v3, 0xff, v1
	v_mov_b32_e32 v2, 0
	s_mov_b32 s0, exec_lo
	s_delay_alu instid0(VALU_DEP_2)
	v_cmpx_ne_u16_e32 0, v3
	s_cbranch_execz .LBB46_27
; %bb.26:
	v_cvt_f32_ubyte0_e32 v1, v1
	v_cvt_f32_ubyte0_e32 v0, v0
	s_delay_alu instid0(VALU_DEP_2) | instskip(SKIP_1) | instid1(TRANS32_DEP_1)
	v_rcp_iflag_f32_e32 v2, v1
	v_nop
	v_mul_f32_e32 v2, v0, v2
	s_delay_alu instid0(VALU_DEP_1) | instskip(NEXT) | instid1(VALU_DEP_1)
	v_trunc_f32_e32 v2, v2
	v_fma_f32 v0, -v2, v1, v0
	v_cvt_u32_f32_e32 v2, v2
	s_delay_alu instid0(VALU_DEP_2) | instskip(NEXT) | instid1(VALU_DEP_1)
	v_cmp_ge_f32_e64 vcc_lo, |v0|, v1
	v_add_co_ci_u32_e64 v0, null, 0, v2, vcc_lo
	s_delay_alu instid0(VALU_DEP_1)
	v_mul_lo_u16 v2, v0, v4
.LBB46_27:
	s_or_b32 exec_lo, exec_lo, s0
	v_mul_lo_u32 v0, v10, s8
	s_and_b32 s15, s11, 0xff
	s_delay_alu instid0(SALU_CYCLE_1) | instskip(NEXT) | instid1(VALU_DEP_1)
	s_cmp_lt_i32 s15, 11
	v_ashrrev_i32_e32 v1, 31, v0
	s_delay_alu instid0(VALU_DEP_1)
	v_add_nc_u64_e32 v[0:1], s[4:5], v[0:1]
	s_cbranch_scc1 .LBB46_36
; %bb.28:
	s_and_b32 s21, 0xffff, s15
	s_delay_alu instid0(SALU_CYCLE_1)
	s_cmp_gt_i32 s21, 25
	s_cbranch_scc0 .LBB46_39
; %bb.29:
	s_cmp_gt_i32 s21, 28
	s_cbranch_scc0 .LBB46_42
; %bb.30:
	;; [unrolled: 3-line block ×4, first 2 shown]
	s_mov_b32 s23, 0
	s_mov_b32 s0, -1
	s_cmp_eq_u32 s21, 46
	s_mov_b32 s22, 0
	s_cbranch_scc0 .LBB46_161
; %bb.33:
	v_cvt_f32_ubyte0_e32 v3, v2
	s_mov_b32 s22, -1
	s_mov_b32 s0, 0
	s_delay_alu instid0(VALU_DEP_1) | instskip(NEXT) | instid1(VALU_DEP_1)
	v_bfe_u32 v4, v3, 16, 1
	v_add3_u32 v3, v3, v4, 0x7fff
	s_delay_alu instid0(VALU_DEP_1)
	v_lshrrev_b32_e32 v3, 16, v3
	global_store_b32 v[0:1], v3, off
	s_branch .LBB46_161
.LBB46_34:
	s_mov_b32 s21, -1
                                        ; implicit-def: $vgpr0
	s_branch .LBB46_57
.LBB46_35:
	s_mov_b32 s22, -1
	s_mov_b32 s17, 0
	s_mov_b32 s21, 0
                                        ; implicit-def: $vgpr4
	s_branch .LBB46_295
.LBB46_36:
	s_mov_b32 s21, -1
	s_mov_b32 s0, 0
	s_mov_b32 s22, 0
	s_branch .LBB46_230
.LBB46_37:
	s_mov_b32 s21, -1
                                        ; implicit-def: $vgpr0
	s_branch .LBB46_52
.LBB46_38:
	s_mov_b32 s22, -1
	s_mov_b32 s17, 0
	s_mov_b32 s21, 0
                                        ; implicit-def: $vgpr4
	s_branch .LBB46_278
.LBB46_39:
	s_mov_b32 s23, -1
	s_mov_b32 s0, 0
	s_mov_b32 s22, 0
	s_branch .LBB46_188
.LBB46_40:
	s_mov_b32 s21, -1
	s_branch .LBB46_44
.LBB46_41:
	s_mov_b32 s22, -1
	s_mov_b32 s17, 0
	s_mov_b32 s21, 0
                                        ; implicit-def: $vgpr4
	s_branch .LBB46_273
.LBB46_42:
	s_mov_b32 s23, -1
	s_mov_b32 s0, 0
	s_mov_b32 s22, 0
	s_branch .LBB46_171
.LBB46_43:
	s_mov_b32 s18, -1
.LBB46_44:
                                        ; implicit-def: $vgpr0
.LBB46_45:
	s_and_b32 vcc_lo, exec_lo, s21
	s_cbranch_vccz .LBB46_51
; %bb.46:
	s_cmp_eq_u32 s15, 44
	s_cbranch_scc0 .LBB46_50
; %bb.47:
	global_load_u8 v0, v[2:3], off
	s_mov_b32 s18, 0
	s_mov_b32 s17, -1
	s_wait_loadcnt 0x0
	v_lshlrev_b32_e32 v1, 23, v0
	v_cmp_ne_u32_e32 vcc_lo, 0, v0
	s_delay_alu instid0(VALU_DEP_2) | instskip(NEXT) | instid1(VALU_DEP_1)
	v_trunc_f32_e32 v1, v1
	v_mul_f32_e64 v4, 0x2f800000, |v1|
	s_delay_alu instid0(VALU_DEP_1) | instskip(NEXT) | instid1(VALU_DEP_1)
	v_floor_f32_e32 v4, v4
	v_fma_f32 v4, 0xcf800000, v4, |v1|
	v_ashrrev_i32_e32 v1, 31, v1
	s_delay_alu instid0(VALU_DEP_2) | instskip(NEXT) | instid1(VALU_DEP_1)
	v_cvt_u32_f32_e32 v4, v4
	v_xor_b32_e32 v4, v4, v1
	s_delay_alu instid0(VALU_DEP_1) | instskip(NEXT) | instid1(VALU_DEP_1)
	v_sub_nc_u32_e32 v1, v4, v1
	v_cndmask_b32_e32 v0, 0, v1, vcc_lo
	s_branch .LBB46_51
.LBB46_48:
	s_mov_b32 s22, -1
	s_mov_b32 s17, 0
	s_branch .LBB46_156
.LBB46_49:
	s_mov_b32 s23, -1
	s_mov_b32 s0, 0
	s_mov_b32 s22, 0
	s_branch .LBB46_167
.LBB46_50:
	s_mov_b32 s18, -1
                                        ; implicit-def: $vgpr0
.LBB46_51:
	s_mov_b32 s21, 0
.LBB46_52:
	s_delay_alu instid0(SALU_CYCLE_1)
	s_and_b32 vcc_lo, exec_lo, s21
	s_cbranch_vccz .LBB46_56
; %bb.53:
	s_cmp_eq_u32 s15, 29
	s_cbranch_scc0 .LBB46_55
; %bb.54:
	global_load_b64 v[0:1], v[2:3], off
	s_mov_b32 s17, -1
	s_mov_b32 s18, 0
	s_branch .LBB46_56
.LBB46_55:
	s_mov_b32 s18, -1
                                        ; implicit-def: $vgpr0
.LBB46_56:
	s_mov_b32 s21, 0
.LBB46_57:
	s_delay_alu instid0(SALU_CYCLE_1)
	s_and_b32 vcc_lo, exec_lo, s21
	s_cbranch_vccz .LBB46_73
; %bb.58:
	s_cmp_lt_i32 s15, 27
	s_cbranch_scc1 .LBB46_61
; %bb.59:
	s_cmp_gt_i32 s15, 27
	s_cbranch_scc0 .LBB46_62
; %bb.60:
	s_wait_loadcnt 0x0
	global_load_b32 v0, v[2:3], off
	s_mov_b32 s17, 0
	s_branch .LBB46_63
.LBB46_61:
	s_mov_b32 s17, -1
                                        ; implicit-def: $vgpr0
	s_branch .LBB46_66
.LBB46_62:
	s_mov_b32 s17, -1
                                        ; implicit-def: $vgpr0
.LBB46_63:
	s_delay_alu instid0(SALU_CYCLE_1)
	s_and_not1_b32 vcc_lo, exec_lo, s17
	s_cbranch_vccnz .LBB46_65
; %bb.64:
	s_wait_loadcnt 0x0
	global_load_u16 v0, v[2:3], off
.LBB46_65:
	s_mov_b32 s17, 0
.LBB46_66:
	s_delay_alu instid0(SALU_CYCLE_1)
	s_and_not1_b32 vcc_lo, exec_lo, s17
	s_cbranch_vccnz .LBB46_72
; %bb.67:
	s_wait_loadcnt 0x0
	global_load_u8 v1, v[2:3], off
	s_mov_b32 s21, 0
	s_mov_b32 s17, exec_lo
	s_wait_loadcnt 0x0
	v_cmpx_lt_i16_e32 0x7f, v1
	s_xor_b32 s17, exec_lo, s17
	s_cbranch_execz .LBB46_83
; %bb.68:
	v_cmp_ne_u16_e32 vcc_lo, 0x80, v1
	s_and_b32 s21, vcc_lo, exec_lo
	s_and_not1_saveexec_b32 s17, s17
	s_cbranch_execnz .LBB46_84
.LBB46_69:
	s_or_b32 exec_lo, exec_lo, s17
	v_mov_b32_e32 v0, 0
	s_and_saveexec_b32 s17, s21
	s_cbranch_execz .LBB46_71
.LBB46_70:
	v_and_b32_e32 v0, 0xffff, v1
	s_delay_alu instid0(VALU_DEP_1) | instskip(SKIP_1) | instid1(VALU_DEP_2)
	v_and_b32_e32 v4, 7, v0
	v_bfe_u32 v7, v0, 3, 4
	v_clz_i32_u32_e32 v5, v4
	s_delay_alu instid0(VALU_DEP_2) | instskip(NEXT) | instid1(VALU_DEP_2)
	v_cmp_eq_u32_e32 vcc_lo, 0, v7
	v_min_u32_e32 v5, 32, v5
	s_delay_alu instid0(VALU_DEP_1) | instskip(NEXT) | instid1(VALU_DEP_1)
	v_subrev_nc_u32_e32 v6, 28, v5
	v_dual_lshlrev_b32 v0, v6, v0 :: v_dual_sub_nc_u32 v5, 29, v5
	s_delay_alu instid0(VALU_DEP_1) | instskip(NEXT) | instid1(VALU_DEP_1)
	v_dual_lshlrev_b32 v1, 24, v1 :: v_dual_bitop2_b32 v0, 7, v0 bitop3:0x40
	v_dual_cndmask_b32 v0, v4, v0 :: v_dual_cndmask_b32 v5, v7, v5
	s_delay_alu instid0(VALU_DEP_2) | instskip(NEXT) | instid1(VALU_DEP_2)
	v_and_b32_e32 v1, 0x80000000, v1
	v_lshlrev_b32_e32 v0, 20, v0
	s_delay_alu instid0(VALU_DEP_3) | instskip(NEXT) | instid1(VALU_DEP_1)
	v_lshl_add_u32 v4, v5, 23, 0x3b800000
	v_or3_b32 v0, v1, v4, v0
	s_delay_alu instid0(VALU_DEP_1) | instskip(NEXT) | instid1(VALU_DEP_1)
	v_trunc_f32_e32 v0, v0
	v_mul_f32_e64 v1, 0x2f800000, |v0|
	s_delay_alu instid0(VALU_DEP_1) | instskip(NEXT) | instid1(VALU_DEP_1)
	v_floor_f32_e32 v1, v1
	v_fma_f32 v1, 0xcf800000, v1, |v0|
	v_ashrrev_i32_e32 v0, 31, v0
	s_delay_alu instid0(VALU_DEP_2) | instskip(NEXT) | instid1(VALU_DEP_1)
	v_cvt_u32_f32_e32 v1, v1
	v_xor_b32_e32 v1, v1, v0
	s_delay_alu instid0(VALU_DEP_1)
	v_sub_nc_u32_e32 v0, v1, v0
.LBB46_71:
	s_or_b32 exec_lo, exec_lo, s17
.LBB46_72:
	s_mov_b32 s17, -1
.LBB46_73:
	s_branch .LBB46_106
.LBB46_74:
	s_cmp_gt_i32 s15, 22
	s_cbranch_scc0 .LBB46_82
; %bb.75:
	s_cmp_lt_i32 s15, 24
	s_cbranch_scc1 .LBB46_85
; %bb.76:
	s_cmp_gt_i32 s15, 24
	s_cbranch_scc0 .LBB46_86
; %bb.77:
	s_wait_loadcnt 0x0
	global_load_u8 v1, v[2:3], off
	s_mov_b32 s21, 0
	s_mov_b32 s17, exec_lo
	s_wait_loadcnt 0x0
	v_cmpx_lt_i16_e32 0x7f, v1
	s_xor_b32 s17, exec_lo, s17
	s_cbranch_execz .LBB46_98
; %bb.78:
	v_cmp_ne_u16_e32 vcc_lo, 0x80, v1
	s_and_b32 s21, vcc_lo, exec_lo
	s_and_not1_saveexec_b32 s17, s17
	s_cbranch_execnz .LBB46_99
.LBB46_79:
	s_or_b32 exec_lo, exec_lo, s17
	v_mov_b32_e32 v0, 0
	s_and_saveexec_b32 s17, s21
	s_cbranch_execz .LBB46_81
.LBB46_80:
	v_and_b32_e32 v0, 0xffff, v1
	s_delay_alu instid0(VALU_DEP_1) | instskip(SKIP_1) | instid1(VALU_DEP_2)
	v_and_b32_e32 v4, 3, v0
	v_bfe_u32 v7, v0, 2, 5
	v_clz_i32_u32_e32 v5, v4
	s_delay_alu instid0(VALU_DEP_2) | instskip(NEXT) | instid1(VALU_DEP_2)
	v_cmp_eq_u32_e32 vcc_lo, 0, v7
	v_min_u32_e32 v5, 32, v5
	s_delay_alu instid0(VALU_DEP_1) | instskip(NEXT) | instid1(VALU_DEP_1)
	v_subrev_nc_u32_e32 v6, 29, v5
	v_dual_lshlrev_b32 v0, v6, v0 :: v_dual_sub_nc_u32 v5, 30, v5
	s_delay_alu instid0(VALU_DEP_1) | instskip(NEXT) | instid1(VALU_DEP_1)
	v_dual_lshlrev_b32 v1, 24, v1 :: v_dual_bitop2_b32 v0, 3, v0 bitop3:0x40
	v_dual_cndmask_b32 v0, v4, v0 :: v_dual_cndmask_b32 v5, v7, v5
	s_delay_alu instid0(VALU_DEP_2) | instskip(NEXT) | instid1(VALU_DEP_2)
	v_and_b32_e32 v1, 0x80000000, v1
	v_lshlrev_b32_e32 v0, 21, v0
	s_delay_alu instid0(VALU_DEP_3) | instskip(NEXT) | instid1(VALU_DEP_1)
	v_lshl_add_u32 v4, v5, 23, 0x37800000
	v_or3_b32 v0, v1, v4, v0
	s_delay_alu instid0(VALU_DEP_1) | instskip(NEXT) | instid1(VALU_DEP_1)
	v_trunc_f32_e32 v0, v0
	v_mul_f32_e64 v1, 0x2f800000, |v0|
	s_delay_alu instid0(VALU_DEP_1) | instskip(NEXT) | instid1(VALU_DEP_1)
	v_floor_f32_e32 v1, v1
	v_fma_f32 v1, 0xcf800000, v1, |v0|
	v_ashrrev_i32_e32 v0, 31, v0
	s_delay_alu instid0(VALU_DEP_2) | instskip(NEXT) | instid1(VALU_DEP_1)
	v_cvt_u32_f32_e32 v1, v1
	v_xor_b32_e32 v1, v1, v0
	s_delay_alu instid0(VALU_DEP_1)
	v_sub_nc_u32_e32 v0, v1, v0
.LBB46_81:
	s_or_b32 exec_lo, exec_lo, s17
	s_mov_b32 s17, 0
	s_branch .LBB46_87
.LBB46_82:
	s_mov_b32 s21, -1
                                        ; implicit-def: $vgpr0
	s_branch .LBB46_93
.LBB46_83:
	s_and_not1_saveexec_b32 s17, s17
	s_cbranch_execz .LBB46_69
.LBB46_84:
	v_cmp_ne_u16_e32 vcc_lo, 0, v1
	s_and_not1_b32 s21, s21, exec_lo
	s_and_b32 s22, vcc_lo, exec_lo
	s_delay_alu instid0(SALU_CYCLE_1)
	s_or_b32 s21, s21, s22
	s_or_b32 exec_lo, exec_lo, s17
	v_mov_b32_e32 v0, 0
	s_and_saveexec_b32 s17, s21
	s_cbranch_execnz .LBB46_70
	s_branch .LBB46_71
.LBB46_85:
	s_mov_b32 s17, -1
                                        ; implicit-def: $vgpr0
	s_branch .LBB46_90
.LBB46_86:
	s_mov_b32 s17, -1
                                        ; implicit-def: $vgpr0
.LBB46_87:
	s_delay_alu instid0(SALU_CYCLE_1)
	s_and_b32 vcc_lo, exec_lo, s17
	s_cbranch_vccz .LBB46_89
; %bb.88:
	s_wait_loadcnt 0x0
	global_load_u8 v0, v[2:3], off
	s_wait_loadcnt 0x0
	v_lshlrev_b32_e32 v0, 24, v0
	s_delay_alu instid0(VALU_DEP_1) | instskip(NEXT) | instid1(VALU_DEP_1)
	v_and_b32_e32 v1, 0x7f000000, v0
	v_clz_i32_u32_e32 v4, v1
	v_cmp_ne_u32_e32 vcc_lo, 0, v1
	v_add_nc_u32_e32 v6, 0x1000000, v1
	s_delay_alu instid0(VALU_DEP_3) | instskip(NEXT) | instid1(VALU_DEP_1)
	v_min_u32_e32 v4, 32, v4
	v_sub_nc_u32_e64 v4, v4, 4 clamp
	s_delay_alu instid0(VALU_DEP_1) | instskip(NEXT) | instid1(VALU_DEP_1)
	v_dual_lshlrev_b32 v5, v4, v1 :: v_dual_lshlrev_b32 v4, 23, v4
	v_lshrrev_b32_e32 v5, 4, v5
	s_delay_alu instid0(VALU_DEP_1) | instskip(NEXT) | instid1(VALU_DEP_1)
	v_dual_sub_nc_u32 v4, v5, v4 :: v_dual_ashrrev_i32 v5, 8, v6
	v_add_nc_u32_e32 v4, 0x3c000000, v4
	s_delay_alu instid0(VALU_DEP_1) | instskip(NEXT) | instid1(VALU_DEP_1)
	v_and_or_b32 v4, 0x7f800000, v5, v4
	v_cndmask_b32_e32 v1, 0, v4, vcc_lo
	s_delay_alu instid0(VALU_DEP_1) | instskip(NEXT) | instid1(VALU_DEP_1)
	v_and_or_b32 v0, 0x80000000, v0, v1
	v_trunc_f32_e32 v0, v0
	s_delay_alu instid0(VALU_DEP_1) | instskip(NEXT) | instid1(VALU_DEP_1)
	v_mul_f32_e64 v1, 0x2f800000, |v0|
	v_floor_f32_e32 v1, v1
	s_delay_alu instid0(VALU_DEP_1) | instskip(SKIP_1) | instid1(VALU_DEP_2)
	v_fma_f32 v1, 0xcf800000, v1, |v0|
	v_ashrrev_i32_e32 v0, 31, v0
	v_cvt_u32_f32_e32 v1, v1
	s_delay_alu instid0(VALU_DEP_1) | instskip(NEXT) | instid1(VALU_DEP_1)
	v_xor_b32_e32 v1, v1, v0
	v_sub_nc_u32_e32 v0, v1, v0
.LBB46_89:
	s_mov_b32 s17, 0
.LBB46_90:
	s_delay_alu instid0(SALU_CYCLE_1)
	s_and_not1_b32 vcc_lo, exec_lo, s17
	s_cbranch_vccnz .LBB46_92
; %bb.91:
	s_wait_loadcnt 0x0
	global_load_u8 v0, v[2:3], off
	s_wait_loadcnt 0x0
	v_lshlrev_b32_e32 v1, 25, v0
	v_lshlrev_b16 v0, 8, v0
	s_delay_alu instid0(VALU_DEP_1) | instskip(SKIP_1) | instid1(VALU_DEP_2)
	v_and_or_b32 v5, 0x7f00, v0, 0.5
	v_bfe_i32 v0, v0, 0, 16
	v_add_f32_e32 v5, -0.5, v5
	v_lshrrev_b32_e32 v4, 4, v1
	v_cmp_gt_u32_e32 vcc_lo, 0x8000000, v1
	s_delay_alu instid0(VALU_DEP_2) | instskip(NEXT) | instid1(VALU_DEP_1)
	v_or_b32_e32 v4, 0x70000000, v4
	v_mul_f32_e32 v4, 0x7800000, v4
	s_delay_alu instid0(VALU_DEP_1) | instskip(NEXT) | instid1(VALU_DEP_1)
	v_cndmask_b32_e32 v1, v4, v5, vcc_lo
	v_and_or_b32 v0, 0x80000000, v0, v1
	s_delay_alu instid0(VALU_DEP_1) | instskip(NEXT) | instid1(VALU_DEP_1)
	v_trunc_f32_e32 v0, v0
	v_mul_f32_e64 v1, 0x2f800000, |v0|
	s_delay_alu instid0(VALU_DEP_1) | instskip(NEXT) | instid1(VALU_DEP_1)
	v_floor_f32_e32 v1, v1
	v_fma_f32 v1, 0xcf800000, v1, |v0|
	v_ashrrev_i32_e32 v0, 31, v0
	s_delay_alu instid0(VALU_DEP_2) | instskip(NEXT) | instid1(VALU_DEP_1)
	v_cvt_u32_f32_e32 v1, v1
	v_xor_b32_e32 v1, v1, v0
	s_delay_alu instid0(VALU_DEP_1)
	v_sub_nc_u32_e32 v0, v1, v0
.LBB46_92:
	s_mov_b32 s21, 0
	s_mov_b32 s17, -1
.LBB46_93:
	s_and_not1_b32 vcc_lo, exec_lo, s21
	s_cbranch_vccnz .LBB46_106
; %bb.94:
	s_cmp_gt_i32 s15, 14
	s_cbranch_scc0 .LBB46_97
; %bb.95:
	s_cmp_eq_u32 s15, 15
	s_cbranch_scc0 .LBB46_100
; %bb.96:
	s_wait_loadcnt 0x0
	global_load_u16 v0, v[2:3], off
	s_mov_b32 s17, -1
	s_mov_b32 s18, 0
	s_wait_loadcnt 0x0
	v_lshlrev_b32_e32 v0, 16, v0
	s_delay_alu instid0(VALU_DEP_1) | instskip(NEXT) | instid1(VALU_DEP_1)
	v_trunc_f32_e32 v0, v0
	v_mul_f32_e64 v1, 0x2f800000, |v0|
	s_delay_alu instid0(VALU_DEP_1) | instskip(NEXT) | instid1(VALU_DEP_1)
	v_floor_f32_e32 v1, v1
	v_fma_f32 v1, 0xcf800000, v1, |v0|
	v_ashrrev_i32_e32 v0, 31, v0
	s_delay_alu instid0(VALU_DEP_2) | instskip(NEXT) | instid1(VALU_DEP_1)
	v_cvt_u32_f32_e32 v1, v1
	v_xor_b32_e32 v1, v1, v0
	s_delay_alu instid0(VALU_DEP_1)
	v_sub_nc_u32_e32 v0, v1, v0
	s_branch .LBB46_101
.LBB46_97:
	s_mov_b32 s21, -1
                                        ; implicit-def: $vgpr0
	s_branch .LBB46_102
.LBB46_98:
	s_and_not1_saveexec_b32 s17, s17
	s_cbranch_execz .LBB46_79
.LBB46_99:
	v_cmp_ne_u16_e32 vcc_lo, 0, v1
	s_and_not1_b32 s21, s21, exec_lo
	s_and_b32 s22, vcc_lo, exec_lo
	s_delay_alu instid0(SALU_CYCLE_1)
	s_or_b32 s21, s21, s22
	s_or_b32 exec_lo, exec_lo, s17
	v_mov_b32_e32 v0, 0
	s_and_saveexec_b32 s17, s21
	s_cbranch_execnz .LBB46_80
	s_branch .LBB46_81
.LBB46_100:
	s_mov_b32 s18, -1
                                        ; implicit-def: $vgpr0
.LBB46_101:
	s_mov_b32 s21, 0
.LBB46_102:
	s_delay_alu instid0(SALU_CYCLE_1)
	s_and_b32 vcc_lo, exec_lo, s21
	s_cbranch_vccz .LBB46_106
; %bb.103:
	s_cmp_eq_u32 s15, 11
	s_cbranch_scc0 .LBB46_105
; %bb.104:
	s_wait_loadcnt 0x0
	global_load_u8 v0, v[2:3], off
	s_mov_b32 s18, 0
	s_mov_b32 s17, -1
	s_wait_loadcnt 0x0
	v_cmp_ne_u16_e32 vcc_lo, 0, v0
	v_cndmask_b32_e64 v0, 0, 1, vcc_lo
	s_branch .LBB46_106
.LBB46_105:
	s_mov_b32 s18, -1
                                        ; implicit-def: $vgpr0
.LBB46_106:
	s_branch .LBB46_10
.LBB46_107:
	s_and_b32 s0, 0xffff, s0
	s_delay_alu instid0(SALU_CYCLE_1)
	s_cmp_lt_i32 s0, 5
	s_cbranch_scc1 .LBB46_112
; %bb.108:
	s_cmp_lt_i32 s0, 8
	s_cbranch_scc1 .LBB46_113
; %bb.109:
	;; [unrolled: 3-line block ×3, first 2 shown]
	s_cmp_gt_i32 s0, 9
	s_cbranch_scc0 .LBB46_115
; %bb.111:
	s_wait_loadcnt 0x0
	global_load_b64 v[0:1], v[2:3], off
	s_mov_b32 s15, 0
	s_wait_loadcnt 0x0
	v_trunc_f64_e32 v[0:1], v[0:1]
	s_delay_alu instid0(VALU_DEP_1) | instskip(NEXT) | instid1(VALU_DEP_1)
	v_ldexp_f64 v[4:5], v[0:1], 0xffffffe0
	v_floor_f64_e32 v[4:5], v[4:5]
	s_delay_alu instid0(VALU_DEP_1) | instskip(NEXT) | instid1(VALU_DEP_1)
	v_fmamk_f64 v[0:1], v[4:5], 0xc1f00000, v[0:1]
	v_cvt_u32_f64_e32 v0, v[0:1]
	s_branch .LBB46_116
.LBB46_112:
                                        ; implicit-def: $vgpr0
	s_branch .LBB46_134
.LBB46_113:
	s_mov_b32 s15, -1
                                        ; implicit-def: $vgpr0
	s_branch .LBB46_122
.LBB46_114:
	s_mov_b32 s15, -1
                                        ; implicit-def: $vgpr0
	s_branch .LBB46_119
.LBB46_115:
	s_mov_b32 s15, -1
                                        ; implicit-def: $vgpr0
.LBB46_116:
	s_delay_alu instid0(SALU_CYCLE_1)
	s_and_not1_b32 vcc_lo, exec_lo, s15
	s_cbranch_vccnz .LBB46_118
; %bb.117:
	s_wait_loadcnt 0x0
	global_load_b32 v0, v[2:3], off
	s_wait_loadcnt 0x0
	v_trunc_f32_e32 v0, v0
	s_delay_alu instid0(VALU_DEP_1) | instskip(NEXT) | instid1(VALU_DEP_1)
	v_mul_f32_e64 v1, 0x2f800000, |v0|
	v_floor_f32_e32 v1, v1
	s_delay_alu instid0(VALU_DEP_1) | instskip(SKIP_1) | instid1(VALU_DEP_2)
	v_fma_f32 v1, 0xcf800000, v1, |v0|
	v_ashrrev_i32_e32 v0, 31, v0
	v_cvt_u32_f32_e32 v1, v1
	s_delay_alu instid0(VALU_DEP_1) | instskip(NEXT) | instid1(VALU_DEP_1)
	v_xor_b32_e32 v1, v1, v0
	v_sub_nc_u32_e32 v0, v1, v0
.LBB46_118:
	s_mov_b32 s15, 0
.LBB46_119:
	s_delay_alu instid0(SALU_CYCLE_1)
	s_and_not1_b32 vcc_lo, exec_lo, s15
	s_cbranch_vccnz .LBB46_121
; %bb.120:
	s_wait_loadcnt 0x0
	global_load_b32 v0, v[2:3], off
	s_wait_loadcnt 0x0
	v_cvt_f32_f16_e32 v0, v0
	s_delay_alu instid0(VALU_DEP_1)
	v_cvt_i32_f32_e32 v0, v0
.LBB46_121:
	s_mov_b32 s15, 0
.LBB46_122:
	s_delay_alu instid0(SALU_CYCLE_1)
	s_and_not1_b32 vcc_lo, exec_lo, s15
	s_cbranch_vccnz .LBB46_133
; %bb.123:
	s_cmp_lt_i32 s0, 6
	s_cbranch_scc1 .LBB46_126
; %bb.124:
	s_cmp_gt_i32 s0, 6
	s_cbranch_scc0 .LBB46_127
; %bb.125:
	s_wait_loadcnt 0x0
	global_load_b64 v[0:1], v[2:3], off
	s_mov_b32 s15, 0
	s_wait_loadcnt 0x0
	v_trunc_f64_e32 v[0:1], v[0:1]
	s_delay_alu instid0(VALU_DEP_1) | instskip(NEXT) | instid1(VALU_DEP_1)
	v_ldexp_f64 v[4:5], v[0:1], 0xffffffe0
	v_floor_f64_e32 v[4:5], v[4:5]
	s_delay_alu instid0(VALU_DEP_1) | instskip(NEXT) | instid1(VALU_DEP_1)
	v_fmamk_f64 v[0:1], v[4:5], 0xc1f00000, v[0:1]
	v_cvt_u32_f64_e32 v0, v[0:1]
	s_branch .LBB46_128
.LBB46_126:
	s_mov_b32 s15, -1
                                        ; implicit-def: $vgpr0
	s_branch .LBB46_131
.LBB46_127:
	s_mov_b32 s15, -1
                                        ; implicit-def: $vgpr0
.LBB46_128:
	s_delay_alu instid0(SALU_CYCLE_1)
	s_and_not1_b32 vcc_lo, exec_lo, s15
	s_cbranch_vccnz .LBB46_130
; %bb.129:
	s_wait_loadcnt 0x0
	global_load_b32 v0, v[2:3], off
	s_wait_loadcnt 0x0
	v_trunc_f32_e32 v0, v0
	s_delay_alu instid0(VALU_DEP_1) | instskip(NEXT) | instid1(VALU_DEP_1)
	v_mul_f32_e64 v1, 0x2f800000, |v0|
	v_floor_f32_e32 v1, v1
	s_delay_alu instid0(VALU_DEP_1) | instskip(SKIP_1) | instid1(VALU_DEP_2)
	v_fma_f32 v1, 0xcf800000, v1, |v0|
	v_ashrrev_i32_e32 v0, 31, v0
	v_cvt_u32_f32_e32 v1, v1
	s_delay_alu instid0(VALU_DEP_1) | instskip(NEXT) | instid1(VALU_DEP_1)
	v_xor_b32_e32 v1, v1, v0
	v_sub_nc_u32_e32 v0, v1, v0
.LBB46_130:
	s_mov_b32 s15, 0
.LBB46_131:
	s_delay_alu instid0(SALU_CYCLE_1)
	s_and_not1_b32 vcc_lo, exec_lo, s15
	s_cbranch_vccnz .LBB46_133
; %bb.132:
	s_wait_loadcnt 0x0
	global_load_u16 v0, v[2:3], off
	s_wait_loadcnt 0x0
	v_cvt_f32_f16_e32 v0, v0
	s_delay_alu instid0(VALU_DEP_1)
	v_cvt_i32_f32_e32 v0, v0
.LBB46_133:
	s_cbranch_execnz .LBB46_153
.LBB46_134:
	s_cmp_lt_i32 s0, 2
	s_cbranch_scc1 .LBB46_138
; %bb.135:
	s_cmp_lt_i32 s0, 3
	s_cbranch_scc1 .LBB46_139
; %bb.136:
	s_cmp_gt_i32 s0, 3
	s_cbranch_scc0 .LBB46_140
; %bb.137:
	s_wait_loadcnt 0x0
	global_load_b64 v[0:1], v[2:3], off
	s_mov_b32 s15, 0
	s_branch .LBB46_141
.LBB46_138:
	s_mov_b32 s15, -1
                                        ; implicit-def: $vgpr0
	s_branch .LBB46_147
.LBB46_139:
	s_mov_b32 s15, -1
                                        ; implicit-def: $vgpr0
	s_branch .LBB46_144
.LBB46_140:
	s_mov_b32 s15, -1
                                        ; implicit-def: $vgpr0
.LBB46_141:
	s_delay_alu instid0(SALU_CYCLE_1)
	s_and_not1_b32 vcc_lo, exec_lo, s15
	s_cbranch_vccnz .LBB46_143
; %bb.142:
	s_wait_loadcnt 0x0
	global_load_b32 v0, v[2:3], off
.LBB46_143:
	s_mov_b32 s15, 0
.LBB46_144:
	s_delay_alu instid0(SALU_CYCLE_1)
	s_and_not1_b32 vcc_lo, exec_lo, s15
	s_cbranch_vccnz .LBB46_146
; %bb.145:
	s_wait_loadcnt 0x0
	global_load_u16 v0, v[2:3], off
.LBB46_146:
	s_mov_b32 s15, 0
.LBB46_147:
	s_delay_alu instid0(SALU_CYCLE_1)
	s_and_not1_b32 vcc_lo, exec_lo, s15
	s_cbranch_vccnz .LBB46_153
; %bb.148:
	s_cmp_gt_i32 s0, 0
	s_mov_b32 s0, 0
	s_cbranch_scc0 .LBB46_150
; %bb.149:
	s_wait_loadcnt 0x0
	global_load_u8 v0, v[2:3], off
	s_branch .LBB46_151
.LBB46_150:
	s_mov_b32 s0, -1
                                        ; implicit-def: $vgpr0
.LBB46_151:
	s_delay_alu instid0(SALU_CYCLE_1)
	s_and_not1_b32 vcc_lo, exec_lo, s0
	s_cbranch_vccnz .LBB46_153
; %bb.152:
	s_wait_loadcnt 0x0
	global_load_u8 v0, v[2:3], off
.LBB46_153:
	s_branch .LBB46_11
.LBB46_154:
	s_mov_b32 s0, 0
	s_mov_b32 s17, 0
	s_branch .LBB46_378
.LBB46_155:
	s_mov_b32 s17, -1
.LBB46_156:
	s_mov_b32 s21, 0
                                        ; implicit-def: $vgpr4
.LBB46_157:
	s_and_b32 vcc_lo, exec_lo, s22
	s_cbranch_vccz .LBB46_272
; %bb.158:
	s_cmp_eq_u32 s15, 44
	s_cbranch_scc0 .LBB46_271
; %bb.159:
	s_wait_loadcnt 0x0
	global_load_u8 v1, v[2:3], off
	s_mov_b32 s17, 0
	s_mov_b32 s21, -1
	s_wait_loadcnt 0x0
	v_lshlrev_b32_e32 v4, 23, v1
	v_cmp_ne_u32_e32 vcc_lo, 0, v1
	s_delay_alu instid0(VALU_DEP_2) | instskip(NEXT) | instid1(VALU_DEP_1)
	v_trunc_f32_e32 v4, v4
	v_mul_f32_e64 v5, 0x2f800000, |v4|
	s_delay_alu instid0(VALU_DEP_1) | instskip(NEXT) | instid1(VALU_DEP_1)
	v_floor_f32_e32 v5, v5
	v_fma_f32 v5, 0xcf800000, v5, |v4|
	v_ashrrev_i32_e32 v4, 31, v4
	s_delay_alu instid0(VALU_DEP_2) | instskip(NEXT) | instid1(VALU_DEP_1)
	v_cvt_u32_f32_e32 v5, v5
	v_xor_b32_e32 v5, v5, v4
	s_delay_alu instid0(VALU_DEP_1) | instskip(NEXT) | instid1(VALU_DEP_1)
	v_sub_nc_u32_e32 v4, v5, v4
	v_cndmask_b32_e32 v4, 0, v4, vcc_lo
	s_branch .LBB46_272
.LBB46_160:
	s_mov_b32 s23, -1
	s_mov_b32 s0, 0
	s_mov_b32 s22, 0
.LBB46_161:
	s_and_b32 vcc_lo, exec_lo, s23
	s_cbranch_vccz .LBB46_166
; %bb.162:
	s_cmp_eq_u32 s21, 44
	s_mov_b32 s0, -1
	s_cbranch_scc0 .LBB46_166
; %bb.163:
	v_cvt_f32_ubyte0_e32 v5, v2
	s_mov_b32 s22, exec_lo
	s_wait_xcnt 0x0
	s_delay_alu instid0(VALU_DEP_1) | instskip(NEXT) | instid1(VALU_DEP_1)
	v_dual_mov_b32 v4, 0xff :: v_dual_lshrrev_b32 v3, 23, v5
	v_cmpx_ne_u32_e32 0xff, v3
; %bb.164:
	v_and_b32_e32 v4, 0x400000, v5
	v_and_or_b32 v5, 0x3fffff, v5, v3
	s_delay_alu instid0(VALU_DEP_2) | instskip(NEXT) | instid1(VALU_DEP_2)
	v_cmp_ne_u32_e32 vcc_lo, 0, v4
	v_cmp_ne_u32_e64 s0, 0, v5
	s_and_b32 s0, vcc_lo, s0
	s_delay_alu instid0(SALU_CYCLE_1) | instskip(NEXT) | instid1(VALU_DEP_1)
	v_cndmask_b32_e64 v4, 0, 1, s0
	v_add_nc_u32_e32 v4, v3, v4
; %bb.165:
	s_or_b32 exec_lo, exec_lo, s22
	s_mov_b32 s22, -1
	s_mov_b32 s0, 0
	global_store_b8 v[0:1], v4, off
.LBB46_166:
	s_mov_b32 s23, 0
.LBB46_167:
	s_delay_alu instid0(SALU_CYCLE_1)
	s_and_b32 vcc_lo, exec_lo, s23
	s_cbranch_vccz .LBB46_170
; %bb.168:
	s_cmp_eq_u32 s21, 29
	s_mov_b32 s0, -1
	s_cbranch_scc0 .LBB46_170
; %bb.169:
	s_wait_xcnt 0x0
	v_and_b32_e32 v4, 0xff, v2
	v_mov_b32_e32 v5, 0
	s_mov_b32 s22, -1
	s_mov_b32 s0, 0
	s_mov_b32 s23, 0
	global_store_b64 v[0:1], v[4:5], off
	s_branch .LBB46_171
.LBB46_170:
	s_mov_b32 s23, 0
.LBB46_171:
	s_delay_alu instid0(SALU_CYCLE_1)
	s_and_b32 vcc_lo, exec_lo, s23
	s_cbranch_vccz .LBB46_187
; %bb.172:
	s_cmp_lt_i32 s21, 27
	s_mov_b32 s22, -1
	s_cbranch_scc1 .LBB46_178
; %bb.173:
	s_cmp_gt_i32 s21, 27
	s_cbranch_scc0 .LBB46_175
; %bb.174:
	s_wait_xcnt 0x0
	v_and_b32_e32 v3, 0xff, v2
	s_mov_b32 s22, 0
	global_store_b32 v[0:1], v3, off
.LBB46_175:
	s_and_not1_b32 vcc_lo, exec_lo, s22
	s_cbranch_vccnz .LBB46_177
; %bb.176:
	s_wait_xcnt 0x0
	v_and_b32_e32 v3, 0xff, v2
	global_store_b16 v[0:1], v3, off
.LBB46_177:
	s_mov_b32 s22, 0
.LBB46_178:
	s_delay_alu instid0(SALU_CYCLE_1)
	s_and_not1_b32 vcc_lo, exec_lo, s22
	s_cbranch_vccnz .LBB46_186
; %bb.179:
	s_wait_xcnt 0x0
	v_cvt_f32_ubyte0_e32 v4, v2
	v_mov_b32_e32 v5, 0x80
	s_mov_b32 s22, exec_lo
	s_delay_alu instid0(VALU_DEP_2)
	v_cmpx_gt_u32_e32 0x43800000, v4
	s_cbranch_execz .LBB46_185
; %bb.180:
	s_mov_b32 s23, 0
	s_mov_b32 s24, exec_lo
                                        ; implicit-def: $vgpr3
	v_cmpx_lt_u32_e32 0x3bffffff, v4
	s_xor_b32 s24, exec_lo, s24
	s_cbranch_execz .LBB46_409
; %bb.181:
	v_bfe_u32 v3, v4, 20, 1
	s_mov_b32 s23, exec_lo
	s_delay_alu instid0(VALU_DEP_1) | instskip(NEXT) | instid1(VALU_DEP_1)
	v_add3_u32 v3, v4, v3, 0x487ffff
                                        ; implicit-def: $vgpr4
	v_lshrrev_b32_e32 v3, 20, v3
	s_and_not1_saveexec_b32 s24, s24
	s_cbranch_execnz .LBB46_410
.LBB46_182:
	s_or_b32 exec_lo, exec_lo, s24
	v_mov_b32_e32 v5, 0
	s_and_saveexec_b32 s24, s23
.LBB46_183:
	v_mov_b32_e32 v5, v3
.LBB46_184:
	s_or_b32 exec_lo, exec_lo, s24
.LBB46_185:
	s_delay_alu instid0(SALU_CYCLE_1)
	s_or_b32 exec_lo, exec_lo, s22
	global_store_b8 v[0:1], v5, off
.LBB46_186:
	s_mov_b32 s22, -1
.LBB46_187:
	s_mov_b32 s23, 0
.LBB46_188:
	s_delay_alu instid0(SALU_CYCLE_1)
	s_and_b32 vcc_lo, exec_lo, s23
	s_cbranch_vccz .LBB46_229
; %bb.189:
	s_cmp_gt_i32 s21, 22
	s_mov_b32 s23, -1
	s_cbranch_scc0 .LBB46_221
; %bb.190:
	s_cmp_lt_i32 s21, 24
	s_mov_b32 s22, -1
	s_cbranch_scc1 .LBB46_210
; %bb.191:
	s_cmp_gt_i32 s21, 24
	s_cbranch_scc0 .LBB46_199
; %bb.192:
	s_wait_xcnt 0x0
	v_cvt_f32_ubyte0_e32 v4, v2
	v_mov_b32_e32 v5, 0x80
	s_mov_b32 s22, exec_lo
	s_delay_alu instid0(VALU_DEP_2)
	v_cmpx_gt_u32_e32 0x47800000, v4
	s_cbranch_execz .LBB46_198
; %bb.193:
	s_mov_b32 s23, 0
	s_mov_b32 s24, exec_lo
                                        ; implicit-def: $vgpr3
	v_cmpx_lt_u32_e32 0x37ffffff, v4
	s_xor_b32 s24, exec_lo, s24
	s_cbranch_execz .LBB46_524
; %bb.194:
	v_bfe_u32 v3, v4, 21, 1
	s_mov_b32 s23, exec_lo
	s_delay_alu instid0(VALU_DEP_1) | instskip(NEXT) | instid1(VALU_DEP_1)
	v_add3_u32 v3, v4, v3, 0x88fffff
                                        ; implicit-def: $vgpr4
	v_lshrrev_b32_e32 v3, 21, v3
	s_and_not1_saveexec_b32 s24, s24
	s_cbranch_execnz .LBB46_525
.LBB46_195:
	s_or_b32 exec_lo, exec_lo, s24
	v_mov_b32_e32 v5, 0
	s_and_saveexec_b32 s24, s23
.LBB46_196:
	v_mov_b32_e32 v5, v3
.LBB46_197:
	s_or_b32 exec_lo, exec_lo, s24
.LBB46_198:
	s_delay_alu instid0(SALU_CYCLE_1)
	s_or_b32 exec_lo, exec_lo, s22
	s_mov_b32 s22, 0
	global_store_b8 v[0:1], v5, off
.LBB46_199:
	s_and_b32 vcc_lo, exec_lo, s22
	s_cbranch_vccz .LBB46_209
; %bb.200:
	s_wait_xcnt 0x0
	v_cvt_f32_ubyte0_e32 v4, v2
	s_mov_b32 s22, exec_lo
                                        ; implicit-def: $vgpr3
	s_delay_alu instid0(VALU_DEP_1)
	v_cmpx_gt_u32_e32 0x43f00000, v4
	s_xor_b32 s22, exec_lo, s22
	s_cbranch_execz .LBB46_206
; %bb.201:
	s_mov_b32 s23, exec_lo
                                        ; implicit-def: $vgpr3
	v_cmpx_lt_u32_e32 0x3c7fffff, v4
	s_xor_b32 s23, exec_lo, s23
; %bb.202:
	v_bfe_u32 v3, v4, 20, 1
	s_delay_alu instid0(VALU_DEP_1) | instskip(NEXT) | instid1(VALU_DEP_1)
	v_add3_u32 v3, v4, v3, 0x407ffff
	v_and_b32_e32 v4, 0xff00000, v3
	v_lshrrev_b32_e32 v3, 20, v3
	s_delay_alu instid0(VALU_DEP_2) | instskip(NEXT) | instid1(VALU_DEP_2)
	v_cmp_ne_u32_e32 vcc_lo, 0x7f00000, v4
                                        ; implicit-def: $vgpr4
	v_cndmask_b32_e32 v3, 0x7e, v3, vcc_lo
; %bb.203:
	s_and_not1_saveexec_b32 s23, s23
; %bb.204:
	v_add_f32_e32 v3, 0x46800000, v4
; %bb.205:
	s_or_b32 exec_lo, exec_lo, s23
                                        ; implicit-def: $vgpr4
.LBB46_206:
	s_and_not1_saveexec_b32 s22, s22
; %bb.207:
	v_mov_b32_e32 v3, 0x7f
	v_cmp_lt_u32_e32 vcc_lo, 0x7f800000, v4
	s_delay_alu instid0(VALU_DEP_2)
	v_cndmask_b32_e32 v3, 0x7e, v3, vcc_lo
; %bb.208:
	s_or_b32 exec_lo, exec_lo, s22
	global_store_b8 v[0:1], v3, off
.LBB46_209:
	s_mov_b32 s22, 0
.LBB46_210:
	s_delay_alu instid0(SALU_CYCLE_1)
	s_and_not1_b32 vcc_lo, exec_lo, s22
	s_cbranch_vccnz .LBB46_220
; %bb.211:
	s_wait_xcnt 0x0
	v_cvt_f32_ubyte0_e32 v4, v2
	s_mov_b32 s22, exec_lo
                                        ; implicit-def: $vgpr3
	s_delay_alu instid0(VALU_DEP_1)
	v_cmpx_gt_u32_e32 0x47800000, v4
	s_xor_b32 s22, exec_lo, s22
	s_cbranch_execz .LBB46_217
; %bb.212:
	s_mov_b32 s23, exec_lo
                                        ; implicit-def: $vgpr3
	v_cmpx_lt_u32_e32 0x387fffff, v4
	s_xor_b32 s23, exec_lo, s23
; %bb.213:
	v_bfe_u32 v3, v4, 21, 1
	s_delay_alu instid0(VALU_DEP_1) | instskip(NEXT) | instid1(VALU_DEP_1)
	v_add3_u32 v3, v4, v3, 0x80fffff
                                        ; implicit-def: $vgpr4
	v_lshrrev_b32_e32 v3, 21, v3
; %bb.214:
	s_and_not1_saveexec_b32 s23, s23
; %bb.215:
	v_add_f32_e32 v3, 0x43000000, v4
; %bb.216:
	s_or_b32 exec_lo, exec_lo, s23
                                        ; implicit-def: $vgpr4
.LBB46_217:
	s_and_not1_saveexec_b32 s22, s22
; %bb.218:
	v_mov_b32_e32 v3, 0x7f
	v_cmp_lt_u32_e32 vcc_lo, 0x7f800000, v4
	s_delay_alu instid0(VALU_DEP_2)
	v_cndmask_b32_e32 v3, 0x7c, v3, vcc_lo
; %bb.219:
	s_or_b32 exec_lo, exec_lo, s22
	global_store_b8 v[0:1], v3, off
.LBB46_220:
	s_mov_b32 s23, 0
	s_mov_b32 s22, -1
.LBB46_221:
	s_and_not1_b32 vcc_lo, exec_lo, s23
	s_cbranch_vccnz .LBB46_229
; %bb.222:
	s_cmp_gt_i32 s21, 14
	s_mov_b32 s23, -1
	s_cbranch_scc0 .LBB46_226
; %bb.223:
	s_cmp_eq_u32 s21, 15
	s_mov_b32 s0, -1
	s_cbranch_scc0 .LBB46_225
; %bb.224:
	s_wait_xcnt 0x0
	v_cvt_f32_ubyte0_e32 v3, v2
	s_mov_b32 s22, -1
	s_mov_b32 s0, 0
	s_delay_alu instid0(VALU_DEP_1) | instskip(NEXT) | instid1(VALU_DEP_1)
	v_bfe_u32 v4, v3, 16, 1
	v_add3_u32 v3, v3, v4, 0x7fff
	global_store_d16_hi_b16 v[0:1], v3, off
.LBB46_225:
	s_mov_b32 s23, 0
.LBB46_226:
	s_delay_alu instid0(SALU_CYCLE_1)
	s_and_b32 vcc_lo, exec_lo, s23
	s_cbranch_vccz .LBB46_229
; %bb.227:
	s_cmp_eq_u32 s21, 11
	s_mov_b32 s0, -1
	s_cbranch_scc0 .LBB46_229
; %bb.228:
	s_wait_xcnt 0x0
	v_and_b32_e32 v3, 0xff, v2
	s_mov_b32 s0, 0
	s_mov_b32 s22, -1
	s_delay_alu instid0(VALU_DEP_1)
	v_cmp_ne_u16_e32 vcc_lo, 0, v3
	v_cndmask_b32_e64 v3, 0, 1, vcc_lo
	global_store_b8 v[0:1], v3, off
.LBB46_229:
	s_mov_b32 s21, 0
.LBB46_230:
	s_delay_alu instid0(SALU_CYCLE_1)
	s_and_b32 vcc_lo, exec_lo, s21
	s_cbranch_vccz .LBB46_269
; %bb.231:
	s_and_b32 s15, 0xffff, s15
	s_mov_b32 s21, -1
	s_cmp_lt_i32 s15, 5
	s_cbranch_scc1 .LBB46_252
; %bb.232:
	s_cmp_lt_i32 s15, 8
	s_cbranch_scc1 .LBB46_242
; %bb.233:
	s_cmp_lt_i32 s15, 9
	s_cbranch_scc1 .LBB46_239
; %bb.234:
	s_cmp_gt_i32 s15, 9
	s_cbranch_scc0 .LBB46_236
; %bb.235:
	s_wait_xcnt 0x0
	v_and_b32_e32 v3, 0xff, v2
	v_mov_b32_e32 v6, 0
	s_mov_b32 s21, 0
	s_delay_alu instid0(VALU_DEP_2) | instskip(NEXT) | instid1(VALU_DEP_2)
	v_and_b32_e32 v3, 0xffff, v3
	v_mov_b32_e32 v7, v6
	s_delay_alu instid0(VALU_DEP_2)
	v_cvt_f64_u32_e32 v[4:5], v3
	global_store_b128 v[0:1], v[4:7], off
.LBB46_236:
	s_and_not1_b32 vcc_lo, exec_lo, s21
	s_cbranch_vccnz .LBB46_238
; %bb.237:
	s_wait_xcnt 0x0
	v_cvt_f32_ubyte0_e32 v4, v2
	v_mov_b32_e32 v5, 0
	global_store_b64 v[0:1], v[4:5], off
.LBB46_238:
	s_mov_b32 s21, 0
.LBB46_239:
	s_delay_alu instid0(SALU_CYCLE_1)
	s_and_not1_b32 vcc_lo, exec_lo, s21
	s_cbranch_vccnz .LBB46_241
; %bb.240:
	s_wait_xcnt 0x0
	v_and_b32_e32 v3, 0xff, v2
	s_delay_alu instid0(VALU_DEP_1) | instskip(NEXT) | instid1(VALU_DEP_1)
	v_cvt_f16_u16_e32 v3, v3
	v_and_b32_e32 v3, 0xffff, v3
	global_store_b32 v[0:1], v3, off
.LBB46_241:
	s_mov_b32 s21, 0
.LBB46_242:
	s_delay_alu instid0(SALU_CYCLE_1)
	s_and_not1_b32 vcc_lo, exec_lo, s21
	s_cbranch_vccnz .LBB46_251
; %bb.243:
	s_cmp_lt_i32 s15, 6
	s_mov_b32 s21, -1
	s_cbranch_scc1 .LBB46_249
; %bb.244:
	s_cmp_gt_i32 s15, 6
	s_cbranch_scc0 .LBB46_246
; %bb.245:
	s_wait_xcnt 0x0
	v_and_b32_e32 v3, 0xff, v2
	s_mov_b32 s21, 0
	s_delay_alu instid0(VALU_DEP_1) | instskip(NEXT) | instid1(VALU_DEP_1)
	v_and_b32_e32 v3, 0xffff, v3
	v_cvt_f64_u32_e32 v[4:5], v3
	global_store_b64 v[0:1], v[4:5], off
.LBB46_246:
	s_and_not1_b32 vcc_lo, exec_lo, s21
	s_cbranch_vccnz .LBB46_248
; %bb.247:
	s_wait_xcnt 0x0
	v_cvt_f32_ubyte0_e32 v3, v2
	global_store_b32 v[0:1], v3, off
.LBB46_248:
	s_mov_b32 s21, 0
.LBB46_249:
	s_delay_alu instid0(SALU_CYCLE_1)
	s_and_not1_b32 vcc_lo, exec_lo, s21
	s_cbranch_vccnz .LBB46_251
; %bb.250:
	s_wait_xcnt 0x0
	v_and_b32_e32 v3, 0xff, v2
	s_delay_alu instid0(VALU_DEP_1)
	v_cvt_f16_u16_e32 v3, v3
	global_store_b16 v[0:1], v3, off
.LBB46_251:
	s_mov_b32 s21, 0
.LBB46_252:
	s_delay_alu instid0(SALU_CYCLE_1)
	s_and_not1_b32 vcc_lo, exec_lo, s21
	s_cbranch_vccnz .LBB46_268
; %bb.253:
	s_cmp_lt_i32 s15, 2
	s_mov_b32 s21, -1
	s_cbranch_scc1 .LBB46_263
; %bb.254:
	s_cmp_lt_i32 s15, 3
	s_cbranch_scc1 .LBB46_260
; %bb.255:
	s_cmp_gt_i32 s15, 3
	s_cbranch_scc0 .LBB46_257
; %bb.256:
	s_wait_xcnt 0x0
	v_and_b32_e32 v4, 0xff, v2
	v_mov_b32_e32 v5, 0
	s_mov_b32 s21, 0
	global_store_b64 v[0:1], v[4:5], off
.LBB46_257:
	s_and_not1_b32 vcc_lo, exec_lo, s21
	s_cbranch_vccnz .LBB46_259
; %bb.258:
	s_wait_xcnt 0x0
	v_and_b32_e32 v3, 0xff, v2
	global_store_b32 v[0:1], v3, off
.LBB46_259:
	s_mov_b32 s21, 0
.LBB46_260:
	s_delay_alu instid0(SALU_CYCLE_1)
	s_and_not1_b32 vcc_lo, exec_lo, s21
	s_cbranch_vccnz .LBB46_262
; %bb.261:
	s_wait_xcnt 0x0
	v_and_b32_e32 v3, 0xff, v2
	global_store_b16 v[0:1], v3, off
.LBB46_262:
	s_mov_b32 s21, 0
.LBB46_263:
	s_delay_alu instid0(SALU_CYCLE_1)
	s_and_not1_b32 vcc_lo, exec_lo, s21
	s_cbranch_vccnz .LBB46_268
; %bb.264:
	s_cmp_gt_i32 s15, 0
	s_mov_b32 s15, -1
	s_cbranch_scc0 .LBB46_266
; %bb.265:
	s_mov_b32 s15, 0
	global_store_b8 v[0:1], v2, off
.LBB46_266:
	s_and_not1_b32 vcc_lo, exec_lo, s15
	s_cbranch_vccnz .LBB46_268
; %bb.267:
	global_store_b8 v[0:1], v2, off
.LBB46_268:
	s_mov_b32 s22, -1
.LBB46_269:
	s_delay_alu instid0(SALU_CYCLE_1)
	s_and_not1_b32 vcc_lo, exec_lo, s22
	s_cbranch_vccnz .LBB46_378
; %bb.270:
	v_add_nc_u32_e32 v10, 0x80, v10
	s_mov_b32 s21, -1
	s_branch .LBB46_379
.LBB46_271:
	s_mov_b32 s17, -1
                                        ; implicit-def: $vgpr4
.LBB46_272:
	s_mov_b32 s22, 0
.LBB46_273:
	s_delay_alu instid0(SALU_CYCLE_1)
	s_and_b32 vcc_lo, exec_lo, s22
	s_cbranch_vccz .LBB46_277
; %bb.274:
	s_cmp_eq_u32 s15, 29
	s_cbranch_scc0 .LBB46_276
; %bb.275:
	global_load_b64 v[4:5], v[2:3], off
	s_mov_b32 s21, -1
	s_mov_b32 s17, 0
	s_branch .LBB46_277
.LBB46_276:
	s_mov_b32 s17, -1
                                        ; implicit-def: $vgpr4
.LBB46_277:
	s_mov_b32 s22, 0
.LBB46_278:
	s_delay_alu instid0(SALU_CYCLE_1)
	s_and_b32 vcc_lo, exec_lo, s22
	s_cbranch_vccz .LBB46_294
; %bb.279:
	s_cmp_lt_i32 s15, 27
	s_cbranch_scc1 .LBB46_282
; %bb.280:
	s_cmp_gt_i32 s15, 27
	s_cbranch_scc0 .LBB46_283
; %bb.281:
	s_wait_loadcnt 0x0
	global_load_b32 v4, v[2:3], off
	s_mov_b32 s21, 0
	s_branch .LBB46_284
.LBB46_282:
	s_mov_b32 s21, -1
                                        ; implicit-def: $vgpr4
	s_branch .LBB46_287
.LBB46_283:
	s_mov_b32 s21, -1
                                        ; implicit-def: $vgpr4
.LBB46_284:
	s_delay_alu instid0(SALU_CYCLE_1)
	s_and_not1_b32 vcc_lo, exec_lo, s21
	s_cbranch_vccnz .LBB46_286
; %bb.285:
	s_wait_loadcnt 0x0
	global_load_u16 v4, v[2:3], off
.LBB46_286:
	s_mov_b32 s21, 0
.LBB46_287:
	s_delay_alu instid0(SALU_CYCLE_1)
	s_and_not1_b32 vcc_lo, exec_lo, s21
	s_cbranch_vccnz .LBB46_293
; %bb.288:
	s_wait_loadcnt 0x0
	global_load_u8 v1, v[2:3], off
	s_mov_b32 s22, 0
	s_mov_b32 s21, exec_lo
	s_wait_loadcnt 0x0
	v_cmpx_lt_i16_e32 0x7f, v1
	s_xor_b32 s21, exec_lo, s21
	s_cbranch_execz .LBB46_305
; %bb.289:
	v_cmp_ne_u16_e32 vcc_lo, 0x80, v1
	s_and_b32 s22, vcc_lo, exec_lo
	s_and_not1_saveexec_b32 s21, s21
	s_cbranch_execnz .LBB46_306
.LBB46_290:
	s_or_b32 exec_lo, exec_lo, s21
	v_mov_b32_e32 v4, 0
	s_and_saveexec_b32 s21, s22
	s_cbranch_execz .LBB46_292
.LBB46_291:
	v_and_b32_e32 v4, 0xffff, v1
	s_delay_alu instid0(VALU_DEP_1) | instskip(SKIP_1) | instid1(VALU_DEP_2)
	v_and_b32_e32 v5, 7, v4
	v_bfe_u32 v8, v4, 3, 4
	v_clz_i32_u32_e32 v6, v5
	s_delay_alu instid0(VALU_DEP_2) | instskip(NEXT) | instid1(VALU_DEP_2)
	v_cmp_eq_u32_e32 vcc_lo, 0, v8
	v_min_u32_e32 v6, 32, v6
	s_delay_alu instid0(VALU_DEP_1) | instskip(NEXT) | instid1(VALU_DEP_1)
	v_subrev_nc_u32_e32 v7, 28, v6
	v_dual_lshlrev_b32 v4, v7, v4 :: v_dual_sub_nc_u32 v6, 29, v6
	s_delay_alu instid0(VALU_DEP_1) | instskip(NEXT) | instid1(VALU_DEP_1)
	v_dual_lshlrev_b32 v1, 24, v1 :: v_dual_bitop2_b32 v4, 7, v4 bitop3:0x40
	v_dual_cndmask_b32 v6, v8, v6, vcc_lo :: v_dual_cndmask_b32 v4, v5, v4, vcc_lo
	s_delay_alu instid0(VALU_DEP_2) | instskip(NEXT) | instid1(VALU_DEP_2)
	v_and_b32_e32 v1, 0x80000000, v1
	v_lshl_add_u32 v5, v6, 23, 0x3b800000
	s_delay_alu instid0(VALU_DEP_3) | instskip(NEXT) | instid1(VALU_DEP_1)
	v_lshlrev_b32_e32 v4, 20, v4
	v_or3_b32 v1, v1, v5, v4
	s_delay_alu instid0(VALU_DEP_1) | instskip(NEXT) | instid1(VALU_DEP_1)
	v_trunc_f32_e32 v1, v1
	v_mul_f32_e64 v4, 0x2f800000, |v1|
	s_delay_alu instid0(VALU_DEP_1) | instskip(NEXT) | instid1(VALU_DEP_1)
	v_floor_f32_e32 v4, v4
	v_fma_f32 v4, 0xcf800000, v4, |v1|
	v_ashrrev_i32_e32 v1, 31, v1
	s_delay_alu instid0(VALU_DEP_2) | instskip(NEXT) | instid1(VALU_DEP_1)
	v_cvt_u32_f32_e32 v4, v4
	v_xor_b32_e32 v4, v4, v1
	s_delay_alu instid0(VALU_DEP_1)
	v_sub_nc_u32_e32 v4, v4, v1
.LBB46_292:
	s_or_b32 exec_lo, exec_lo, s21
.LBB46_293:
	s_mov_b32 s21, -1
.LBB46_294:
	s_mov_b32 s22, 0
.LBB46_295:
	s_delay_alu instid0(SALU_CYCLE_1)
	s_and_b32 vcc_lo, exec_lo, s22
	s_cbranch_vccz .LBB46_328
; %bb.296:
	s_cmp_gt_i32 s15, 22
	s_cbranch_scc0 .LBB46_304
; %bb.297:
	s_cmp_lt_i32 s15, 24
	s_cbranch_scc1 .LBB46_307
; %bb.298:
	s_cmp_gt_i32 s15, 24
	s_cbranch_scc0 .LBB46_308
; %bb.299:
	s_wait_loadcnt 0x0
	global_load_u8 v1, v[2:3], off
	s_mov_b32 s22, 0
	s_mov_b32 s21, exec_lo
	s_wait_loadcnt 0x0
	v_cmpx_lt_i16_e32 0x7f, v1
	s_xor_b32 s21, exec_lo, s21
	s_cbranch_execz .LBB46_320
; %bb.300:
	v_cmp_ne_u16_e32 vcc_lo, 0x80, v1
	s_and_b32 s22, vcc_lo, exec_lo
	s_and_not1_saveexec_b32 s21, s21
	s_cbranch_execnz .LBB46_321
.LBB46_301:
	s_or_b32 exec_lo, exec_lo, s21
	v_mov_b32_e32 v4, 0
	s_and_saveexec_b32 s21, s22
	s_cbranch_execz .LBB46_303
.LBB46_302:
	v_and_b32_e32 v4, 0xffff, v1
	s_delay_alu instid0(VALU_DEP_1) | instskip(SKIP_1) | instid1(VALU_DEP_2)
	v_and_b32_e32 v5, 3, v4
	v_bfe_u32 v8, v4, 2, 5
	v_clz_i32_u32_e32 v6, v5
	s_delay_alu instid0(VALU_DEP_2) | instskip(NEXT) | instid1(VALU_DEP_2)
	v_cmp_eq_u32_e32 vcc_lo, 0, v8
	v_min_u32_e32 v6, 32, v6
	s_delay_alu instid0(VALU_DEP_1) | instskip(NEXT) | instid1(VALU_DEP_1)
	v_subrev_nc_u32_e32 v7, 29, v6
	v_dual_lshlrev_b32 v4, v7, v4 :: v_dual_sub_nc_u32 v6, 30, v6
	s_delay_alu instid0(VALU_DEP_1) | instskip(NEXT) | instid1(VALU_DEP_1)
	v_dual_lshlrev_b32 v1, 24, v1 :: v_dual_bitop2_b32 v4, 3, v4 bitop3:0x40
	v_dual_cndmask_b32 v6, v8, v6, vcc_lo :: v_dual_cndmask_b32 v4, v5, v4, vcc_lo
	s_delay_alu instid0(VALU_DEP_2) | instskip(NEXT) | instid1(VALU_DEP_2)
	v_and_b32_e32 v1, 0x80000000, v1
	v_lshl_add_u32 v5, v6, 23, 0x37800000
	s_delay_alu instid0(VALU_DEP_3) | instskip(NEXT) | instid1(VALU_DEP_1)
	v_lshlrev_b32_e32 v4, 21, v4
	v_or3_b32 v1, v1, v5, v4
	s_delay_alu instid0(VALU_DEP_1) | instskip(NEXT) | instid1(VALU_DEP_1)
	v_trunc_f32_e32 v1, v1
	v_mul_f32_e64 v4, 0x2f800000, |v1|
	s_delay_alu instid0(VALU_DEP_1) | instskip(NEXT) | instid1(VALU_DEP_1)
	v_floor_f32_e32 v4, v4
	v_fma_f32 v4, 0xcf800000, v4, |v1|
	v_ashrrev_i32_e32 v1, 31, v1
	s_delay_alu instid0(VALU_DEP_2) | instskip(NEXT) | instid1(VALU_DEP_1)
	v_cvt_u32_f32_e32 v4, v4
	v_xor_b32_e32 v4, v4, v1
	s_delay_alu instid0(VALU_DEP_1)
	v_sub_nc_u32_e32 v4, v4, v1
.LBB46_303:
	s_or_b32 exec_lo, exec_lo, s21
	s_mov_b32 s21, 0
	s_branch .LBB46_309
.LBB46_304:
	s_mov_b32 s22, -1
                                        ; implicit-def: $vgpr4
	s_branch .LBB46_315
.LBB46_305:
	s_and_not1_saveexec_b32 s21, s21
	s_cbranch_execz .LBB46_290
.LBB46_306:
	v_cmp_ne_u16_e32 vcc_lo, 0, v1
	s_and_not1_b32 s22, s22, exec_lo
	s_and_b32 s23, vcc_lo, exec_lo
	s_delay_alu instid0(SALU_CYCLE_1)
	s_or_b32 s22, s22, s23
	s_or_b32 exec_lo, exec_lo, s21
	v_mov_b32_e32 v4, 0
	s_and_saveexec_b32 s21, s22
	s_cbranch_execnz .LBB46_291
	s_branch .LBB46_292
.LBB46_307:
	s_mov_b32 s21, -1
                                        ; implicit-def: $vgpr4
	s_branch .LBB46_312
.LBB46_308:
	s_mov_b32 s21, -1
                                        ; implicit-def: $vgpr4
.LBB46_309:
	s_delay_alu instid0(SALU_CYCLE_1)
	s_and_b32 vcc_lo, exec_lo, s21
	s_cbranch_vccz .LBB46_311
; %bb.310:
	s_wait_loadcnt 0x0
	global_load_u8 v1, v[2:3], off
	s_wait_loadcnt 0x0
	v_lshlrev_b32_e32 v1, 24, v1
	s_delay_alu instid0(VALU_DEP_1) | instskip(NEXT) | instid1(VALU_DEP_1)
	v_and_b32_e32 v4, 0x7f000000, v1
	v_clz_i32_u32_e32 v5, v4
	v_cmp_ne_u32_e32 vcc_lo, 0, v4
	v_add_nc_u32_e32 v7, 0x1000000, v4
	s_delay_alu instid0(VALU_DEP_3) | instskip(NEXT) | instid1(VALU_DEP_1)
	v_min_u32_e32 v5, 32, v5
	v_sub_nc_u32_e64 v5, v5, 4 clamp
	s_delay_alu instid0(VALU_DEP_1) | instskip(NEXT) | instid1(VALU_DEP_1)
	v_dual_lshlrev_b32 v6, v5, v4 :: v_dual_lshlrev_b32 v5, 23, v5
	v_lshrrev_b32_e32 v6, 4, v6
	s_delay_alu instid0(VALU_DEP_1) | instskip(NEXT) | instid1(VALU_DEP_1)
	v_dual_sub_nc_u32 v5, v6, v5 :: v_dual_ashrrev_i32 v6, 8, v7
	v_add_nc_u32_e32 v5, 0x3c000000, v5
	s_delay_alu instid0(VALU_DEP_1) | instskip(NEXT) | instid1(VALU_DEP_1)
	v_and_or_b32 v5, 0x7f800000, v6, v5
	v_cndmask_b32_e32 v4, 0, v5, vcc_lo
	s_delay_alu instid0(VALU_DEP_1) | instskip(NEXT) | instid1(VALU_DEP_1)
	v_and_or_b32 v1, 0x80000000, v1, v4
	v_trunc_f32_e32 v1, v1
	s_delay_alu instid0(VALU_DEP_1) | instskip(NEXT) | instid1(VALU_DEP_1)
	v_mul_f32_e64 v4, 0x2f800000, |v1|
	v_floor_f32_e32 v4, v4
	s_delay_alu instid0(VALU_DEP_1) | instskip(SKIP_1) | instid1(VALU_DEP_2)
	v_fma_f32 v4, 0xcf800000, v4, |v1|
	v_ashrrev_i32_e32 v1, 31, v1
	v_cvt_u32_f32_e32 v4, v4
	s_delay_alu instid0(VALU_DEP_1) | instskip(NEXT) | instid1(VALU_DEP_1)
	v_xor_b32_e32 v4, v4, v1
	v_sub_nc_u32_e32 v4, v4, v1
.LBB46_311:
	s_mov_b32 s21, 0
.LBB46_312:
	s_delay_alu instid0(SALU_CYCLE_1)
	s_and_not1_b32 vcc_lo, exec_lo, s21
	s_cbranch_vccnz .LBB46_314
; %bb.313:
	s_wait_loadcnt 0x0
	global_load_u8 v1, v[2:3], off
	s_wait_loadcnt 0x0
	v_lshlrev_b32_e32 v4, 25, v1
	v_lshlrev_b16 v1, 8, v1
	s_delay_alu instid0(VALU_DEP_1) | instskip(SKIP_1) | instid1(VALU_DEP_2)
	v_and_or_b32 v6, 0x7f00, v1, 0.5
	v_bfe_i32 v1, v1, 0, 16
	v_dual_add_f32 v6, -0.5, v6 :: v_dual_lshrrev_b32 v5, 4, v4
	v_cmp_gt_u32_e32 vcc_lo, 0x8000000, v4
	s_delay_alu instid0(VALU_DEP_2) | instskip(NEXT) | instid1(VALU_DEP_1)
	v_or_b32_e32 v5, 0x70000000, v5
	v_mul_f32_e32 v5, 0x7800000, v5
	s_delay_alu instid0(VALU_DEP_1) | instskip(NEXT) | instid1(VALU_DEP_1)
	v_cndmask_b32_e32 v4, v5, v6, vcc_lo
	v_and_or_b32 v1, 0x80000000, v1, v4
	s_delay_alu instid0(VALU_DEP_1) | instskip(NEXT) | instid1(VALU_DEP_1)
	v_trunc_f32_e32 v1, v1
	v_mul_f32_e64 v4, 0x2f800000, |v1|
	s_delay_alu instid0(VALU_DEP_1) | instskip(NEXT) | instid1(VALU_DEP_1)
	v_floor_f32_e32 v4, v4
	v_fma_f32 v4, 0xcf800000, v4, |v1|
	v_ashrrev_i32_e32 v1, 31, v1
	s_delay_alu instid0(VALU_DEP_2) | instskip(NEXT) | instid1(VALU_DEP_1)
	v_cvt_u32_f32_e32 v4, v4
	v_xor_b32_e32 v4, v4, v1
	s_delay_alu instid0(VALU_DEP_1)
	v_sub_nc_u32_e32 v4, v4, v1
.LBB46_314:
	s_mov_b32 s22, 0
	s_mov_b32 s21, -1
.LBB46_315:
	s_and_not1_b32 vcc_lo, exec_lo, s22
	s_cbranch_vccnz .LBB46_328
; %bb.316:
	s_cmp_gt_i32 s15, 14
	s_cbranch_scc0 .LBB46_319
; %bb.317:
	s_cmp_eq_u32 s15, 15
	s_cbranch_scc0 .LBB46_322
; %bb.318:
	s_wait_loadcnt 0x0
	global_load_u16 v1, v[2:3], off
	s_mov_b32 s21, -1
	s_mov_b32 s17, 0
	s_wait_loadcnt 0x0
	v_lshlrev_b32_e32 v1, 16, v1
	s_delay_alu instid0(VALU_DEP_1) | instskip(NEXT) | instid1(VALU_DEP_1)
	v_trunc_f32_e32 v1, v1
	v_mul_f32_e64 v4, 0x2f800000, |v1|
	s_delay_alu instid0(VALU_DEP_1) | instskip(NEXT) | instid1(VALU_DEP_1)
	v_floor_f32_e32 v4, v4
	v_fma_f32 v4, 0xcf800000, v4, |v1|
	v_ashrrev_i32_e32 v1, 31, v1
	s_delay_alu instid0(VALU_DEP_2) | instskip(NEXT) | instid1(VALU_DEP_1)
	v_cvt_u32_f32_e32 v4, v4
	v_xor_b32_e32 v4, v4, v1
	s_delay_alu instid0(VALU_DEP_1)
	v_sub_nc_u32_e32 v4, v4, v1
	s_branch .LBB46_323
.LBB46_319:
	s_mov_b32 s22, -1
                                        ; implicit-def: $vgpr4
	s_branch .LBB46_324
.LBB46_320:
	s_and_not1_saveexec_b32 s21, s21
	s_cbranch_execz .LBB46_301
.LBB46_321:
	v_cmp_ne_u16_e32 vcc_lo, 0, v1
	s_and_not1_b32 s22, s22, exec_lo
	s_and_b32 s23, vcc_lo, exec_lo
	s_delay_alu instid0(SALU_CYCLE_1)
	s_or_b32 s22, s22, s23
	s_or_b32 exec_lo, exec_lo, s21
	v_mov_b32_e32 v4, 0
	s_and_saveexec_b32 s21, s22
	s_cbranch_execnz .LBB46_302
	s_branch .LBB46_303
.LBB46_322:
	s_mov_b32 s17, -1
                                        ; implicit-def: $vgpr4
.LBB46_323:
	s_mov_b32 s22, 0
.LBB46_324:
	s_delay_alu instid0(SALU_CYCLE_1)
	s_and_b32 vcc_lo, exec_lo, s22
	s_cbranch_vccz .LBB46_328
; %bb.325:
	s_cmp_eq_u32 s15, 11
	s_cbranch_scc0 .LBB46_327
; %bb.326:
	s_wait_loadcnt 0x0
	global_load_u8 v1, v[2:3], off
	s_mov_b32 s17, 0
	s_mov_b32 s21, -1
	s_wait_loadcnt 0x0
	v_cmp_ne_u16_e32 vcc_lo, 0, v1
	v_cndmask_b32_e64 v4, 0, 1, vcc_lo
	s_branch .LBB46_328
.LBB46_327:
	s_mov_b32 s17, -1
                                        ; implicit-def: $vgpr4
.LBB46_328:
	s_branch .LBB46_20
.LBB46_329:
	s_and_b32 s0, 0xffff, s0
	s_delay_alu instid0(SALU_CYCLE_1)
	s_cmp_lt_i32 s0, 5
	s_cbranch_scc1 .LBB46_334
; %bb.330:
	s_cmp_lt_i32 s0, 8
	s_cbranch_scc1 .LBB46_335
; %bb.331:
	;; [unrolled: 3-line block ×3, first 2 shown]
	s_cmp_gt_i32 s0, 9
	s_cbranch_scc0 .LBB46_337
; %bb.333:
	s_wait_loadcnt 0x0
	global_load_b64 v[4:5], v[2:3], off
	s_mov_b32 s15, 0
	s_wait_loadcnt 0x0
	v_trunc_f64_e32 v[4:5], v[4:5]
	s_delay_alu instid0(VALU_DEP_1) | instskip(NEXT) | instid1(VALU_DEP_1)
	v_ldexp_f64 v[6:7], v[4:5], 0xffffffe0
	v_floor_f64_e32 v[6:7], v[6:7]
	s_delay_alu instid0(VALU_DEP_1) | instskip(NEXT) | instid1(VALU_DEP_1)
	v_fmamk_f64 v[4:5], v[6:7], 0xc1f00000, v[4:5]
	v_cvt_u32_f64_e32 v4, v[4:5]
	s_branch .LBB46_338
.LBB46_334:
	s_mov_b32 s15, -1
                                        ; implicit-def: $vgpr4
	s_branch .LBB46_356
.LBB46_335:
	s_mov_b32 s15, -1
                                        ; implicit-def: $vgpr4
	s_branch .LBB46_344
.LBB46_336:
	s_mov_b32 s15, -1
                                        ; implicit-def: $vgpr4
	s_branch .LBB46_341
.LBB46_337:
	s_mov_b32 s15, -1
                                        ; implicit-def: $vgpr4
.LBB46_338:
	s_delay_alu instid0(SALU_CYCLE_1)
	s_and_not1_b32 vcc_lo, exec_lo, s15
	s_cbranch_vccnz .LBB46_340
; %bb.339:
	s_wait_loadcnt 0x0
	global_load_b32 v1, v[2:3], off
	s_wait_loadcnt 0x0
	v_trunc_f32_e32 v1, v1
	s_delay_alu instid0(VALU_DEP_1) | instskip(NEXT) | instid1(VALU_DEP_1)
	v_mul_f32_e64 v4, 0x2f800000, |v1|
	v_floor_f32_e32 v4, v4
	s_delay_alu instid0(VALU_DEP_1) | instskip(SKIP_1) | instid1(VALU_DEP_2)
	v_fma_f32 v4, 0xcf800000, v4, |v1|
	v_ashrrev_i32_e32 v1, 31, v1
	v_cvt_u32_f32_e32 v4, v4
	s_delay_alu instid0(VALU_DEP_1) | instskip(NEXT) | instid1(VALU_DEP_1)
	v_xor_b32_e32 v4, v4, v1
	v_sub_nc_u32_e32 v4, v4, v1
.LBB46_340:
	s_mov_b32 s15, 0
.LBB46_341:
	s_delay_alu instid0(SALU_CYCLE_1)
	s_and_not1_b32 vcc_lo, exec_lo, s15
	s_cbranch_vccnz .LBB46_343
; %bb.342:
	s_wait_loadcnt 0x0
	global_load_b32 v1, v[2:3], off
	s_wait_loadcnt 0x0
	v_cvt_f32_f16_e32 v1, v1
	s_delay_alu instid0(VALU_DEP_1)
	v_cvt_i32_f32_e32 v4, v1
.LBB46_343:
	s_mov_b32 s15, 0
.LBB46_344:
	s_delay_alu instid0(SALU_CYCLE_1)
	s_and_not1_b32 vcc_lo, exec_lo, s15
	s_cbranch_vccnz .LBB46_355
; %bb.345:
	s_cmp_lt_i32 s0, 6
	s_cbranch_scc1 .LBB46_348
; %bb.346:
	s_cmp_gt_i32 s0, 6
	s_cbranch_scc0 .LBB46_349
; %bb.347:
	s_wait_loadcnt 0x0
	global_load_b64 v[4:5], v[2:3], off
	s_mov_b32 s15, 0
	s_wait_loadcnt 0x0
	v_trunc_f64_e32 v[4:5], v[4:5]
	s_delay_alu instid0(VALU_DEP_1) | instskip(NEXT) | instid1(VALU_DEP_1)
	v_ldexp_f64 v[6:7], v[4:5], 0xffffffe0
	v_floor_f64_e32 v[6:7], v[6:7]
	s_delay_alu instid0(VALU_DEP_1) | instskip(NEXT) | instid1(VALU_DEP_1)
	v_fmamk_f64 v[4:5], v[6:7], 0xc1f00000, v[4:5]
	v_cvt_u32_f64_e32 v4, v[4:5]
	s_branch .LBB46_350
.LBB46_348:
	s_mov_b32 s15, -1
                                        ; implicit-def: $vgpr4
	s_branch .LBB46_353
.LBB46_349:
	s_mov_b32 s15, -1
                                        ; implicit-def: $vgpr4
.LBB46_350:
	s_delay_alu instid0(SALU_CYCLE_1)
	s_and_not1_b32 vcc_lo, exec_lo, s15
	s_cbranch_vccnz .LBB46_352
; %bb.351:
	s_wait_loadcnt 0x0
	global_load_b32 v1, v[2:3], off
	s_wait_loadcnt 0x0
	v_trunc_f32_e32 v1, v1
	s_delay_alu instid0(VALU_DEP_1) | instskip(NEXT) | instid1(VALU_DEP_1)
	v_mul_f32_e64 v4, 0x2f800000, |v1|
	v_floor_f32_e32 v4, v4
	s_delay_alu instid0(VALU_DEP_1) | instskip(SKIP_1) | instid1(VALU_DEP_2)
	v_fma_f32 v4, 0xcf800000, v4, |v1|
	v_ashrrev_i32_e32 v1, 31, v1
	v_cvt_u32_f32_e32 v4, v4
	s_delay_alu instid0(VALU_DEP_1) | instskip(NEXT) | instid1(VALU_DEP_1)
	v_xor_b32_e32 v4, v4, v1
	v_sub_nc_u32_e32 v4, v4, v1
.LBB46_352:
	s_mov_b32 s15, 0
.LBB46_353:
	s_delay_alu instid0(SALU_CYCLE_1)
	s_and_not1_b32 vcc_lo, exec_lo, s15
	s_cbranch_vccnz .LBB46_355
; %bb.354:
	s_wait_loadcnt 0x0
	global_load_u16 v1, v[2:3], off
	s_wait_loadcnt 0x0
	v_cvt_f32_f16_e32 v1, v1
	s_delay_alu instid0(VALU_DEP_1)
	v_cvt_i32_f32_e32 v4, v1
.LBB46_355:
	s_mov_b32 s15, 0
.LBB46_356:
	s_delay_alu instid0(SALU_CYCLE_1)
	s_and_not1_b32 vcc_lo, exec_lo, s15
	s_cbranch_vccnz .LBB46_376
; %bb.357:
	s_cmp_lt_i32 s0, 2
	s_cbranch_scc1 .LBB46_361
; %bb.358:
	s_cmp_lt_i32 s0, 3
	s_cbranch_scc1 .LBB46_362
; %bb.359:
	s_cmp_gt_i32 s0, 3
	s_cbranch_scc0 .LBB46_363
; %bb.360:
	s_wait_loadcnt 0x0
	global_load_b64 v[4:5], v[2:3], off
	s_mov_b32 s15, 0
	s_branch .LBB46_364
.LBB46_361:
	s_mov_b32 s15, -1
                                        ; implicit-def: $vgpr4
	s_branch .LBB46_370
.LBB46_362:
	s_mov_b32 s15, -1
                                        ; implicit-def: $vgpr4
	s_branch .LBB46_367
.LBB46_363:
	s_mov_b32 s15, -1
                                        ; implicit-def: $vgpr4
.LBB46_364:
	s_delay_alu instid0(SALU_CYCLE_1)
	s_and_not1_b32 vcc_lo, exec_lo, s15
	s_cbranch_vccnz .LBB46_366
; %bb.365:
	s_wait_loadcnt 0x0
	global_load_b32 v4, v[2:3], off
.LBB46_366:
	s_mov_b32 s15, 0
.LBB46_367:
	s_delay_alu instid0(SALU_CYCLE_1)
	s_and_not1_b32 vcc_lo, exec_lo, s15
	s_cbranch_vccnz .LBB46_369
; %bb.368:
	s_wait_loadcnt 0x0
	global_load_u16 v4, v[2:3], off
.LBB46_369:
	s_mov_b32 s15, 0
.LBB46_370:
	s_delay_alu instid0(SALU_CYCLE_1)
	s_and_not1_b32 vcc_lo, exec_lo, s15
	s_cbranch_vccnz .LBB46_376
; %bb.371:
	s_cmp_gt_i32 s0, 0
	s_mov_b32 s0, 0
	s_cbranch_scc0 .LBB46_373
; %bb.372:
	s_wait_loadcnt 0x0
	global_load_u8 v4, v[2:3], off
	s_branch .LBB46_374
.LBB46_373:
	s_mov_b32 s0, -1
                                        ; implicit-def: $vgpr4
.LBB46_374:
	s_delay_alu instid0(SALU_CYCLE_1)
	s_and_not1_b32 vcc_lo, exec_lo, s0
	s_cbranch_vccnz .LBB46_376
; %bb.375:
	s_wait_loadcnt 0x0
	global_load_u8 v4, v[2:3], off
.LBB46_376:
	s_branch .LBB46_21
.LBB46_377:
	s_mov_b32 s0, 0
.LBB46_378:
	s_mov_b32 s21, 0
                                        ; implicit-def: $vgpr10
.LBB46_379:
	s_and_b32 s15, s0, exec_lo
	s_and_b32 s17, s17, exec_lo
	;; [unrolled: 1-line block ×3, first 2 shown]
	s_or_not1_b32 s23, s21, exec_lo
.LBB46_380:
	s_wait_xcnt 0x0
	s_or_b32 exec_lo, exec_lo, s19
	s_mov_b32 s22, 0
	s_mov_b32 s21, 0
                                        ; implicit-def: $sgpr0
                                        ; implicit-def: $vgpr2_vgpr3
                                        ; implicit-def: $vgpr0
	s_and_saveexec_b32 s19, s23
	s_cbranch_execz .LBB46_389
; %bb.381:
	s_mov_b32 s25, -1
	s_mov_b32 s20, s18
	s_mov_b32 s22, s17
	;; [unrolled: 1-line block ×3, first 2 shown]
	s_mov_b32 s23, exec_lo
	v_cmpx_gt_i32_e64 s16, v10
	s_cbranch_execz .LBB46_771
; %bb.382:
	s_wait_loadcnt 0x0
	v_mul_lo_u32 v0, v10, s9
	s_and_b32 s0, s13, 0xff
	s_delay_alu instid0(SALU_CYCLE_1) | instskip(NEXT) | instid1(VALU_DEP_1)
	s_cmp_lt_i32 s0, 11
	v_ashrrev_i32_e32 v1, 31, v0
	s_delay_alu instid0(VALU_DEP_1)
	v_add_nc_u64_e32 v[2:3], s[6:7], v[0:1]
	s_cbranch_scc1 .LBB46_392
; %bb.383:
	s_and_b32 s21, 0xffff, s0
	s_delay_alu instid0(SALU_CYCLE_1)
	s_cmp_gt_i32 s21, 25
	s_cbranch_scc0 .LBB46_401
; %bb.384:
	s_cmp_gt_i32 s21, 28
	s_cbranch_scc0 .LBB46_403
; %bb.385:
	;; [unrolled: 3-line block ×4, first 2 shown]
	s_cmp_eq_u32 s21, 46
	s_mov_b32 s24, 0
	s_cbranch_scc0 .LBB46_411
; %bb.388:
	global_load_b32 v0, v[2:3], off
	s_mov_b32 s22, -1
	s_mov_b32 s20, 0
	s_wait_loadcnt 0x0
	v_lshlrev_b32_e32 v0, 16, v0
	s_delay_alu instid0(VALU_DEP_1) | instskip(NEXT) | instid1(VALU_DEP_1)
	v_trunc_f32_e32 v0, v0
	v_mul_f32_e64 v1, 0x2f800000, |v0|
	s_delay_alu instid0(VALU_DEP_1) | instskip(NEXT) | instid1(VALU_DEP_1)
	v_floor_f32_e32 v1, v1
	v_fma_f32 v1, 0xcf800000, v1, |v0|
	v_ashrrev_i32_e32 v0, 31, v0
	s_delay_alu instid0(VALU_DEP_2) | instskip(NEXT) | instid1(VALU_DEP_1)
	v_cvt_u32_f32_e32 v1, v1
	v_xor_b32_e32 v1, v1, v0
	s_delay_alu instid0(VALU_DEP_1)
	v_sub_nc_u32_e32 v0, v1, v0
	s_branch .LBB46_413
.LBB46_389:
	s_or_b32 exec_lo, exec_lo, s19
	s_mov_b32 s16, 0
	s_and_saveexec_b32 s19, s18
	s_cbranch_execnz .LBB46_1241
.LBB46_390:
	s_or_b32 exec_lo, exec_lo, s19
	s_and_saveexec_b32 s18, s20
	s_delay_alu instid0(SALU_CYCLE_1)
	s_xor_b32 s18, exec_lo, s18
	s_cbranch_execz .LBB46_1242
.LBB46_391:
	s_wait_loadcnt 0x0
	global_load_u8 v0, v[2:3], off
	s_or_b32 s21, s21, exec_lo
	s_wait_loadcnt 0x0
	v_cmp_ne_u16_e32 vcc_lo, 0, v0
	v_cndmask_b32_e64 v0, 0, 1, vcc_lo
	s_wait_xcnt 0x0
	s_or_b32 exec_lo, exec_lo, s18
	s_and_saveexec_b32 s18, s22
	s_cbranch_execz .LBB46_1288
	s_branch .LBB46_1243
.LBB46_392:
	s_mov_b32 s22, 0
	s_mov_b32 s20, s18
                                        ; implicit-def: $vgpr0
	s_cbranch_execnz .LBB46_475
.LBB46_393:
	s_and_not1_b32 vcc_lo, exec_lo, s22
	s_cbranch_vccnz .LBB46_523
.LBB46_394:
	s_wait_xcnt 0x0
	v_mul_lo_u32 v2, v10, s10
	s_and_b32 s0, s1, 0xff
	s_delay_alu instid0(SALU_CYCLE_1) | instskip(NEXT) | instid1(VALU_DEP_1)
	s_cmp_lt_i32 s0, 11
	v_ashrrev_i32_e32 v3, 31, v2
	s_delay_alu instid0(VALU_DEP_1)
	v_add_nc_u64_e32 v[2:3], s[2:3], v[2:3]
	s_cbranch_scc1 .LBB46_402
; %bb.395:
	s_and_b32 s21, 0xffff, s0
	s_delay_alu instid0(SALU_CYCLE_1)
	s_cmp_gt_i32 s21, 25
	s_cbranch_scc0 .LBB46_404
; %bb.396:
	s_cmp_gt_i32 s21, 28
	s_cbranch_scc0 .LBB46_406
; %bb.397:
	;; [unrolled: 3-line block ×4, first 2 shown]
	s_cmp_eq_u32 s21, 46
	s_mov_b32 s25, 0
	s_cbranch_scc0 .LBB46_526
; %bb.400:
	s_wait_loadcnt 0x0
	global_load_b32 v1, v[2:3], off
	s_mov_b32 s24, -1
	s_mov_b32 s22, 0
	s_wait_loadcnt 0x0
	v_lshlrev_b32_e32 v1, 16, v1
	s_delay_alu instid0(VALU_DEP_1) | instskip(NEXT) | instid1(VALU_DEP_1)
	v_trunc_f32_e32 v1, v1
	v_mul_f32_e64 v4, 0x2f800000, |v1|
	s_delay_alu instid0(VALU_DEP_1) | instskip(NEXT) | instid1(VALU_DEP_1)
	v_floor_f32_e32 v4, v4
	v_fma_f32 v4, 0xcf800000, v4, |v1|
	v_ashrrev_i32_e32 v1, 31, v1
	s_delay_alu instid0(VALU_DEP_2) | instskip(NEXT) | instid1(VALU_DEP_1)
	v_cvt_u32_f32_e32 v4, v4
	v_xor_b32_e32 v4, v4, v1
	s_delay_alu instid0(VALU_DEP_1)
	v_sub_nc_u32_e32 v4, v4, v1
	s_branch .LBB46_528
.LBB46_401:
	s_mov_b32 s24, -1
	s_mov_b32 s22, 0
	s_mov_b32 s20, s18
                                        ; implicit-def: $vgpr0
	s_branch .LBB46_441
.LBB46_402:
	s_mov_b32 s21, -1
	s_mov_b32 s24, 0
	s_mov_b32 s22, s17
                                        ; implicit-def: $vgpr4
	s_branch .LBB46_589
.LBB46_403:
	s_mov_b32 s24, -1
	s_mov_b32 s22, 0
	s_mov_b32 s20, s18
                                        ; implicit-def: $vgpr0
	s_branch .LBB46_424
.LBB46_404:
	s_mov_b32 s25, -1
	s_mov_b32 s24, 0
	s_mov_b32 s22, s17
                                        ; implicit-def: $vgpr4
	s_branch .LBB46_555
.LBB46_405:
	s_mov_b32 s24, -1
	s_mov_b32 s22, 0
	s_mov_b32 s20, s18
                                        ; implicit-def: $vgpr0
	s_branch .LBB46_419
.LBB46_406:
	s_mov_b32 s25, -1
	s_mov_b32 s24, 0
	s_mov_b32 s22, s17
                                        ; implicit-def: $vgpr4
	s_branch .LBB46_538
.LBB46_407:
	s_mov_b32 s24, -1
	s_mov_b32 s22, 0
	s_mov_b32 s20, s18
	s_branch .LBB46_412
.LBB46_408:
	s_mov_b32 s25, -1
	s_mov_b32 s24, 0
	s_mov_b32 s22, s17
                                        ; implicit-def: $vgpr4
	s_branch .LBB46_533
.LBB46_409:
	s_and_not1_saveexec_b32 s24, s24
	s_cbranch_execz .LBB46_182
.LBB46_410:
	v_add_f32_e32 v3, 0x46000000, v4
	s_and_not1_b32 s23, s23, exec_lo
	s_delay_alu instid0(VALU_DEP_1) | instskip(NEXT) | instid1(VALU_DEP_1)
	v_and_b32_e32 v3, 0xff, v3
	v_cmp_ne_u32_e32 vcc_lo, 0, v3
	s_and_b32 s25, vcc_lo, exec_lo
	s_delay_alu instid0(SALU_CYCLE_1)
	s_or_b32 s23, s23, s25
	s_or_b32 exec_lo, exec_lo, s24
	v_mov_b32_e32 v5, 0
	s_and_saveexec_b32 s24, s23
	s_cbranch_execnz .LBB46_183
	s_branch .LBB46_184
.LBB46_411:
	s_mov_b32 s20, -1
	s_mov_b32 s22, 0
.LBB46_412:
                                        ; implicit-def: $vgpr0
.LBB46_413:
	s_and_b32 vcc_lo, exec_lo, s24
	s_cbranch_vccz .LBB46_418
; %bb.414:
	s_cmp_eq_u32 s21, 44
	s_cbranch_scc0 .LBB46_417
; %bb.415:
	global_load_u8 v0, v[2:3], off
	s_mov_b32 s20, 0
	s_mov_b32 s22, -1
	s_wait_loadcnt 0x0
	v_lshlrev_b32_e32 v1, 23, v0
	v_cmp_ne_u32_e32 vcc_lo, 0, v0
	s_delay_alu instid0(VALU_DEP_2) | instskip(NEXT) | instid1(VALU_DEP_1)
	v_trunc_f32_e32 v1, v1
	v_mul_f32_e64 v4, 0x2f800000, |v1|
	s_delay_alu instid0(VALU_DEP_1) | instskip(NEXT) | instid1(VALU_DEP_1)
	v_floor_f32_e32 v4, v4
	v_fma_f32 v4, 0xcf800000, v4, |v1|
	v_ashrrev_i32_e32 v1, 31, v1
	s_delay_alu instid0(VALU_DEP_2) | instskip(NEXT) | instid1(VALU_DEP_1)
	v_cvt_u32_f32_e32 v4, v4
	v_xor_b32_e32 v4, v4, v1
	s_delay_alu instid0(VALU_DEP_1) | instskip(NEXT) | instid1(VALU_DEP_1)
	v_sub_nc_u32_e32 v1, v4, v1
	v_cndmask_b32_e32 v0, 0, v1, vcc_lo
	s_branch .LBB46_418
.LBB46_416:
	s_mov_b32 s25, -1
	s_mov_b32 s24, 0
	s_mov_b32 s22, s17
	s_branch .LBB46_527
.LBB46_417:
	s_mov_b32 s20, -1
                                        ; implicit-def: $vgpr0
.LBB46_418:
	s_mov_b32 s24, 0
.LBB46_419:
	s_delay_alu instid0(SALU_CYCLE_1)
	s_and_b32 vcc_lo, exec_lo, s24
	s_cbranch_vccz .LBB46_423
; %bb.420:
	s_cmp_eq_u32 s21, 29
	s_cbranch_scc0 .LBB46_422
; %bb.421:
	global_load_b64 v[0:1], v[2:3], off
	s_mov_b32 s22, -1
	s_mov_b32 s20, 0
	s_branch .LBB46_423
.LBB46_422:
	s_mov_b32 s20, -1
                                        ; implicit-def: $vgpr0
.LBB46_423:
	s_mov_b32 s24, 0
.LBB46_424:
	s_delay_alu instid0(SALU_CYCLE_1)
	s_and_b32 vcc_lo, exec_lo, s24
	s_cbranch_vccz .LBB46_440
; %bb.425:
	s_cmp_lt_i32 s21, 27
	s_cbranch_scc1 .LBB46_428
; %bb.426:
	s_cmp_gt_i32 s21, 27
	s_cbranch_scc0 .LBB46_429
; %bb.427:
	s_wait_loadcnt 0x0
	global_load_b32 v0, v[2:3], off
	s_mov_b32 s22, 0
	s_branch .LBB46_430
.LBB46_428:
	s_mov_b32 s22, -1
                                        ; implicit-def: $vgpr0
	s_branch .LBB46_433
.LBB46_429:
	s_mov_b32 s22, -1
                                        ; implicit-def: $vgpr0
.LBB46_430:
	s_delay_alu instid0(SALU_CYCLE_1)
	s_and_not1_b32 vcc_lo, exec_lo, s22
	s_cbranch_vccnz .LBB46_432
; %bb.431:
	s_wait_loadcnt 0x0
	global_load_u16 v0, v[2:3], off
.LBB46_432:
	s_mov_b32 s22, 0
.LBB46_433:
	s_delay_alu instid0(SALU_CYCLE_1)
	s_and_not1_b32 vcc_lo, exec_lo, s22
	s_cbranch_vccnz .LBB46_439
; %bb.434:
	s_wait_loadcnt 0x0
	global_load_u8 v1, v[2:3], off
	s_mov_b32 s24, 0
	s_mov_b32 s22, exec_lo
	s_wait_loadcnt 0x0
	v_cmpx_lt_i16_e32 0x7f, v1
	s_xor_b32 s22, exec_lo, s22
	s_cbranch_execz .LBB46_451
; %bb.435:
	v_cmp_ne_u16_e32 vcc_lo, 0x80, v1
	s_and_b32 s24, vcc_lo, exec_lo
	s_and_not1_saveexec_b32 s22, s22
	s_cbranch_execnz .LBB46_452
.LBB46_436:
	s_or_b32 exec_lo, exec_lo, s22
	v_mov_b32_e32 v0, 0
	s_and_saveexec_b32 s22, s24
	s_cbranch_execz .LBB46_438
.LBB46_437:
	v_and_b32_e32 v0, 0xffff, v1
	s_delay_alu instid0(VALU_DEP_1) | instskip(SKIP_1) | instid1(VALU_DEP_2)
	v_and_b32_e32 v4, 7, v0
	v_bfe_u32 v7, v0, 3, 4
	v_clz_i32_u32_e32 v5, v4
	s_delay_alu instid0(VALU_DEP_2) | instskip(NEXT) | instid1(VALU_DEP_2)
	v_cmp_eq_u32_e32 vcc_lo, 0, v7
	v_min_u32_e32 v5, 32, v5
	s_delay_alu instid0(VALU_DEP_1) | instskip(NEXT) | instid1(VALU_DEP_1)
	v_subrev_nc_u32_e32 v6, 28, v5
	v_dual_lshlrev_b32 v0, v6, v0 :: v_dual_sub_nc_u32 v5, 29, v5
	s_delay_alu instid0(VALU_DEP_1) | instskip(NEXT) | instid1(VALU_DEP_1)
	v_dual_lshlrev_b32 v1, 24, v1 :: v_dual_bitop2_b32 v0, 7, v0 bitop3:0x40
	v_dual_cndmask_b32 v0, v4, v0 :: v_dual_cndmask_b32 v5, v7, v5
	s_delay_alu instid0(VALU_DEP_2) | instskip(NEXT) | instid1(VALU_DEP_2)
	v_and_b32_e32 v1, 0x80000000, v1
	v_lshlrev_b32_e32 v0, 20, v0
	s_delay_alu instid0(VALU_DEP_3) | instskip(NEXT) | instid1(VALU_DEP_1)
	v_lshl_add_u32 v4, v5, 23, 0x3b800000
	v_or3_b32 v0, v1, v4, v0
	s_delay_alu instid0(VALU_DEP_1) | instskip(NEXT) | instid1(VALU_DEP_1)
	v_trunc_f32_e32 v0, v0
	v_mul_f32_e64 v1, 0x2f800000, |v0|
	s_delay_alu instid0(VALU_DEP_1) | instskip(NEXT) | instid1(VALU_DEP_1)
	v_floor_f32_e32 v1, v1
	v_fma_f32 v1, 0xcf800000, v1, |v0|
	v_ashrrev_i32_e32 v0, 31, v0
	s_delay_alu instid0(VALU_DEP_2) | instskip(NEXT) | instid1(VALU_DEP_1)
	v_cvt_u32_f32_e32 v1, v1
	v_xor_b32_e32 v1, v1, v0
	s_delay_alu instid0(VALU_DEP_1)
	v_sub_nc_u32_e32 v0, v1, v0
.LBB46_438:
	s_or_b32 exec_lo, exec_lo, s22
.LBB46_439:
	s_mov_b32 s22, -1
.LBB46_440:
	s_mov_b32 s24, 0
.LBB46_441:
	s_delay_alu instid0(SALU_CYCLE_1)
	s_and_b32 vcc_lo, exec_lo, s24
	s_cbranch_vccz .LBB46_474
; %bb.442:
	s_cmp_gt_i32 s21, 22
	s_cbranch_scc0 .LBB46_450
; %bb.443:
	s_cmp_lt_i32 s21, 24
	s_cbranch_scc1 .LBB46_453
; %bb.444:
	s_cmp_gt_i32 s21, 24
	s_cbranch_scc0 .LBB46_454
; %bb.445:
	s_wait_loadcnt 0x0
	global_load_u8 v1, v[2:3], off
	s_mov_b32 s24, 0
	s_mov_b32 s22, exec_lo
	s_wait_loadcnt 0x0
	v_cmpx_lt_i16_e32 0x7f, v1
	s_xor_b32 s22, exec_lo, s22
	s_cbranch_execz .LBB46_466
; %bb.446:
	v_cmp_ne_u16_e32 vcc_lo, 0x80, v1
	s_and_b32 s24, vcc_lo, exec_lo
	s_and_not1_saveexec_b32 s22, s22
	s_cbranch_execnz .LBB46_467
.LBB46_447:
	s_or_b32 exec_lo, exec_lo, s22
	v_mov_b32_e32 v0, 0
	s_and_saveexec_b32 s22, s24
	s_cbranch_execz .LBB46_449
.LBB46_448:
	v_and_b32_e32 v0, 0xffff, v1
	s_delay_alu instid0(VALU_DEP_1) | instskip(SKIP_1) | instid1(VALU_DEP_2)
	v_and_b32_e32 v4, 3, v0
	v_bfe_u32 v7, v0, 2, 5
	v_clz_i32_u32_e32 v5, v4
	s_delay_alu instid0(VALU_DEP_2) | instskip(NEXT) | instid1(VALU_DEP_2)
	v_cmp_eq_u32_e32 vcc_lo, 0, v7
	v_min_u32_e32 v5, 32, v5
	s_delay_alu instid0(VALU_DEP_1) | instskip(NEXT) | instid1(VALU_DEP_1)
	v_subrev_nc_u32_e32 v6, 29, v5
	v_dual_lshlrev_b32 v0, v6, v0 :: v_dual_sub_nc_u32 v5, 30, v5
	s_delay_alu instid0(VALU_DEP_1) | instskip(NEXT) | instid1(VALU_DEP_1)
	v_dual_lshlrev_b32 v1, 24, v1 :: v_dual_bitop2_b32 v0, 3, v0 bitop3:0x40
	v_dual_cndmask_b32 v0, v4, v0 :: v_dual_cndmask_b32 v5, v7, v5
	s_delay_alu instid0(VALU_DEP_2) | instskip(NEXT) | instid1(VALU_DEP_2)
	v_and_b32_e32 v1, 0x80000000, v1
	v_lshlrev_b32_e32 v0, 21, v0
	s_delay_alu instid0(VALU_DEP_3) | instskip(NEXT) | instid1(VALU_DEP_1)
	v_lshl_add_u32 v4, v5, 23, 0x37800000
	v_or3_b32 v0, v1, v4, v0
	s_delay_alu instid0(VALU_DEP_1) | instskip(NEXT) | instid1(VALU_DEP_1)
	v_trunc_f32_e32 v0, v0
	v_mul_f32_e64 v1, 0x2f800000, |v0|
	s_delay_alu instid0(VALU_DEP_1) | instskip(NEXT) | instid1(VALU_DEP_1)
	v_floor_f32_e32 v1, v1
	v_fma_f32 v1, 0xcf800000, v1, |v0|
	v_ashrrev_i32_e32 v0, 31, v0
	s_delay_alu instid0(VALU_DEP_2) | instskip(NEXT) | instid1(VALU_DEP_1)
	v_cvt_u32_f32_e32 v1, v1
	v_xor_b32_e32 v1, v1, v0
	s_delay_alu instid0(VALU_DEP_1)
	v_sub_nc_u32_e32 v0, v1, v0
.LBB46_449:
	s_or_b32 exec_lo, exec_lo, s22
	s_mov_b32 s22, 0
	s_branch .LBB46_455
.LBB46_450:
	s_mov_b32 s24, -1
                                        ; implicit-def: $vgpr0
	s_branch .LBB46_461
.LBB46_451:
	s_and_not1_saveexec_b32 s22, s22
	s_cbranch_execz .LBB46_436
.LBB46_452:
	v_cmp_ne_u16_e32 vcc_lo, 0, v1
	s_and_not1_b32 s24, s24, exec_lo
	s_and_b32 s25, vcc_lo, exec_lo
	s_delay_alu instid0(SALU_CYCLE_1)
	s_or_b32 s24, s24, s25
	s_or_b32 exec_lo, exec_lo, s22
	v_mov_b32_e32 v0, 0
	s_and_saveexec_b32 s22, s24
	s_cbranch_execnz .LBB46_437
	s_branch .LBB46_438
.LBB46_453:
	s_mov_b32 s22, -1
                                        ; implicit-def: $vgpr0
	s_branch .LBB46_458
.LBB46_454:
	s_mov_b32 s22, -1
                                        ; implicit-def: $vgpr0
.LBB46_455:
	s_delay_alu instid0(SALU_CYCLE_1)
	s_and_b32 vcc_lo, exec_lo, s22
	s_cbranch_vccz .LBB46_457
; %bb.456:
	s_wait_loadcnt 0x0
	global_load_u8 v0, v[2:3], off
	s_wait_loadcnt 0x0
	v_lshlrev_b32_e32 v0, 24, v0
	s_delay_alu instid0(VALU_DEP_1) | instskip(NEXT) | instid1(VALU_DEP_1)
	v_and_b32_e32 v1, 0x7f000000, v0
	v_clz_i32_u32_e32 v4, v1
	v_cmp_ne_u32_e32 vcc_lo, 0, v1
	v_add_nc_u32_e32 v6, 0x1000000, v1
	s_delay_alu instid0(VALU_DEP_3) | instskip(NEXT) | instid1(VALU_DEP_1)
	v_min_u32_e32 v4, 32, v4
	v_sub_nc_u32_e64 v4, v4, 4 clamp
	s_delay_alu instid0(VALU_DEP_1) | instskip(NEXT) | instid1(VALU_DEP_1)
	v_dual_lshlrev_b32 v5, v4, v1 :: v_dual_lshlrev_b32 v4, 23, v4
	v_lshrrev_b32_e32 v5, 4, v5
	s_delay_alu instid0(VALU_DEP_1) | instskip(NEXT) | instid1(VALU_DEP_1)
	v_dual_sub_nc_u32 v4, v5, v4 :: v_dual_ashrrev_i32 v5, 8, v6
	v_add_nc_u32_e32 v4, 0x3c000000, v4
	s_delay_alu instid0(VALU_DEP_1) | instskip(NEXT) | instid1(VALU_DEP_1)
	v_and_or_b32 v4, 0x7f800000, v5, v4
	v_cndmask_b32_e32 v1, 0, v4, vcc_lo
	s_delay_alu instid0(VALU_DEP_1) | instskip(NEXT) | instid1(VALU_DEP_1)
	v_and_or_b32 v0, 0x80000000, v0, v1
	v_trunc_f32_e32 v0, v0
	s_delay_alu instid0(VALU_DEP_1) | instskip(NEXT) | instid1(VALU_DEP_1)
	v_mul_f32_e64 v1, 0x2f800000, |v0|
	v_floor_f32_e32 v1, v1
	s_delay_alu instid0(VALU_DEP_1) | instskip(SKIP_1) | instid1(VALU_DEP_2)
	v_fma_f32 v1, 0xcf800000, v1, |v0|
	v_ashrrev_i32_e32 v0, 31, v0
	v_cvt_u32_f32_e32 v1, v1
	s_delay_alu instid0(VALU_DEP_1) | instskip(NEXT) | instid1(VALU_DEP_1)
	v_xor_b32_e32 v1, v1, v0
	v_sub_nc_u32_e32 v0, v1, v0
.LBB46_457:
	s_mov_b32 s22, 0
.LBB46_458:
	s_delay_alu instid0(SALU_CYCLE_1)
	s_and_not1_b32 vcc_lo, exec_lo, s22
	s_cbranch_vccnz .LBB46_460
; %bb.459:
	s_wait_loadcnt 0x0
	global_load_u8 v0, v[2:3], off
	s_wait_loadcnt 0x0
	v_lshlrev_b32_e32 v1, 25, v0
	v_lshlrev_b16 v0, 8, v0
	s_delay_alu instid0(VALU_DEP_1) | instskip(SKIP_1) | instid1(VALU_DEP_2)
	v_and_or_b32 v5, 0x7f00, v0, 0.5
	v_bfe_i32 v0, v0, 0, 16
	v_add_f32_e32 v5, -0.5, v5
	v_lshrrev_b32_e32 v4, 4, v1
	v_cmp_gt_u32_e32 vcc_lo, 0x8000000, v1
	s_delay_alu instid0(VALU_DEP_2) | instskip(NEXT) | instid1(VALU_DEP_1)
	v_or_b32_e32 v4, 0x70000000, v4
	v_mul_f32_e32 v4, 0x7800000, v4
	s_delay_alu instid0(VALU_DEP_1) | instskip(NEXT) | instid1(VALU_DEP_1)
	v_cndmask_b32_e32 v1, v4, v5, vcc_lo
	v_and_or_b32 v0, 0x80000000, v0, v1
	s_delay_alu instid0(VALU_DEP_1) | instskip(NEXT) | instid1(VALU_DEP_1)
	v_trunc_f32_e32 v0, v0
	v_mul_f32_e64 v1, 0x2f800000, |v0|
	s_delay_alu instid0(VALU_DEP_1) | instskip(NEXT) | instid1(VALU_DEP_1)
	v_floor_f32_e32 v1, v1
	v_fma_f32 v1, 0xcf800000, v1, |v0|
	v_ashrrev_i32_e32 v0, 31, v0
	s_delay_alu instid0(VALU_DEP_2) | instskip(NEXT) | instid1(VALU_DEP_1)
	v_cvt_u32_f32_e32 v1, v1
	v_xor_b32_e32 v1, v1, v0
	s_delay_alu instid0(VALU_DEP_1)
	v_sub_nc_u32_e32 v0, v1, v0
.LBB46_460:
	s_mov_b32 s24, 0
	s_mov_b32 s22, -1
.LBB46_461:
	s_and_not1_b32 vcc_lo, exec_lo, s24
	s_cbranch_vccnz .LBB46_474
; %bb.462:
	s_cmp_gt_i32 s21, 14
	s_cbranch_scc0 .LBB46_465
; %bb.463:
	s_cmp_eq_u32 s21, 15
	s_cbranch_scc0 .LBB46_468
; %bb.464:
	s_wait_loadcnt 0x0
	global_load_u16 v0, v[2:3], off
	s_mov_b32 s22, -1
	s_mov_b32 s20, 0
	s_wait_loadcnt 0x0
	v_lshlrev_b32_e32 v0, 16, v0
	s_delay_alu instid0(VALU_DEP_1) | instskip(NEXT) | instid1(VALU_DEP_1)
	v_trunc_f32_e32 v0, v0
	v_mul_f32_e64 v1, 0x2f800000, |v0|
	s_delay_alu instid0(VALU_DEP_1) | instskip(NEXT) | instid1(VALU_DEP_1)
	v_floor_f32_e32 v1, v1
	v_fma_f32 v1, 0xcf800000, v1, |v0|
	v_ashrrev_i32_e32 v0, 31, v0
	s_delay_alu instid0(VALU_DEP_2) | instskip(NEXT) | instid1(VALU_DEP_1)
	v_cvt_u32_f32_e32 v1, v1
	v_xor_b32_e32 v1, v1, v0
	s_delay_alu instid0(VALU_DEP_1)
	v_sub_nc_u32_e32 v0, v1, v0
	s_branch .LBB46_469
.LBB46_465:
	s_mov_b32 s24, -1
                                        ; implicit-def: $vgpr0
	s_branch .LBB46_470
.LBB46_466:
	s_and_not1_saveexec_b32 s22, s22
	s_cbranch_execz .LBB46_447
.LBB46_467:
	v_cmp_ne_u16_e32 vcc_lo, 0, v1
	s_and_not1_b32 s24, s24, exec_lo
	s_and_b32 s25, vcc_lo, exec_lo
	s_delay_alu instid0(SALU_CYCLE_1)
	s_or_b32 s24, s24, s25
	s_or_b32 exec_lo, exec_lo, s22
	v_mov_b32_e32 v0, 0
	s_and_saveexec_b32 s22, s24
	s_cbranch_execnz .LBB46_448
	s_branch .LBB46_449
.LBB46_468:
	s_mov_b32 s20, -1
                                        ; implicit-def: $vgpr0
.LBB46_469:
	s_mov_b32 s24, 0
.LBB46_470:
	s_delay_alu instid0(SALU_CYCLE_1)
	s_and_b32 vcc_lo, exec_lo, s24
	s_cbranch_vccz .LBB46_474
; %bb.471:
	s_cmp_eq_u32 s21, 11
	s_cbranch_scc0 .LBB46_473
; %bb.472:
	s_wait_loadcnt 0x0
	global_load_u8 v0, v[2:3], off
	s_mov_b32 s20, 0
	s_mov_b32 s22, -1
	s_wait_loadcnt 0x0
	v_cmp_ne_u16_e32 vcc_lo, 0, v0
	v_cndmask_b32_e64 v0, 0, 1, vcc_lo
	s_branch .LBB46_474
.LBB46_473:
	s_mov_b32 s20, -1
                                        ; implicit-def: $vgpr0
.LBB46_474:
	s_branch .LBB46_393
.LBB46_475:
	s_and_b32 s0, 0xffff, s0
	s_delay_alu instid0(SALU_CYCLE_1)
	s_cmp_lt_i32 s0, 5
	s_cbranch_scc1 .LBB46_480
; %bb.476:
	s_cmp_lt_i32 s0, 8
	s_cbranch_scc1 .LBB46_481
; %bb.477:
	;; [unrolled: 3-line block ×3, first 2 shown]
	s_cmp_gt_i32 s0, 9
	s_cbranch_scc0 .LBB46_483
; %bb.479:
	s_wait_loadcnt 0x0
	global_load_b64 v[0:1], v[2:3], off
	s_mov_b32 s21, 0
	s_wait_loadcnt 0x0
	v_trunc_f64_e32 v[0:1], v[0:1]
	s_delay_alu instid0(VALU_DEP_1) | instskip(NEXT) | instid1(VALU_DEP_1)
	v_ldexp_f64 v[4:5], v[0:1], 0xffffffe0
	v_floor_f64_e32 v[4:5], v[4:5]
	s_delay_alu instid0(VALU_DEP_1) | instskip(NEXT) | instid1(VALU_DEP_1)
	v_fmamk_f64 v[0:1], v[4:5], 0xc1f00000, v[0:1]
	v_cvt_u32_f64_e32 v0, v[0:1]
	s_branch .LBB46_484
.LBB46_480:
	s_mov_b32 s21, -1
                                        ; implicit-def: $vgpr0
	s_branch .LBB46_502
.LBB46_481:
	s_mov_b32 s21, -1
                                        ; implicit-def: $vgpr0
	s_branch .LBB46_490
.LBB46_482:
	s_mov_b32 s21, -1
                                        ; implicit-def: $vgpr0
	s_branch .LBB46_487
.LBB46_483:
	s_mov_b32 s21, -1
                                        ; implicit-def: $vgpr0
.LBB46_484:
	s_delay_alu instid0(SALU_CYCLE_1)
	s_and_not1_b32 vcc_lo, exec_lo, s21
	s_cbranch_vccnz .LBB46_486
; %bb.485:
	s_wait_loadcnt 0x0
	global_load_b32 v0, v[2:3], off
	s_wait_loadcnt 0x0
	v_trunc_f32_e32 v0, v0
	s_delay_alu instid0(VALU_DEP_1) | instskip(NEXT) | instid1(VALU_DEP_1)
	v_mul_f32_e64 v1, 0x2f800000, |v0|
	v_floor_f32_e32 v1, v1
	s_delay_alu instid0(VALU_DEP_1) | instskip(SKIP_1) | instid1(VALU_DEP_2)
	v_fma_f32 v1, 0xcf800000, v1, |v0|
	v_ashrrev_i32_e32 v0, 31, v0
	v_cvt_u32_f32_e32 v1, v1
	s_delay_alu instid0(VALU_DEP_1) | instskip(NEXT) | instid1(VALU_DEP_1)
	v_xor_b32_e32 v1, v1, v0
	v_sub_nc_u32_e32 v0, v1, v0
.LBB46_486:
	s_mov_b32 s21, 0
.LBB46_487:
	s_delay_alu instid0(SALU_CYCLE_1)
	s_and_not1_b32 vcc_lo, exec_lo, s21
	s_cbranch_vccnz .LBB46_489
; %bb.488:
	s_wait_loadcnt 0x0
	global_load_b32 v0, v[2:3], off
	s_wait_loadcnt 0x0
	v_cvt_f32_f16_e32 v0, v0
	s_delay_alu instid0(VALU_DEP_1)
	v_cvt_i32_f32_e32 v0, v0
.LBB46_489:
	s_mov_b32 s21, 0
.LBB46_490:
	s_delay_alu instid0(SALU_CYCLE_1)
	s_and_not1_b32 vcc_lo, exec_lo, s21
	s_cbranch_vccnz .LBB46_501
; %bb.491:
	s_cmp_lt_i32 s0, 6
	s_cbranch_scc1 .LBB46_494
; %bb.492:
	s_cmp_gt_i32 s0, 6
	s_cbranch_scc0 .LBB46_495
; %bb.493:
	s_wait_loadcnt 0x0
	global_load_b64 v[0:1], v[2:3], off
	s_mov_b32 s21, 0
	s_wait_loadcnt 0x0
	v_trunc_f64_e32 v[0:1], v[0:1]
	s_delay_alu instid0(VALU_DEP_1) | instskip(NEXT) | instid1(VALU_DEP_1)
	v_ldexp_f64 v[4:5], v[0:1], 0xffffffe0
	v_floor_f64_e32 v[4:5], v[4:5]
	s_delay_alu instid0(VALU_DEP_1) | instskip(NEXT) | instid1(VALU_DEP_1)
	v_fmamk_f64 v[0:1], v[4:5], 0xc1f00000, v[0:1]
	v_cvt_u32_f64_e32 v0, v[0:1]
	s_branch .LBB46_496
.LBB46_494:
	s_mov_b32 s21, -1
                                        ; implicit-def: $vgpr0
	s_branch .LBB46_499
.LBB46_495:
	s_mov_b32 s21, -1
                                        ; implicit-def: $vgpr0
.LBB46_496:
	s_delay_alu instid0(SALU_CYCLE_1)
	s_and_not1_b32 vcc_lo, exec_lo, s21
	s_cbranch_vccnz .LBB46_498
; %bb.497:
	s_wait_loadcnt 0x0
	global_load_b32 v0, v[2:3], off
	s_wait_loadcnt 0x0
	v_trunc_f32_e32 v0, v0
	s_delay_alu instid0(VALU_DEP_1) | instskip(NEXT) | instid1(VALU_DEP_1)
	v_mul_f32_e64 v1, 0x2f800000, |v0|
	v_floor_f32_e32 v1, v1
	s_delay_alu instid0(VALU_DEP_1) | instskip(SKIP_1) | instid1(VALU_DEP_2)
	v_fma_f32 v1, 0xcf800000, v1, |v0|
	v_ashrrev_i32_e32 v0, 31, v0
	v_cvt_u32_f32_e32 v1, v1
	s_delay_alu instid0(VALU_DEP_1) | instskip(NEXT) | instid1(VALU_DEP_1)
	v_xor_b32_e32 v1, v1, v0
	v_sub_nc_u32_e32 v0, v1, v0
.LBB46_498:
	s_mov_b32 s21, 0
.LBB46_499:
	s_delay_alu instid0(SALU_CYCLE_1)
	s_and_not1_b32 vcc_lo, exec_lo, s21
	s_cbranch_vccnz .LBB46_501
; %bb.500:
	s_wait_loadcnt 0x0
	global_load_u16 v0, v[2:3], off
	s_wait_loadcnt 0x0
	v_cvt_f32_f16_e32 v0, v0
	s_delay_alu instid0(VALU_DEP_1)
	v_cvt_i32_f32_e32 v0, v0
.LBB46_501:
	s_mov_b32 s21, 0
.LBB46_502:
	s_delay_alu instid0(SALU_CYCLE_1)
	s_and_not1_b32 vcc_lo, exec_lo, s21
	s_cbranch_vccnz .LBB46_522
; %bb.503:
	s_cmp_lt_i32 s0, 2
	s_cbranch_scc1 .LBB46_507
; %bb.504:
	s_cmp_lt_i32 s0, 3
	s_cbranch_scc1 .LBB46_508
; %bb.505:
	s_cmp_gt_i32 s0, 3
	s_cbranch_scc0 .LBB46_509
; %bb.506:
	s_wait_loadcnt 0x0
	global_load_b64 v[0:1], v[2:3], off
	s_mov_b32 s21, 0
	s_branch .LBB46_510
.LBB46_507:
	s_mov_b32 s21, -1
                                        ; implicit-def: $vgpr0
	s_branch .LBB46_516
.LBB46_508:
	s_mov_b32 s21, -1
                                        ; implicit-def: $vgpr0
	s_branch .LBB46_513
.LBB46_509:
	s_mov_b32 s21, -1
                                        ; implicit-def: $vgpr0
.LBB46_510:
	s_delay_alu instid0(SALU_CYCLE_1)
	s_and_not1_b32 vcc_lo, exec_lo, s21
	s_cbranch_vccnz .LBB46_512
; %bb.511:
	s_wait_loadcnt 0x0
	global_load_b32 v0, v[2:3], off
.LBB46_512:
	s_mov_b32 s21, 0
.LBB46_513:
	s_delay_alu instid0(SALU_CYCLE_1)
	s_and_not1_b32 vcc_lo, exec_lo, s21
	s_cbranch_vccnz .LBB46_515
; %bb.514:
	s_wait_loadcnt 0x0
	global_load_u16 v0, v[2:3], off
.LBB46_515:
	s_mov_b32 s21, 0
.LBB46_516:
	s_delay_alu instid0(SALU_CYCLE_1)
	s_and_not1_b32 vcc_lo, exec_lo, s21
	s_cbranch_vccnz .LBB46_522
; %bb.517:
	s_cmp_gt_i32 s0, 0
	s_mov_b32 s0, 0
	s_cbranch_scc0 .LBB46_519
; %bb.518:
	s_wait_loadcnt 0x0
	global_load_u8 v0, v[2:3], off
	s_branch .LBB46_520
.LBB46_519:
	s_mov_b32 s0, -1
                                        ; implicit-def: $vgpr0
.LBB46_520:
	s_delay_alu instid0(SALU_CYCLE_1)
	s_and_not1_b32 vcc_lo, exec_lo, s0
	s_cbranch_vccnz .LBB46_522
; %bb.521:
	s_wait_loadcnt 0x0
	global_load_u8 v0, v[2:3], off
.LBB46_522:
	s_branch .LBB46_394
.LBB46_523:
	s_mov_b32 s24, 0
	s_mov_b32 s0, s15
	;; [unrolled: 1-line block ×3, first 2 shown]
	s_branch .LBB46_769
.LBB46_524:
	s_and_not1_saveexec_b32 s24, s24
	s_cbranch_execz .LBB46_195
.LBB46_525:
	v_add_f32_e32 v3, 0x42800000, v4
	s_and_not1_b32 s23, s23, exec_lo
	s_delay_alu instid0(VALU_DEP_1) | instskip(NEXT) | instid1(VALU_DEP_1)
	v_and_b32_e32 v3, 0xff, v3
	v_cmp_ne_u32_e32 vcc_lo, 0, v3
	s_and_b32 s25, vcc_lo, exec_lo
	s_delay_alu instid0(SALU_CYCLE_1)
	s_or_b32 s23, s23, s25
	s_or_b32 exec_lo, exec_lo, s24
	v_mov_b32_e32 v5, 0
	s_and_saveexec_b32 s24, s23
	s_cbranch_execnz .LBB46_196
	s_branch .LBB46_197
.LBB46_526:
	s_mov_b32 s22, -1
	s_mov_b32 s24, 0
.LBB46_527:
                                        ; implicit-def: $vgpr4
.LBB46_528:
	s_and_b32 vcc_lo, exec_lo, s25
	s_cbranch_vccz .LBB46_532
; %bb.529:
	s_cmp_eq_u32 s21, 44
	s_cbranch_scc0 .LBB46_531
; %bb.530:
	s_wait_loadcnt 0x0
	global_load_u8 v1, v[2:3], off
	s_mov_b32 s22, 0
	s_mov_b32 s24, -1
	s_wait_loadcnt 0x0
	v_lshlrev_b32_e32 v4, 23, v1
	v_cmp_ne_u32_e32 vcc_lo, 0, v1
	s_delay_alu instid0(VALU_DEP_2) | instskip(NEXT) | instid1(VALU_DEP_1)
	v_trunc_f32_e32 v4, v4
	v_mul_f32_e64 v5, 0x2f800000, |v4|
	s_delay_alu instid0(VALU_DEP_1) | instskip(NEXT) | instid1(VALU_DEP_1)
	v_floor_f32_e32 v5, v5
	v_fma_f32 v5, 0xcf800000, v5, |v4|
	v_ashrrev_i32_e32 v4, 31, v4
	s_delay_alu instid0(VALU_DEP_2) | instskip(NEXT) | instid1(VALU_DEP_1)
	v_cvt_u32_f32_e32 v5, v5
	v_xor_b32_e32 v5, v5, v4
	s_delay_alu instid0(VALU_DEP_1) | instskip(NEXT) | instid1(VALU_DEP_1)
	v_sub_nc_u32_e32 v4, v5, v4
	v_cndmask_b32_e32 v4, 0, v4, vcc_lo
	s_branch .LBB46_532
.LBB46_531:
	s_mov_b32 s22, -1
                                        ; implicit-def: $vgpr4
.LBB46_532:
	s_mov_b32 s25, 0
.LBB46_533:
	s_delay_alu instid0(SALU_CYCLE_1)
	s_and_b32 vcc_lo, exec_lo, s25
	s_cbranch_vccz .LBB46_537
; %bb.534:
	s_cmp_eq_u32 s21, 29
	s_cbranch_scc0 .LBB46_536
; %bb.535:
	global_load_b64 v[4:5], v[2:3], off
	s_mov_b32 s24, -1
	s_mov_b32 s22, 0
	s_branch .LBB46_537
.LBB46_536:
	s_mov_b32 s22, -1
                                        ; implicit-def: $vgpr4
.LBB46_537:
	s_mov_b32 s25, 0
.LBB46_538:
	s_delay_alu instid0(SALU_CYCLE_1)
	s_and_b32 vcc_lo, exec_lo, s25
	s_cbranch_vccz .LBB46_554
; %bb.539:
	s_cmp_lt_i32 s21, 27
	s_cbranch_scc1 .LBB46_542
; %bb.540:
	s_cmp_gt_i32 s21, 27
	s_cbranch_scc0 .LBB46_543
; %bb.541:
	s_wait_loadcnt 0x0
	global_load_b32 v4, v[2:3], off
	s_mov_b32 s24, 0
	s_branch .LBB46_544
.LBB46_542:
	s_mov_b32 s24, -1
                                        ; implicit-def: $vgpr4
	s_branch .LBB46_547
.LBB46_543:
	s_mov_b32 s24, -1
                                        ; implicit-def: $vgpr4
.LBB46_544:
	s_delay_alu instid0(SALU_CYCLE_1)
	s_and_not1_b32 vcc_lo, exec_lo, s24
	s_cbranch_vccnz .LBB46_546
; %bb.545:
	s_wait_loadcnt 0x0
	global_load_u16 v4, v[2:3], off
.LBB46_546:
	s_mov_b32 s24, 0
.LBB46_547:
	s_delay_alu instid0(SALU_CYCLE_1)
	s_and_not1_b32 vcc_lo, exec_lo, s24
	s_cbranch_vccnz .LBB46_553
; %bb.548:
	s_wait_loadcnt 0x0
	global_load_u8 v1, v[2:3], off
	s_mov_b32 s25, 0
	s_mov_b32 s24, exec_lo
	s_wait_loadcnt 0x0
	v_cmpx_lt_i16_e32 0x7f, v1
	s_xor_b32 s24, exec_lo, s24
	s_cbranch_execz .LBB46_565
; %bb.549:
	v_cmp_ne_u16_e32 vcc_lo, 0x80, v1
	s_and_b32 s25, vcc_lo, exec_lo
	s_and_not1_saveexec_b32 s24, s24
	s_cbranch_execnz .LBB46_566
.LBB46_550:
	s_or_b32 exec_lo, exec_lo, s24
	v_mov_b32_e32 v4, 0
	s_and_saveexec_b32 s24, s25
	s_cbranch_execz .LBB46_552
.LBB46_551:
	v_and_b32_e32 v4, 0xffff, v1
	s_delay_alu instid0(VALU_DEP_1) | instskip(SKIP_1) | instid1(VALU_DEP_2)
	v_and_b32_e32 v5, 7, v4
	v_bfe_u32 v8, v4, 3, 4
	v_clz_i32_u32_e32 v6, v5
	s_delay_alu instid0(VALU_DEP_2) | instskip(NEXT) | instid1(VALU_DEP_2)
	v_cmp_eq_u32_e32 vcc_lo, 0, v8
	v_min_u32_e32 v6, 32, v6
	s_delay_alu instid0(VALU_DEP_1) | instskip(NEXT) | instid1(VALU_DEP_1)
	v_subrev_nc_u32_e32 v7, 28, v6
	v_dual_lshlrev_b32 v4, v7, v4 :: v_dual_sub_nc_u32 v6, 29, v6
	s_delay_alu instid0(VALU_DEP_1) | instskip(NEXT) | instid1(VALU_DEP_1)
	v_dual_lshlrev_b32 v1, 24, v1 :: v_dual_bitop2_b32 v4, 7, v4 bitop3:0x40
	v_dual_cndmask_b32 v6, v8, v6, vcc_lo :: v_dual_cndmask_b32 v4, v5, v4, vcc_lo
	s_delay_alu instid0(VALU_DEP_2) | instskip(NEXT) | instid1(VALU_DEP_2)
	v_and_b32_e32 v1, 0x80000000, v1
	v_lshl_add_u32 v5, v6, 23, 0x3b800000
	s_delay_alu instid0(VALU_DEP_3) | instskip(NEXT) | instid1(VALU_DEP_1)
	v_lshlrev_b32_e32 v4, 20, v4
	v_or3_b32 v1, v1, v5, v4
	s_delay_alu instid0(VALU_DEP_1) | instskip(NEXT) | instid1(VALU_DEP_1)
	v_trunc_f32_e32 v1, v1
	v_mul_f32_e64 v4, 0x2f800000, |v1|
	s_delay_alu instid0(VALU_DEP_1) | instskip(NEXT) | instid1(VALU_DEP_1)
	v_floor_f32_e32 v4, v4
	v_fma_f32 v4, 0xcf800000, v4, |v1|
	v_ashrrev_i32_e32 v1, 31, v1
	s_delay_alu instid0(VALU_DEP_2) | instskip(NEXT) | instid1(VALU_DEP_1)
	v_cvt_u32_f32_e32 v4, v4
	v_xor_b32_e32 v4, v4, v1
	s_delay_alu instid0(VALU_DEP_1)
	v_sub_nc_u32_e32 v4, v4, v1
.LBB46_552:
	s_or_b32 exec_lo, exec_lo, s24
.LBB46_553:
	s_mov_b32 s24, -1
.LBB46_554:
	s_mov_b32 s25, 0
.LBB46_555:
	s_delay_alu instid0(SALU_CYCLE_1)
	s_and_b32 vcc_lo, exec_lo, s25
	s_cbranch_vccz .LBB46_588
; %bb.556:
	s_cmp_gt_i32 s21, 22
	s_cbranch_scc0 .LBB46_564
; %bb.557:
	s_cmp_lt_i32 s21, 24
	s_cbranch_scc1 .LBB46_567
; %bb.558:
	s_cmp_gt_i32 s21, 24
	s_cbranch_scc0 .LBB46_568
; %bb.559:
	s_wait_loadcnt 0x0
	global_load_u8 v1, v[2:3], off
	s_mov_b32 s25, 0
	s_mov_b32 s24, exec_lo
	s_wait_loadcnt 0x0
	v_cmpx_lt_i16_e32 0x7f, v1
	s_xor_b32 s24, exec_lo, s24
	s_cbranch_execz .LBB46_580
; %bb.560:
	v_cmp_ne_u16_e32 vcc_lo, 0x80, v1
	s_and_b32 s25, vcc_lo, exec_lo
	s_and_not1_saveexec_b32 s24, s24
	s_cbranch_execnz .LBB46_581
.LBB46_561:
	s_or_b32 exec_lo, exec_lo, s24
	v_mov_b32_e32 v4, 0
	s_and_saveexec_b32 s24, s25
	s_cbranch_execz .LBB46_563
.LBB46_562:
	v_and_b32_e32 v4, 0xffff, v1
	s_delay_alu instid0(VALU_DEP_1) | instskip(SKIP_1) | instid1(VALU_DEP_2)
	v_and_b32_e32 v5, 3, v4
	v_bfe_u32 v8, v4, 2, 5
	v_clz_i32_u32_e32 v6, v5
	s_delay_alu instid0(VALU_DEP_2) | instskip(NEXT) | instid1(VALU_DEP_2)
	v_cmp_eq_u32_e32 vcc_lo, 0, v8
	v_min_u32_e32 v6, 32, v6
	s_delay_alu instid0(VALU_DEP_1) | instskip(NEXT) | instid1(VALU_DEP_1)
	v_subrev_nc_u32_e32 v7, 29, v6
	v_dual_lshlrev_b32 v4, v7, v4 :: v_dual_sub_nc_u32 v6, 30, v6
	s_delay_alu instid0(VALU_DEP_1) | instskip(NEXT) | instid1(VALU_DEP_1)
	v_dual_lshlrev_b32 v1, 24, v1 :: v_dual_bitop2_b32 v4, 3, v4 bitop3:0x40
	v_dual_cndmask_b32 v6, v8, v6, vcc_lo :: v_dual_cndmask_b32 v4, v5, v4, vcc_lo
	s_delay_alu instid0(VALU_DEP_2) | instskip(NEXT) | instid1(VALU_DEP_2)
	v_and_b32_e32 v1, 0x80000000, v1
	v_lshl_add_u32 v5, v6, 23, 0x37800000
	s_delay_alu instid0(VALU_DEP_3) | instskip(NEXT) | instid1(VALU_DEP_1)
	v_lshlrev_b32_e32 v4, 21, v4
	v_or3_b32 v1, v1, v5, v4
	s_delay_alu instid0(VALU_DEP_1) | instskip(NEXT) | instid1(VALU_DEP_1)
	v_trunc_f32_e32 v1, v1
	v_mul_f32_e64 v4, 0x2f800000, |v1|
	s_delay_alu instid0(VALU_DEP_1) | instskip(NEXT) | instid1(VALU_DEP_1)
	v_floor_f32_e32 v4, v4
	v_fma_f32 v4, 0xcf800000, v4, |v1|
	v_ashrrev_i32_e32 v1, 31, v1
	s_delay_alu instid0(VALU_DEP_2) | instskip(NEXT) | instid1(VALU_DEP_1)
	v_cvt_u32_f32_e32 v4, v4
	v_xor_b32_e32 v4, v4, v1
	s_delay_alu instid0(VALU_DEP_1)
	v_sub_nc_u32_e32 v4, v4, v1
.LBB46_563:
	s_or_b32 exec_lo, exec_lo, s24
	s_mov_b32 s24, 0
	s_branch .LBB46_569
.LBB46_564:
	s_mov_b32 s25, -1
                                        ; implicit-def: $vgpr4
	s_branch .LBB46_575
.LBB46_565:
	s_and_not1_saveexec_b32 s24, s24
	s_cbranch_execz .LBB46_550
.LBB46_566:
	v_cmp_ne_u16_e32 vcc_lo, 0, v1
	s_and_not1_b32 s25, s25, exec_lo
	s_and_b32 s26, vcc_lo, exec_lo
	s_delay_alu instid0(SALU_CYCLE_1)
	s_or_b32 s25, s25, s26
	s_or_b32 exec_lo, exec_lo, s24
	v_mov_b32_e32 v4, 0
	s_and_saveexec_b32 s24, s25
	s_cbranch_execnz .LBB46_551
	s_branch .LBB46_552
.LBB46_567:
	s_mov_b32 s24, -1
                                        ; implicit-def: $vgpr4
	s_branch .LBB46_572
.LBB46_568:
	s_mov_b32 s24, -1
                                        ; implicit-def: $vgpr4
.LBB46_569:
	s_delay_alu instid0(SALU_CYCLE_1)
	s_and_b32 vcc_lo, exec_lo, s24
	s_cbranch_vccz .LBB46_571
; %bb.570:
	s_wait_loadcnt 0x0
	global_load_u8 v1, v[2:3], off
	s_wait_loadcnt 0x0
	v_lshlrev_b32_e32 v1, 24, v1
	s_delay_alu instid0(VALU_DEP_1) | instskip(NEXT) | instid1(VALU_DEP_1)
	v_and_b32_e32 v4, 0x7f000000, v1
	v_clz_i32_u32_e32 v5, v4
	v_cmp_ne_u32_e32 vcc_lo, 0, v4
	v_add_nc_u32_e32 v7, 0x1000000, v4
	s_delay_alu instid0(VALU_DEP_3) | instskip(NEXT) | instid1(VALU_DEP_1)
	v_min_u32_e32 v5, 32, v5
	v_sub_nc_u32_e64 v5, v5, 4 clamp
	s_delay_alu instid0(VALU_DEP_1) | instskip(NEXT) | instid1(VALU_DEP_1)
	v_dual_lshlrev_b32 v6, v5, v4 :: v_dual_lshlrev_b32 v5, 23, v5
	v_lshrrev_b32_e32 v6, 4, v6
	s_delay_alu instid0(VALU_DEP_1) | instskip(NEXT) | instid1(VALU_DEP_1)
	v_dual_sub_nc_u32 v5, v6, v5 :: v_dual_ashrrev_i32 v6, 8, v7
	v_add_nc_u32_e32 v5, 0x3c000000, v5
	s_delay_alu instid0(VALU_DEP_1) | instskip(NEXT) | instid1(VALU_DEP_1)
	v_and_or_b32 v5, 0x7f800000, v6, v5
	v_cndmask_b32_e32 v4, 0, v5, vcc_lo
	s_delay_alu instid0(VALU_DEP_1) | instskip(NEXT) | instid1(VALU_DEP_1)
	v_and_or_b32 v1, 0x80000000, v1, v4
	v_trunc_f32_e32 v1, v1
	s_delay_alu instid0(VALU_DEP_1) | instskip(NEXT) | instid1(VALU_DEP_1)
	v_mul_f32_e64 v4, 0x2f800000, |v1|
	v_floor_f32_e32 v4, v4
	s_delay_alu instid0(VALU_DEP_1) | instskip(SKIP_1) | instid1(VALU_DEP_2)
	v_fma_f32 v4, 0xcf800000, v4, |v1|
	v_ashrrev_i32_e32 v1, 31, v1
	v_cvt_u32_f32_e32 v4, v4
	s_delay_alu instid0(VALU_DEP_1) | instskip(NEXT) | instid1(VALU_DEP_1)
	v_xor_b32_e32 v4, v4, v1
	v_sub_nc_u32_e32 v4, v4, v1
.LBB46_571:
	s_mov_b32 s24, 0
.LBB46_572:
	s_delay_alu instid0(SALU_CYCLE_1)
	s_and_not1_b32 vcc_lo, exec_lo, s24
	s_cbranch_vccnz .LBB46_574
; %bb.573:
	s_wait_loadcnt 0x0
	global_load_u8 v1, v[2:3], off
	s_wait_loadcnt 0x0
	v_lshlrev_b32_e32 v4, 25, v1
	v_lshlrev_b16 v1, 8, v1
	s_delay_alu instid0(VALU_DEP_1) | instskip(SKIP_1) | instid1(VALU_DEP_2)
	v_and_or_b32 v6, 0x7f00, v1, 0.5
	v_bfe_i32 v1, v1, 0, 16
	v_dual_add_f32 v6, -0.5, v6 :: v_dual_lshrrev_b32 v5, 4, v4
	v_cmp_gt_u32_e32 vcc_lo, 0x8000000, v4
	s_delay_alu instid0(VALU_DEP_2) | instskip(NEXT) | instid1(VALU_DEP_1)
	v_or_b32_e32 v5, 0x70000000, v5
	v_mul_f32_e32 v5, 0x7800000, v5
	s_delay_alu instid0(VALU_DEP_1) | instskip(NEXT) | instid1(VALU_DEP_1)
	v_cndmask_b32_e32 v4, v5, v6, vcc_lo
	v_and_or_b32 v1, 0x80000000, v1, v4
	s_delay_alu instid0(VALU_DEP_1) | instskip(NEXT) | instid1(VALU_DEP_1)
	v_trunc_f32_e32 v1, v1
	v_mul_f32_e64 v4, 0x2f800000, |v1|
	s_delay_alu instid0(VALU_DEP_1) | instskip(NEXT) | instid1(VALU_DEP_1)
	v_floor_f32_e32 v4, v4
	v_fma_f32 v4, 0xcf800000, v4, |v1|
	v_ashrrev_i32_e32 v1, 31, v1
	s_delay_alu instid0(VALU_DEP_2) | instskip(NEXT) | instid1(VALU_DEP_1)
	v_cvt_u32_f32_e32 v4, v4
	v_xor_b32_e32 v4, v4, v1
	s_delay_alu instid0(VALU_DEP_1)
	v_sub_nc_u32_e32 v4, v4, v1
.LBB46_574:
	s_mov_b32 s25, 0
	s_mov_b32 s24, -1
.LBB46_575:
	s_and_not1_b32 vcc_lo, exec_lo, s25
	s_cbranch_vccnz .LBB46_588
; %bb.576:
	s_cmp_gt_i32 s21, 14
	s_cbranch_scc0 .LBB46_579
; %bb.577:
	s_cmp_eq_u32 s21, 15
	s_cbranch_scc0 .LBB46_582
; %bb.578:
	s_wait_loadcnt 0x0
	global_load_u16 v1, v[2:3], off
	s_mov_b32 s24, -1
	s_mov_b32 s22, 0
	s_wait_loadcnt 0x0
	v_lshlrev_b32_e32 v1, 16, v1
	s_delay_alu instid0(VALU_DEP_1) | instskip(NEXT) | instid1(VALU_DEP_1)
	v_trunc_f32_e32 v1, v1
	v_mul_f32_e64 v4, 0x2f800000, |v1|
	s_delay_alu instid0(VALU_DEP_1) | instskip(NEXT) | instid1(VALU_DEP_1)
	v_floor_f32_e32 v4, v4
	v_fma_f32 v4, 0xcf800000, v4, |v1|
	v_ashrrev_i32_e32 v1, 31, v1
	s_delay_alu instid0(VALU_DEP_2) | instskip(NEXT) | instid1(VALU_DEP_1)
	v_cvt_u32_f32_e32 v4, v4
	v_xor_b32_e32 v4, v4, v1
	s_delay_alu instid0(VALU_DEP_1)
	v_sub_nc_u32_e32 v4, v4, v1
	s_branch .LBB46_583
.LBB46_579:
	s_mov_b32 s25, -1
                                        ; implicit-def: $vgpr4
	s_branch .LBB46_584
.LBB46_580:
	s_and_not1_saveexec_b32 s24, s24
	s_cbranch_execz .LBB46_561
.LBB46_581:
	v_cmp_ne_u16_e32 vcc_lo, 0, v1
	s_and_not1_b32 s25, s25, exec_lo
	s_and_b32 s26, vcc_lo, exec_lo
	s_delay_alu instid0(SALU_CYCLE_1)
	s_or_b32 s25, s25, s26
	s_or_b32 exec_lo, exec_lo, s24
	v_mov_b32_e32 v4, 0
	s_and_saveexec_b32 s24, s25
	s_cbranch_execnz .LBB46_562
	s_branch .LBB46_563
.LBB46_582:
	s_mov_b32 s22, -1
                                        ; implicit-def: $vgpr4
.LBB46_583:
	s_mov_b32 s25, 0
.LBB46_584:
	s_delay_alu instid0(SALU_CYCLE_1)
	s_and_b32 vcc_lo, exec_lo, s25
	s_cbranch_vccz .LBB46_588
; %bb.585:
	s_cmp_eq_u32 s21, 11
	s_cbranch_scc0 .LBB46_587
; %bb.586:
	s_wait_loadcnt 0x0
	global_load_u8 v1, v[2:3], off
	s_mov_b32 s22, 0
	s_mov_b32 s24, -1
	s_wait_loadcnt 0x0
	v_cmp_ne_u16_e32 vcc_lo, 0, v1
	v_cndmask_b32_e64 v4, 0, 1, vcc_lo
	s_branch .LBB46_588
.LBB46_587:
	s_mov_b32 s22, -1
                                        ; implicit-def: $vgpr4
.LBB46_588:
	s_mov_b32 s21, 0
.LBB46_589:
	s_delay_alu instid0(SALU_CYCLE_1)
	s_and_b32 vcc_lo, exec_lo, s21
	s_cbranch_vccz .LBB46_638
; %bb.590:
	s_and_b32 s0, 0xffff, s0
	s_delay_alu instid0(SALU_CYCLE_1)
	s_cmp_lt_i32 s0, 5
	s_cbranch_scc1 .LBB46_595
; %bb.591:
	s_cmp_lt_i32 s0, 8
	s_cbranch_scc1 .LBB46_596
; %bb.592:
	;; [unrolled: 3-line block ×3, first 2 shown]
	s_cmp_gt_i32 s0, 9
	s_cbranch_scc0 .LBB46_598
; %bb.594:
	s_wait_loadcnt 0x0
	global_load_b64 v[4:5], v[2:3], off
	s_mov_b32 s21, 0
	s_wait_loadcnt 0x0
	v_trunc_f64_e32 v[4:5], v[4:5]
	s_delay_alu instid0(VALU_DEP_1) | instskip(NEXT) | instid1(VALU_DEP_1)
	v_ldexp_f64 v[6:7], v[4:5], 0xffffffe0
	v_floor_f64_e32 v[6:7], v[6:7]
	s_delay_alu instid0(VALU_DEP_1) | instskip(NEXT) | instid1(VALU_DEP_1)
	v_fmamk_f64 v[4:5], v[6:7], 0xc1f00000, v[4:5]
	v_cvt_u32_f64_e32 v4, v[4:5]
	s_branch .LBB46_599
.LBB46_595:
	s_mov_b32 s21, -1
                                        ; implicit-def: $vgpr4
	s_branch .LBB46_617
.LBB46_596:
	s_mov_b32 s21, -1
                                        ; implicit-def: $vgpr4
	s_branch .LBB46_605
.LBB46_597:
	s_mov_b32 s21, -1
                                        ; implicit-def: $vgpr4
	s_branch .LBB46_602
.LBB46_598:
	s_mov_b32 s21, -1
                                        ; implicit-def: $vgpr4
.LBB46_599:
	s_delay_alu instid0(SALU_CYCLE_1)
	s_and_not1_b32 vcc_lo, exec_lo, s21
	s_cbranch_vccnz .LBB46_601
; %bb.600:
	s_wait_loadcnt 0x0
	global_load_b32 v1, v[2:3], off
	s_wait_loadcnt 0x0
	v_trunc_f32_e32 v1, v1
	s_delay_alu instid0(VALU_DEP_1) | instskip(NEXT) | instid1(VALU_DEP_1)
	v_mul_f32_e64 v4, 0x2f800000, |v1|
	v_floor_f32_e32 v4, v4
	s_delay_alu instid0(VALU_DEP_1) | instskip(SKIP_1) | instid1(VALU_DEP_2)
	v_fma_f32 v4, 0xcf800000, v4, |v1|
	v_ashrrev_i32_e32 v1, 31, v1
	v_cvt_u32_f32_e32 v4, v4
	s_delay_alu instid0(VALU_DEP_1) | instskip(NEXT) | instid1(VALU_DEP_1)
	v_xor_b32_e32 v4, v4, v1
	v_sub_nc_u32_e32 v4, v4, v1
.LBB46_601:
	s_mov_b32 s21, 0
.LBB46_602:
	s_delay_alu instid0(SALU_CYCLE_1)
	s_and_not1_b32 vcc_lo, exec_lo, s21
	s_cbranch_vccnz .LBB46_604
; %bb.603:
	s_wait_loadcnt 0x0
	global_load_b32 v1, v[2:3], off
	s_wait_loadcnt 0x0
	v_cvt_f32_f16_e32 v1, v1
	s_delay_alu instid0(VALU_DEP_1)
	v_cvt_i32_f32_e32 v4, v1
.LBB46_604:
	s_mov_b32 s21, 0
.LBB46_605:
	s_delay_alu instid0(SALU_CYCLE_1)
	s_and_not1_b32 vcc_lo, exec_lo, s21
	s_cbranch_vccnz .LBB46_616
; %bb.606:
	s_cmp_lt_i32 s0, 6
	s_cbranch_scc1 .LBB46_609
; %bb.607:
	s_cmp_gt_i32 s0, 6
	s_cbranch_scc0 .LBB46_610
; %bb.608:
	s_wait_loadcnt 0x0
	global_load_b64 v[4:5], v[2:3], off
	s_mov_b32 s21, 0
	s_wait_loadcnt 0x0
	v_trunc_f64_e32 v[4:5], v[4:5]
	s_delay_alu instid0(VALU_DEP_1) | instskip(NEXT) | instid1(VALU_DEP_1)
	v_ldexp_f64 v[6:7], v[4:5], 0xffffffe0
	v_floor_f64_e32 v[6:7], v[6:7]
	s_delay_alu instid0(VALU_DEP_1) | instskip(NEXT) | instid1(VALU_DEP_1)
	v_fmamk_f64 v[4:5], v[6:7], 0xc1f00000, v[4:5]
	v_cvt_u32_f64_e32 v4, v[4:5]
	s_branch .LBB46_611
.LBB46_609:
	s_mov_b32 s21, -1
                                        ; implicit-def: $vgpr4
	s_branch .LBB46_614
.LBB46_610:
	s_mov_b32 s21, -1
                                        ; implicit-def: $vgpr4
.LBB46_611:
	s_delay_alu instid0(SALU_CYCLE_1)
	s_and_not1_b32 vcc_lo, exec_lo, s21
	s_cbranch_vccnz .LBB46_613
; %bb.612:
	s_wait_loadcnt 0x0
	global_load_b32 v1, v[2:3], off
	s_wait_loadcnt 0x0
	v_trunc_f32_e32 v1, v1
	s_delay_alu instid0(VALU_DEP_1) | instskip(NEXT) | instid1(VALU_DEP_1)
	v_mul_f32_e64 v4, 0x2f800000, |v1|
	v_floor_f32_e32 v4, v4
	s_delay_alu instid0(VALU_DEP_1) | instskip(SKIP_1) | instid1(VALU_DEP_2)
	v_fma_f32 v4, 0xcf800000, v4, |v1|
	v_ashrrev_i32_e32 v1, 31, v1
	v_cvt_u32_f32_e32 v4, v4
	s_delay_alu instid0(VALU_DEP_1) | instskip(NEXT) | instid1(VALU_DEP_1)
	v_xor_b32_e32 v4, v4, v1
	v_sub_nc_u32_e32 v4, v4, v1
.LBB46_613:
	s_mov_b32 s21, 0
.LBB46_614:
	s_delay_alu instid0(SALU_CYCLE_1)
	s_and_not1_b32 vcc_lo, exec_lo, s21
	s_cbranch_vccnz .LBB46_616
; %bb.615:
	s_wait_loadcnt 0x0
	global_load_u16 v1, v[2:3], off
	s_wait_loadcnt 0x0
	v_cvt_f32_f16_e32 v1, v1
	s_delay_alu instid0(VALU_DEP_1)
	v_cvt_i32_f32_e32 v4, v1
.LBB46_616:
	s_mov_b32 s21, 0
.LBB46_617:
	s_delay_alu instid0(SALU_CYCLE_1)
	s_and_not1_b32 vcc_lo, exec_lo, s21
	s_cbranch_vccnz .LBB46_637
; %bb.618:
	s_cmp_lt_i32 s0, 2
	s_cbranch_scc1 .LBB46_622
; %bb.619:
	s_cmp_lt_i32 s0, 3
	s_cbranch_scc1 .LBB46_623
; %bb.620:
	s_cmp_gt_i32 s0, 3
	s_cbranch_scc0 .LBB46_624
; %bb.621:
	s_wait_loadcnt 0x0
	global_load_b64 v[4:5], v[2:3], off
	s_mov_b32 s21, 0
	s_branch .LBB46_625
.LBB46_622:
	s_mov_b32 s21, -1
                                        ; implicit-def: $vgpr4
	s_branch .LBB46_631
.LBB46_623:
	s_mov_b32 s21, -1
                                        ; implicit-def: $vgpr4
	s_branch .LBB46_628
.LBB46_624:
	s_mov_b32 s21, -1
                                        ; implicit-def: $vgpr4
.LBB46_625:
	s_delay_alu instid0(SALU_CYCLE_1)
	s_and_not1_b32 vcc_lo, exec_lo, s21
	s_cbranch_vccnz .LBB46_627
; %bb.626:
	s_wait_loadcnt 0x0
	global_load_b32 v4, v[2:3], off
.LBB46_627:
	s_mov_b32 s21, 0
.LBB46_628:
	s_delay_alu instid0(SALU_CYCLE_1)
	s_and_not1_b32 vcc_lo, exec_lo, s21
	s_cbranch_vccnz .LBB46_630
; %bb.629:
	s_wait_loadcnt 0x0
	global_load_u16 v4, v[2:3], off
.LBB46_630:
	s_mov_b32 s21, 0
.LBB46_631:
	s_delay_alu instid0(SALU_CYCLE_1)
	s_and_not1_b32 vcc_lo, exec_lo, s21
	s_cbranch_vccnz .LBB46_637
; %bb.632:
	s_cmp_gt_i32 s0, 0
	s_mov_b32 s0, 0
	s_cbranch_scc0 .LBB46_634
; %bb.633:
	s_wait_loadcnt 0x0
	global_load_u8 v4, v[2:3], off
	s_branch .LBB46_635
.LBB46_634:
	s_mov_b32 s0, -1
                                        ; implicit-def: $vgpr4
.LBB46_635:
	s_delay_alu instid0(SALU_CYCLE_1)
	s_and_not1_b32 vcc_lo, exec_lo, s0
	s_cbranch_vccnz .LBB46_637
; %bb.636:
	s_wait_loadcnt 0x0
	global_load_u8 v4, v[2:3], off
.LBB46_637:
	s_mov_b32 s24, -1
.LBB46_638:
	s_delay_alu instid0(SALU_CYCLE_1)
	s_and_not1_b32 vcc_lo, exec_lo, s24
	s_cbranch_vccnz .LBB46_652
; %bb.639:
	s_wait_loadcnt 0x0
	s_delay_alu instid0(VALU_DEP_4) | instskip(SKIP_1) | instid1(VALU_DEP_1)
	v_and_b32_e32 v1, 0xff, v0
	s_mov_b32 s21, 0
	v_cmp_ne_u16_e32 vcc_lo, 0, v1
	s_delay_alu instid0(VALU_DEP_3)
	v_mov_b32_e32 v1, v4
	s_wait_xcnt 0x0
	s_and_saveexec_b32 s0, vcc_lo
	s_cbranch_execz .LBB46_643
; %bb.640:
	v_dual_mov_b32 v3, v0 :: v_dual_mov_b32 v2, v4
.LBB46_641:                             ; =>This Inner Loop Header: Depth=1
	s_delay_alu instid0(VALU_DEP_1) | instskip(NEXT) | instid1(VALU_DEP_2)
	v_cvt_f32_ubyte0_e32 v6, v2
	v_mov_b32_e32 v1, v3
	s_delay_alu instid0(VALU_DEP_1) | instskip(NEXT) | instid1(VALU_DEP_1)
	v_cvt_f32_ubyte0_e32 v3, v1
	v_rcp_iflag_f32_e32 v5, v3
	v_nop
	s_delay_alu instid0(TRANS32_DEP_1) | instskip(NEXT) | instid1(VALU_DEP_1)
	v_mul_f32_e32 v5, v6, v5
	v_trunc_f32_e32 v5, v5
	s_delay_alu instid0(VALU_DEP_1) | instskip(SKIP_1) | instid1(VALU_DEP_2)
	v_fma_f32 v6, -v5, v3, v6
	v_cvt_u32_f32_e32 v5, v5
	v_cmp_ge_f32_e64 vcc_lo, |v6|, v3
	s_delay_alu instid0(VALU_DEP_1) | instskip(NEXT) | instid1(VALU_DEP_1)
	v_add_co_ci_u32_e64 v3, null, 0, v5, vcc_lo
	v_mul_lo_u32 v3, v3, v1
	s_delay_alu instid0(VALU_DEP_1) | instskip(NEXT) | instid1(VALU_DEP_1)
	v_sub_nc_u32_e32 v2, v2, v3
	v_and_b32_e32 v3, 0xff, v2
	v_mov_b32_e32 v2, v1
	s_delay_alu instid0(VALU_DEP_2) | instskip(SKIP_1) | instid1(SALU_CYCLE_1)
	v_cmp_eq_u16_e32 vcc_lo, 0, v3
	s_or_b32 s21, vcc_lo, s21
	s_and_not1_b32 exec_lo, exec_lo, s21
	s_cbranch_execnz .LBB46_641
; %bb.642:
	s_or_b32 exec_lo, exec_lo, s21
.LBB46_643:
	s_delay_alu instid0(SALU_CYCLE_1) | instskip(SKIP_3) | instid1(VALU_DEP_2)
	s_or_b32 exec_lo, exec_lo, s0
	v_and_b32_e32 v3, 0xff, v1
	v_mov_b32_e32 v2, 0
	s_mov_b32 s0, exec_lo
	v_cmpx_ne_u16_e32 0, v3
	s_cbranch_execz .LBB46_645
; %bb.644:
	v_cvt_f32_ubyte0_e32 v1, v1
	v_cvt_f32_ubyte0_e32 v0, v0
	s_delay_alu instid0(VALU_DEP_2) | instskip(SKIP_1) | instid1(TRANS32_DEP_1)
	v_rcp_iflag_f32_e32 v2, v1
	v_nop
	v_mul_f32_e32 v2, v0, v2
	s_delay_alu instid0(VALU_DEP_1) | instskip(NEXT) | instid1(VALU_DEP_1)
	v_trunc_f32_e32 v2, v2
	v_fma_f32 v0, -v2, v1, v0
	v_cvt_u32_f32_e32 v2, v2
	s_delay_alu instid0(VALU_DEP_2) | instskip(NEXT) | instid1(VALU_DEP_1)
	v_cmp_ge_f32_e64 vcc_lo, |v0|, v1
	v_add_co_ci_u32_e64 v0, null, 0, v2, vcc_lo
	s_delay_alu instid0(VALU_DEP_1)
	v_mul_lo_u16 v2, v0, v4
.LBB46_645:
	s_or_b32 exec_lo, exec_lo, s0
	v_mul_lo_u32 v0, v10, s8
	s_and_b32 s21, s11, 0xff
	s_delay_alu instid0(SALU_CYCLE_1) | instskip(NEXT) | instid1(VALU_DEP_1)
	s_cmp_lt_i32 s21, 11
	v_ashrrev_i32_e32 v1, 31, v0
	s_delay_alu instid0(VALU_DEP_1)
	v_add_nc_u64_e32 v[0:1], s[4:5], v[0:1]
	s_cbranch_scc1 .LBB46_653
; %bb.646:
	s_and_b32 s24, 0xffff, s21
	s_delay_alu instid0(SALU_CYCLE_1)
	s_cmp_gt_i32 s24, 25
	s_cbranch_scc0 .LBB46_654
; %bb.647:
	s_cmp_gt_i32 s24, 28
	s_cbranch_scc0 .LBB46_655
; %bb.648:
	;; [unrolled: 3-line block ×4, first 2 shown]
	s_mov_b32 s26, 0
	s_mov_b32 s0, -1
	s_cmp_eq_u32 s24, 46
	s_mov_b32 s25, 0
	s_cbranch_scc0 .LBB46_658
; %bb.651:
	v_cvt_f32_ubyte0_e32 v3, v2
	s_mov_b32 s25, -1
	s_mov_b32 s0, 0
	s_delay_alu instid0(VALU_DEP_1) | instskip(NEXT) | instid1(VALU_DEP_1)
	v_bfe_u32 v4, v3, 16, 1
	v_add3_u32 v3, v3, v4, 0x7fff
	s_delay_alu instid0(VALU_DEP_1)
	v_lshrrev_b32_e32 v3, 16, v3
	global_store_b32 v[0:1], v3, off
	s_branch .LBB46_658
.LBB46_652:
	s_mov_b32 s24, 0
	s_mov_b32 s0, s15
	s_branch .LBB46_769
.LBB46_653:
	s_mov_b32 s24, -1
	s_mov_b32 s25, 0
	s_mov_b32 s0, s15
	s_branch .LBB46_727
.LBB46_654:
	s_mov_b32 s26, -1
	s_mov_b32 s25, 0
	s_mov_b32 s0, s15
	s_branch .LBB46_685
.LBB46_655:
	s_mov_b32 s26, -1
	s_mov_b32 s25, 0
	s_mov_b32 s0, s15
	s_branch .LBB46_668
.LBB46_656:
	s_mov_b32 s26, -1
	s_mov_b32 s25, 0
	s_mov_b32 s0, s15
	s_branch .LBB46_664
.LBB46_657:
	s_mov_b32 s26, -1
	s_mov_b32 s25, 0
	s_mov_b32 s0, s15
.LBB46_658:
	s_and_b32 vcc_lo, exec_lo, s26
	s_cbranch_vccz .LBB46_663
; %bb.659:
	s_cmp_eq_u32 s24, 44
	s_mov_b32 s0, -1
	s_cbranch_scc0 .LBB46_663
; %bb.660:
	v_cvt_f32_ubyte0_e32 v5, v2
	s_mov_b32 s25, exec_lo
	s_wait_xcnt 0x0
	s_delay_alu instid0(VALU_DEP_1) | instskip(NEXT) | instid1(VALU_DEP_1)
	v_dual_mov_b32 v4, 0xff :: v_dual_lshrrev_b32 v3, 23, v5
	v_cmpx_ne_u32_e32 0xff, v3
; %bb.661:
	v_and_b32_e32 v4, 0x400000, v5
	v_and_or_b32 v5, 0x3fffff, v5, v3
	s_delay_alu instid0(VALU_DEP_2) | instskip(NEXT) | instid1(VALU_DEP_2)
	v_cmp_ne_u32_e32 vcc_lo, 0, v4
	v_cmp_ne_u32_e64 s0, 0, v5
	s_and_b32 s0, vcc_lo, s0
	s_delay_alu instid0(SALU_CYCLE_1) | instskip(NEXT) | instid1(VALU_DEP_1)
	v_cndmask_b32_e64 v4, 0, 1, s0
	v_add_nc_u32_e32 v4, v3, v4
; %bb.662:
	s_or_b32 exec_lo, exec_lo, s25
	s_mov_b32 s25, -1
	s_mov_b32 s0, 0
	global_store_b8 v[0:1], v4, off
.LBB46_663:
	s_mov_b32 s26, 0
.LBB46_664:
	s_delay_alu instid0(SALU_CYCLE_1)
	s_and_b32 vcc_lo, exec_lo, s26
	s_cbranch_vccz .LBB46_667
; %bb.665:
	s_cmp_eq_u32 s24, 29
	s_mov_b32 s0, -1
	s_cbranch_scc0 .LBB46_667
; %bb.666:
	s_wait_xcnt 0x0
	v_and_b32_e32 v4, 0xff, v2
	v_mov_b32_e32 v5, 0
	s_mov_b32 s25, -1
	s_mov_b32 s0, 0
	s_mov_b32 s26, 0
	global_store_b64 v[0:1], v[4:5], off
	s_branch .LBB46_668
.LBB46_667:
	s_mov_b32 s26, 0
.LBB46_668:
	s_delay_alu instid0(SALU_CYCLE_1)
	s_and_b32 vcc_lo, exec_lo, s26
	s_cbranch_vccz .LBB46_684
; %bb.669:
	s_cmp_lt_i32 s24, 27
	s_mov_b32 s25, -1
	s_cbranch_scc1 .LBB46_675
; %bb.670:
	s_cmp_gt_i32 s24, 27
	s_cbranch_scc0 .LBB46_672
; %bb.671:
	s_wait_xcnt 0x0
	v_and_b32_e32 v3, 0xff, v2
	s_mov_b32 s25, 0
	global_store_b32 v[0:1], v3, off
.LBB46_672:
	s_and_not1_b32 vcc_lo, exec_lo, s25
	s_cbranch_vccnz .LBB46_674
; %bb.673:
	s_wait_xcnt 0x0
	v_and_b32_e32 v3, 0xff, v2
	global_store_b16 v[0:1], v3, off
.LBB46_674:
	s_mov_b32 s25, 0
.LBB46_675:
	s_delay_alu instid0(SALU_CYCLE_1)
	s_and_not1_b32 vcc_lo, exec_lo, s25
	s_cbranch_vccnz .LBB46_683
; %bb.676:
	s_wait_xcnt 0x0
	v_cvt_f32_ubyte0_e32 v4, v2
	v_mov_b32_e32 v5, 0x80
	s_mov_b32 s25, exec_lo
	s_delay_alu instid0(VALU_DEP_2)
	v_cmpx_gt_u32_e32 0x43800000, v4
	s_cbranch_execz .LBB46_682
; %bb.677:
	s_mov_b32 s26, 0
	s_mov_b32 s27, exec_lo
                                        ; implicit-def: $vgpr3
	v_cmpx_lt_u32_e32 0x3bffffff, v4
	s_xor_b32 s27, exec_lo, s27
	s_cbranch_execz .LBB46_785
; %bb.678:
	v_bfe_u32 v3, v4, 20, 1
	s_mov_b32 s26, exec_lo
	s_delay_alu instid0(VALU_DEP_1) | instskip(NEXT) | instid1(VALU_DEP_1)
	v_add3_u32 v3, v4, v3, 0x487ffff
                                        ; implicit-def: $vgpr4
	v_lshrrev_b32_e32 v3, 20, v3
	s_and_not1_saveexec_b32 s27, s27
	s_cbranch_execnz .LBB46_786
.LBB46_679:
	s_or_b32 exec_lo, exec_lo, s27
	v_mov_b32_e32 v5, 0
	s_and_saveexec_b32 s27, s26
.LBB46_680:
	v_mov_b32_e32 v5, v3
.LBB46_681:
	s_or_b32 exec_lo, exec_lo, s27
.LBB46_682:
	s_delay_alu instid0(SALU_CYCLE_1)
	s_or_b32 exec_lo, exec_lo, s25
	global_store_b8 v[0:1], v5, off
.LBB46_683:
	s_mov_b32 s25, -1
.LBB46_684:
	s_mov_b32 s26, 0
.LBB46_685:
	s_delay_alu instid0(SALU_CYCLE_1)
	s_and_b32 vcc_lo, exec_lo, s26
	s_cbranch_vccz .LBB46_726
; %bb.686:
	s_cmp_gt_i32 s24, 22
	s_mov_b32 s26, -1
	s_cbranch_scc0 .LBB46_718
; %bb.687:
	s_cmp_lt_i32 s24, 24
	s_mov_b32 s25, -1
	s_cbranch_scc1 .LBB46_707
; %bb.688:
	s_cmp_gt_i32 s24, 24
	s_cbranch_scc0 .LBB46_696
; %bb.689:
	s_wait_xcnt 0x0
	v_cvt_f32_ubyte0_e32 v4, v2
	v_mov_b32_e32 v5, 0x80
	s_mov_b32 s25, exec_lo
	s_delay_alu instid0(VALU_DEP_2)
	v_cmpx_gt_u32_e32 0x47800000, v4
	s_cbranch_execz .LBB46_695
; %bb.690:
	s_mov_b32 s26, 0
	s_mov_b32 s27, exec_lo
                                        ; implicit-def: $vgpr3
	v_cmpx_lt_u32_e32 0x37ffffff, v4
	s_xor_b32 s27, exec_lo, s27
	s_cbranch_execz .LBB46_913
; %bb.691:
	v_bfe_u32 v3, v4, 21, 1
	s_mov_b32 s26, exec_lo
	s_delay_alu instid0(VALU_DEP_1) | instskip(NEXT) | instid1(VALU_DEP_1)
	v_add3_u32 v3, v4, v3, 0x88fffff
                                        ; implicit-def: $vgpr4
	v_lshrrev_b32_e32 v3, 21, v3
	s_and_not1_saveexec_b32 s27, s27
	s_cbranch_execnz .LBB46_914
.LBB46_692:
	s_or_b32 exec_lo, exec_lo, s27
	v_mov_b32_e32 v5, 0
	s_and_saveexec_b32 s27, s26
.LBB46_693:
	v_mov_b32_e32 v5, v3
.LBB46_694:
	s_or_b32 exec_lo, exec_lo, s27
.LBB46_695:
	s_delay_alu instid0(SALU_CYCLE_1)
	s_or_b32 exec_lo, exec_lo, s25
	s_mov_b32 s25, 0
	global_store_b8 v[0:1], v5, off
.LBB46_696:
	s_and_b32 vcc_lo, exec_lo, s25
	s_cbranch_vccz .LBB46_706
; %bb.697:
	s_wait_xcnt 0x0
	v_cvt_f32_ubyte0_e32 v4, v2
	s_mov_b32 s25, exec_lo
                                        ; implicit-def: $vgpr3
	s_delay_alu instid0(VALU_DEP_1)
	v_cmpx_gt_u32_e32 0x43f00000, v4
	s_xor_b32 s25, exec_lo, s25
	s_cbranch_execz .LBB46_703
; %bb.698:
	s_mov_b32 s26, exec_lo
                                        ; implicit-def: $vgpr3
	v_cmpx_lt_u32_e32 0x3c7fffff, v4
	s_xor_b32 s26, exec_lo, s26
; %bb.699:
	v_bfe_u32 v3, v4, 20, 1
	s_delay_alu instid0(VALU_DEP_1) | instskip(NEXT) | instid1(VALU_DEP_1)
	v_add3_u32 v3, v4, v3, 0x407ffff
	v_and_b32_e32 v4, 0xff00000, v3
	v_lshrrev_b32_e32 v3, 20, v3
	s_delay_alu instid0(VALU_DEP_2) | instskip(NEXT) | instid1(VALU_DEP_2)
	v_cmp_ne_u32_e32 vcc_lo, 0x7f00000, v4
                                        ; implicit-def: $vgpr4
	v_cndmask_b32_e32 v3, 0x7e, v3, vcc_lo
; %bb.700:
	s_and_not1_saveexec_b32 s26, s26
; %bb.701:
	v_add_f32_e32 v3, 0x46800000, v4
; %bb.702:
	s_or_b32 exec_lo, exec_lo, s26
                                        ; implicit-def: $vgpr4
.LBB46_703:
	s_and_not1_saveexec_b32 s25, s25
; %bb.704:
	v_mov_b32_e32 v3, 0x7f
	v_cmp_lt_u32_e32 vcc_lo, 0x7f800000, v4
	s_delay_alu instid0(VALU_DEP_2)
	v_cndmask_b32_e32 v3, 0x7e, v3, vcc_lo
; %bb.705:
	s_or_b32 exec_lo, exec_lo, s25
	global_store_b8 v[0:1], v3, off
.LBB46_706:
	s_mov_b32 s25, 0
.LBB46_707:
	s_delay_alu instid0(SALU_CYCLE_1)
	s_and_not1_b32 vcc_lo, exec_lo, s25
	s_cbranch_vccnz .LBB46_717
; %bb.708:
	s_wait_xcnt 0x0
	v_cvt_f32_ubyte0_e32 v4, v2
	s_mov_b32 s25, exec_lo
                                        ; implicit-def: $vgpr3
	s_delay_alu instid0(VALU_DEP_1)
	v_cmpx_gt_u32_e32 0x47800000, v4
	s_xor_b32 s25, exec_lo, s25
	s_cbranch_execz .LBB46_714
; %bb.709:
	s_mov_b32 s26, exec_lo
                                        ; implicit-def: $vgpr3
	v_cmpx_lt_u32_e32 0x387fffff, v4
	s_xor_b32 s26, exec_lo, s26
; %bb.710:
	v_bfe_u32 v3, v4, 21, 1
	s_delay_alu instid0(VALU_DEP_1) | instskip(NEXT) | instid1(VALU_DEP_1)
	v_add3_u32 v3, v4, v3, 0x80fffff
                                        ; implicit-def: $vgpr4
	v_lshrrev_b32_e32 v3, 21, v3
; %bb.711:
	s_and_not1_saveexec_b32 s26, s26
; %bb.712:
	v_add_f32_e32 v3, 0x43000000, v4
; %bb.713:
	s_or_b32 exec_lo, exec_lo, s26
                                        ; implicit-def: $vgpr4
.LBB46_714:
	s_and_not1_saveexec_b32 s25, s25
; %bb.715:
	v_mov_b32_e32 v3, 0x7f
	v_cmp_lt_u32_e32 vcc_lo, 0x7f800000, v4
	s_delay_alu instid0(VALU_DEP_2)
	v_cndmask_b32_e32 v3, 0x7c, v3, vcc_lo
; %bb.716:
	s_or_b32 exec_lo, exec_lo, s25
	global_store_b8 v[0:1], v3, off
.LBB46_717:
	s_mov_b32 s26, 0
	s_mov_b32 s25, -1
.LBB46_718:
	s_and_not1_b32 vcc_lo, exec_lo, s26
	s_cbranch_vccnz .LBB46_726
; %bb.719:
	s_cmp_gt_i32 s24, 14
	s_mov_b32 s26, -1
	s_cbranch_scc0 .LBB46_723
; %bb.720:
	s_cmp_eq_u32 s24, 15
	s_mov_b32 s0, -1
	s_cbranch_scc0 .LBB46_722
; %bb.721:
	s_wait_xcnt 0x0
	v_cvt_f32_ubyte0_e32 v3, v2
	s_mov_b32 s25, -1
	s_mov_b32 s0, 0
	s_delay_alu instid0(VALU_DEP_1) | instskip(NEXT) | instid1(VALU_DEP_1)
	v_bfe_u32 v4, v3, 16, 1
	v_add3_u32 v3, v3, v4, 0x7fff
	global_store_d16_hi_b16 v[0:1], v3, off
.LBB46_722:
	s_mov_b32 s26, 0
.LBB46_723:
	s_delay_alu instid0(SALU_CYCLE_1)
	s_and_b32 vcc_lo, exec_lo, s26
	s_cbranch_vccz .LBB46_726
; %bb.724:
	s_cmp_eq_u32 s24, 11
	s_mov_b32 s0, -1
	s_cbranch_scc0 .LBB46_726
; %bb.725:
	s_wait_xcnt 0x0
	v_and_b32_e32 v3, 0xff, v2
	s_mov_b32 s0, 0
	s_mov_b32 s25, -1
	s_delay_alu instid0(VALU_DEP_1)
	v_cmp_ne_u16_e32 vcc_lo, 0, v3
	v_cndmask_b32_e64 v3, 0, 1, vcc_lo
	global_store_b8 v[0:1], v3, off
.LBB46_726:
	s_mov_b32 s24, 0
.LBB46_727:
	s_delay_alu instid0(SALU_CYCLE_1)
	s_and_b32 vcc_lo, exec_lo, s24
	s_cbranch_vccz .LBB46_766
; %bb.728:
	s_and_b32 s21, 0xffff, s21
	s_mov_b32 s24, -1
	s_cmp_lt_i32 s21, 5
	s_cbranch_scc1 .LBB46_749
; %bb.729:
	s_cmp_lt_i32 s21, 8
	s_cbranch_scc1 .LBB46_739
; %bb.730:
	s_cmp_lt_i32 s21, 9
	s_cbranch_scc1 .LBB46_736
; %bb.731:
	s_cmp_gt_i32 s21, 9
	s_cbranch_scc0 .LBB46_733
; %bb.732:
	s_wait_xcnt 0x0
	v_and_b32_e32 v3, 0xff, v2
	v_mov_b32_e32 v6, 0
	s_mov_b32 s24, 0
	s_delay_alu instid0(VALU_DEP_2) | instskip(NEXT) | instid1(VALU_DEP_2)
	v_and_b32_e32 v3, 0xffff, v3
	v_mov_b32_e32 v7, v6
	s_delay_alu instid0(VALU_DEP_2)
	v_cvt_f64_u32_e32 v[4:5], v3
	global_store_b128 v[0:1], v[4:7], off
.LBB46_733:
	s_and_not1_b32 vcc_lo, exec_lo, s24
	s_cbranch_vccnz .LBB46_735
; %bb.734:
	s_wait_xcnt 0x0
	v_cvt_f32_ubyte0_e32 v4, v2
	v_mov_b32_e32 v5, 0
	global_store_b64 v[0:1], v[4:5], off
.LBB46_735:
	s_mov_b32 s24, 0
.LBB46_736:
	s_delay_alu instid0(SALU_CYCLE_1)
	s_and_not1_b32 vcc_lo, exec_lo, s24
	s_cbranch_vccnz .LBB46_738
; %bb.737:
	s_wait_xcnt 0x0
	v_and_b32_e32 v3, 0xff, v2
	s_delay_alu instid0(VALU_DEP_1) | instskip(NEXT) | instid1(VALU_DEP_1)
	v_cvt_f16_u16_e32 v3, v3
	v_and_b32_e32 v3, 0xffff, v3
	global_store_b32 v[0:1], v3, off
.LBB46_738:
	s_mov_b32 s24, 0
.LBB46_739:
	s_delay_alu instid0(SALU_CYCLE_1)
	s_and_not1_b32 vcc_lo, exec_lo, s24
	s_cbranch_vccnz .LBB46_748
; %bb.740:
	s_cmp_lt_i32 s21, 6
	s_mov_b32 s24, -1
	s_cbranch_scc1 .LBB46_746
; %bb.741:
	s_cmp_gt_i32 s21, 6
	s_cbranch_scc0 .LBB46_743
; %bb.742:
	s_wait_xcnt 0x0
	v_and_b32_e32 v3, 0xff, v2
	s_mov_b32 s24, 0
	s_delay_alu instid0(VALU_DEP_1) | instskip(NEXT) | instid1(VALU_DEP_1)
	v_and_b32_e32 v3, 0xffff, v3
	v_cvt_f64_u32_e32 v[4:5], v3
	global_store_b64 v[0:1], v[4:5], off
.LBB46_743:
	s_and_not1_b32 vcc_lo, exec_lo, s24
	s_cbranch_vccnz .LBB46_745
; %bb.744:
	s_wait_xcnt 0x0
	v_cvt_f32_ubyte0_e32 v3, v2
	global_store_b32 v[0:1], v3, off
.LBB46_745:
	s_mov_b32 s24, 0
.LBB46_746:
	s_delay_alu instid0(SALU_CYCLE_1)
	s_and_not1_b32 vcc_lo, exec_lo, s24
	s_cbranch_vccnz .LBB46_748
; %bb.747:
	s_wait_xcnt 0x0
	v_and_b32_e32 v3, 0xff, v2
	s_delay_alu instid0(VALU_DEP_1)
	v_cvt_f16_u16_e32 v3, v3
	global_store_b16 v[0:1], v3, off
.LBB46_748:
	s_mov_b32 s24, 0
.LBB46_749:
	s_delay_alu instid0(SALU_CYCLE_1)
	s_and_not1_b32 vcc_lo, exec_lo, s24
	s_cbranch_vccnz .LBB46_765
; %bb.750:
	s_cmp_lt_i32 s21, 2
	s_mov_b32 s24, -1
	s_cbranch_scc1 .LBB46_760
; %bb.751:
	s_cmp_lt_i32 s21, 3
	s_cbranch_scc1 .LBB46_757
; %bb.752:
	s_cmp_gt_i32 s21, 3
	s_cbranch_scc0 .LBB46_754
; %bb.753:
	s_wait_xcnt 0x0
	v_and_b32_e32 v4, 0xff, v2
	v_mov_b32_e32 v5, 0
	s_mov_b32 s24, 0
	global_store_b64 v[0:1], v[4:5], off
.LBB46_754:
	s_and_not1_b32 vcc_lo, exec_lo, s24
	s_cbranch_vccnz .LBB46_756
; %bb.755:
	s_wait_xcnt 0x0
	v_and_b32_e32 v3, 0xff, v2
	global_store_b32 v[0:1], v3, off
.LBB46_756:
	s_mov_b32 s24, 0
.LBB46_757:
	s_delay_alu instid0(SALU_CYCLE_1)
	s_and_not1_b32 vcc_lo, exec_lo, s24
	s_cbranch_vccnz .LBB46_759
; %bb.758:
	s_wait_xcnt 0x0
	v_and_b32_e32 v3, 0xff, v2
	global_store_b16 v[0:1], v3, off
.LBB46_759:
	s_mov_b32 s24, 0
.LBB46_760:
	s_delay_alu instid0(SALU_CYCLE_1)
	s_and_not1_b32 vcc_lo, exec_lo, s24
	s_cbranch_vccnz .LBB46_765
; %bb.761:
	s_cmp_gt_i32 s21, 0
	s_mov_b32 s21, -1
	s_cbranch_scc0 .LBB46_763
; %bb.762:
	s_mov_b32 s21, 0
	global_store_b8 v[0:1], v2, off
.LBB46_763:
	s_and_not1_b32 vcc_lo, exec_lo, s21
	s_cbranch_vccnz .LBB46_765
; %bb.764:
	global_store_b8 v[0:1], v2, off
.LBB46_765:
	s_mov_b32 s25, -1
.LBB46_766:
	s_delay_alu instid0(SALU_CYCLE_1)
	s_and_not1_b32 vcc_lo, exec_lo, s25
	s_cbranch_vccnz .LBB46_768
; %bb.767:
	v_add_nc_u32_e32 v10, 0x80, v10
	s_mov_b32 s24, -1
	s_branch .LBB46_770
.LBB46_768:
	s_mov_b32 s24, 0
.LBB46_769:
                                        ; implicit-def: $vgpr10
.LBB46_770:
	s_and_not1_b32 s21, s15, exec_lo
	s_and_b32 s0, s0, exec_lo
	s_and_b32 s22, s22, exec_lo
	s_or_b32 s21, s21, s0
	s_and_not1_b32 s0, s17, exec_lo
	s_and_not1_b32 s25, s18, exec_lo
	s_and_b32 s20, s20, exec_lo
	s_or_b32 s22, s0, s22
	s_or_b32 s20, s25, s20
	s_or_not1_b32 s25, s24, exec_lo
.LBB46_771:
	s_wait_xcnt 0x0
	s_or_b32 exec_lo, exec_lo, s23
	s_mov_b32 s24, 0
	s_mov_b32 s26, 0
	;; [unrolled: 1-line block ×3, first 2 shown]
                                        ; implicit-def: $sgpr0
                                        ; implicit-def: $vgpr2_vgpr3
                                        ; implicit-def: $vgpr0
	s_and_saveexec_b32 s23, s25
	s_cbranch_execz .LBB46_1240
; %bb.772:
	s_mov_b32 s31, -1
	s_mov_b32 s25, s20
	s_mov_b32 s26, s22
	;; [unrolled: 1-line block ×3, first 2 shown]
	s_mov_b32 s24, exec_lo
	v_cmpx_gt_i32_e64 s16, v10
	s_cbranch_execz .LBB46_1160
; %bb.773:
	s_wait_loadcnt 0x0
	v_mul_lo_u32 v0, v10, s9
	s_and_b32 s0, s13, 0xff
	s_delay_alu instid0(SALU_CYCLE_1) | instskip(NEXT) | instid1(VALU_DEP_1)
	s_cmp_lt_i32 s0, 11
	v_ashrrev_i32_e32 v1, 31, v0
	s_delay_alu instid0(VALU_DEP_1)
	v_add_nc_u64_e32 v[2:3], s[6:7], v[0:1]
	s_cbranch_scc1 .LBB46_780
; %bb.774:
	s_and_b32 s26, 0xffff, s0
	s_delay_alu instid0(SALU_CYCLE_1)
	s_cmp_gt_i32 s26, 25
	s_cbranch_scc0 .LBB46_781
; %bb.775:
	s_cmp_gt_i32 s26, 28
	s_cbranch_scc0 .LBB46_782
; %bb.776:
	;; [unrolled: 3-line block ×4, first 2 shown]
	s_cmp_eq_u32 s26, 46
	s_mov_b32 s28, 0
	s_cbranch_scc0 .LBB46_787
; %bb.779:
	global_load_b32 v0, v[2:3], off
	s_mov_b32 s27, -1
	s_mov_b32 s25, 0
	s_wait_loadcnt 0x0
	v_lshlrev_b32_e32 v0, 16, v0
	s_delay_alu instid0(VALU_DEP_1) | instskip(NEXT) | instid1(VALU_DEP_1)
	v_trunc_f32_e32 v0, v0
	v_mul_f32_e64 v1, 0x2f800000, |v0|
	s_delay_alu instid0(VALU_DEP_1) | instskip(NEXT) | instid1(VALU_DEP_1)
	v_floor_f32_e32 v1, v1
	v_fma_f32 v1, 0xcf800000, v1, |v0|
	v_ashrrev_i32_e32 v0, 31, v0
	s_delay_alu instid0(VALU_DEP_2) | instskip(NEXT) | instid1(VALU_DEP_1)
	v_cvt_u32_f32_e32 v1, v1
	v_xor_b32_e32 v1, v1, v0
	s_delay_alu instid0(VALU_DEP_1)
	v_sub_nc_u32_e32 v0, v1, v0
	s_branch .LBB46_789
.LBB46_780:
	s_mov_b32 s26, -1
	s_mov_b32 s27, 0
	s_mov_b32 s25, s20
                                        ; implicit-def: $vgpr0
	s_branch .LBB46_850
.LBB46_781:
	s_mov_b32 s28, -1
	s_mov_b32 s27, 0
	s_mov_b32 s25, s20
                                        ; implicit-def: $vgpr0
	s_branch .LBB46_816
.LBB46_782:
	s_mov_b32 s28, -1
	s_mov_b32 s27, 0
	s_mov_b32 s25, s20
                                        ; implicit-def: $vgpr0
	s_branch .LBB46_799
.LBB46_783:
	s_mov_b32 s28, -1
	s_mov_b32 s27, 0
	s_mov_b32 s25, s20
                                        ; implicit-def: $vgpr0
	s_branch .LBB46_794
.LBB46_784:
	s_mov_b32 s28, -1
	s_mov_b32 s27, 0
	s_mov_b32 s25, s20
	s_branch .LBB46_788
.LBB46_785:
	s_and_not1_saveexec_b32 s27, s27
	s_cbranch_execz .LBB46_679
.LBB46_786:
	v_add_f32_e32 v3, 0x46000000, v4
	s_and_not1_b32 s26, s26, exec_lo
	s_delay_alu instid0(VALU_DEP_1) | instskip(NEXT) | instid1(VALU_DEP_1)
	v_and_b32_e32 v3, 0xff, v3
	v_cmp_ne_u32_e32 vcc_lo, 0, v3
	s_and_b32 s28, vcc_lo, exec_lo
	s_delay_alu instid0(SALU_CYCLE_1)
	s_or_b32 s26, s26, s28
	s_or_b32 exec_lo, exec_lo, s27
	v_mov_b32_e32 v5, 0
	s_and_saveexec_b32 s27, s26
	s_cbranch_execnz .LBB46_680
	s_branch .LBB46_681
.LBB46_787:
	s_mov_b32 s25, -1
	s_mov_b32 s27, 0
.LBB46_788:
                                        ; implicit-def: $vgpr0
.LBB46_789:
	s_and_b32 vcc_lo, exec_lo, s28
	s_cbranch_vccz .LBB46_793
; %bb.790:
	s_cmp_eq_u32 s26, 44
	s_cbranch_scc0 .LBB46_792
; %bb.791:
	global_load_u8 v0, v[2:3], off
	s_mov_b32 s25, 0
	s_mov_b32 s27, -1
	s_wait_loadcnt 0x0
	v_lshlrev_b32_e32 v1, 23, v0
	v_cmp_ne_u32_e32 vcc_lo, 0, v0
	s_delay_alu instid0(VALU_DEP_2) | instskip(NEXT) | instid1(VALU_DEP_1)
	v_trunc_f32_e32 v1, v1
	v_mul_f32_e64 v4, 0x2f800000, |v1|
	s_delay_alu instid0(VALU_DEP_1) | instskip(NEXT) | instid1(VALU_DEP_1)
	v_floor_f32_e32 v4, v4
	v_fma_f32 v4, 0xcf800000, v4, |v1|
	v_ashrrev_i32_e32 v1, 31, v1
	s_delay_alu instid0(VALU_DEP_2) | instskip(NEXT) | instid1(VALU_DEP_1)
	v_cvt_u32_f32_e32 v4, v4
	v_xor_b32_e32 v4, v4, v1
	s_delay_alu instid0(VALU_DEP_1) | instskip(NEXT) | instid1(VALU_DEP_1)
	v_sub_nc_u32_e32 v1, v4, v1
	v_cndmask_b32_e32 v0, 0, v1, vcc_lo
	s_branch .LBB46_793
.LBB46_792:
	s_mov_b32 s25, -1
                                        ; implicit-def: $vgpr0
.LBB46_793:
	s_mov_b32 s28, 0
.LBB46_794:
	s_delay_alu instid0(SALU_CYCLE_1)
	s_and_b32 vcc_lo, exec_lo, s28
	s_cbranch_vccz .LBB46_798
; %bb.795:
	s_cmp_eq_u32 s26, 29
	s_cbranch_scc0 .LBB46_797
; %bb.796:
	global_load_b64 v[0:1], v[2:3], off
	s_mov_b32 s27, -1
	s_mov_b32 s25, 0
	s_branch .LBB46_798
.LBB46_797:
	s_mov_b32 s25, -1
                                        ; implicit-def: $vgpr0
.LBB46_798:
	s_mov_b32 s28, 0
.LBB46_799:
	s_delay_alu instid0(SALU_CYCLE_1)
	s_and_b32 vcc_lo, exec_lo, s28
	s_cbranch_vccz .LBB46_815
; %bb.800:
	s_cmp_lt_i32 s26, 27
	s_cbranch_scc1 .LBB46_803
; %bb.801:
	s_cmp_gt_i32 s26, 27
	s_cbranch_scc0 .LBB46_804
; %bb.802:
	s_wait_loadcnt 0x0
	global_load_b32 v0, v[2:3], off
	s_mov_b32 s27, 0
	s_branch .LBB46_805
.LBB46_803:
	s_mov_b32 s27, -1
                                        ; implicit-def: $vgpr0
	s_branch .LBB46_808
.LBB46_804:
	s_mov_b32 s27, -1
                                        ; implicit-def: $vgpr0
.LBB46_805:
	s_delay_alu instid0(SALU_CYCLE_1)
	s_and_not1_b32 vcc_lo, exec_lo, s27
	s_cbranch_vccnz .LBB46_807
; %bb.806:
	s_wait_loadcnt 0x0
	global_load_u16 v0, v[2:3], off
.LBB46_807:
	s_mov_b32 s27, 0
.LBB46_808:
	s_delay_alu instid0(SALU_CYCLE_1)
	s_and_not1_b32 vcc_lo, exec_lo, s27
	s_cbranch_vccnz .LBB46_814
; %bb.809:
	s_wait_loadcnt 0x0
	global_load_u8 v1, v[2:3], off
	s_mov_b32 s28, 0
	s_mov_b32 s27, exec_lo
	s_wait_loadcnt 0x0
	v_cmpx_lt_i16_e32 0x7f, v1
	s_xor_b32 s27, exec_lo, s27
	s_cbranch_execz .LBB46_826
; %bb.810:
	v_cmp_ne_u16_e32 vcc_lo, 0x80, v1
	s_and_b32 s28, vcc_lo, exec_lo
	s_and_not1_saveexec_b32 s27, s27
	s_cbranch_execnz .LBB46_827
.LBB46_811:
	s_or_b32 exec_lo, exec_lo, s27
	v_mov_b32_e32 v0, 0
	s_and_saveexec_b32 s27, s28
	s_cbranch_execz .LBB46_813
.LBB46_812:
	v_and_b32_e32 v0, 0xffff, v1
	s_delay_alu instid0(VALU_DEP_1) | instskip(SKIP_1) | instid1(VALU_DEP_2)
	v_and_b32_e32 v4, 7, v0
	v_bfe_u32 v7, v0, 3, 4
	v_clz_i32_u32_e32 v5, v4
	s_delay_alu instid0(VALU_DEP_2) | instskip(NEXT) | instid1(VALU_DEP_2)
	v_cmp_eq_u32_e32 vcc_lo, 0, v7
	v_min_u32_e32 v5, 32, v5
	s_delay_alu instid0(VALU_DEP_1) | instskip(NEXT) | instid1(VALU_DEP_1)
	v_subrev_nc_u32_e32 v6, 28, v5
	v_dual_lshlrev_b32 v0, v6, v0 :: v_dual_sub_nc_u32 v5, 29, v5
	s_delay_alu instid0(VALU_DEP_1) | instskip(NEXT) | instid1(VALU_DEP_1)
	v_dual_lshlrev_b32 v1, 24, v1 :: v_dual_bitop2_b32 v0, 7, v0 bitop3:0x40
	v_dual_cndmask_b32 v0, v4, v0 :: v_dual_cndmask_b32 v5, v7, v5
	s_delay_alu instid0(VALU_DEP_2) | instskip(NEXT) | instid1(VALU_DEP_2)
	v_and_b32_e32 v1, 0x80000000, v1
	v_lshlrev_b32_e32 v0, 20, v0
	s_delay_alu instid0(VALU_DEP_3) | instskip(NEXT) | instid1(VALU_DEP_1)
	v_lshl_add_u32 v4, v5, 23, 0x3b800000
	v_or3_b32 v0, v1, v4, v0
	s_delay_alu instid0(VALU_DEP_1) | instskip(NEXT) | instid1(VALU_DEP_1)
	v_trunc_f32_e32 v0, v0
	v_mul_f32_e64 v1, 0x2f800000, |v0|
	s_delay_alu instid0(VALU_DEP_1) | instskip(NEXT) | instid1(VALU_DEP_1)
	v_floor_f32_e32 v1, v1
	v_fma_f32 v1, 0xcf800000, v1, |v0|
	v_ashrrev_i32_e32 v0, 31, v0
	s_delay_alu instid0(VALU_DEP_2) | instskip(NEXT) | instid1(VALU_DEP_1)
	v_cvt_u32_f32_e32 v1, v1
	v_xor_b32_e32 v1, v1, v0
	s_delay_alu instid0(VALU_DEP_1)
	v_sub_nc_u32_e32 v0, v1, v0
.LBB46_813:
	s_or_b32 exec_lo, exec_lo, s27
.LBB46_814:
	s_mov_b32 s27, -1
.LBB46_815:
	s_mov_b32 s28, 0
.LBB46_816:
	s_delay_alu instid0(SALU_CYCLE_1)
	s_and_b32 vcc_lo, exec_lo, s28
	s_cbranch_vccz .LBB46_849
; %bb.817:
	s_cmp_gt_i32 s26, 22
	s_cbranch_scc0 .LBB46_825
; %bb.818:
	s_cmp_lt_i32 s26, 24
	s_cbranch_scc1 .LBB46_828
; %bb.819:
	s_cmp_gt_i32 s26, 24
	s_cbranch_scc0 .LBB46_829
; %bb.820:
	s_wait_loadcnt 0x0
	global_load_u8 v1, v[2:3], off
	s_mov_b32 s28, 0
	s_mov_b32 s27, exec_lo
	s_wait_loadcnt 0x0
	v_cmpx_lt_i16_e32 0x7f, v1
	s_xor_b32 s27, exec_lo, s27
	s_cbranch_execz .LBB46_841
; %bb.821:
	v_cmp_ne_u16_e32 vcc_lo, 0x80, v1
	s_and_b32 s28, vcc_lo, exec_lo
	s_and_not1_saveexec_b32 s27, s27
	s_cbranch_execnz .LBB46_842
.LBB46_822:
	s_or_b32 exec_lo, exec_lo, s27
	v_mov_b32_e32 v0, 0
	s_and_saveexec_b32 s27, s28
	s_cbranch_execz .LBB46_824
.LBB46_823:
	v_and_b32_e32 v0, 0xffff, v1
	s_delay_alu instid0(VALU_DEP_1) | instskip(SKIP_1) | instid1(VALU_DEP_2)
	v_and_b32_e32 v4, 3, v0
	v_bfe_u32 v7, v0, 2, 5
	v_clz_i32_u32_e32 v5, v4
	s_delay_alu instid0(VALU_DEP_2) | instskip(NEXT) | instid1(VALU_DEP_2)
	v_cmp_eq_u32_e32 vcc_lo, 0, v7
	v_min_u32_e32 v5, 32, v5
	s_delay_alu instid0(VALU_DEP_1) | instskip(NEXT) | instid1(VALU_DEP_1)
	v_subrev_nc_u32_e32 v6, 29, v5
	v_dual_lshlrev_b32 v0, v6, v0 :: v_dual_sub_nc_u32 v5, 30, v5
	s_delay_alu instid0(VALU_DEP_1) | instskip(NEXT) | instid1(VALU_DEP_1)
	v_dual_lshlrev_b32 v1, 24, v1 :: v_dual_bitop2_b32 v0, 3, v0 bitop3:0x40
	v_dual_cndmask_b32 v0, v4, v0 :: v_dual_cndmask_b32 v5, v7, v5
	s_delay_alu instid0(VALU_DEP_2) | instskip(NEXT) | instid1(VALU_DEP_2)
	v_and_b32_e32 v1, 0x80000000, v1
	v_lshlrev_b32_e32 v0, 21, v0
	s_delay_alu instid0(VALU_DEP_3) | instskip(NEXT) | instid1(VALU_DEP_1)
	v_lshl_add_u32 v4, v5, 23, 0x37800000
	v_or3_b32 v0, v1, v4, v0
	s_delay_alu instid0(VALU_DEP_1) | instskip(NEXT) | instid1(VALU_DEP_1)
	v_trunc_f32_e32 v0, v0
	v_mul_f32_e64 v1, 0x2f800000, |v0|
	s_delay_alu instid0(VALU_DEP_1) | instskip(NEXT) | instid1(VALU_DEP_1)
	v_floor_f32_e32 v1, v1
	v_fma_f32 v1, 0xcf800000, v1, |v0|
	v_ashrrev_i32_e32 v0, 31, v0
	s_delay_alu instid0(VALU_DEP_2) | instskip(NEXT) | instid1(VALU_DEP_1)
	v_cvt_u32_f32_e32 v1, v1
	v_xor_b32_e32 v1, v1, v0
	s_delay_alu instid0(VALU_DEP_1)
	v_sub_nc_u32_e32 v0, v1, v0
.LBB46_824:
	s_or_b32 exec_lo, exec_lo, s27
	s_mov_b32 s27, 0
	s_branch .LBB46_830
.LBB46_825:
	s_mov_b32 s28, -1
                                        ; implicit-def: $vgpr0
	s_branch .LBB46_836
.LBB46_826:
	s_and_not1_saveexec_b32 s27, s27
	s_cbranch_execz .LBB46_811
.LBB46_827:
	v_cmp_ne_u16_e32 vcc_lo, 0, v1
	s_and_not1_b32 s28, s28, exec_lo
	s_and_b32 s29, vcc_lo, exec_lo
	s_delay_alu instid0(SALU_CYCLE_1)
	s_or_b32 s28, s28, s29
	s_or_b32 exec_lo, exec_lo, s27
	v_mov_b32_e32 v0, 0
	s_and_saveexec_b32 s27, s28
	s_cbranch_execnz .LBB46_812
	s_branch .LBB46_813
.LBB46_828:
	s_mov_b32 s27, -1
                                        ; implicit-def: $vgpr0
	s_branch .LBB46_833
.LBB46_829:
	s_mov_b32 s27, -1
                                        ; implicit-def: $vgpr0
.LBB46_830:
	s_delay_alu instid0(SALU_CYCLE_1)
	s_and_b32 vcc_lo, exec_lo, s27
	s_cbranch_vccz .LBB46_832
; %bb.831:
	s_wait_loadcnt 0x0
	global_load_u8 v0, v[2:3], off
	s_wait_loadcnt 0x0
	v_lshlrev_b32_e32 v0, 24, v0
	s_delay_alu instid0(VALU_DEP_1) | instskip(NEXT) | instid1(VALU_DEP_1)
	v_and_b32_e32 v1, 0x7f000000, v0
	v_clz_i32_u32_e32 v4, v1
	v_cmp_ne_u32_e32 vcc_lo, 0, v1
	v_add_nc_u32_e32 v6, 0x1000000, v1
	s_delay_alu instid0(VALU_DEP_3) | instskip(NEXT) | instid1(VALU_DEP_1)
	v_min_u32_e32 v4, 32, v4
	v_sub_nc_u32_e64 v4, v4, 4 clamp
	s_delay_alu instid0(VALU_DEP_1) | instskip(NEXT) | instid1(VALU_DEP_1)
	v_dual_lshlrev_b32 v5, v4, v1 :: v_dual_lshlrev_b32 v4, 23, v4
	v_lshrrev_b32_e32 v5, 4, v5
	s_delay_alu instid0(VALU_DEP_1) | instskip(NEXT) | instid1(VALU_DEP_1)
	v_dual_sub_nc_u32 v4, v5, v4 :: v_dual_ashrrev_i32 v5, 8, v6
	v_add_nc_u32_e32 v4, 0x3c000000, v4
	s_delay_alu instid0(VALU_DEP_1) | instskip(NEXT) | instid1(VALU_DEP_1)
	v_and_or_b32 v4, 0x7f800000, v5, v4
	v_cndmask_b32_e32 v1, 0, v4, vcc_lo
	s_delay_alu instid0(VALU_DEP_1) | instskip(NEXT) | instid1(VALU_DEP_1)
	v_and_or_b32 v0, 0x80000000, v0, v1
	v_trunc_f32_e32 v0, v0
	s_delay_alu instid0(VALU_DEP_1) | instskip(NEXT) | instid1(VALU_DEP_1)
	v_mul_f32_e64 v1, 0x2f800000, |v0|
	v_floor_f32_e32 v1, v1
	s_delay_alu instid0(VALU_DEP_1) | instskip(SKIP_1) | instid1(VALU_DEP_2)
	v_fma_f32 v1, 0xcf800000, v1, |v0|
	v_ashrrev_i32_e32 v0, 31, v0
	v_cvt_u32_f32_e32 v1, v1
	s_delay_alu instid0(VALU_DEP_1) | instskip(NEXT) | instid1(VALU_DEP_1)
	v_xor_b32_e32 v1, v1, v0
	v_sub_nc_u32_e32 v0, v1, v0
.LBB46_832:
	s_mov_b32 s27, 0
.LBB46_833:
	s_delay_alu instid0(SALU_CYCLE_1)
	s_and_not1_b32 vcc_lo, exec_lo, s27
	s_cbranch_vccnz .LBB46_835
; %bb.834:
	s_wait_loadcnt 0x0
	global_load_u8 v0, v[2:3], off
	s_wait_loadcnt 0x0
	v_lshlrev_b32_e32 v1, 25, v0
	v_lshlrev_b16 v0, 8, v0
	s_delay_alu instid0(VALU_DEP_1) | instskip(SKIP_1) | instid1(VALU_DEP_2)
	v_and_or_b32 v5, 0x7f00, v0, 0.5
	v_bfe_i32 v0, v0, 0, 16
	v_add_f32_e32 v5, -0.5, v5
	v_lshrrev_b32_e32 v4, 4, v1
	v_cmp_gt_u32_e32 vcc_lo, 0x8000000, v1
	s_delay_alu instid0(VALU_DEP_2) | instskip(NEXT) | instid1(VALU_DEP_1)
	v_or_b32_e32 v4, 0x70000000, v4
	v_mul_f32_e32 v4, 0x7800000, v4
	s_delay_alu instid0(VALU_DEP_1) | instskip(NEXT) | instid1(VALU_DEP_1)
	v_cndmask_b32_e32 v1, v4, v5, vcc_lo
	v_and_or_b32 v0, 0x80000000, v0, v1
	s_delay_alu instid0(VALU_DEP_1) | instskip(NEXT) | instid1(VALU_DEP_1)
	v_trunc_f32_e32 v0, v0
	v_mul_f32_e64 v1, 0x2f800000, |v0|
	s_delay_alu instid0(VALU_DEP_1) | instskip(NEXT) | instid1(VALU_DEP_1)
	v_floor_f32_e32 v1, v1
	v_fma_f32 v1, 0xcf800000, v1, |v0|
	v_ashrrev_i32_e32 v0, 31, v0
	s_delay_alu instid0(VALU_DEP_2) | instskip(NEXT) | instid1(VALU_DEP_1)
	v_cvt_u32_f32_e32 v1, v1
	v_xor_b32_e32 v1, v1, v0
	s_delay_alu instid0(VALU_DEP_1)
	v_sub_nc_u32_e32 v0, v1, v0
.LBB46_835:
	s_mov_b32 s28, 0
	s_mov_b32 s27, -1
.LBB46_836:
	s_and_not1_b32 vcc_lo, exec_lo, s28
	s_cbranch_vccnz .LBB46_849
; %bb.837:
	s_cmp_gt_i32 s26, 14
	s_cbranch_scc0 .LBB46_840
; %bb.838:
	s_cmp_eq_u32 s26, 15
	s_cbranch_scc0 .LBB46_843
; %bb.839:
	s_wait_loadcnt 0x0
	global_load_u16 v0, v[2:3], off
	s_mov_b32 s27, -1
	s_mov_b32 s25, 0
	s_wait_loadcnt 0x0
	v_lshlrev_b32_e32 v0, 16, v0
	s_delay_alu instid0(VALU_DEP_1) | instskip(NEXT) | instid1(VALU_DEP_1)
	v_trunc_f32_e32 v0, v0
	v_mul_f32_e64 v1, 0x2f800000, |v0|
	s_delay_alu instid0(VALU_DEP_1) | instskip(NEXT) | instid1(VALU_DEP_1)
	v_floor_f32_e32 v1, v1
	v_fma_f32 v1, 0xcf800000, v1, |v0|
	v_ashrrev_i32_e32 v0, 31, v0
	s_delay_alu instid0(VALU_DEP_2) | instskip(NEXT) | instid1(VALU_DEP_1)
	v_cvt_u32_f32_e32 v1, v1
	v_xor_b32_e32 v1, v1, v0
	s_delay_alu instid0(VALU_DEP_1)
	v_sub_nc_u32_e32 v0, v1, v0
	s_branch .LBB46_844
.LBB46_840:
	s_mov_b32 s28, -1
                                        ; implicit-def: $vgpr0
	s_branch .LBB46_845
.LBB46_841:
	s_and_not1_saveexec_b32 s27, s27
	s_cbranch_execz .LBB46_822
.LBB46_842:
	v_cmp_ne_u16_e32 vcc_lo, 0, v1
	s_and_not1_b32 s28, s28, exec_lo
	s_and_b32 s29, vcc_lo, exec_lo
	s_delay_alu instid0(SALU_CYCLE_1)
	s_or_b32 s28, s28, s29
	s_or_b32 exec_lo, exec_lo, s27
	v_mov_b32_e32 v0, 0
	s_and_saveexec_b32 s27, s28
	s_cbranch_execnz .LBB46_823
	s_branch .LBB46_824
.LBB46_843:
	s_mov_b32 s25, -1
                                        ; implicit-def: $vgpr0
.LBB46_844:
	s_mov_b32 s28, 0
.LBB46_845:
	s_delay_alu instid0(SALU_CYCLE_1)
	s_and_b32 vcc_lo, exec_lo, s28
	s_cbranch_vccz .LBB46_849
; %bb.846:
	s_cmp_eq_u32 s26, 11
	s_cbranch_scc0 .LBB46_848
; %bb.847:
	s_wait_loadcnt 0x0
	global_load_u8 v0, v[2:3], off
	s_mov_b32 s25, 0
	s_mov_b32 s27, -1
	s_wait_loadcnt 0x0
	v_cmp_ne_u16_e32 vcc_lo, 0, v0
	v_cndmask_b32_e64 v0, 0, 1, vcc_lo
	s_branch .LBB46_849
.LBB46_848:
	s_mov_b32 s25, -1
                                        ; implicit-def: $vgpr0
.LBB46_849:
	s_mov_b32 s26, 0
.LBB46_850:
	s_delay_alu instid0(SALU_CYCLE_1)
	s_and_b32 vcc_lo, exec_lo, s26
	s_cbranch_vccz .LBB46_899
; %bb.851:
	s_and_b32 s0, 0xffff, s0
	s_delay_alu instid0(SALU_CYCLE_1)
	s_cmp_lt_i32 s0, 5
	s_cbranch_scc1 .LBB46_856
; %bb.852:
	s_cmp_lt_i32 s0, 8
	s_cbranch_scc1 .LBB46_857
; %bb.853:
	;; [unrolled: 3-line block ×3, first 2 shown]
	s_cmp_gt_i32 s0, 9
	s_cbranch_scc0 .LBB46_859
; %bb.855:
	s_wait_loadcnt 0x0
	global_load_b64 v[0:1], v[2:3], off
	s_mov_b32 s26, 0
	s_wait_loadcnt 0x0
	v_trunc_f64_e32 v[0:1], v[0:1]
	s_delay_alu instid0(VALU_DEP_1) | instskip(NEXT) | instid1(VALU_DEP_1)
	v_ldexp_f64 v[4:5], v[0:1], 0xffffffe0
	v_floor_f64_e32 v[4:5], v[4:5]
	s_delay_alu instid0(VALU_DEP_1) | instskip(NEXT) | instid1(VALU_DEP_1)
	v_fmamk_f64 v[0:1], v[4:5], 0xc1f00000, v[0:1]
	v_cvt_u32_f64_e32 v0, v[0:1]
	s_branch .LBB46_860
.LBB46_856:
	s_mov_b32 s26, -1
                                        ; implicit-def: $vgpr0
	s_branch .LBB46_878
.LBB46_857:
	s_mov_b32 s26, -1
                                        ; implicit-def: $vgpr0
	s_branch .LBB46_866
.LBB46_858:
	s_mov_b32 s26, -1
                                        ; implicit-def: $vgpr0
	s_branch .LBB46_863
.LBB46_859:
	s_mov_b32 s26, -1
                                        ; implicit-def: $vgpr0
.LBB46_860:
	s_delay_alu instid0(SALU_CYCLE_1)
	s_and_not1_b32 vcc_lo, exec_lo, s26
	s_cbranch_vccnz .LBB46_862
; %bb.861:
	s_wait_loadcnt 0x0
	global_load_b32 v0, v[2:3], off
	s_wait_loadcnt 0x0
	v_trunc_f32_e32 v0, v0
	s_delay_alu instid0(VALU_DEP_1) | instskip(NEXT) | instid1(VALU_DEP_1)
	v_mul_f32_e64 v1, 0x2f800000, |v0|
	v_floor_f32_e32 v1, v1
	s_delay_alu instid0(VALU_DEP_1) | instskip(SKIP_1) | instid1(VALU_DEP_2)
	v_fma_f32 v1, 0xcf800000, v1, |v0|
	v_ashrrev_i32_e32 v0, 31, v0
	v_cvt_u32_f32_e32 v1, v1
	s_delay_alu instid0(VALU_DEP_1) | instskip(NEXT) | instid1(VALU_DEP_1)
	v_xor_b32_e32 v1, v1, v0
	v_sub_nc_u32_e32 v0, v1, v0
.LBB46_862:
	s_mov_b32 s26, 0
.LBB46_863:
	s_delay_alu instid0(SALU_CYCLE_1)
	s_and_not1_b32 vcc_lo, exec_lo, s26
	s_cbranch_vccnz .LBB46_865
; %bb.864:
	s_wait_loadcnt 0x0
	global_load_b32 v0, v[2:3], off
	s_wait_loadcnt 0x0
	v_cvt_f32_f16_e32 v0, v0
	s_delay_alu instid0(VALU_DEP_1)
	v_cvt_i32_f32_e32 v0, v0
.LBB46_865:
	s_mov_b32 s26, 0
.LBB46_866:
	s_delay_alu instid0(SALU_CYCLE_1)
	s_and_not1_b32 vcc_lo, exec_lo, s26
	s_cbranch_vccnz .LBB46_877
; %bb.867:
	s_cmp_lt_i32 s0, 6
	s_cbranch_scc1 .LBB46_870
; %bb.868:
	s_cmp_gt_i32 s0, 6
	s_cbranch_scc0 .LBB46_871
; %bb.869:
	s_wait_loadcnt 0x0
	global_load_b64 v[0:1], v[2:3], off
	s_mov_b32 s26, 0
	s_wait_loadcnt 0x0
	v_trunc_f64_e32 v[0:1], v[0:1]
	s_delay_alu instid0(VALU_DEP_1) | instskip(NEXT) | instid1(VALU_DEP_1)
	v_ldexp_f64 v[4:5], v[0:1], 0xffffffe0
	v_floor_f64_e32 v[4:5], v[4:5]
	s_delay_alu instid0(VALU_DEP_1) | instskip(NEXT) | instid1(VALU_DEP_1)
	v_fmamk_f64 v[0:1], v[4:5], 0xc1f00000, v[0:1]
	v_cvt_u32_f64_e32 v0, v[0:1]
	s_branch .LBB46_872
.LBB46_870:
	s_mov_b32 s26, -1
                                        ; implicit-def: $vgpr0
	s_branch .LBB46_875
.LBB46_871:
	s_mov_b32 s26, -1
                                        ; implicit-def: $vgpr0
.LBB46_872:
	s_delay_alu instid0(SALU_CYCLE_1)
	s_and_not1_b32 vcc_lo, exec_lo, s26
	s_cbranch_vccnz .LBB46_874
; %bb.873:
	s_wait_loadcnt 0x0
	global_load_b32 v0, v[2:3], off
	s_wait_loadcnt 0x0
	v_trunc_f32_e32 v0, v0
	s_delay_alu instid0(VALU_DEP_1) | instskip(NEXT) | instid1(VALU_DEP_1)
	v_mul_f32_e64 v1, 0x2f800000, |v0|
	v_floor_f32_e32 v1, v1
	s_delay_alu instid0(VALU_DEP_1) | instskip(SKIP_1) | instid1(VALU_DEP_2)
	v_fma_f32 v1, 0xcf800000, v1, |v0|
	v_ashrrev_i32_e32 v0, 31, v0
	v_cvt_u32_f32_e32 v1, v1
	s_delay_alu instid0(VALU_DEP_1) | instskip(NEXT) | instid1(VALU_DEP_1)
	v_xor_b32_e32 v1, v1, v0
	v_sub_nc_u32_e32 v0, v1, v0
.LBB46_874:
	s_mov_b32 s26, 0
.LBB46_875:
	s_delay_alu instid0(SALU_CYCLE_1)
	s_and_not1_b32 vcc_lo, exec_lo, s26
	s_cbranch_vccnz .LBB46_877
; %bb.876:
	s_wait_loadcnt 0x0
	global_load_u16 v0, v[2:3], off
	s_wait_loadcnt 0x0
	v_cvt_f32_f16_e32 v0, v0
	s_delay_alu instid0(VALU_DEP_1)
	v_cvt_i32_f32_e32 v0, v0
.LBB46_877:
	s_mov_b32 s26, 0
.LBB46_878:
	s_delay_alu instid0(SALU_CYCLE_1)
	s_and_not1_b32 vcc_lo, exec_lo, s26
	s_cbranch_vccnz .LBB46_898
; %bb.879:
	s_cmp_lt_i32 s0, 2
	s_cbranch_scc1 .LBB46_883
; %bb.880:
	s_cmp_lt_i32 s0, 3
	s_cbranch_scc1 .LBB46_884
; %bb.881:
	s_cmp_gt_i32 s0, 3
	s_cbranch_scc0 .LBB46_885
; %bb.882:
	s_wait_loadcnt 0x0
	global_load_b64 v[0:1], v[2:3], off
	s_mov_b32 s26, 0
	s_branch .LBB46_886
.LBB46_883:
	s_mov_b32 s26, -1
                                        ; implicit-def: $vgpr0
	s_branch .LBB46_892
.LBB46_884:
	s_mov_b32 s26, -1
                                        ; implicit-def: $vgpr0
	s_branch .LBB46_889
.LBB46_885:
	s_mov_b32 s26, -1
                                        ; implicit-def: $vgpr0
.LBB46_886:
	s_delay_alu instid0(SALU_CYCLE_1)
	s_and_not1_b32 vcc_lo, exec_lo, s26
	s_cbranch_vccnz .LBB46_888
; %bb.887:
	s_wait_loadcnt 0x0
	global_load_b32 v0, v[2:3], off
.LBB46_888:
	s_mov_b32 s26, 0
.LBB46_889:
	s_delay_alu instid0(SALU_CYCLE_1)
	s_and_not1_b32 vcc_lo, exec_lo, s26
	s_cbranch_vccnz .LBB46_891
; %bb.890:
	s_wait_loadcnt 0x0
	global_load_u16 v0, v[2:3], off
.LBB46_891:
	s_mov_b32 s26, 0
.LBB46_892:
	s_delay_alu instid0(SALU_CYCLE_1)
	s_and_not1_b32 vcc_lo, exec_lo, s26
	s_cbranch_vccnz .LBB46_898
; %bb.893:
	s_cmp_gt_i32 s0, 0
	s_mov_b32 s0, 0
	s_cbranch_scc0 .LBB46_895
; %bb.894:
	s_wait_loadcnt 0x0
	global_load_u8 v0, v[2:3], off
	s_branch .LBB46_896
.LBB46_895:
	s_mov_b32 s0, -1
                                        ; implicit-def: $vgpr0
.LBB46_896:
	s_delay_alu instid0(SALU_CYCLE_1)
	s_and_not1_b32 vcc_lo, exec_lo, s0
	s_cbranch_vccnz .LBB46_898
; %bb.897:
	s_wait_loadcnt 0x0
	global_load_u8 v0, v[2:3], off
.LBB46_898:
	s_mov_b32 s27, -1
.LBB46_899:
	s_delay_alu instid0(SALU_CYCLE_1)
	s_and_not1_b32 vcc_lo, exec_lo, s27
	s_cbranch_vccnz .LBB46_907
; %bb.900:
	s_wait_xcnt 0x0
	v_mul_lo_u32 v2, v10, s10
	s_and_b32 s0, s1, 0xff
	s_delay_alu instid0(SALU_CYCLE_1) | instskip(NEXT) | instid1(VALU_DEP_1)
	s_cmp_lt_i32 s0, 11
	v_ashrrev_i32_e32 v3, 31, v2
	s_delay_alu instid0(VALU_DEP_1)
	v_add_nc_u64_e32 v[2:3], s[2:3], v[2:3]
	s_cbranch_scc1 .LBB46_908
; %bb.901:
	s_and_b32 s27, 0xffff, s0
	s_delay_alu instid0(SALU_CYCLE_1)
	s_cmp_gt_i32 s27, 25
	s_cbranch_scc0 .LBB46_909
; %bb.902:
	s_cmp_gt_i32 s27, 28
	s_cbranch_scc0 .LBB46_910
; %bb.903:
	s_cmp_gt_i32 s27, 43
	s_cbranch_scc0 .LBB46_911
; %bb.904:
	s_cmp_gt_i32 s27, 45
	s_cbranch_scc0 .LBB46_912
; %bb.905:
	s_cmp_eq_u32 s27, 46
	s_mov_b32 s29, 0
	s_cbranch_scc0 .LBB46_915
; %bb.906:
	s_wait_loadcnt 0x0
	global_load_b32 v1, v[2:3], off
	s_mov_b32 s28, -1
	s_mov_b32 s26, 0
	s_wait_loadcnt 0x0
	v_lshlrev_b32_e32 v1, 16, v1
	s_delay_alu instid0(VALU_DEP_1) | instskip(NEXT) | instid1(VALU_DEP_1)
	v_trunc_f32_e32 v1, v1
	v_mul_f32_e64 v4, 0x2f800000, |v1|
	s_delay_alu instid0(VALU_DEP_1) | instskip(NEXT) | instid1(VALU_DEP_1)
	v_floor_f32_e32 v4, v4
	v_fma_f32 v4, 0xcf800000, v4, |v1|
	v_ashrrev_i32_e32 v1, 31, v1
	s_delay_alu instid0(VALU_DEP_2) | instskip(NEXT) | instid1(VALU_DEP_1)
	v_cvt_u32_f32_e32 v4, v4
	v_xor_b32_e32 v4, v4, v1
	s_delay_alu instid0(VALU_DEP_1)
	v_sub_nc_u32_e32 v4, v4, v1
	s_branch .LBB46_917
.LBB46_907:
	s_mov_b32 s28, 0
	s_mov_b32 s0, s21
	;; [unrolled: 1-line block ×3, first 2 shown]
	s_branch .LBB46_1158
.LBB46_908:
	s_mov_b32 s27, -1
	s_mov_b32 s28, 0
	s_mov_b32 s26, s22
                                        ; implicit-def: $vgpr4
	s_branch .LBB46_978
.LBB46_909:
	s_mov_b32 s29, -1
	s_mov_b32 s28, 0
	s_mov_b32 s26, s22
                                        ; implicit-def: $vgpr4
	s_branch .LBB46_944
.LBB46_910:
	s_mov_b32 s29, -1
	s_mov_b32 s28, 0
	s_mov_b32 s26, s22
                                        ; implicit-def: $vgpr4
	s_branch .LBB46_927
.LBB46_911:
	s_mov_b32 s29, -1
	s_mov_b32 s28, 0
	s_mov_b32 s26, s22
                                        ; implicit-def: $vgpr4
	s_branch .LBB46_922
.LBB46_912:
	s_mov_b32 s29, -1
	s_mov_b32 s28, 0
	s_mov_b32 s26, s22
	s_branch .LBB46_916
.LBB46_913:
	s_and_not1_saveexec_b32 s27, s27
	s_cbranch_execz .LBB46_692
.LBB46_914:
	v_add_f32_e32 v3, 0x42800000, v4
	s_and_not1_b32 s26, s26, exec_lo
	s_delay_alu instid0(VALU_DEP_1) | instskip(NEXT) | instid1(VALU_DEP_1)
	v_and_b32_e32 v3, 0xff, v3
	v_cmp_ne_u32_e32 vcc_lo, 0, v3
	s_and_b32 s28, vcc_lo, exec_lo
	s_delay_alu instid0(SALU_CYCLE_1)
	s_or_b32 s26, s26, s28
	s_or_b32 exec_lo, exec_lo, s27
	v_mov_b32_e32 v5, 0
	s_and_saveexec_b32 s27, s26
	s_cbranch_execnz .LBB46_693
	s_branch .LBB46_694
.LBB46_915:
	s_mov_b32 s26, -1
	s_mov_b32 s28, 0
.LBB46_916:
                                        ; implicit-def: $vgpr4
.LBB46_917:
	s_and_b32 vcc_lo, exec_lo, s29
	s_cbranch_vccz .LBB46_921
; %bb.918:
	s_cmp_eq_u32 s27, 44
	s_cbranch_scc0 .LBB46_920
; %bb.919:
	s_wait_loadcnt 0x0
	global_load_u8 v1, v[2:3], off
	s_mov_b32 s26, 0
	s_mov_b32 s28, -1
	s_wait_loadcnt 0x0
	v_lshlrev_b32_e32 v4, 23, v1
	v_cmp_ne_u32_e32 vcc_lo, 0, v1
	s_delay_alu instid0(VALU_DEP_2) | instskip(NEXT) | instid1(VALU_DEP_1)
	v_trunc_f32_e32 v4, v4
	v_mul_f32_e64 v5, 0x2f800000, |v4|
	s_delay_alu instid0(VALU_DEP_1) | instskip(NEXT) | instid1(VALU_DEP_1)
	v_floor_f32_e32 v5, v5
	v_fma_f32 v5, 0xcf800000, v5, |v4|
	v_ashrrev_i32_e32 v4, 31, v4
	s_delay_alu instid0(VALU_DEP_2) | instskip(NEXT) | instid1(VALU_DEP_1)
	v_cvt_u32_f32_e32 v5, v5
	v_xor_b32_e32 v5, v5, v4
	s_delay_alu instid0(VALU_DEP_1) | instskip(NEXT) | instid1(VALU_DEP_1)
	v_sub_nc_u32_e32 v4, v5, v4
	v_cndmask_b32_e32 v4, 0, v4, vcc_lo
	s_branch .LBB46_921
.LBB46_920:
	s_mov_b32 s26, -1
                                        ; implicit-def: $vgpr4
.LBB46_921:
	s_mov_b32 s29, 0
.LBB46_922:
	s_delay_alu instid0(SALU_CYCLE_1)
	s_and_b32 vcc_lo, exec_lo, s29
	s_cbranch_vccz .LBB46_926
; %bb.923:
	s_cmp_eq_u32 s27, 29
	s_cbranch_scc0 .LBB46_925
; %bb.924:
	global_load_b64 v[4:5], v[2:3], off
	s_mov_b32 s28, -1
	s_mov_b32 s26, 0
	s_branch .LBB46_926
.LBB46_925:
	s_mov_b32 s26, -1
                                        ; implicit-def: $vgpr4
.LBB46_926:
	s_mov_b32 s29, 0
.LBB46_927:
	s_delay_alu instid0(SALU_CYCLE_1)
	s_and_b32 vcc_lo, exec_lo, s29
	s_cbranch_vccz .LBB46_943
; %bb.928:
	s_cmp_lt_i32 s27, 27
	s_cbranch_scc1 .LBB46_931
; %bb.929:
	s_cmp_gt_i32 s27, 27
	s_cbranch_scc0 .LBB46_932
; %bb.930:
	s_wait_loadcnt 0x0
	global_load_b32 v4, v[2:3], off
	s_mov_b32 s28, 0
	s_branch .LBB46_933
.LBB46_931:
	s_mov_b32 s28, -1
                                        ; implicit-def: $vgpr4
	s_branch .LBB46_936
.LBB46_932:
	s_mov_b32 s28, -1
                                        ; implicit-def: $vgpr4
.LBB46_933:
	s_delay_alu instid0(SALU_CYCLE_1)
	s_and_not1_b32 vcc_lo, exec_lo, s28
	s_cbranch_vccnz .LBB46_935
; %bb.934:
	s_wait_loadcnt 0x0
	global_load_u16 v4, v[2:3], off
.LBB46_935:
	s_mov_b32 s28, 0
.LBB46_936:
	s_delay_alu instid0(SALU_CYCLE_1)
	s_and_not1_b32 vcc_lo, exec_lo, s28
	s_cbranch_vccnz .LBB46_942
; %bb.937:
	s_wait_loadcnt 0x0
	global_load_u8 v1, v[2:3], off
	s_mov_b32 s29, 0
	s_mov_b32 s28, exec_lo
	s_wait_loadcnt 0x0
	v_cmpx_lt_i16_e32 0x7f, v1
	s_xor_b32 s28, exec_lo, s28
	s_cbranch_execz .LBB46_954
; %bb.938:
	v_cmp_ne_u16_e32 vcc_lo, 0x80, v1
	s_and_b32 s29, vcc_lo, exec_lo
	s_and_not1_saveexec_b32 s28, s28
	s_cbranch_execnz .LBB46_955
.LBB46_939:
	s_or_b32 exec_lo, exec_lo, s28
	v_mov_b32_e32 v4, 0
	s_and_saveexec_b32 s28, s29
	s_cbranch_execz .LBB46_941
.LBB46_940:
	v_and_b32_e32 v4, 0xffff, v1
	s_delay_alu instid0(VALU_DEP_1) | instskip(SKIP_1) | instid1(VALU_DEP_2)
	v_and_b32_e32 v5, 7, v4
	v_bfe_u32 v8, v4, 3, 4
	v_clz_i32_u32_e32 v6, v5
	s_delay_alu instid0(VALU_DEP_2) | instskip(NEXT) | instid1(VALU_DEP_2)
	v_cmp_eq_u32_e32 vcc_lo, 0, v8
	v_min_u32_e32 v6, 32, v6
	s_delay_alu instid0(VALU_DEP_1) | instskip(NEXT) | instid1(VALU_DEP_1)
	v_subrev_nc_u32_e32 v7, 28, v6
	v_dual_lshlrev_b32 v4, v7, v4 :: v_dual_sub_nc_u32 v6, 29, v6
	s_delay_alu instid0(VALU_DEP_1) | instskip(NEXT) | instid1(VALU_DEP_1)
	v_dual_lshlrev_b32 v1, 24, v1 :: v_dual_bitop2_b32 v4, 7, v4 bitop3:0x40
	v_dual_cndmask_b32 v6, v8, v6, vcc_lo :: v_dual_cndmask_b32 v4, v5, v4, vcc_lo
	s_delay_alu instid0(VALU_DEP_2) | instskip(NEXT) | instid1(VALU_DEP_2)
	v_and_b32_e32 v1, 0x80000000, v1
	v_lshl_add_u32 v5, v6, 23, 0x3b800000
	s_delay_alu instid0(VALU_DEP_3) | instskip(NEXT) | instid1(VALU_DEP_1)
	v_lshlrev_b32_e32 v4, 20, v4
	v_or3_b32 v1, v1, v5, v4
	s_delay_alu instid0(VALU_DEP_1) | instskip(NEXT) | instid1(VALU_DEP_1)
	v_trunc_f32_e32 v1, v1
	v_mul_f32_e64 v4, 0x2f800000, |v1|
	s_delay_alu instid0(VALU_DEP_1) | instskip(NEXT) | instid1(VALU_DEP_1)
	v_floor_f32_e32 v4, v4
	v_fma_f32 v4, 0xcf800000, v4, |v1|
	v_ashrrev_i32_e32 v1, 31, v1
	s_delay_alu instid0(VALU_DEP_2) | instskip(NEXT) | instid1(VALU_DEP_1)
	v_cvt_u32_f32_e32 v4, v4
	v_xor_b32_e32 v4, v4, v1
	s_delay_alu instid0(VALU_DEP_1)
	v_sub_nc_u32_e32 v4, v4, v1
.LBB46_941:
	s_or_b32 exec_lo, exec_lo, s28
.LBB46_942:
	s_mov_b32 s28, -1
.LBB46_943:
	s_mov_b32 s29, 0
.LBB46_944:
	s_delay_alu instid0(SALU_CYCLE_1)
	s_and_b32 vcc_lo, exec_lo, s29
	s_cbranch_vccz .LBB46_977
; %bb.945:
	s_cmp_gt_i32 s27, 22
	s_cbranch_scc0 .LBB46_953
; %bb.946:
	s_cmp_lt_i32 s27, 24
	s_cbranch_scc1 .LBB46_956
; %bb.947:
	s_cmp_gt_i32 s27, 24
	s_cbranch_scc0 .LBB46_957
; %bb.948:
	s_wait_loadcnt 0x0
	global_load_u8 v1, v[2:3], off
	s_mov_b32 s29, 0
	s_mov_b32 s28, exec_lo
	s_wait_loadcnt 0x0
	v_cmpx_lt_i16_e32 0x7f, v1
	s_xor_b32 s28, exec_lo, s28
	s_cbranch_execz .LBB46_969
; %bb.949:
	v_cmp_ne_u16_e32 vcc_lo, 0x80, v1
	s_and_b32 s29, vcc_lo, exec_lo
	s_and_not1_saveexec_b32 s28, s28
	s_cbranch_execnz .LBB46_970
.LBB46_950:
	s_or_b32 exec_lo, exec_lo, s28
	v_mov_b32_e32 v4, 0
	s_and_saveexec_b32 s28, s29
	s_cbranch_execz .LBB46_952
.LBB46_951:
	v_and_b32_e32 v4, 0xffff, v1
	s_delay_alu instid0(VALU_DEP_1) | instskip(SKIP_1) | instid1(VALU_DEP_2)
	v_and_b32_e32 v5, 3, v4
	v_bfe_u32 v8, v4, 2, 5
	v_clz_i32_u32_e32 v6, v5
	s_delay_alu instid0(VALU_DEP_2) | instskip(NEXT) | instid1(VALU_DEP_2)
	v_cmp_eq_u32_e32 vcc_lo, 0, v8
	v_min_u32_e32 v6, 32, v6
	s_delay_alu instid0(VALU_DEP_1) | instskip(NEXT) | instid1(VALU_DEP_1)
	v_subrev_nc_u32_e32 v7, 29, v6
	v_dual_lshlrev_b32 v4, v7, v4 :: v_dual_sub_nc_u32 v6, 30, v6
	s_delay_alu instid0(VALU_DEP_1) | instskip(NEXT) | instid1(VALU_DEP_1)
	v_dual_lshlrev_b32 v1, 24, v1 :: v_dual_bitop2_b32 v4, 3, v4 bitop3:0x40
	v_dual_cndmask_b32 v6, v8, v6, vcc_lo :: v_dual_cndmask_b32 v4, v5, v4, vcc_lo
	s_delay_alu instid0(VALU_DEP_2) | instskip(NEXT) | instid1(VALU_DEP_2)
	v_and_b32_e32 v1, 0x80000000, v1
	v_lshl_add_u32 v5, v6, 23, 0x37800000
	s_delay_alu instid0(VALU_DEP_3) | instskip(NEXT) | instid1(VALU_DEP_1)
	v_lshlrev_b32_e32 v4, 21, v4
	v_or3_b32 v1, v1, v5, v4
	s_delay_alu instid0(VALU_DEP_1) | instskip(NEXT) | instid1(VALU_DEP_1)
	v_trunc_f32_e32 v1, v1
	v_mul_f32_e64 v4, 0x2f800000, |v1|
	s_delay_alu instid0(VALU_DEP_1) | instskip(NEXT) | instid1(VALU_DEP_1)
	v_floor_f32_e32 v4, v4
	v_fma_f32 v4, 0xcf800000, v4, |v1|
	v_ashrrev_i32_e32 v1, 31, v1
	s_delay_alu instid0(VALU_DEP_2) | instskip(NEXT) | instid1(VALU_DEP_1)
	v_cvt_u32_f32_e32 v4, v4
	v_xor_b32_e32 v4, v4, v1
	s_delay_alu instid0(VALU_DEP_1)
	v_sub_nc_u32_e32 v4, v4, v1
.LBB46_952:
	s_or_b32 exec_lo, exec_lo, s28
	s_mov_b32 s28, 0
	s_branch .LBB46_958
.LBB46_953:
	s_mov_b32 s29, -1
                                        ; implicit-def: $vgpr4
	s_branch .LBB46_964
.LBB46_954:
	s_and_not1_saveexec_b32 s28, s28
	s_cbranch_execz .LBB46_939
.LBB46_955:
	v_cmp_ne_u16_e32 vcc_lo, 0, v1
	s_and_not1_b32 s29, s29, exec_lo
	s_and_b32 s30, vcc_lo, exec_lo
	s_delay_alu instid0(SALU_CYCLE_1)
	s_or_b32 s29, s29, s30
	s_or_b32 exec_lo, exec_lo, s28
	v_mov_b32_e32 v4, 0
	s_and_saveexec_b32 s28, s29
	s_cbranch_execnz .LBB46_940
	s_branch .LBB46_941
.LBB46_956:
	s_mov_b32 s28, -1
                                        ; implicit-def: $vgpr4
	s_branch .LBB46_961
.LBB46_957:
	s_mov_b32 s28, -1
                                        ; implicit-def: $vgpr4
.LBB46_958:
	s_delay_alu instid0(SALU_CYCLE_1)
	s_and_b32 vcc_lo, exec_lo, s28
	s_cbranch_vccz .LBB46_960
; %bb.959:
	s_wait_loadcnt 0x0
	global_load_u8 v1, v[2:3], off
	s_wait_loadcnt 0x0
	v_lshlrev_b32_e32 v1, 24, v1
	s_delay_alu instid0(VALU_DEP_1) | instskip(NEXT) | instid1(VALU_DEP_1)
	v_and_b32_e32 v4, 0x7f000000, v1
	v_clz_i32_u32_e32 v5, v4
	v_cmp_ne_u32_e32 vcc_lo, 0, v4
	v_add_nc_u32_e32 v7, 0x1000000, v4
	s_delay_alu instid0(VALU_DEP_3) | instskip(NEXT) | instid1(VALU_DEP_1)
	v_min_u32_e32 v5, 32, v5
	v_sub_nc_u32_e64 v5, v5, 4 clamp
	s_delay_alu instid0(VALU_DEP_1) | instskip(NEXT) | instid1(VALU_DEP_1)
	v_dual_lshlrev_b32 v6, v5, v4 :: v_dual_lshlrev_b32 v5, 23, v5
	v_lshrrev_b32_e32 v6, 4, v6
	s_delay_alu instid0(VALU_DEP_1) | instskip(NEXT) | instid1(VALU_DEP_1)
	v_dual_sub_nc_u32 v5, v6, v5 :: v_dual_ashrrev_i32 v6, 8, v7
	v_add_nc_u32_e32 v5, 0x3c000000, v5
	s_delay_alu instid0(VALU_DEP_1) | instskip(NEXT) | instid1(VALU_DEP_1)
	v_and_or_b32 v5, 0x7f800000, v6, v5
	v_cndmask_b32_e32 v4, 0, v5, vcc_lo
	s_delay_alu instid0(VALU_DEP_1) | instskip(NEXT) | instid1(VALU_DEP_1)
	v_and_or_b32 v1, 0x80000000, v1, v4
	v_trunc_f32_e32 v1, v1
	s_delay_alu instid0(VALU_DEP_1) | instskip(NEXT) | instid1(VALU_DEP_1)
	v_mul_f32_e64 v4, 0x2f800000, |v1|
	v_floor_f32_e32 v4, v4
	s_delay_alu instid0(VALU_DEP_1) | instskip(SKIP_1) | instid1(VALU_DEP_2)
	v_fma_f32 v4, 0xcf800000, v4, |v1|
	v_ashrrev_i32_e32 v1, 31, v1
	v_cvt_u32_f32_e32 v4, v4
	s_delay_alu instid0(VALU_DEP_1) | instskip(NEXT) | instid1(VALU_DEP_1)
	v_xor_b32_e32 v4, v4, v1
	v_sub_nc_u32_e32 v4, v4, v1
.LBB46_960:
	s_mov_b32 s28, 0
.LBB46_961:
	s_delay_alu instid0(SALU_CYCLE_1)
	s_and_not1_b32 vcc_lo, exec_lo, s28
	s_cbranch_vccnz .LBB46_963
; %bb.962:
	s_wait_loadcnt 0x0
	global_load_u8 v1, v[2:3], off
	s_wait_loadcnt 0x0
	v_lshlrev_b32_e32 v4, 25, v1
	v_lshlrev_b16 v1, 8, v1
	s_delay_alu instid0(VALU_DEP_1) | instskip(SKIP_1) | instid1(VALU_DEP_2)
	v_and_or_b32 v6, 0x7f00, v1, 0.5
	v_bfe_i32 v1, v1, 0, 16
	v_dual_add_f32 v6, -0.5, v6 :: v_dual_lshrrev_b32 v5, 4, v4
	v_cmp_gt_u32_e32 vcc_lo, 0x8000000, v4
	s_delay_alu instid0(VALU_DEP_2) | instskip(NEXT) | instid1(VALU_DEP_1)
	v_or_b32_e32 v5, 0x70000000, v5
	v_mul_f32_e32 v5, 0x7800000, v5
	s_delay_alu instid0(VALU_DEP_1) | instskip(NEXT) | instid1(VALU_DEP_1)
	v_cndmask_b32_e32 v4, v5, v6, vcc_lo
	v_and_or_b32 v1, 0x80000000, v1, v4
	s_delay_alu instid0(VALU_DEP_1) | instskip(NEXT) | instid1(VALU_DEP_1)
	v_trunc_f32_e32 v1, v1
	v_mul_f32_e64 v4, 0x2f800000, |v1|
	s_delay_alu instid0(VALU_DEP_1) | instskip(NEXT) | instid1(VALU_DEP_1)
	v_floor_f32_e32 v4, v4
	v_fma_f32 v4, 0xcf800000, v4, |v1|
	v_ashrrev_i32_e32 v1, 31, v1
	s_delay_alu instid0(VALU_DEP_2) | instskip(NEXT) | instid1(VALU_DEP_1)
	v_cvt_u32_f32_e32 v4, v4
	v_xor_b32_e32 v4, v4, v1
	s_delay_alu instid0(VALU_DEP_1)
	v_sub_nc_u32_e32 v4, v4, v1
.LBB46_963:
	s_mov_b32 s29, 0
	s_mov_b32 s28, -1
.LBB46_964:
	s_and_not1_b32 vcc_lo, exec_lo, s29
	s_cbranch_vccnz .LBB46_977
; %bb.965:
	s_cmp_gt_i32 s27, 14
	s_cbranch_scc0 .LBB46_968
; %bb.966:
	s_cmp_eq_u32 s27, 15
	s_cbranch_scc0 .LBB46_971
; %bb.967:
	s_wait_loadcnt 0x0
	global_load_u16 v1, v[2:3], off
	s_mov_b32 s28, -1
	s_mov_b32 s26, 0
	s_wait_loadcnt 0x0
	v_lshlrev_b32_e32 v1, 16, v1
	s_delay_alu instid0(VALU_DEP_1) | instskip(NEXT) | instid1(VALU_DEP_1)
	v_trunc_f32_e32 v1, v1
	v_mul_f32_e64 v4, 0x2f800000, |v1|
	s_delay_alu instid0(VALU_DEP_1) | instskip(NEXT) | instid1(VALU_DEP_1)
	v_floor_f32_e32 v4, v4
	v_fma_f32 v4, 0xcf800000, v4, |v1|
	v_ashrrev_i32_e32 v1, 31, v1
	s_delay_alu instid0(VALU_DEP_2) | instskip(NEXT) | instid1(VALU_DEP_1)
	v_cvt_u32_f32_e32 v4, v4
	v_xor_b32_e32 v4, v4, v1
	s_delay_alu instid0(VALU_DEP_1)
	v_sub_nc_u32_e32 v4, v4, v1
	s_branch .LBB46_972
.LBB46_968:
	s_mov_b32 s29, -1
                                        ; implicit-def: $vgpr4
	s_branch .LBB46_973
.LBB46_969:
	s_and_not1_saveexec_b32 s28, s28
	s_cbranch_execz .LBB46_950
.LBB46_970:
	v_cmp_ne_u16_e32 vcc_lo, 0, v1
	s_and_not1_b32 s29, s29, exec_lo
	s_and_b32 s30, vcc_lo, exec_lo
	s_delay_alu instid0(SALU_CYCLE_1)
	s_or_b32 s29, s29, s30
	s_or_b32 exec_lo, exec_lo, s28
	v_mov_b32_e32 v4, 0
	s_and_saveexec_b32 s28, s29
	s_cbranch_execnz .LBB46_951
	s_branch .LBB46_952
.LBB46_971:
	s_mov_b32 s26, -1
                                        ; implicit-def: $vgpr4
.LBB46_972:
	s_mov_b32 s29, 0
.LBB46_973:
	s_delay_alu instid0(SALU_CYCLE_1)
	s_and_b32 vcc_lo, exec_lo, s29
	s_cbranch_vccz .LBB46_977
; %bb.974:
	s_cmp_eq_u32 s27, 11
	s_cbranch_scc0 .LBB46_976
; %bb.975:
	s_wait_loadcnt 0x0
	global_load_u8 v1, v[2:3], off
	s_mov_b32 s26, 0
	s_mov_b32 s28, -1
	s_wait_loadcnt 0x0
	v_cmp_ne_u16_e32 vcc_lo, 0, v1
	v_cndmask_b32_e64 v4, 0, 1, vcc_lo
	s_branch .LBB46_977
.LBB46_976:
	s_mov_b32 s26, -1
                                        ; implicit-def: $vgpr4
.LBB46_977:
	s_mov_b32 s27, 0
.LBB46_978:
	s_delay_alu instid0(SALU_CYCLE_1)
	s_and_b32 vcc_lo, exec_lo, s27
	s_cbranch_vccz .LBB46_1027
; %bb.979:
	s_and_b32 s0, 0xffff, s0
	s_delay_alu instid0(SALU_CYCLE_1)
	s_cmp_lt_i32 s0, 5
	s_cbranch_scc1 .LBB46_984
; %bb.980:
	s_cmp_lt_i32 s0, 8
	s_cbranch_scc1 .LBB46_985
; %bb.981:
	;; [unrolled: 3-line block ×3, first 2 shown]
	s_cmp_gt_i32 s0, 9
	s_cbranch_scc0 .LBB46_987
; %bb.983:
	s_wait_loadcnt 0x0
	global_load_b64 v[4:5], v[2:3], off
	s_mov_b32 s27, 0
	s_wait_loadcnt 0x0
	v_trunc_f64_e32 v[4:5], v[4:5]
	s_delay_alu instid0(VALU_DEP_1) | instskip(NEXT) | instid1(VALU_DEP_1)
	v_ldexp_f64 v[6:7], v[4:5], 0xffffffe0
	v_floor_f64_e32 v[6:7], v[6:7]
	s_delay_alu instid0(VALU_DEP_1) | instskip(NEXT) | instid1(VALU_DEP_1)
	v_fmamk_f64 v[4:5], v[6:7], 0xc1f00000, v[4:5]
	v_cvt_u32_f64_e32 v4, v[4:5]
	s_branch .LBB46_988
.LBB46_984:
	s_mov_b32 s27, -1
                                        ; implicit-def: $vgpr4
	s_branch .LBB46_1006
.LBB46_985:
	s_mov_b32 s27, -1
                                        ; implicit-def: $vgpr4
	s_branch .LBB46_994
.LBB46_986:
	s_mov_b32 s27, -1
                                        ; implicit-def: $vgpr4
	s_branch .LBB46_991
.LBB46_987:
	s_mov_b32 s27, -1
                                        ; implicit-def: $vgpr4
.LBB46_988:
	s_delay_alu instid0(SALU_CYCLE_1)
	s_and_not1_b32 vcc_lo, exec_lo, s27
	s_cbranch_vccnz .LBB46_990
; %bb.989:
	s_wait_loadcnt 0x0
	global_load_b32 v1, v[2:3], off
	s_wait_loadcnt 0x0
	v_trunc_f32_e32 v1, v1
	s_delay_alu instid0(VALU_DEP_1) | instskip(NEXT) | instid1(VALU_DEP_1)
	v_mul_f32_e64 v4, 0x2f800000, |v1|
	v_floor_f32_e32 v4, v4
	s_delay_alu instid0(VALU_DEP_1) | instskip(SKIP_1) | instid1(VALU_DEP_2)
	v_fma_f32 v4, 0xcf800000, v4, |v1|
	v_ashrrev_i32_e32 v1, 31, v1
	v_cvt_u32_f32_e32 v4, v4
	s_delay_alu instid0(VALU_DEP_1) | instskip(NEXT) | instid1(VALU_DEP_1)
	v_xor_b32_e32 v4, v4, v1
	v_sub_nc_u32_e32 v4, v4, v1
.LBB46_990:
	s_mov_b32 s27, 0
.LBB46_991:
	s_delay_alu instid0(SALU_CYCLE_1)
	s_and_not1_b32 vcc_lo, exec_lo, s27
	s_cbranch_vccnz .LBB46_993
; %bb.992:
	s_wait_loadcnt 0x0
	global_load_b32 v1, v[2:3], off
	s_wait_loadcnt 0x0
	v_cvt_f32_f16_e32 v1, v1
	s_delay_alu instid0(VALU_DEP_1)
	v_cvt_i32_f32_e32 v4, v1
.LBB46_993:
	s_mov_b32 s27, 0
.LBB46_994:
	s_delay_alu instid0(SALU_CYCLE_1)
	s_and_not1_b32 vcc_lo, exec_lo, s27
	s_cbranch_vccnz .LBB46_1005
; %bb.995:
	s_cmp_lt_i32 s0, 6
	s_cbranch_scc1 .LBB46_998
; %bb.996:
	s_cmp_gt_i32 s0, 6
	s_cbranch_scc0 .LBB46_999
; %bb.997:
	s_wait_loadcnt 0x0
	global_load_b64 v[4:5], v[2:3], off
	s_mov_b32 s27, 0
	s_wait_loadcnt 0x0
	v_trunc_f64_e32 v[4:5], v[4:5]
	s_delay_alu instid0(VALU_DEP_1) | instskip(NEXT) | instid1(VALU_DEP_1)
	v_ldexp_f64 v[6:7], v[4:5], 0xffffffe0
	v_floor_f64_e32 v[6:7], v[6:7]
	s_delay_alu instid0(VALU_DEP_1) | instskip(NEXT) | instid1(VALU_DEP_1)
	v_fmamk_f64 v[4:5], v[6:7], 0xc1f00000, v[4:5]
	v_cvt_u32_f64_e32 v4, v[4:5]
	s_branch .LBB46_1000
.LBB46_998:
	s_mov_b32 s27, -1
                                        ; implicit-def: $vgpr4
	s_branch .LBB46_1003
.LBB46_999:
	s_mov_b32 s27, -1
                                        ; implicit-def: $vgpr4
.LBB46_1000:
	s_delay_alu instid0(SALU_CYCLE_1)
	s_and_not1_b32 vcc_lo, exec_lo, s27
	s_cbranch_vccnz .LBB46_1002
; %bb.1001:
	s_wait_loadcnt 0x0
	global_load_b32 v1, v[2:3], off
	s_wait_loadcnt 0x0
	v_trunc_f32_e32 v1, v1
	s_delay_alu instid0(VALU_DEP_1) | instskip(NEXT) | instid1(VALU_DEP_1)
	v_mul_f32_e64 v4, 0x2f800000, |v1|
	v_floor_f32_e32 v4, v4
	s_delay_alu instid0(VALU_DEP_1) | instskip(SKIP_1) | instid1(VALU_DEP_2)
	v_fma_f32 v4, 0xcf800000, v4, |v1|
	v_ashrrev_i32_e32 v1, 31, v1
	v_cvt_u32_f32_e32 v4, v4
	s_delay_alu instid0(VALU_DEP_1) | instskip(NEXT) | instid1(VALU_DEP_1)
	v_xor_b32_e32 v4, v4, v1
	v_sub_nc_u32_e32 v4, v4, v1
.LBB46_1002:
	s_mov_b32 s27, 0
.LBB46_1003:
	s_delay_alu instid0(SALU_CYCLE_1)
	s_and_not1_b32 vcc_lo, exec_lo, s27
	s_cbranch_vccnz .LBB46_1005
; %bb.1004:
	s_wait_loadcnt 0x0
	global_load_u16 v1, v[2:3], off
	s_wait_loadcnt 0x0
	v_cvt_f32_f16_e32 v1, v1
	s_delay_alu instid0(VALU_DEP_1)
	v_cvt_i32_f32_e32 v4, v1
.LBB46_1005:
	s_mov_b32 s27, 0
.LBB46_1006:
	s_delay_alu instid0(SALU_CYCLE_1)
	s_and_not1_b32 vcc_lo, exec_lo, s27
	s_cbranch_vccnz .LBB46_1026
; %bb.1007:
	s_cmp_lt_i32 s0, 2
	s_cbranch_scc1 .LBB46_1011
; %bb.1008:
	s_cmp_lt_i32 s0, 3
	s_cbranch_scc1 .LBB46_1012
; %bb.1009:
	s_cmp_gt_i32 s0, 3
	s_cbranch_scc0 .LBB46_1013
; %bb.1010:
	s_wait_loadcnt 0x0
	global_load_b64 v[4:5], v[2:3], off
	s_mov_b32 s27, 0
	s_branch .LBB46_1014
.LBB46_1011:
	s_mov_b32 s27, -1
                                        ; implicit-def: $vgpr4
	s_branch .LBB46_1020
.LBB46_1012:
	s_mov_b32 s27, -1
                                        ; implicit-def: $vgpr4
	s_branch .LBB46_1017
.LBB46_1013:
	s_mov_b32 s27, -1
                                        ; implicit-def: $vgpr4
.LBB46_1014:
	s_delay_alu instid0(SALU_CYCLE_1)
	s_and_not1_b32 vcc_lo, exec_lo, s27
	s_cbranch_vccnz .LBB46_1016
; %bb.1015:
	s_wait_loadcnt 0x0
	global_load_b32 v4, v[2:3], off
.LBB46_1016:
	s_mov_b32 s27, 0
.LBB46_1017:
	s_delay_alu instid0(SALU_CYCLE_1)
	s_and_not1_b32 vcc_lo, exec_lo, s27
	s_cbranch_vccnz .LBB46_1019
; %bb.1018:
	s_wait_loadcnt 0x0
	global_load_u16 v4, v[2:3], off
.LBB46_1019:
	s_mov_b32 s27, 0
.LBB46_1020:
	s_delay_alu instid0(SALU_CYCLE_1)
	s_and_not1_b32 vcc_lo, exec_lo, s27
	s_cbranch_vccnz .LBB46_1026
; %bb.1021:
	s_cmp_gt_i32 s0, 0
	s_mov_b32 s0, 0
	s_cbranch_scc0 .LBB46_1023
; %bb.1022:
	s_wait_loadcnt 0x0
	global_load_u8 v4, v[2:3], off
	s_branch .LBB46_1024
.LBB46_1023:
	s_mov_b32 s0, -1
                                        ; implicit-def: $vgpr4
.LBB46_1024:
	s_delay_alu instid0(SALU_CYCLE_1)
	s_and_not1_b32 vcc_lo, exec_lo, s0
	s_cbranch_vccnz .LBB46_1026
; %bb.1025:
	s_wait_loadcnt 0x0
	global_load_u8 v4, v[2:3], off
.LBB46_1026:
	s_mov_b32 s28, -1
.LBB46_1027:
	s_delay_alu instid0(SALU_CYCLE_1)
	s_and_not1_b32 vcc_lo, exec_lo, s28
	s_cbranch_vccnz .LBB46_1041
; %bb.1028:
	s_wait_loadcnt 0x0
	s_delay_alu instid0(VALU_DEP_4) | instskip(SKIP_1) | instid1(VALU_DEP_1)
	v_and_b32_e32 v1, 0xff, v0
	s_mov_b32 s27, 0
	v_cmp_ne_u16_e32 vcc_lo, 0, v1
	s_delay_alu instid0(VALU_DEP_3)
	v_mov_b32_e32 v1, v4
	s_wait_xcnt 0x0
	s_and_saveexec_b32 s0, vcc_lo
	s_cbranch_execz .LBB46_1032
; %bb.1029:
	v_dual_mov_b32 v3, v0 :: v_dual_mov_b32 v2, v4
.LBB46_1030:                            ; =>This Inner Loop Header: Depth=1
	s_delay_alu instid0(VALU_DEP_1) | instskip(NEXT) | instid1(VALU_DEP_2)
	v_cvt_f32_ubyte0_e32 v6, v2
	v_mov_b32_e32 v1, v3
	s_delay_alu instid0(VALU_DEP_1) | instskip(NEXT) | instid1(VALU_DEP_1)
	v_cvt_f32_ubyte0_e32 v3, v1
	v_rcp_iflag_f32_e32 v5, v3
	v_nop
	s_delay_alu instid0(TRANS32_DEP_1) | instskip(NEXT) | instid1(VALU_DEP_1)
	v_mul_f32_e32 v5, v6, v5
	v_trunc_f32_e32 v5, v5
	s_delay_alu instid0(VALU_DEP_1) | instskip(SKIP_1) | instid1(VALU_DEP_2)
	v_fma_f32 v6, -v5, v3, v6
	v_cvt_u32_f32_e32 v5, v5
	v_cmp_ge_f32_e64 vcc_lo, |v6|, v3
	s_delay_alu instid0(VALU_DEP_1) | instskip(NEXT) | instid1(VALU_DEP_1)
	v_add_co_ci_u32_e64 v3, null, 0, v5, vcc_lo
	v_mul_lo_u32 v3, v3, v1
	s_delay_alu instid0(VALU_DEP_1) | instskip(NEXT) | instid1(VALU_DEP_1)
	v_sub_nc_u32_e32 v2, v2, v3
	v_and_b32_e32 v3, 0xff, v2
	v_mov_b32_e32 v2, v1
	s_delay_alu instid0(VALU_DEP_2) | instskip(SKIP_1) | instid1(SALU_CYCLE_1)
	v_cmp_eq_u16_e32 vcc_lo, 0, v3
	s_or_b32 s27, vcc_lo, s27
	s_and_not1_b32 exec_lo, exec_lo, s27
	s_cbranch_execnz .LBB46_1030
; %bb.1031:
	s_or_b32 exec_lo, exec_lo, s27
.LBB46_1032:
	s_delay_alu instid0(SALU_CYCLE_1) | instskip(SKIP_3) | instid1(VALU_DEP_2)
	s_or_b32 exec_lo, exec_lo, s0
	v_and_b32_e32 v3, 0xff, v1
	v_mov_b32_e32 v2, 0
	s_mov_b32 s0, exec_lo
	v_cmpx_ne_u16_e32 0, v3
	s_cbranch_execz .LBB46_1034
; %bb.1033:
	v_cvt_f32_ubyte0_e32 v1, v1
	v_cvt_f32_ubyte0_e32 v0, v0
	s_delay_alu instid0(VALU_DEP_2) | instskip(SKIP_1) | instid1(TRANS32_DEP_1)
	v_rcp_iflag_f32_e32 v2, v1
	v_nop
	v_mul_f32_e32 v2, v0, v2
	s_delay_alu instid0(VALU_DEP_1) | instskip(NEXT) | instid1(VALU_DEP_1)
	v_trunc_f32_e32 v2, v2
	v_fma_f32 v0, -v2, v1, v0
	v_cvt_u32_f32_e32 v2, v2
	s_delay_alu instid0(VALU_DEP_2) | instskip(NEXT) | instid1(VALU_DEP_1)
	v_cmp_ge_f32_e64 vcc_lo, |v0|, v1
	v_add_co_ci_u32_e64 v0, null, 0, v2, vcc_lo
	s_delay_alu instid0(VALU_DEP_1)
	v_mul_lo_u16 v2, v0, v4
.LBB46_1034:
	s_or_b32 exec_lo, exec_lo, s0
	v_mul_lo_u32 v0, v10, s8
	s_and_b32 s27, s11, 0xff
	s_delay_alu instid0(SALU_CYCLE_1) | instskip(NEXT) | instid1(VALU_DEP_1)
	s_cmp_lt_i32 s27, 11
	v_ashrrev_i32_e32 v1, 31, v0
	s_delay_alu instid0(VALU_DEP_1)
	v_add_nc_u64_e32 v[0:1], s[4:5], v[0:1]
	s_cbranch_scc1 .LBB46_1042
; %bb.1035:
	s_and_b32 s28, 0xffff, s27
	s_delay_alu instid0(SALU_CYCLE_1)
	s_cmp_gt_i32 s28, 25
	s_cbranch_scc0 .LBB46_1043
; %bb.1036:
	s_cmp_gt_i32 s28, 28
	s_cbranch_scc0 .LBB46_1044
; %bb.1037:
	;; [unrolled: 3-line block ×4, first 2 shown]
	s_mov_b32 s30, 0
	s_mov_b32 s0, -1
	s_cmp_eq_u32 s28, 46
	s_mov_b32 s29, 0
	s_cbranch_scc0 .LBB46_1047
; %bb.1040:
	v_cvt_f32_ubyte0_e32 v3, v2
	s_mov_b32 s29, -1
	s_mov_b32 s0, 0
	s_delay_alu instid0(VALU_DEP_1) | instskip(NEXT) | instid1(VALU_DEP_1)
	v_bfe_u32 v4, v3, 16, 1
	v_add3_u32 v3, v3, v4, 0x7fff
	s_delay_alu instid0(VALU_DEP_1)
	v_lshrrev_b32_e32 v3, 16, v3
	global_store_b32 v[0:1], v3, off
	s_branch .LBB46_1047
.LBB46_1041:
	s_mov_b32 s28, 0
	s_mov_b32 s0, s21
	s_branch .LBB46_1158
.LBB46_1042:
	s_mov_b32 s28, -1
	s_mov_b32 s29, 0
	s_mov_b32 s0, s21
	s_branch .LBB46_1116
.LBB46_1043:
	s_mov_b32 s30, -1
	s_mov_b32 s29, 0
	s_mov_b32 s0, s21
	s_branch .LBB46_1074
.LBB46_1044:
	s_mov_b32 s30, -1
	s_mov_b32 s29, 0
	s_mov_b32 s0, s21
	s_branch .LBB46_1057
.LBB46_1045:
	s_mov_b32 s30, -1
	s_mov_b32 s29, 0
	s_mov_b32 s0, s21
	s_branch .LBB46_1053
.LBB46_1046:
	s_mov_b32 s30, -1
	s_mov_b32 s29, 0
	s_mov_b32 s0, s21
.LBB46_1047:
	s_and_b32 vcc_lo, exec_lo, s30
	s_cbranch_vccz .LBB46_1052
; %bb.1048:
	s_cmp_eq_u32 s28, 44
	s_mov_b32 s0, -1
	s_cbranch_scc0 .LBB46_1052
; %bb.1049:
	v_cvt_f32_ubyte0_e32 v5, v2
	s_mov_b32 s29, exec_lo
	s_wait_xcnt 0x0
	s_delay_alu instid0(VALU_DEP_1) | instskip(NEXT) | instid1(VALU_DEP_1)
	v_dual_mov_b32 v4, 0xff :: v_dual_lshrrev_b32 v3, 23, v5
	v_cmpx_ne_u32_e32 0xff, v3
; %bb.1050:
	v_and_b32_e32 v4, 0x400000, v5
	v_and_or_b32 v5, 0x3fffff, v5, v3
	s_delay_alu instid0(VALU_DEP_2) | instskip(NEXT) | instid1(VALU_DEP_2)
	v_cmp_ne_u32_e32 vcc_lo, 0, v4
	v_cmp_ne_u32_e64 s0, 0, v5
	s_and_b32 s0, vcc_lo, s0
	s_delay_alu instid0(SALU_CYCLE_1) | instskip(NEXT) | instid1(VALU_DEP_1)
	v_cndmask_b32_e64 v4, 0, 1, s0
	v_add_nc_u32_e32 v4, v3, v4
; %bb.1051:
	s_or_b32 exec_lo, exec_lo, s29
	s_mov_b32 s29, -1
	s_mov_b32 s0, 0
	global_store_b8 v[0:1], v4, off
.LBB46_1052:
	s_mov_b32 s30, 0
.LBB46_1053:
	s_delay_alu instid0(SALU_CYCLE_1)
	s_and_b32 vcc_lo, exec_lo, s30
	s_cbranch_vccz .LBB46_1056
; %bb.1054:
	s_cmp_eq_u32 s28, 29
	s_mov_b32 s0, -1
	s_cbranch_scc0 .LBB46_1056
; %bb.1055:
	s_wait_xcnt 0x0
	v_and_b32_e32 v4, 0xff, v2
	v_mov_b32_e32 v5, 0
	s_mov_b32 s29, -1
	s_mov_b32 s0, 0
	s_mov_b32 s30, 0
	global_store_b64 v[0:1], v[4:5], off
	s_branch .LBB46_1057
.LBB46_1056:
	s_mov_b32 s30, 0
.LBB46_1057:
	s_delay_alu instid0(SALU_CYCLE_1)
	s_and_b32 vcc_lo, exec_lo, s30
	s_cbranch_vccz .LBB46_1073
; %bb.1058:
	s_cmp_lt_i32 s28, 27
	s_mov_b32 s29, -1
	s_cbranch_scc1 .LBB46_1064
; %bb.1059:
	s_cmp_gt_i32 s28, 27
	s_cbranch_scc0 .LBB46_1061
; %bb.1060:
	s_wait_xcnt 0x0
	v_and_b32_e32 v3, 0xff, v2
	s_mov_b32 s29, 0
	global_store_b32 v[0:1], v3, off
.LBB46_1061:
	s_and_not1_b32 vcc_lo, exec_lo, s29
	s_cbranch_vccnz .LBB46_1063
; %bb.1062:
	s_wait_xcnt 0x0
	v_and_b32_e32 v3, 0xff, v2
	global_store_b16 v[0:1], v3, off
.LBB46_1063:
	s_mov_b32 s29, 0
.LBB46_1064:
	s_delay_alu instid0(SALU_CYCLE_1)
	s_and_not1_b32 vcc_lo, exec_lo, s29
	s_cbranch_vccnz .LBB46_1072
; %bb.1065:
	s_wait_xcnt 0x0
	v_cvt_f32_ubyte0_e32 v4, v2
	v_mov_b32_e32 v5, 0x80
	s_mov_b32 s29, exec_lo
	s_delay_alu instid0(VALU_DEP_2)
	v_cmpx_gt_u32_e32 0x43800000, v4
	s_cbranch_execz .LBB46_1071
; %bb.1066:
	s_mov_b32 s30, 0
	s_mov_b32 s31, exec_lo
                                        ; implicit-def: $vgpr3
	v_cmpx_lt_u32_e32 0x3bffffff, v4
	s_xor_b32 s31, exec_lo, s31
	s_cbranch_execz .LBB46_1174
; %bb.1067:
	v_bfe_u32 v3, v4, 20, 1
	s_mov_b32 s30, exec_lo
	s_delay_alu instid0(VALU_DEP_1) | instskip(NEXT) | instid1(VALU_DEP_1)
	v_add3_u32 v3, v4, v3, 0x487ffff
                                        ; implicit-def: $vgpr4
	v_lshrrev_b32_e32 v3, 20, v3
	s_and_not1_saveexec_b32 s31, s31
	s_cbranch_execnz .LBB46_1175
.LBB46_1068:
	s_or_b32 exec_lo, exec_lo, s31
	v_mov_b32_e32 v5, 0
	s_and_saveexec_b32 s31, s30
.LBB46_1069:
	v_mov_b32_e32 v5, v3
.LBB46_1070:
	s_or_b32 exec_lo, exec_lo, s31
.LBB46_1071:
	s_delay_alu instid0(SALU_CYCLE_1)
	s_or_b32 exec_lo, exec_lo, s29
	global_store_b8 v[0:1], v5, off
.LBB46_1072:
	s_mov_b32 s29, -1
.LBB46_1073:
	s_mov_b32 s30, 0
.LBB46_1074:
	s_delay_alu instid0(SALU_CYCLE_1)
	s_and_b32 vcc_lo, exec_lo, s30
	s_cbranch_vccz .LBB46_1115
; %bb.1075:
	s_cmp_gt_i32 s28, 22
	s_mov_b32 s30, -1
	s_cbranch_scc0 .LBB46_1107
; %bb.1076:
	s_cmp_lt_i32 s28, 24
	s_mov_b32 s29, -1
	s_cbranch_scc1 .LBB46_1096
; %bb.1077:
	s_cmp_gt_i32 s28, 24
	s_cbranch_scc0 .LBB46_1085
; %bb.1078:
	s_wait_xcnt 0x0
	v_cvt_f32_ubyte0_e32 v4, v2
	v_mov_b32_e32 v5, 0x80
	s_mov_b32 s29, exec_lo
	s_delay_alu instid0(VALU_DEP_2)
	v_cmpx_gt_u32_e32 0x47800000, v4
	s_cbranch_execz .LBB46_1084
; %bb.1079:
	s_mov_b32 s30, 0
	s_mov_b32 s31, exec_lo
                                        ; implicit-def: $vgpr3
	v_cmpx_lt_u32_e32 0x37ffffff, v4
	s_xor_b32 s31, exec_lo, s31
	s_cbranch_execz .LBB46_2191
; %bb.1080:
	v_bfe_u32 v3, v4, 21, 1
	s_mov_b32 s30, exec_lo
	s_delay_alu instid0(VALU_DEP_1) | instskip(NEXT) | instid1(VALU_DEP_1)
	v_add3_u32 v3, v4, v3, 0x88fffff
                                        ; implicit-def: $vgpr4
	v_lshrrev_b32_e32 v3, 21, v3
	s_and_not1_saveexec_b32 s31, s31
	s_cbranch_execnz .LBB46_2192
.LBB46_1081:
	s_or_b32 exec_lo, exec_lo, s31
	v_mov_b32_e32 v5, 0
	s_and_saveexec_b32 s31, s30
.LBB46_1082:
	v_mov_b32_e32 v5, v3
.LBB46_1083:
	s_or_b32 exec_lo, exec_lo, s31
.LBB46_1084:
	s_delay_alu instid0(SALU_CYCLE_1)
	s_or_b32 exec_lo, exec_lo, s29
	s_mov_b32 s29, 0
	global_store_b8 v[0:1], v5, off
.LBB46_1085:
	s_and_b32 vcc_lo, exec_lo, s29
	s_cbranch_vccz .LBB46_1095
; %bb.1086:
	s_wait_xcnt 0x0
	v_cvt_f32_ubyte0_e32 v4, v2
	s_mov_b32 s29, exec_lo
                                        ; implicit-def: $vgpr3
	s_delay_alu instid0(VALU_DEP_1)
	v_cmpx_gt_u32_e32 0x43f00000, v4
	s_xor_b32 s29, exec_lo, s29
	s_cbranch_execz .LBB46_1092
; %bb.1087:
	s_mov_b32 s30, exec_lo
                                        ; implicit-def: $vgpr3
	v_cmpx_lt_u32_e32 0x3c7fffff, v4
	s_xor_b32 s30, exec_lo, s30
; %bb.1088:
	v_bfe_u32 v3, v4, 20, 1
	s_delay_alu instid0(VALU_DEP_1) | instskip(NEXT) | instid1(VALU_DEP_1)
	v_add3_u32 v3, v4, v3, 0x407ffff
	v_and_b32_e32 v4, 0xff00000, v3
	v_lshrrev_b32_e32 v3, 20, v3
	s_delay_alu instid0(VALU_DEP_2) | instskip(NEXT) | instid1(VALU_DEP_2)
	v_cmp_ne_u32_e32 vcc_lo, 0x7f00000, v4
                                        ; implicit-def: $vgpr4
	v_cndmask_b32_e32 v3, 0x7e, v3, vcc_lo
; %bb.1089:
	s_and_not1_saveexec_b32 s30, s30
; %bb.1090:
	v_add_f32_e32 v3, 0x46800000, v4
; %bb.1091:
	s_or_b32 exec_lo, exec_lo, s30
                                        ; implicit-def: $vgpr4
.LBB46_1092:
	s_and_not1_saveexec_b32 s29, s29
; %bb.1093:
	v_mov_b32_e32 v3, 0x7f
	v_cmp_lt_u32_e32 vcc_lo, 0x7f800000, v4
	s_delay_alu instid0(VALU_DEP_2)
	v_cndmask_b32_e32 v3, 0x7e, v3, vcc_lo
; %bb.1094:
	s_or_b32 exec_lo, exec_lo, s29
	global_store_b8 v[0:1], v3, off
.LBB46_1095:
	s_mov_b32 s29, 0
.LBB46_1096:
	s_delay_alu instid0(SALU_CYCLE_1)
	s_and_not1_b32 vcc_lo, exec_lo, s29
	s_cbranch_vccnz .LBB46_1106
; %bb.1097:
	s_wait_xcnt 0x0
	v_cvt_f32_ubyte0_e32 v4, v2
	s_mov_b32 s29, exec_lo
                                        ; implicit-def: $vgpr3
	s_delay_alu instid0(VALU_DEP_1)
	v_cmpx_gt_u32_e32 0x47800000, v4
	s_xor_b32 s29, exec_lo, s29
	s_cbranch_execz .LBB46_1103
; %bb.1098:
	s_mov_b32 s30, exec_lo
                                        ; implicit-def: $vgpr3
	v_cmpx_lt_u32_e32 0x387fffff, v4
	s_xor_b32 s30, exec_lo, s30
; %bb.1099:
	v_bfe_u32 v3, v4, 21, 1
	s_delay_alu instid0(VALU_DEP_1) | instskip(NEXT) | instid1(VALU_DEP_1)
	v_add3_u32 v3, v4, v3, 0x80fffff
                                        ; implicit-def: $vgpr4
	v_lshrrev_b32_e32 v3, 21, v3
; %bb.1100:
	s_and_not1_saveexec_b32 s30, s30
; %bb.1101:
	v_add_f32_e32 v3, 0x43000000, v4
; %bb.1102:
	s_or_b32 exec_lo, exec_lo, s30
                                        ; implicit-def: $vgpr4
.LBB46_1103:
	s_and_not1_saveexec_b32 s29, s29
; %bb.1104:
	v_mov_b32_e32 v3, 0x7f
	v_cmp_lt_u32_e32 vcc_lo, 0x7f800000, v4
	s_delay_alu instid0(VALU_DEP_2)
	v_cndmask_b32_e32 v3, 0x7c, v3, vcc_lo
; %bb.1105:
	s_or_b32 exec_lo, exec_lo, s29
	global_store_b8 v[0:1], v3, off
.LBB46_1106:
	s_mov_b32 s30, 0
	s_mov_b32 s29, -1
.LBB46_1107:
	s_and_not1_b32 vcc_lo, exec_lo, s30
	s_cbranch_vccnz .LBB46_1115
; %bb.1108:
	s_cmp_gt_i32 s28, 14
	s_mov_b32 s30, -1
	s_cbranch_scc0 .LBB46_1112
; %bb.1109:
	s_cmp_eq_u32 s28, 15
	s_mov_b32 s0, -1
	s_cbranch_scc0 .LBB46_1111
; %bb.1110:
	s_wait_xcnt 0x0
	v_cvt_f32_ubyte0_e32 v3, v2
	s_mov_b32 s29, -1
	s_mov_b32 s0, 0
	s_delay_alu instid0(VALU_DEP_1) | instskip(NEXT) | instid1(VALU_DEP_1)
	v_bfe_u32 v4, v3, 16, 1
	v_add3_u32 v3, v3, v4, 0x7fff
	global_store_d16_hi_b16 v[0:1], v3, off
.LBB46_1111:
	s_mov_b32 s30, 0
.LBB46_1112:
	s_delay_alu instid0(SALU_CYCLE_1)
	s_and_b32 vcc_lo, exec_lo, s30
	s_cbranch_vccz .LBB46_1115
; %bb.1113:
	s_cmp_eq_u32 s28, 11
	s_mov_b32 s0, -1
	s_cbranch_scc0 .LBB46_1115
; %bb.1114:
	s_wait_xcnt 0x0
	v_and_b32_e32 v3, 0xff, v2
	s_mov_b32 s0, 0
	s_mov_b32 s29, -1
	s_delay_alu instid0(VALU_DEP_1)
	v_cmp_ne_u16_e32 vcc_lo, 0, v3
	v_cndmask_b32_e64 v3, 0, 1, vcc_lo
	global_store_b8 v[0:1], v3, off
.LBB46_1115:
	s_mov_b32 s28, 0
.LBB46_1116:
	s_delay_alu instid0(SALU_CYCLE_1)
	s_and_b32 vcc_lo, exec_lo, s28
	s_cbranch_vccz .LBB46_1155
; %bb.1117:
	s_and_b32 s27, 0xffff, s27
	s_mov_b32 s28, -1
	s_cmp_lt_i32 s27, 5
	s_cbranch_scc1 .LBB46_1138
; %bb.1118:
	s_cmp_lt_i32 s27, 8
	s_cbranch_scc1 .LBB46_1128
; %bb.1119:
	;; [unrolled: 3-line block ×3, first 2 shown]
	s_cmp_gt_i32 s27, 9
	s_cbranch_scc0 .LBB46_1122
; %bb.1121:
	s_wait_xcnt 0x0
	v_and_b32_e32 v3, 0xff, v2
	v_mov_b32_e32 v6, 0
	s_mov_b32 s28, 0
	s_delay_alu instid0(VALU_DEP_2) | instskip(NEXT) | instid1(VALU_DEP_2)
	v_and_b32_e32 v3, 0xffff, v3
	v_mov_b32_e32 v7, v6
	s_delay_alu instid0(VALU_DEP_2)
	v_cvt_f64_u32_e32 v[4:5], v3
	global_store_b128 v[0:1], v[4:7], off
.LBB46_1122:
	s_and_not1_b32 vcc_lo, exec_lo, s28
	s_cbranch_vccnz .LBB46_1124
; %bb.1123:
	s_wait_xcnt 0x0
	v_cvt_f32_ubyte0_e32 v4, v2
	v_mov_b32_e32 v5, 0
	global_store_b64 v[0:1], v[4:5], off
.LBB46_1124:
	s_mov_b32 s28, 0
.LBB46_1125:
	s_delay_alu instid0(SALU_CYCLE_1)
	s_and_not1_b32 vcc_lo, exec_lo, s28
	s_cbranch_vccnz .LBB46_1127
; %bb.1126:
	s_wait_xcnt 0x0
	v_and_b32_e32 v3, 0xff, v2
	s_delay_alu instid0(VALU_DEP_1) | instskip(NEXT) | instid1(VALU_DEP_1)
	v_cvt_f16_u16_e32 v3, v3
	v_and_b32_e32 v3, 0xffff, v3
	global_store_b32 v[0:1], v3, off
.LBB46_1127:
	s_mov_b32 s28, 0
.LBB46_1128:
	s_delay_alu instid0(SALU_CYCLE_1)
	s_and_not1_b32 vcc_lo, exec_lo, s28
	s_cbranch_vccnz .LBB46_1137
; %bb.1129:
	s_cmp_lt_i32 s27, 6
	s_mov_b32 s28, -1
	s_cbranch_scc1 .LBB46_1135
; %bb.1130:
	s_cmp_gt_i32 s27, 6
	s_cbranch_scc0 .LBB46_1132
; %bb.1131:
	s_wait_xcnt 0x0
	v_and_b32_e32 v3, 0xff, v2
	s_mov_b32 s28, 0
	s_delay_alu instid0(VALU_DEP_1) | instskip(NEXT) | instid1(VALU_DEP_1)
	v_and_b32_e32 v3, 0xffff, v3
	v_cvt_f64_u32_e32 v[4:5], v3
	global_store_b64 v[0:1], v[4:5], off
.LBB46_1132:
	s_and_not1_b32 vcc_lo, exec_lo, s28
	s_cbranch_vccnz .LBB46_1134
; %bb.1133:
	s_wait_xcnt 0x0
	v_cvt_f32_ubyte0_e32 v3, v2
	global_store_b32 v[0:1], v3, off
.LBB46_1134:
	s_mov_b32 s28, 0
.LBB46_1135:
	s_delay_alu instid0(SALU_CYCLE_1)
	s_and_not1_b32 vcc_lo, exec_lo, s28
	s_cbranch_vccnz .LBB46_1137
; %bb.1136:
	s_wait_xcnt 0x0
	v_and_b32_e32 v3, 0xff, v2
	s_delay_alu instid0(VALU_DEP_1)
	v_cvt_f16_u16_e32 v3, v3
	global_store_b16 v[0:1], v3, off
.LBB46_1137:
	s_mov_b32 s28, 0
.LBB46_1138:
	s_delay_alu instid0(SALU_CYCLE_1)
	s_and_not1_b32 vcc_lo, exec_lo, s28
	s_cbranch_vccnz .LBB46_1154
; %bb.1139:
	s_cmp_lt_i32 s27, 2
	s_mov_b32 s28, -1
	s_cbranch_scc1 .LBB46_1149
; %bb.1140:
	s_cmp_lt_i32 s27, 3
	s_cbranch_scc1 .LBB46_1146
; %bb.1141:
	s_cmp_gt_i32 s27, 3
	s_cbranch_scc0 .LBB46_1143
; %bb.1142:
	s_wait_xcnt 0x0
	v_and_b32_e32 v4, 0xff, v2
	v_mov_b32_e32 v5, 0
	s_mov_b32 s28, 0
	global_store_b64 v[0:1], v[4:5], off
.LBB46_1143:
	s_and_not1_b32 vcc_lo, exec_lo, s28
	s_cbranch_vccnz .LBB46_1145
; %bb.1144:
	s_wait_xcnt 0x0
	v_and_b32_e32 v3, 0xff, v2
	global_store_b32 v[0:1], v3, off
.LBB46_1145:
	s_mov_b32 s28, 0
.LBB46_1146:
	s_delay_alu instid0(SALU_CYCLE_1)
	s_and_not1_b32 vcc_lo, exec_lo, s28
	s_cbranch_vccnz .LBB46_1148
; %bb.1147:
	s_wait_xcnt 0x0
	v_and_b32_e32 v3, 0xff, v2
	global_store_b16 v[0:1], v3, off
.LBB46_1148:
	s_mov_b32 s28, 0
.LBB46_1149:
	s_delay_alu instid0(SALU_CYCLE_1)
	s_and_not1_b32 vcc_lo, exec_lo, s28
	s_cbranch_vccnz .LBB46_1154
; %bb.1150:
	s_cmp_gt_i32 s27, 0
	s_mov_b32 s27, -1
	s_cbranch_scc0 .LBB46_1152
; %bb.1151:
	s_mov_b32 s27, 0
	global_store_b8 v[0:1], v2, off
.LBB46_1152:
	s_and_not1_b32 vcc_lo, exec_lo, s27
	s_cbranch_vccnz .LBB46_1154
; %bb.1153:
	global_store_b8 v[0:1], v2, off
.LBB46_1154:
	s_mov_b32 s29, -1
.LBB46_1155:
	s_delay_alu instid0(SALU_CYCLE_1)
	s_and_not1_b32 vcc_lo, exec_lo, s29
	s_cbranch_vccnz .LBB46_1157
; %bb.1156:
	v_add_nc_u32_e32 v10, 0x80, v10
	s_mov_b32 s28, -1
	s_branch .LBB46_1159
.LBB46_1157:
	s_mov_b32 s28, 0
.LBB46_1158:
                                        ; implicit-def: $vgpr10
.LBB46_1159:
	s_and_not1_b32 s27, s21, exec_lo
	s_and_b32 s0, s0, exec_lo
	s_and_b32 s26, s26, exec_lo
	s_or_b32 s27, s27, s0
	s_and_not1_b32 s0, s22, exec_lo
	s_and_not1_b32 s29, s20, exec_lo
	s_and_b32 s25, s25, exec_lo
	s_or_b32 s26, s0, s26
	s_or_b32 s25, s29, s25
	s_or_not1_b32 s31, s28, exec_lo
.LBB46_1160:
	s_wait_xcnt 0x0
	s_or_b32 exec_lo, exec_lo, s24
	s_mov_b32 s28, 0
	s_mov_b32 s29, 0
	;; [unrolled: 1-line block ×3, first 2 shown]
                                        ; implicit-def: $sgpr0
                                        ; implicit-def: $vgpr2_vgpr3
                                        ; implicit-def: $vgpr0
	s_and_saveexec_b32 s24, s31
	s_cbranch_execz .LBB46_1239
; %bb.1161:
	v_cmp_gt_i32_e32 vcc_lo, s16, v10
	s_mov_b32 s33, s25
	s_mov_b32 s31, 0
	;; [unrolled: 1-line block ×3, first 2 shown]
                                        ; implicit-def: $sgpr0
                                        ; implicit-def: $vgpr2_vgpr3
                                        ; implicit-def: $vgpr0
	s_and_saveexec_b32 s16, vcc_lo
	s_cbranch_execz .LBB46_1238
; %bb.1162:
	s_wait_loadcnt 0x0
	v_mul_lo_u32 v0, v10, s9
	s_and_b32 s0, s13, 0xff
	s_delay_alu instid0(SALU_CYCLE_1) | instskip(NEXT) | instid1(VALU_DEP_1)
	s_cmp_lt_i32 s0, 11
	v_ashrrev_i32_e32 v1, 31, v0
	s_delay_alu instid0(VALU_DEP_1)
	v_add_nc_u64_e32 v[2:3], s[6:7], v[0:1]
	s_cbranch_scc1 .LBB46_1169
; %bb.1163:
	s_and_b32 s28, 0xffff, s0
	s_delay_alu instid0(SALU_CYCLE_1)
	s_cmp_gt_i32 s28, 25
	s_cbranch_scc0 .LBB46_1170
; %bb.1164:
	s_cmp_gt_i32 s28, 28
	s_cbranch_scc0 .LBB46_1171
; %bb.1165:
	;; [unrolled: 3-line block ×4, first 2 shown]
	s_cmp_eq_u32 s28, 46
	s_mov_b32 s33, 0
	s_cbranch_scc0 .LBB46_1176
; %bb.1168:
	global_load_b32 v0, v[2:3], off
	s_mov_b32 s31, -1
	s_wait_loadcnt 0x0
	v_lshlrev_b32_e32 v0, 16, v0
	s_delay_alu instid0(VALU_DEP_1) | instskip(NEXT) | instid1(VALU_DEP_1)
	v_trunc_f32_e32 v0, v0
	v_mul_f32_e64 v1, 0x2f800000, |v0|
	s_delay_alu instid0(VALU_DEP_1) | instskip(NEXT) | instid1(VALU_DEP_1)
	v_floor_f32_e32 v1, v1
	v_fma_f32 v1, 0xcf800000, v1, |v0|
	v_ashrrev_i32_e32 v0, 31, v0
	s_delay_alu instid0(VALU_DEP_2) | instskip(NEXT) | instid1(VALU_DEP_1)
	v_cvt_u32_f32_e32 v1, v1
	v_xor_b32_e32 v1, v1, v0
	s_delay_alu instid0(VALU_DEP_1)
	v_sub_nc_u32_e32 v0, v1, v0
	s_branch .LBB46_1178
.LBB46_1169:
	s_mov_b32 s28, -1
	s_mov_b32 s29, s25
                                        ; implicit-def: $vgpr0
	s_branch .LBB46_1237
.LBB46_1170:
	s_mov_b32 s33, -1
	s_mov_b32 s29, s25
                                        ; implicit-def: $vgpr0
	s_branch .LBB46_1205
.LBB46_1171:
	s_mov_b32 s33, -1
	s_mov_b32 s29, s25
                                        ; implicit-def: $vgpr0
	s_branch .LBB46_1188
.LBB46_1172:
	s_mov_b32 s33, -1
	s_mov_b32 s29, s25
                                        ; implicit-def: $vgpr0
	s_branch .LBB46_1183
.LBB46_1173:
	s_mov_b32 s33, -1
	s_mov_b32 s29, s25
	s_branch .LBB46_1177
.LBB46_1174:
	s_and_not1_saveexec_b32 s31, s31
	s_cbranch_execz .LBB46_1068
.LBB46_1175:
	v_add_f32_e32 v3, 0x46000000, v4
	s_and_not1_b32 s30, s30, exec_lo
	s_delay_alu instid0(VALU_DEP_1) | instskip(NEXT) | instid1(VALU_DEP_1)
	v_and_b32_e32 v3, 0xff, v3
	v_cmp_ne_u32_e32 vcc_lo, 0, v3
	s_and_b32 s33, vcc_lo, exec_lo
	s_delay_alu instid0(SALU_CYCLE_1)
	s_or_b32 s30, s30, s33
	s_or_b32 exec_lo, exec_lo, s31
	v_mov_b32_e32 v5, 0
	s_and_saveexec_b32 s31, s30
	s_cbranch_execnz .LBB46_1069
	s_branch .LBB46_1070
.LBB46_1176:
	s_mov_b32 s29, -1
.LBB46_1177:
                                        ; implicit-def: $vgpr0
.LBB46_1178:
	s_and_b32 vcc_lo, exec_lo, s33
	s_cbranch_vccz .LBB46_1182
; %bb.1179:
	s_cmp_eq_u32 s28, 44
	s_cbranch_scc0 .LBB46_1181
; %bb.1180:
	global_load_u8 v0, v[2:3], off
	s_mov_b32 s29, 0
	s_mov_b32 s31, -1
	s_wait_loadcnt 0x0
	v_lshlrev_b32_e32 v1, 23, v0
	v_cmp_ne_u32_e32 vcc_lo, 0, v0
	s_delay_alu instid0(VALU_DEP_2) | instskip(NEXT) | instid1(VALU_DEP_1)
	v_trunc_f32_e32 v1, v1
	v_mul_f32_e64 v4, 0x2f800000, |v1|
	s_delay_alu instid0(VALU_DEP_1) | instskip(NEXT) | instid1(VALU_DEP_1)
	v_floor_f32_e32 v4, v4
	v_fma_f32 v4, 0xcf800000, v4, |v1|
	v_ashrrev_i32_e32 v1, 31, v1
	s_delay_alu instid0(VALU_DEP_2) | instskip(NEXT) | instid1(VALU_DEP_1)
	v_cvt_u32_f32_e32 v4, v4
	v_xor_b32_e32 v4, v4, v1
	s_delay_alu instid0(VALU_DEP_1) | instskip(NEXT) | instid1(VALU_DEP_1)
	v_sub_nc_u32_e32 v1, v4, v1
	v_cndmask_b32_e32 v0, 0, v1, vcc_lo
	s_branch .LBB46_1182
.LBB46_1181:
	s_mov_b32 s29, -1
                                        ; implicit-def: $vgpr0
.LBB46_1182:
	s_mov_b32 s33, 0
.LBB46_1183:
	s_delay_alu instid0(SALU_CYCLE_1)
	s_and_b32 vcc_lo, exec_lo, s33
	s_cbranch_vccz .LBB46_1187
; %bb.1184:
	s_cmp_eq_u32 s28, 29
	s_cbranch_scc0 .LBB46_1186
; %bb.1185:
	global_load_b64 v[0:1], v[2:3], off
	s_mov_b32 s29, 0
	s_mov_b32 s31, -1
	s_branch .LBB46_1187
.LBB46_1186:
	s_mov_b32 s29, -1
                                        ; implicit-def: $vgpr0
.LBB46_1187:
	s_mov_b32 s33, 0
.LBB46_1188:
	s_delay_alu instid0(SALU_CYCLE_1)
	s_and_b32 vcc_lo, exec_lo, s33
	s_cbranch_vccz .LBB46_1204
; %bb.1189:
	s_cmp_lt_i32 s28, 27
	s_cbranch_scc1 .LBB46_1192
; %bb.1190:
	s_cmp_gt_i32 s28, 27
	s_cbranch_scc0 .LBB46_1193
; %bb.1191:
	s_wait_loadcnt 0x0
	global_load_b32 v0, v[2:3], off
	s_mov_b32 s31, 0
	s_branch .LBB46_1194
.LBB46_1192:
	s_mov_b32 s31, -1
                                        ; implicit-def: $vgpr0
	s_branch .LBB46_1197
.LBB46_1193:
	s_mov_b32 s31, -1
                                        ; implicit-def: $vgpr0
.LBB46_1194:
	s_delay_alu instid0(SALU_CYCLE_1)
	s_and_not1_b32 vcc_lo, exec_lo, s31
	s_cbranch_vccnz .LBB46_1196
; %bb.1195:
	s_wait_loadcnt 0x0
	global_load_u16 v0, v[2:3], off
.LBB46_1196:
	s_mov_b32 s31, 0
.LBB46_1197:
	s_delay_alu instid0(SALU_CYCLE_1)
	s_and_not1_b32 vcc_lo, exec_lo, s31
	s_cbranch_vccnz .LBB46_1203
; %bb.1198:
	s_wait_loadcnt 0x0
	global_load_u8 v1, v[2:3], off
	s_mov_b32 s33, 0
	s_mov_b32 s31, exec_lo
	s_wait_loadcnt 0x0
	v_cmpx_lt_i16_e32 0x7f, v1
	s_xor_b32 s31, exec_lo, s31
	s_cbranch_execz .LBB46_1215
; %bb.1199:
	v_cmp_ne_u16_e32 vcc_lo, 0x80, v1
	s_and_b32 s33, vcc_lo, exec_lo
	s_and_not1_saveexec_b32 s31, s31
	s_cbranch_execnz .LBB46_1216
.LBB46_1200:
	s_or_b32 exec_lo, exec_lo, s31
	v_mov_b32_e32 v0, 0
	s_and_saveexec_b32 s31, s33
	s_cbranch_execz .LBB46_1202
.LBB46_1201:
	v_and_b32_e32 v0, 0xffff, v1
	s_delay_alu instid0(VALU_DEP_1) | instskip(SKIP_1) | instid1(VALU_DEP_2)
	v_and_b32_e32 v4, 7, v0
	v_bfe_u32 v7, v0, 3, 4
	v_clz_i32_u32_e32 v5, v4
	s_delay_alu instid0(VALU_DEP_2) | instskip(NEXT) | instid1(VALU_DEP_2)
	v_cmp_eq_u32_e32 vcc_lo, 0, v7
	v_min_u32_e32 v5, 32, v5
	s_delay_alu instid0(VALU_DEP_1) | instskip(NEXT) | instid1(VALU_DEP_1)
	v_subrev_nc_u32_e32 v6, 28, v5
	v_dual_lshlrev_b32 v0, v6, v0 :: v_dual_sub_nc_u32 v5, 29, v5
	s_delay_alu instid0(VALU_DEP_1) | instskip(NEXT) | instid1(VALU_DEP_1)
	v_dual_lshlrev_b32 v1, 24, v1 :: v_dual_bitop2_b32 v0, 7, v0 bitop3:0x40
	v_dual_cndmask_b32 v0, v4, v0 :: v_dual_cndmask_b32 v5, v7, v5
	s_delay_alu instid0(VALU_DEP_2) | instskip(NEXT) | instid1(VALU_DEP_2)
	v_and_b32_e32 v1, 0x80000000, v1
	v_lshlrev_b32_e32 v0, 20, v0
	s_delay_alu instid0(VALU_DEP_3) | instskip(NEXT) | instid1(VALU_DEP_1)
	v_lshl_add_u32 v4, v5, 23, 0x3b800000
	v_or3_b32 v0, v1, v4, v0
	s_delay_alu instid0(VALU_DEP_1) | instskip(NEXT) | instid1(VALU_DEP_1)
	v_trunc_f32_e32 v0, v0
	v_mul_f32_e64 v1, 0x2f800000, |v0|
	s_delay_alu instid0(VALU_DEP_1) | instskip(NEXT) | instid1(VALU_DEP_1)
	v_floor_f32_e32 v1, v1
	v_fma_f32 v1, 0xcf800000, v1, |v0|
	v_ashrrev_i32_e32 v0, 31, v0
	s_delay_alu instid0(VALU_DEP_2) | instskip(NEXT) | instid1(VALU_DEP_1)
	v_cvt_u32_f32_e32 v1, v1
	v_xor_b32_e32 v1, v1, v0
	s_delay_alu instid0(VALU_DEP_1)
	v_sub_nc_u32_e32 v0, v1, v0
.LBB46_1202:
	s_or_b32 exec_lo, exec_lo, s31
.LBB46_1203:
	s_mov_b32 s31, -1
.LBB46_1204:
	s_mov_b32 s33, 0
.LBB46_1205:
	s_delay_alu instid0(SALU_CYCLE_1)
	s_and_b32 vcc_lo, exec_lo, s33
	s_cbranch_vccz .LBB46_1236
; %bb.1206:
	s_cmp_gt_i32 s28, 22
	s_cbranch_scc0 .LBB46_1214
; %bb.1207:
	s_cmp_lt_i32 s28, 24
	s_cbranch_scc1 .LBB46_1217
; %bb.1208:
	s_cmp_gt_i32 s28, 24
	s_cbranch_scc0 .LBB46_1218
; %bb.1209:
	s_wait_loadcnt 0x0
	global_load_u8 v1, v[2:3], off
	s_mov_b32 s31, 0
	s_mov_b32 s30, exec_lo
	s_wait_loadcnt 0x0
	v_cmpx_lt_i16_e32 0x7f, v1
	s_xor_b32 s30, exec_lo, s30
	s_cbranch_execz .LBB46_1230
; %bb.1210:
	v_cmp_ne_u16_e32 vcc_lo, 0x80, v1
	s_and_b32 s31, vcc_lo, exec_lo
	s_and_not1_saveexec_b32 s30, s30
	s_cbranch_execnz .LBB46_1231
.LBB46_1211:
	s_or_b32 exec_lo, exec_lo, s30
	v_mov_b32_e32 v0, 0
	s_and_saveexec_b32 s30, s31
	s_cbranch_execz .LBB46_1213
.LBB46_1212:
	v_and_b32_e32 v0, 0xffff, v1
	s_delay_alu instid0(VALU_DEP_1) | instskip(SKIP_1) | instid1(VALU_DEP_2)
	v_and_b32_e32 v4, 3, v0
	v_bfe_u32 v7, v0, 2, 5
	v_clz_i32_u32_e32 v5, v4
	s_delay_alu instid0(VALU_DEP_2) | instskip(NEXT) | instid1(VALU_DEP_2)
	v_cmp_eq_u32_e32 vcc_lo, 0, v7
	v_min_u32_e32 v5, 32, v5
	s_delay_alu instid0(VALU_DEP_1) | instskip(NEXT) | instid1(VALU_DEP_1)
	v_subrev_nc_u32_e32 v6, 29, v5
	v_dual_lshlrev_b32 v0, v6, v0 :: v_dual_sub_nc_u32 v5, 30, v5
	s_delay_alu instid0(VALU_DEP_1) | instskip(NEXT) | instid1(VALU_DEP_1)
	v_dual_lshlrev_b32 v1, 24, v1 :: v_dual_bitop2_b32 v0, 3, v0 bitop3:0x40
	v_dual_cndmask_b32 v0, v4, v0 :: v_dual_cndmask_b32 v5, v7, v5
	s_delay_alu instid0(VALU_DEP_2) | instskip(NEXT) | instid1(VALU_DEP_2)
	v_and_b32_e32 v1, 0x80000000, v1
	v_lshlrev_b32_e32 v0, 21, v0
	s_delay_alu instid0(VALU_DEP_3) | instskip(NEXT) | instid1(VALU_DEP_1)
	v_lshl_add_u32 v4, v5, 23, 0x37800000
	v_or3_b32 v0, v1, v4, v0
	s_delay_alu instid0(VALU_DEP_1) | instskip(NEXT) | instid1(VALU_DEP_1)
	v_trunc_f32_e32 v0, v0
	v_mul_f32_e64 v1, 0x2f800000, |v0|
	s_delay_alu instid0(VALU_DEP_1) | instskip(NEXT) | instid1(VALU_DEP_1)
	v_floor_f32_e32 v1, v1
	v_fma_f32 v1, 0xcf800000, v1, |v0|
	v_ashrrev_i32_e32 v0, 31, v0
	s_delay_alu instid0(VALU_DEP_2) | instskip(NEXT) | instid1(VALU_DEP_1)
	v_cvt_u32_f32_e32 v1, v1
	v_xor_b32_e32 v1, v1, v0
	s_delay_alu instid0(VALU_DEP_1)
	v_sub_nc_u32_e32 v0, v1, v0
.LBB46_1213:
	s_or_b32 exec_lo, exec_lo, s30
	s_mov_b32 s30, 0
	s_branch .LBB46_1219
.LBB46_1214:
	s_mov_b32 s30, -1
                                        ; implicit-def: $vgpr0
	s_branch .LBB46_1225
.LBB46_1215:
	s_and_not1_saveexec_b32 s31, s31
	s_cbranch_execz .LBB46_1200
.LBB46_1216:
	v_cmp_ne_u16_e32 vcc_lo, 0, v1
	s_and_not1_b32 s33, s33, exec_lo
	s_and_b32 s34, vcc_lo, exec_lo
	s_delay_alu instid0(SALU_CYCLE_1)
	s_or_b32 s33, s33, s34
	s_or_b32 exec_lo, exec_lo, s31
	v_mov_b32_e32 v0, 0
	s_and_saveexec_b32 s31, s33
	s_cbranch_execnz .LBB46_1201
	s_branch .LBB46_1202
.LBB46_1217:
	s_mov_b32 s30, -1
                                        ; implicit-def: $vgpr0
	s_branch .LBB46_1222
.LBB46_1218:
	s_mov_b32 s30, -1
                                        ; implicit-def: $vgpr0
.LBB46_1219:
	s_delay_alu instid0(SALU_CYCLE_1)
	s_and_b32 vcc_lo, exec_lo, s30
	s_cbranch_vccz .LBB46_1221
; %bb.1220:
	s_wait_loadcnt 0x0
	global_load_u8 v0, v[2:3], off
	s_wait_loadcnt 0x0
	v_lshlrev_b32_e32 v0, 24, v0
	s_delay_alu instid0(VALU_DEP_1) | instskip(NEXT) | instid1(VALU_DEP_1)
	v_and_b32_e32 v1, 0x7f000000, v0
	v_clz_i32_u32_e32 v4, v1
	v_cmp_ne_u32_e32 vcc_lo, 0, v1
	v_add_nc_u32_e32 v6, 0x1000000, v1
	s_delay_alu instid0(VALU_DEP_3) | instskip(NEXT) | instid1(VALU_DEP_1)
	v_min_u32_e32 v4, 32, v4
	v_sub_nc_u32_e64 v4, v4, 4 clamp
	s_delay_alu instid0(VALU_DEP_1) | instskip(NEXT) | instid1(VALU_DEP_1)
	v_dual_lshlrev_b32 v5, v4, v1 :: v_dual_lshlrev_b32 v4, 23, v4
	v_lshrrev_b32_e32 v5, 4, v5
	s_delay_alu instid0(VALU_DEP_1) | instskip(NEXT) | instid1(VALU_DEP_1)
	v_dual_sub_nc_u32 v4, v5, v4 :: v_dual_ashrrev_i32 v5, 8, v6
	v_add_nc_u32_e32 v4, 0x3c000000, v4
	s_delay_alu instid0(VALU_DEP_1) | instskip(NEXT) | instid1(VALU_DEP_1)
	v_and_or_b32 v4, 0x7f800000, v5, v4
	v_cndmask_b32_e32 v1, 0, v4, vcc_lo
	s_delay_alu instid0(VALU_DEP_1) | instskip(NEXT) | instid1(VALU_DEP_1)
	v_and_or_b32 v0, 0x80000000, v0, v1
	v_trunc_f32_e32 v0, v0
	s_delay_alu instid0(VALU_DEP_1) | instskip(NEXT) | instid1(VALU_DEP_1)
	v_mul_f32_e64 v1, 0x2f800000, |v0|
	v_floor_f32_e32 v1, v1
	s_delay_alu instid0(VALU_DEP_1) | instskip(SKIP_1) | instid1(VALU_DEP_2)
	v_fma_f32 v1, 0xcf800000, v1, |v0|
	v_ashrrev_i32_e32 v0, 31, v0
	v_cvt_u32_f32_e32 v1, v1
	s_delay_alu instid0(VALU_DEP_1) | instskip(NEXT) | instid1(VALU_DEP_1)
	v_xor_b32_e32 v1, v1, v0
	v_sub_nc_u32_e32 v0, v1, v0
.LBB46_1221:
	s_mov_b32 s30, 0
.LBB46_1222:
	s_delay_alu instid0(SALU_CYCLE_1)
	s_and_not1_b32 vcc_lo, exec_lo, s30
	s_cbranch_vccnz .LBB46_1224
; %bb.1223:
	s_wait_loadcnt 0x0
	global_load_u8 v0, v[2:3], off
	s_wait_loadcnt 0x0
	v_lshlrev_b32_e32 v1, 25, v0
	v_lshlrev_b16 v0, 8, v0
	s_delay_alu instid0(VALU_DEP_1) | instskip(SKIP_1) | instid1(VALU_DEP_2)
	v_and_or_b32 v5, 0x7f00, v0, 0.5
	v_bfe_i32 v0, v0, 0, 16
	v_add_f32_e32 v5, -0.5, v5
	v_lshrrev_b32_e32 v4, 4, v1
	v_cmp_gt_u32_e32 vcc_lo, 0x8000000, v1
	s_delay_alu instid0(VALU_DEP_2) | instskip(NEXT) | instid1(VALU_DEP_1)
	v_or_b32_e32 v4, 0x70000000, v4
	v_mul_f32_e32 v4, 0x7800000, v4
	s_delay_alu instid0(VALU_DEP_1) | instskip(NEXT) | instid1(VALU_DEP_1)
	v_cndmask_b32_e32 v1, v4, v5, vcc_lo
	v_and_or_b32 v0, 0x80000000, v0, v1
	s_delay_alu instid0(VALU_DEP_1) | instskip(NEXT) | instid1(VALU_DEP_1)
	v_trunc_f32_e32 v0, v0
	v_mul_f32_e64 v1, 0x2f800000, |v0|
	s_delay_alu instid0(VALU_DEP_1) | instskip(NEXT) | instid1(VALU_DEP_1)
	v_floor_f32_e32 v1, v1
	v_fma_f32 v1, 0xcf800000, v1, |v0|
	v_ashrrev_i32_e32 v0, 31, v0
	s_delay_alu instid0(VALU_DEP_2) | instskip(NEXT) | instid1(VALU_DEP_1)
	v_cvt_u32_f32_e32 v1, v1
	v_xor_b32_e32 v1, v1, v0
	s_delay_alu instid0(VALU_DEP_1)
	v_sub_nc_u32_e32 v0, v1, v0
.LBB46_1224:
	s_mov_b32 s30, 0
	s_mov_b32 s31, -1
.LBB46_1225:
	s_and_not1_b32 vcc_lo, exec_lo, s30
	s_mov_b32 s30, 0
	s_cbranch_vccnz .LBB46_1236
; %bb.1226:
	s_cmp_gt_i32 s28, 14
	s_cbranch_scc0 .LBB46_1229
; %bb.1227:
	s_cmp_eq_u32 s28, 15
	s_cbranch_scc0 .LBB46_1232
; %bb.1228:
	s_wait_loadcnt 0x0
	global_load_u16 v0, v[2:3], off
	s_mov_b32 s29, 0
	s_mov_b32 s31, -1
	s_wait_loadcnt 0x0
	v_lshlrev_b32_e32 v0, 16, v0
	s_delay_alu instid0(VALU_DEP_1) | instskip(NEXT) | instid1(VALU_DEP_1)
	v_trunc_f32_e32 v0, v0
	v_mul_f32_e64 v1, 0x2f800000, |v0|
	s_delay_alu instid0(VALU_DEP_1) | instskip(NEXT) | instid1(VALU_DEP_1)
	v_floor_f32_e32 v1, v1
	v_fma_f32 v1, 0xcf800000, v1, |v0|
	v_ashrrev_i32_e32 v0, 31, v0
	s_delay_alu instid0(VALU_DEP_2) | instskip(NEXT) | instid1(VALU_DEP_1)
	v_cvt_u32_f32_e32 v1, v1
	v_xor_b32_e32 v1, v1, v0
	s_delay_alu instid0(VALU_DEP_1)
	v_sub_nc_u32_e32 v0, v1, v0
	s_branch .LBB46_1234
.LBB46_1229:
	s_mov_b32 s30, -1
	s_branch .LBB46_1233
.LBB46_1230:
	s_and_not1_saveexec_b32 s30, s30
	s_cbranch_execz .LBB46_1211
.LBB46_1231:
	v_cmp_ne_u16_e32 vcc_lo, 0, v1
	s_and_not1_b32 s31, s31, exec_lo
	s_and_b32 s33, vcc_lo, exec_lo
	s_delay_alu instid0(SALU_CYCLE_1)
	s_or_b32 s31, s31, s33
	s_or_b32 exec_lo, exec_lo, s30
	v_mov_b32_e32 v0, 0
	s_and_saveexec_b32 s30, s31
	s_cbranch_execnz .LBB46_1212
	s_branch .LBB46_1213
.LBB46_1232:
	s_mov_b32 s29, -1
.LBB46_1233:
                                        ; implicit-def: $vgpr0
.LBB46_1234:
	s_and_b32 vcc_lo, exec_lo, s30
	s_mov_b32 s30, 0
	s_cbranch_vccz .LBB46_1236
; %bb.1235:
	s_cmp_lg_u32 s28, 11
	s_mov_b32 s30, -1
	s_cselect_b32 s28, -1, 0
	s_and_not1_b32 s29, s29, exec_lo
	s_and_b32 s28, s28, exec_lo
	s_delay_alu instid0(SALU_CYCLE_1)
	s_or_b32 s29, s29, s28
.LBB46_1236:
	s_mov_b32 s28, 0
.LBB46_1237:
	s_and_not1_b32 s33, s25, exec_lo
	s_and_b32 s29, s29, exec_lo
	s_and_b32 s34, s31, exec_lo
	s_and_b32 s31, s28, exec_lo
	s_and_b32 s28, s30, exec_lo
	s_or_b32 s33, s33, s29
.LBB46_1238:
	s_wait_xcnt 0x0
	s_or_b32 exec_lo, exec_lo, s16
	s_delay_alu instid0(SALU_CYCLE_1)
	s_and_not1_b32 s16, s25, exec_lo
	s_and_b32 s25, s33, exec_lo
	s_and_b32 s30, s34, exec_lo
	;; [unrolled: 1-line block ×4, first 2 shown]
	s_or_b32 s25, s16, s25
.LBB46_1239:
	s_or_b32 exec_lo, exec_lo, s24
	s_delay_alu instid0(SALU_CYCLE_1)
	s_and_not1_b32 s16, s21, exec_lo
	s_and_b32 s21, s27, exec_lo
	s_and_not1_b32 s22, s22, exec_lo
	s_and_b32 s24, s26, exec_lo
	s_or_b32 s21, s16, s21
	s_and_not1_b32 s16, s20, exec_lo
	s_and_b32 s20, s25, exec_lo
	s_or_b32 s22, s22, s24
	s_and_b32 s27, s30, exec_lo
	s_and_b32 s26, s29, exec_lo
	;; [unrolled: 1-line block ×3, first 2 shown]
	s_or_b32 s20, s16, s20
.LBB46_1240:
	s_or_b32 exec_lo, exec_lo, s23
	s_delay_alu instid0(SALU_CYCLE_1)
	s_and_not1_b32 s15, s15, exec_lo
	s_and_b32 s16, s21, exec_lo
	s_and_not1_b32 s17, s17, exec_lo
	s_and_b32 s21, s22, exec_lo
	s_or_b32 s15, s15, s16
	s_and_not1_b32 s16, s18, exec_lo
	s_and_b32 s18, s20, exec_lo
	s_or_b32 s17, s17, s21
	s_and_b32 s21, s27, exec_lo
	s_and_b32 s22, s26, exec_lo
	;; [unrolled: 1-line block ×3, first 2 shown]
	s_or_b32 s18, s16, s18
	s_or_b32 exec_lo, exec_lo, s19
	s_mov_b32 s16, 0
	s_and_saveexec_b32 s19, s18
	s_cbranch_execz .LBB46_390
.LBB46_1241:
	s_mov_b32 s16, exec_lo
	s_and_not1_b32 s20, s20, exec_lo
	s_trap 2
	s_or_b32 exec_lo, exec_lo, s19
	s_and_saveexec_b32 s18, s20
	s_delay_alu instid0(SALU_CYCLE_1)
	s_xor_b32 s18, exec_lo, s18
	s_cbranch_execnz .LBB46_391
.LBB46_1242:
	s_or_b32 exec_lo, exec_lo, s18
	s_and_saveexec_b32 s18, s22
	s_cbranch_execz .LBB46_1288
.LBB46_1243:
	s_sext_i32_i16 s19, s0
	s_delay_alu instid0(SALU_CYCLE_1)
	s_cmp_lt_i32 s19, 5
	s_cbranch_scc1 .LBB46_1248
; %bb.1244:
	s_cmp_lt_i32 s19, 8
	s_cbranch_scc1 .LBB46_1249
; %bb.1245:
	;; [unrolled: 3-line block ×3, first 2 shown]
	s_cmp_gt_i32 s19, 9
	s_cbranch_scc0 .LBB46_1251
; %bb.1247:
	s_wait_loadcnt 0x0
	global_load_b64 v[0:1], v[2:3], off
	s_mov_b32 s19, 0
	s_wait_loadcnt 0x0
	v_trunc_f64_e32 v[0:1], v[0:1]
	s_delay_alu instid0(VALU_DEP_1) | instskip(NEXT) | instid1(VALU_DEP_1)
	v_ldexp_f64 v[4:5], v[0:1], 0xffffffe0
	v_floor_f64_e32 v[4:5], v[4:5]
	s_delay_alu instid0(VALU_DEP_1) | instskip(NEXT) | instid1(VALU_DEP_1)
	v_fmamk_f64 v[0:1], v[4:5], 0xc1f00000, v[0:1]
	v_cvt_u32_f64_e32 v0, v[0:1]
	s_branch .LBB46_1252
.LBB46_1248:
                                        ; implicit-def: $vgpr0
	s_branch .LBB46_1269
.LBB46_1249:
                                        ; implicit-def: $vgpr0
	s_branch .LBB46_1258
.LBB46_1250:
	s_mov_b32 s19, -1
                                        ; implicit-def: $vgpr0
	s_branch .LBB46_1255
.LBB46_1251:
	s_mov_b32 s19, -1
                                        ; implicit-def: $vgpr0
.LBB46_1252:
	s_delay_alu instid0(SALU_CYCLE_1)
	s_and_not1_b32 vcc_lo, exec_lo, s19
	s_cbranch_vccnz .LBB46_1254
; %bb.1253:
	s_wait_loadcnt 0x0
	global_load_b32 v0, v[2:3], off
	s_wait_loadcnt 0x0
	v_trunc_f32_e32 v0, v0
	s_delay_alu instid0(VALU_DEP_1) | instskip(NEXT) | instid1(VALU_DEP_1)
	v_mul_f32_e64 v1, 0x2f800000, |v0|
	v_floor_f32_e32 v1, v1
	s_delay_alu instid0(VALU_DEP_1) | instskip(SKIP_1) | instid1(VALU_DEP_2)
	v_fma_f32 v1, 0xcf800000, v1, |v0|
	v_ashrrev_i32_e32 v0, 31, v0
	v_cvt_u32_f32_e32 v1, v1
	s_delay_alu instid0(VALU_DEP_1) | instskip(NEXT) | instid1(VALU_DEP_1)
	v_xor_b32_e32 v1, v1, v0
	v_sub_nc_u32_e32 v0, v1, v0
.LBB46_1254:
	s_mov_b32 s19, 0
.LBB46_1255:
	s_delay_alu instid0(SALU_CYCLE_1)
	s_and_not1_b32 vcc_lo, exec_lo, s19
	s_cbranch_vccnz .LBB46_1257
; %bb.1256:
	s_wait_loadcnt 0x0
	global_load_b32 v0, v[2:3], off
	s_wait_loadcnt 0x0
	v_cvt_f32_f16_e32 v0, v0
	s_delay_alu instid0(VALU_DEP_1)
	v_cvt_i32_f32_e32 v0, v0
.LBB46_1257:
	s_cbranch_execnz .LBB46_1268
.LBB46_1258:
	s_sext_i32_i16 s19, s0
	s_delay_alu instid0(SALU_CYCLE_1)
	s_cmp_lt_i32 s19, 6
	s_cbranch_scc1 .LBB46_1261
; %bb.1259:
	s_cmp_gt_i32 s19, 6
	s_cbranch_scc0 .LBB46_1262
; %bb.1260:
	s_wait_loadcnt 0x0
	global_load_b64 v[0:1], v[2:3], off
	s_mov_b32 s19, 0
	s_wait_loadcnt 0x0
	v_trunc_f64_e32 v[0:1], v[0:1]
	s_delay_alu instid0(VALU_DEP_1) | instskip(NEXT) | instid1(VALU_DEP_1)
	v_ldexp_f64 v[4:5], v[0:1], 0xffffffe0
	v_floor_f64_e32 v[4:5], v[4:5]
	s_delay_alu instid0(VALU_DEP_1) | instskip(NEXT) | instid1(VALU_DEP_1)
	v_fmamk_f64 v[0:1], v[4:5], 0xc1f00000, v[0:1]
	v_cvt_u32_f64_e32 v0, v[0:1]
	s_branch .LBB46_1263
.LBB46_1261:
	s_mov_b32 s19, -1
                                        ; implicit-def: $vgpr0
	s_branch .LBB46_1266
.LBB46_1262:
	s_mov_b32 s19, -1
                                        ; implicit-def: $vgpr0
.LBB46_1263:
	s_delay_alu instid0(SALU_CYCLE_1)
	s_and_not1_b32 vcc_lo, exec_lo, s19
	s_cbranch_vccnz .LBB46_1265
; %bb.1264:
	s_wait_loadcnt 0x0
	global_load_b32 v0, v[2:3], off
	s_wait_loadcnt 0x0
	v_trunc_f32_e32 v0, v0
	s_delay_alu instid0(VALU_DEP_1) | instskip(NEXT) | instid1(VALU_DEP_1)
	v_mul_f32_e64 v1, 0x2f800000, |v0|
	v_floor_f32_e32 v1, v1
	s_delay_alu instid0(VALU_DEP_1) | instskip(SKIP_1) | instid1(VALU_DEP_2)
	v_fma_f32 v1, 0xcf800000, v1, |v0|
	v_ashrrev_i32_e32 v0, 31, v0
	v_cvt_u32_f32_e32 v1, v1
	s_delay_alu instid0(VALU_DEP_1) | instskip(NEXT) | instid1(VALU_DEP_1)
	v_xor_b32_e32 v1, v1, v0
	v_sub_nc_u32_e32 v0, v1, v0
.LBB46_1265:
	s_mov_b32 s19, 0
.LBB46_1266:
	s_delay_alu instid0(SALU_CYCLE_1)
	s_and_not1_b32 vcc_lo, exec_lo, s19
	s_cbranch_vccnz .LBB46_1268
; %bb.1267:
	s_wait_loadcnt 0x0
	global_load_u16 v0, v[2:3], off
	s_wait_loadcnt 0x0
	v_cvt_f32_f16_e32 v0, v0
	s_delay_alu instid0(VALU_DEP_1)
	v_cvt_i32_f32_e32 v0, v0
.LBB46_1268:
	s_cbranch_execnz .LBB46_1287
.LBB46_1269:
	s_sext_i32_i16 s19, s0
	s_delay_alu instid0(SALU_CYCLE_1)
	s_cmp_lt_i32 s19, 2
	s_cbranch_scc1 .LBB46_1273
; %bb.1270:
	s_cmp_lt_i32 s19, 3
	s_cbranch_scc1 .LBB46_1274
; %bb.1271:
	s_cmp_gt_i32 s19, 3
	s_cbranch_scc0 .LBB46_1275
; %bb.1272:
	s_wait_loadcnt 0x0
	global_load_b64 v[0:1], v[2:3], off
	s_mov_b32 s19, 0
	s_branch .LBB46_1276
.LBB46_1273:
                                        ; implicit-def: $vgpr0
	s_branch .LBB46_1282
.LBB46_1274:
	s_mov_b32 s19, -1
                                        ; implicit-def: $vgpr0
	s_branch .LBB46_1279
.LBB46_1275:
	s_mov_b32 s19, -1
                                        ; implicit-def: $vgpr0
.LBB46_1276:
	s_delay_alu instid0(SALU_CYCLE_1)
	s_and_not1_b32 vcc_lo, exec_lo, s19
	s_cbranch_vccnz .LBB46_1278
; %bb.1277:
	s_wait_loadcnt 0x0
	global_load_b32 v0, v[2:3], off
.LBB46_1278:
	s_mov_b32 s19, 0
.LBB46_1279:
	s_delay_alu instid0(SALU_CYCLE_1)
	s_and_not1_b32 vcc_lo, exec_lo, s19
	s_cbranch_vccnz .LBB46_1281
; %bb.1280:
	s_wait_loadcnt 0x0
	global_load_u16 v0, v[2:3], off
.LBB46_1281:
	s_cbranch_execnz .LBB46_1287
.LBB46_1282:
	s_sext_i32_i16 s0, s0
	s_delay_alu instid0(SALU_CYCLE_1)
	s_cmp_gt_i32 s0, 0
	s_mov_b32 s0, 0
	s_cbranch_scc0 .LBB46_1284
; %bb.1283:
	s_wait_loadcnt 0x0
	global_load_u8 v0, v[2:3], off
	s_branch .LBB46_1285
.LBB46_1284:
	s_mov_b32 s0, -1
                                        ; implicit-def: $vgpr0
.LBB46_1285:
	s_delay_alu instid0(SALU_CYCLE_1)
	s_and_not1_b32 vcc_lo, exec_lo, s0
	s_cbranch_vccnz .LBB46_1287
; %bb.1286:
	s_wait_loadcnt 0x0
	global_load_u8 v0, v[2:3], off
.LBB46_1287:
	s_or_b32 s21, s21, exec_lo
.LBB46_1288:
	s_wait_xcnt 0x0
	s_or_b32 exec_lo, exec_lo, s18
	s_mov_b32 s20, 0
	s_mov_b32 s22, 0
	;; [unrolled: 1-line block ×3, first 2 shown]
                                        ; implicit-def: $sgpr0
                                        ; implicit-def: $vgpr2_vgpr3
                                        ; implicit-def: $vgpr4
	s_and_saveexec_b32 s18, s21
	s_cbranch_execz .LBB46_1296
; %bb.1289:
	v_mul_lo_u32 v2, v10, s10
	s_and_b32 s0, s1, 0xff
	s_delay_alu instid0(SALU_CYCLE_1) | instskip(NEXT) | instid1(VALU_DEP_1)
	s_cmp_lt_i32 s0, 11
	v_ashrrev_i32_e32 v3, 31, v2
	s_delay_alu instid0(VALU_DEP_1)
	v_add_nc_u64_e32 v[2:3], s[2:3], v[2:3]
	s_cbranch_scc1 .LBB46_1299
; %bb.1290:
	s_and_b32 s19, 0xffff, s0
	s_mov_b32 s21, 0
	s_cmp_gt_i32 s19, 25
	s_cbranch_scc0 .LBB46_1300
; %bb.1291:
	s_cmp_gt_i32 s19, 28
	s_cbranch_scc0 .LBB46_1301
; %bb.1292:
	;; [unrolled: 3-line block ×4, first 2 shown]
	s_cmp_eq_u32 s19, 46
	s_mov_b32 s23, 0
	s_cbranch_scc0 .LBB46_1304
; %bb.1295:
	s_wait_loadcnt 0x0
	global_load_b32 v1, v[2:3], off
	s_mov_b32 s22, -1
	s_wait_loadcnt 0x0
	v_lshlrev_b32_e32 v1, 16, v1
	s_delay_alu instid0(VALU_DEP_1) | instskip(NEXT) | instid1(VALU_DEP_1)
	v_trunc_f32_e32 v1, v1
	v_mul_f32_e64 v4, 0x2f800000, |v1|
	s_delay_alu instid0(VALU_DEP_1) | instskip(NEXT) | instid1(VALU_DEP_1)
	v_floor_f32_e32 v4, v4
	v_fma_f32 v4, 0xcf800000, v4, |v1|
	v_ashrrev_i32_e32 v1, 31, v1
	s_delay_alu instid0(VALU_DEP_2) | instskip(NEXT) | instid1(VALU_DEP_1)
	v_cvt_u32_f32_e32 v4, v4
	v_xor_b32_e32 v4, v4, v1
	s_delay_alu instid0(VALU_DEP_1)
	v_sub_nc_u32_e32 v4, v4, v1
	s_branch .LBB46_1306
.LBB46_1296:
	s_or_b32 exec_lo, exec_lo, s18
	s_and_saveexec_b32 s18, s17
	s_cbranch_execnz .LBB46_1365
.LBB46_1297:
	s_or_b32 exec_lo, exec_lo, s18
	s_and_saveexec_b32 s17, s20
	s_delay_alu instid0(SALU_CYCLE_1)
	s_xor_b32 s17, exec_lo, s17
	s_cbranch_execz .LBB46_1366
.LBB46_1298:
	s_wait_loadcnt 0x0
	global_load_u8 v1, v[2:3], off
	s_or_b32 s19, s19, exec_lo
	s_wait_loadcnt 0x0
	v_cmp_ne_u16_e32 vcc_lo, 0, v1
	v_cndmask_b32_e64 v4, 0, 1, vcc_lo
	s_wait_xcnt 0x0
	s_or_b32 exec_lo, exec_lo, s17
	s_and_saveexec_b32 s17, s22
	s_cbranch_execz .LBB46_1412
	s_branch .LBB46_1367
.LBB46_1299:
	s_mov_b32 s23, -1
	s_mov_b32 s21, 0
	s_mov_b32 s20, s17
                                        ; implicit-def: $vgpr4
	s_branch .LBB46_1364
.LBB46_1300:
	s_mov_b32 s20, s17
                                        ; implicit-def: $vgpr4
	s_cbranch_execnz .LBB46_1333
	s_branch .LBB46_1363
.LBB46_1301:
	s_mov_b32 s23, -1
	s_mov_b32 s20, s17
                                        ; implicit-def: $vgpr4
	s_branch .LBB46_1316
.LBB46_1302:
	s_mov_b32 s23, -1
	s_mov_b32 s20, s17
                                        ; implicit-def: $vgpr4
	s_branch .LBB46_1311
.LBB46_1303:
	s_mov_b32 s23, -1
	s_mov_b32 s20, s17
	s_branch .LBB46_1305
.LBB46_1304:
	s_mov_b32 s20, -1
.LBB46_1305:
                                        ; implicit-def: $vgpr4
.LBB46_1306:
	s_and_b32 vcc_lo, exec_lo, s23
	s_cbranch_vccz .LBB46_1310
; %bb.1307:
	s_cmp_eq_u32 s19, 44
	s_cbranch_scc0 .LBB46_1309
; %bb.1308:
	s_wait_loadcnt 0x0
	global_load_u8 v1, v[2:3], off
	s_mov_b32 s20, 0
	s_mov_b32 s22, -1
	s_wait_loadcnt 0x0
	v_lshlrev_b32_e32 v4, 23, v1
	v_cmp_ne_u32_e32 vcc_lo, 0, v1
	s_delay_alu instid0(VALU_DEP_2) | instskip(NEXT) | instid1(VALU_DEP_1)
	v_trunc_f32_e32 v4, v4
	v_mul_f32_e64 v5, 0x2f800000, |v4|
	s_delay_alu instid0(VALU_DEP_1) | instskip(NEXT) | instid1(VALU_DEP_1)
	v_floor_f32_e32 v5, v5
	v_fma_f32 v5, 0xcf800000, v5, |v4|
	v_ashrrev_i32_e32 v4, 31, v4
	s_delay_alu instid0(VALU_DEP_2) | instskip(NEXT) | instid1(VALU_DEP_1)
	v_cvt_u32_f32_e32 v5, v5
	v_xor_b32_e32 v5, v5, v4
	s_delay_alu instid0(VALU_DEP_1) | instskip(NEXT) | instid1(VALU_DEP_1)
	v_sub_nc_u32_e32 v4, v5, v4
	v_cndmask_b32_e32 v4, 0, v4, vcc_lo
	s_branch .LBB46_1310
.LBB46_1309:
	s_mov_b32 s20, -1
                                        ; implicit-def: $vgpr4
.LBB46_1310:
	s_mov_b32 s23, 0
.LBB46_1311:
	s_delay_alu instid0(SALU_CYCLE_1)
	s_and_b32 vcc_lo, exec_lo, s23
	s_cbranch_vccz .LBB46_1315
; %bb.1312:
	s_cmp_eq_u32 s19, 29
	s_cbranch_scc0 .LBB46_1314
; %bb.1313:
	s_wait_loadcnt 0x0
	global_load_b64 v[4:5], v[2:3], off
	s_mov_b32 s20, 0
	s_mov_b32 s22, -1
	s_branch .LBB46_1315
.LBB46_1314:
	s_mov_b32 s20, -1
                                        ; implicit-def: $vgpr4
.LBB46_1315:
	s_mov_b32 s23, 0
.LBB46_1316:
	s_delay_alu instid0(SALU_CYCLE_1)
	s_and_b32 vcc_lo, exec_lo, s23
	s_cbranch_vccz .LBB46_1332
; %bb.1317:
	s_cmp_lt_i32 s19, 27
	s_cbranch_scc1 .LBB46_1320
; %bb.1318:
	s_cmp_gt_i32 s19, 27
	s_cbranch_scc0 .LBB46_1321
; %bb.1319:
	s_wait_loadcnt 0x0
	global_load_b32 v4, v[2:3], off
	s_mov_b32 s22, 0
	s_branch .LBB46_1322
.LBB46_1320:
	s_mov_b32 s22, -1
                                        ; implicit-def: $vgpr4
	s_branch .LBB46_1325
.LBB46_1321:
	s_mov_b32 s22, -1
                                        ; implicit-def: $vgpr4
.LBB46_1322:
	s_delay_alu instid0(SALU_CYCLE_1)
	s_and_not1_b32 vcc_lo, exec_lo, s22
	s_cbranch_vccnz .LBB46_1324
; %bb.1323:
	s_wait_loadcnt 0x0
	global_load_u16 v4, v[2:3], off
.LBB46_1324:
	s_mov_b32 s22, 0
.LBB46_1325:
	s_delay_alu instid0(SALU_CYCLE_1)
	s_and_not1_b32 vcc_lo, exec_lo, s22
	s_cbranch_vccnz .LBB46_1331
; %bb.1326:
	s_wait_loadcnt 0x0
	global_load_u8 v1, v[2:3], off
	s_mov_b32 s23, 0
	s_mov_b32 s22, exec_lo
	s_wait_loadcnt 0x0
	v_cmpx_lt_i16_e32 0x7f, v1
	s_xor_b32 s22, exec_lo, s22
	s_cbranch_execz .LBB46_1342
; %bb.1327:
	v_cmp_ne_u16_e32 vcc_lo, 0x80, v1
	s_and_b32 s23, vcc_lo, exec_lo
	s_and_not1_saveexec_b32 s22, s22
	s_cbranch_execnz .LBB46_1343
.LBB46_1328:
	s_or_b32 exec_lo, exec_lo, s22
	v_mov_b32_e32 v4, 0
	s_and_saveexec_b32 s22, s23
	s_cbranch_execz .LBB46_1330
.LBB46_1329:
	v_and_b32_e32 v4, 0xffff, v1
	s_delay_alu instid0(VALU_DEP_1) | instskip(SKIP_1) | instid1(VALU_DEP_2)
	v_and_b32_e32 v5, 7, v4
	v_bfe_u32 v8, v4, 3, 4
	v_clz_i32_u32_e32 v6, v5
	s_delay_alu instid0(VALU_DEP_2) | instskip(NEXT) | instid1(VALU_DEP_2)
	v_cmp_eq_u32_e32 vcc_lo, 0, v8
	v_min_u32_e32 v6, 32, v6
	s_delay_alu instid0(VALU_DEP_1) | instskip(NEXT) | instid1(VALU_DEP_1)
	v_subrev_nc_u32_e32 v7, 28, v6
	v_dual_lshlrev_b32 v4, v7, v4 :: v_dual_sub_nc_u32 v6, 29, v6
	s_delay_alu instid0(VALU_DEP_1) | instskip(NEXT) | instid1(VALU_DEP_1)
	v_dual_lshlrev_b32 v1, 24, v1 :: v_dual_bitop2_b32 v4, 7, v4 bitop3:0x40
	v_dual_cndmask_b32 v6, v8, v6, vcc_lo :: v_dual_cndmask_b32 v4, v5, v4, vcc_lo
	s_delay_alu instid0(VALU_DEP_2) | instskip(NEXT) | instid1(VALU_DEP_2)
	v_and_b32_e32 v1, 0x80000000, v1
	v_lshl_add_u32 v5, v6, 23, 0x3b800000
	s_delay_alu instid0(VALU_DEP_3) | instskip(NEXT) | instid1(VALU_DEP_1)
	v_lshlrev_b32_e32 v4, 20, v4
	v_or3_b32 v1, v1, v5, v4
	s_delay_alu instid0(VALU_DEP_1) | instskip(NEXT) | instid1(VALU_DEP_1)
	v_trunc_f32_e32 v1, v1
	v_mul_f32_e64 v4, 0x2f800000, |v1|
	s_delay_alu instid0(VALU_DEP_1) | instskip(NEXT) | instid1(VALU_DEP_1)
	v_floor_f32_e32 v4, v4
	v_fma_f32 v4, 0xcf800000, v4, |v1|
	v_ashrrev_i32_e32 v1, 31, v1
	s_delay_alu instid0(VALU_DEP_2) | instskip(NEXT) | instid1(VALU_DEP_1)
	v_cvt_u32_f32_e32 v4, v4
	v_xor_b32_e32 v4, v4, v1
	s_delay_alu instid0(VALU_DEP_1)
	v_sub_nc_u32_e32 v4, v4, v1
.LBB46_1330:
	s_or_b32 exec_lo, exec_lo, s22
.LBB46_1331:
	s_mov_b32 s22, -1
.LBB46_1332:
	s_branch .LBB46_1363
.LBB46_1333:
	s_cmp_gt_i32 s19, 22
	s_cbranch_scc0 .LBB46_1341
; %bb.1334:
	s_cmp_lt_i32 s19, 24
	s_cbranch_scc1 .LBB46_1344
; %bb.1335:
	s_cmp_gt_i32 s19, 24
	s_cbranch_scc0 .LBB46_1345
; %bb.1336:
	s_wait_loadcnt 0x0
	global_load_u8 v1, v[2:3], off
	s_mov_b32 s22, 0
	s_mov_b32 s21, exec_lo
	s_wait_loadcnt 0x0
	v_cmpx_lt_i16_e32 0x7f, v1
	s_xor_b32 s21, exec_lo, s21
	s_cbranch_execz .LBB46_1357
; %bb.1337:
	v_cmp_ne_u16_e32 vcc_lo, 0x80, v1
	s_and_b32 s22, vcc_lo, exec_lo
	s_and_not1_saveexec_b32 s21, s21
	s_cbranch_execnz .LBB46_1358
.LBB46_1338:
	s_or_b32 exec_lo, exec_lo, s21
	v_mov_b32_e32 v4, 0
	s_and_saveexec_b32 s21, s22
	s_cbranch_execz .LBB46_1340
.LBB46_1339:
	v_and_b32_e32 v4, 0xffff, v1
	s_delay_alu instid0(VALU_DEP_1) | instskip(SKIP_1) | instid1(VALU_DEP_2)
	v_and_b32_e32 v5, 3, v4
	v_bfe_u32 v8, v4, 2, 5
	v_clz_i32_u32_e32 v6, v5
	s_delay_alu instid0(VALU_DEP_2) | instskip(NEXT) | instid1(VALU_DEP_2)
	v_cmp_eq_u32_e32 vcc_lo, 0, v8
	v_min_u32_e32 v6, 32, v6
	s_delay_alu instid0(VALU_DEP_1) | instskip(NEXT) | instid1(VALU_DEP_1)
	v_subrev_nc_u32_e32 v7, 29, v6
	v_dual_lshlrev_b32 v4, v7, v4 :: v_dual_sub_nc_u32 v6, 30, v6
	s_delay_alu instid0(VALU_DEP_1) | instskip(NEXT) | instid1(VALU_DEP_1)
	v_dual_lshlrev_b32 v1, 24, v1 :: v_dual_bitop2_b32 v4, 3, v4 bitop3:0x40
	v_dual_cndmask_b32 v6, v8, v6, vcc_lo :: v_dual_cndmask_b32 v4, v5, v4, vcc_lo
	s_delay_alu instid0(VALU_DEP_2) | instskip(NEXT) | instid1(VALU_DEP_2)
	v_and_b32_e32 v1, 0x80000000, v1
	v_lshl_add_u32 v5, v6, 23, 0x37800000
	s_delay_alu instid0(VALU_DEP_3) | instskip(NEXT) | instid1(VALU_DEP_1)
	v_lshlrev_b32_e32 v4, 21, v4
	v_or3_b32 v1, v1, v5, v4
	s_delay_alu instid0(VALU_DEP_1) | instskip(NEXT) | instid1(VALU_DEP_1)
	v_trunc_f32_e32 v1, v1
	v_mul_f32_e64 v4, 0x2f800000, |v1|
	s_delay_alu instid0(VALU_DEP_1) | instskip(NEXT) | instid1(VALU_DEP_1)
	v_floor_f32_e32 v4, v4
	v_fma_f32 v4, 0xcf800000, v4, |v1|
	v_ashrrev_i32_e32 v1, 31, v1
	s_delay_alu instid0(VALU_DEP_2) | instskip(NEXT) | instid1(VALU_DEP_1)
	v_cvt_u32_f32_e32 v4, v4
	v_xor_b32_e32 v4, v4, v1
	s_delay_alu instid0(VALU_DEP_1)
	v_sub_nc_u32_e32 v4, v4, v1
.LBB46_1340:
	s_or_b32 exec_lo, exec_lo, s21
	s_mov_b32 s21, 0
	s_branch .LBB46_1346
.LBB46_1341:
	s_mov_b32 s21, -1
                                        ; implicit-def: $vgpr4
	s_branch .LBB46_1352
.LBB46_1342:
	s_and_not1_saveexec_b32 s22, s22
	s_cbranch_execz .LBB46_1328
.LBB46_1343:
	v_cmp_ne_u16_e32 vcc_lo, 0, v1
	s_and_not1_b32 s23, s23, exec_lo
	s_and_b32 s24, vcc_lo, exec_lo
	s_delay_alu instid0(SALU_CYCLE_1)
	s_or_b32 s23, s23, s24
	s_or_b32 exec_lo, exec_lo, s22
	v_mov_b32_e32 v4, 0
	s_and_saveexec_b32 s22, s23
	s_cbranch_execnz .LBB46_1329
	s_branch .LBB46_1330
.LBB46_1344:
	s_mov_b32 s21, -1
                                        ; implicit-def: $vgpr4
	s_branch .LBB46_1349
.LBB46_1345:
	s_mov_b32 s21, -1
                                        ; implicit-def: $vgpr4
.LBB46_1346:
	s_delay_alu instid0(SALU_CYCLE_1)
	s_and_b32 vcc_lo, exec_lo, s21
	s_cbranch_vccz .LBB46_1348
; %bb.1347:
	s_wait_loadcnt 0x0
	global_load_u8 v1, v[2:3], off
	s_wait_loadcnt 0x0
	v_lshlrev_b32_e32 v1, 24, v1
	s_delay_alu instid0(VALU_DEP_1) | instskip(NEXT) | instid1(VALU_DEP_1)
	v_and_b32_e32 v4, 0x7f000000, v1
	v_clz_i32_u32_e32 v5, v4
	v_cmp_ne_u32_e32 vcc_lo, 0, v4
	v_add_nc_u32_e32 v7, 0x1000000, v4
	s_delay_alu instid0(VALU_DEP_3) | instskip(NEXT) | instid1(VALU_DEP_1)
	v_min_u32_e32 v5, 32, v5
	v_sub_nc_u32_e64 v5, v5, 4 clamp
	s_delay_alu instid0(VALU_DEP_1) | instskip(NEXT) | instid1(VALU_DEP_1)
	v_dual_lshlrev_b32 v6, v5, v4 :: v_dual_lshlrev_b32 v5, 23, v5
	v_lshrrev_b32_e32 v6, 4, v6
	s_delay_alu instid0(VALU_DEP_1) | instskip(NEXT) | instid1(VALU_DEP_1)
	v_dual_sub_nc_u32 v5, v6, v5 :: v_dual_ashrrev_i32 v6, 8, v7
	v_add_nc_u32_e32 v5, 0x3c000000, v5
	s_delay_alu instid0(VALU_DEP_1) | instskip(NEXT) | instid1(VALU_DEP_1)
	v_and_or_b32 v5, 0x7f800000, v6, v5
	v_cndmask_b32_e32 v4, 0, v5, vcc_lo
	s_delay_alu instid0(VALU_DEP_1) | instskip(NEXT) | instid1(VALU_DEP_1)
	v_and_or_b32 v1, 0x80000000, v1, v4
	v_trunc_f32_e32 v1, v1
	s_delay_alu instid0(VALU_DEP_1) | instskip(NEXT) | instid1(VALU_DEP_1)
	v_mul_f32_e64 v4, 0x2f800000, |v1|
	v_floor_f32_e32 v4, v4
	s_delay_alu instid0(VALU_DEP_1) | instskip(SKIP_1) | instid1(VALU_DEP_2)
	v_fma_f32 v4, 0xcf800000, v4, |v1|
	v_ashrrev_i32_e32 v1, 31, v1
	v_cvt_u32_f32_e32 v4, v4
	s_delay_alu instid0(VALU_DEP_1) | instskip(NEXT) | instid1(VALU_DEP_1)
	v_xor_b32_e32 v4, v4, v1
	v_sub_nc_u32_e32 v4, v4, v1
.LBB46_1348:
	s_mov_b32 s21, 0
.LBB46_1349:
	s_delay_alu instid0(SALU_CYCLE_1)
	s_and_not1_b32 vcc_lo, exec_lo, s21
	s_cbranch_vccnz .LBB46_1351
; %bb.1350:
	s_wait_loadcnt 0x0
	global_load_u8 v1, v[2:3], off
	s_wait_loadcnt 0x0
	v_lshlrev_b32_e32 v4, 25, v1
	v_lshlrev_b16 v1, 8, v1
	s_delay_alu instid0(VALU_DEP_1) | instskip(SKIP_1) | instid1(VALU_DEP_2)
	v_and_or_b32 v6, 0x7f00, v1, 0.5
	v_bfe_i32 v1, v1, 0, 16
	v_dual_add_f32 v6, -0.5, v6 :: v_dual_lshrrev_b32 v5, 4, v4
	v_cmp_gt_u32_e32 vcc_lo, 0x8000000, v4
	s_delay_alu instid0(VALU_DEP_2) | instskip(NEXT) | instid1(VALU_DEP_1)
	v_or_b32_e32 v5, 0x70000000, v5
	v_mul_f32_e32 v5, 0x7800000, v5
	s_delay_alu instid0(VALU_DEP_1) | instskip(NEXT) | instid1(VALU_DEP_1)
	v_cndmask_b32_e32 v4, v5, v6, vcc_lo
	v_and_or_b32 v1, 0x80000000, v1, v4
	s_delay_alu instid0(VALU_DEP_1) | instskip(NEXT) | instid1(VALU_DEP_1)
	v_trunc_f32_e32 v1, v1
	v_mul_f32_e64 v4, 0x2f800000, |v1|
	s_delay_alu instid0(VALU_DEP_1) | instskip(NEXT) | instid1(VALU_DEP_1)
	v_floor_f32_e32 v4, v4
	v_fma_f32 v4, 0xcf800000, v4, |v1|
	v_ashrrev_i32_e32 v1, 31, v1
	s_delay_alu instid0(VALU_DEP_2) | instskip(NEXT) | instid1(VALU_DEP_1)
	v_cvt_u32_f32_e32 v4, v4
	v_xor_b32_e32 v4, v4, v1
	s_delay_alu instid0(VALU_DEP_1)
	v_sub_nc_u32_e32 v4, v4, v1
.LBB46_1351:
	s_mov_b32 s21, 0
	s_mov_b32 s22, -1
.LBB46_1352:
	s_and_not1_b32 vcc_lo, exec_lo, s21
	s_mov_b32 s21, 0
	s_cbranch_vccnz .LBB46_1363
; %bb.1353:
	s_cmp_gt_i32 s19, 14
	s_cbranch_scc0 .LBB46_1356
; %bb.1354:
	s_cmp_eq_u32 s19, 15
	s_cbranch_scc0 .LBB46_1359
; %bb.1355:
	s_wait_loadcnt 0x0
	global_load_u16 v1, v[2:3], off
	s_mov_b32 s20, 0
	s_mov_b32 s22, -1
	s_wait_loadcnt 0x0
	v_lshlrev_b32_e32 v1, 16, v1
	s_delay_alu instid0(VALU_DEP_1) | instskip(NEXT) | instid1(VALU_DEP_1)
	v_trunc_f32_e32 v1, v1
	v_mul_f32_e64 v4, 0x2f800000, |v1|
	s_delay_alu instid0(VALU_DEP_1) | instskip(NEXT) | instid1(VALU_DEP_1)
	v_floor_f32_e32 v4, v4
	v_fma_f32 v4, 0xcf800000, v4, |v1|
	v_ashrrev_i32_e32 v1, 31, v1
	s_delay_alu instid0(VALU_DEP_2) | instskip(NEXT) | instid1(VALU_DEP_1)
	v_cvt_u32_f32_e32 v4, v4
	v_xor_b32_e32 v4, v4, v1
	s_delay_alu instid0(VALU_DEP_1)
	v_sub_nc_u32_e32 v4, v4, v1
	s_branch .LBB46_1361
.LBB46_1356:
	s_mov_b32 s21, -1
	s_branch .LBB46_1360
.LBB46_1357:
	s_and_not1_saveexec_b32 s21, s21
	s_cbranch_execz .LBB46_1338
.LBB46_1358:
	v_cmp_ne_u16_e32 vcc_lo, 0, v1
	s_and_not1_b32 s22, s22, exec_lo
	s_and_b32 s23, vcc_lo, exec_lo
	s_delay_alu instid0(SALU_CYCLE_1)
	s_or_b32 s22, s22, s23
	s_or_b32 exec_lo, exec_lo, s21
	v_mov_b32_e32 v4, 0
	s_and_saveexec_b32 s21, s22
	s_cbranch_execnz .LBB46_1339
	s_branch .LBB46_1340
.LBB46_1359:
	s_mov_b32 s20, -1
.LBB46_1360:
                                        ; implicit-def: $vgpr4
.LBB46_1361:
	s_and_b32 vcc_lo, exec_lo, s21
	s_mov_b32 s21, 0
	s_cbranch_vccz .LBB46_1363
; %bb.1362:
	s_cmp_lg_u32 s19, 11
	s_mov_b32 s21, -1
	s_cselect_b32 s19, -1, 0
	s_and_not1_b32 s20, s20, exec_lo
	s_and_b32 s19, s19, exec_lo
	s_delay_alu instid0(SALU_CYCLE_1)
	s_or_b32 s20, s20, s19
.LBB46_1363:
	s_mov_b32 s23, 0
.LBB46_1364:
	s_and_b32 s19, s22, exec_lo
	s_and_b32 s22, s23, exec_lo
	s_and_not1_b32 s17, s17, exec_lo
	s_and_b32 s23, s20, exec_lo
	s_and_b32 s20, s21, exec_lo
	s_or_b32 s17, s17, s23
	s_wait_xcnt 0x0
	s_or_b32 exec_lo, exec_lo, s18
	s_and_saveexec_b32 s18, s17
	s_cbranch_execz .LBB46_1297
.LBB46_1365:
	s_or_b32 s16, s16, exec_lo
	s_and_not1_b32 s20, s20, exec_lo
	s_trap 2
	s_or_b32 exec_lo, exec_lo, s18
	s_and_saveexec_b32 s17, s20
	s_delay_alu instid0(SALU_CYCLE_1)
	s_xor_b32 s17, exec_lo, s17
	s_cbranch_execnz .LBB46_1298
.LBB46_1366:
	s_or_b32 exec_lo, exec_lo, s17
	s_and_saveexec_b32 s17, s22
	s_cbranch_execz .LBB46_1412
.LBB46_1367:
	s_sext_i32_i16 s18, s0
	s_delay_alu instid0(SALU_CYCLE_1)
	s_cmp_lt_i32 s18, 5
	s_cbranch_scc1 .LBB46_1372
; %bb.1368:
	s_cmp_lt_i32 s18, 8
	s_cbranch_scc1 .LBB46_1373
; %bb.1369:
	;; [unrolled: 3-line block ×3, first 2 shown]
	s_cmp_gt_i32 s18, 9
	s_cbranch_scc0 .LBB46_1375
; %bb.1371:
	s_wait_loadcnt 0x0
	global_load_b64 v[4:5], v[2:3], off
	s_mov_b32 s18, 0
	s_wait_loadcnt 0x0
	v_trunc_f64_e32 v[4:5], v[4:5]
	s_delay_alu instid0(VALU_DEP_1) | instskip(NEXT) | instid1(VALU_DEP_1)
	v_ldexp_f64 v[6:7], v[4:5], 0xffffffe0
	v_floor_f64_e32 v[6:7], v[6:7]
	s_delay_alu instid0(VALU_DEP_1) | instskip(NEXT) | instid1(VALU_DEP_1)
	v_fmamk_f64 v[4:5], v[6:7], 0xc1f00000, v[4:5]
	v_cvt_u32_f64_e32 v4, v[4:5]
	s_branch .LBB46_1376
.LBB46_1372:
                                        ; implicit-def: $vgpr4
	s_branch .LBB46_1393
.LBB46_1373:
                                        ; implicit-def: $vgpr4
	s_branch .LBB46_1382
.LBB46_1374:
	s_mov_b32 s18, -1
                                        ; implicit-def: $vgpr4
	s_branch .LBB46_1379
.LBB46_1375:
	s_mov_b32 s18, -1
                                        ; implicit-def: $vgpr4
.LBB46_1376:
	s_delay_alu instid0(SALU_CYCLE_1)
	s_and_not1_b32 vcc_lo, exec_lo, s18
	s_cbranch_vccnz .LBB46_1378
; %bb.1377:
	s_wait_loadcnt 0x0
	global_load_b32 v1, v[2:3], off
	s_wait_loadcnt 0x0
	v_trunc_f32_e32 v1, v1
	s_delay_alu instid0(VALU_DEP_1) | instskip(NEXT) | instid1(VALU_DEP_1)
	v_mul_f32_e64 v4, 0x2f800000, |v1|
	v_floor_f32_e32 v4, v4
	s_delay_alu instid0(VALU_DEP_1) | instskip(SKIP_1) | instid1(VALU_DEP_2)
	v_fma_f32 v4, 0xcf800000, v4, |v1|
	v_ashrrev_i32_e32 v1, 31, v1
	v_cvt_u32_f32_e32 v4, v4
	s_delay_alu instid0(VALU_DEP_1) | instskip(NEXT) | instid1(VALU_DEP_1)
	v_xor_b32_e32 v4, v4, v1
	v_sub_nc_u32_e32 v4, v4, v1
.LBB46_1378:
	s_mov_b32 s18, 0
.LBB46_1379:
	s_delay_alu instid0(SALU_CYCLE_1)
	s_and_not1_b32 vcc_lo, exec_lo, s18
	s_cbranch_vccnz .LBB46_1381
; %bb.1380:
	s_wait_loadcnt 0x0
	global_load_b32 v1, v[2:3], off
	s_wait_loadcnt 0x0
	v_cvt_f32_f16_e32 v1, v1
	s_delay_alu instid0(VALU_DEP_1)
	v_cvt_i32_f32_e32 v4, v1
.LBB46_1381:
	s_cbranch_execnz .LBB46_1392
.LBB46_1382:
	s_sext_i32_i16 s18, s0
	s_delay_alu instid0(SALU_CYCLE_1)
	s_cmp_lt_i32 s18, 6
	s_cbranch_scc1 .LBB46_1385
; %bb.1383:
	s_cmp_gt_i32 s18, 6
	s_cbranch_scc0 .LBB46_1386
; %bb.1384:
	s_wait_loadcnt 0x0
	global_load_b64 v[4:5], v[2:3], off
	s_mov_b32 s18, 0
	s_wait_loadcnt 0x0
	v_trunc_f64_e32 v[4:5], v[4:5]
	s_delay_alu instid0(VALU_DEP_1) | instskip(NEXT) | instid1(VALU_DEP_1)
	v_ldexp_f64 v[6:7], v[4:5], 0xffffffe0
	v_floor_f64_e32 v[6:7], v[6:7]
	s_delay_alu instid0(VALU_DEP_1) | instskip(NEXT) | instid1(VALU_DEP_1)
	v_fmamk_f64 v[4:5], v[6:7], 0xc1f00000, v[4:5]
	v_cvt_u32_f64_e32 v4, v[4:5]
	s_branch .LBB46_1387
.LBB46_1385:
	s_mov_b32 s18, -1
                                        ; implicit-def: $vgpr4
	s_branch .LBB46_1390
.LBB46_1386:
	s_mov_b32 s18, -1
                                        ; implicit-def: $vgpr4
.LBB46_1387:
	s_delay_alu instid0(SALU_CYCLE_1)
	s_and_not1_b32 vcc_lo, exec_lo, s18
	s_cbranch_vccnz .LBB46_1389
; %bb.1388:
	s_wait_loadcnt 0x0
	global_load_b32 v1, v[2:3], off
	s_wait_loadcnt 0x0
	v_trunc_f32_e32 v1, v1
	s_delay_alu instid0(VALU_DEP_1) | instskip(NEXT) | instid1(VALU_DEP_1)
	v_mul_f32_e64 v4, 0x2f800000, |v1|
	v_floor_f32_e32 v4, v4
	s_delay_alu instid0(VALU_DEP_1) | instskip(SKIP_1) | instid1(VALU_DEP_2)
	v_fma_f32 v4, 0xcf800000, v4, |v1|
	v_ashrrev_i32_e32 v1, 31, v1
	v_cvt_u32_f32_e32 v4, v4
	s_delay_alu instid0(VALU_DEP_1) | instskip(NEXT) | instid1(VALU_DEP_1)
	v_xor_b32_e32 v4, v4, v1
	v_sub_nc_u32_e32 v4, v4, v1
.LBB46_1389:
	s_mov_b32 s18, 0
.LBB46_1390:
	s_delay_alu instid0(SALU_CYCLE_1)
	s_and_not1_b32 vcc_lo, exec_lo, s18
	s_cbranch_vccnz .LBB46_1392
; %bb.1391:
	s_wait_loadcnt 0x0
	global_load_u16 v1, v[2:3], off
	s_wait_loadcnt 0x0
	v_cvt_f32_f16_e32 v1, v1
	s_delay_alu instid0(VALU_DEP_1)
	v_cvt_i32_f32_e32 v4, v1
.LBB46_1392:
	s_cbranch_execnz .LBB46_1411
.LBB46_1393:
	s_sext_i32_i16 s18, s0
	s_delay_alu instid0(SALU_CYCLE_1)
	s_cmp_lt_i32 s18, 2
	s_cbranch_scc1 .LBB46_1397
; %bb.1394:
	s_cmp_lt_i32 s18, 3
	s_cbranch_scc1 .LBB46_1398
; %bb.1395:
	s_cmp_gt_i32 s18, 3
	s_cbranch_scc0 .LBB46_1399
; %bb.1396:
	s_wait_loadcnt 0x0
	global_load_b64 v[4:5], v[2:3], off
	s_mov_b32 s18, 0
	s_branch .LBB46_1400
.LBB46_1397:
                                        ; implicit-def: $vgpr4
	s_branch .LBB46_1406
.LBB46_1398:
	s_mov_b32 s18, -1
                                        ; implicit-def: $vgpr4
	s_branch .LBB46_1403
.LBB46_1399:
	s_mov_b32 s18, -1
                                        ; implicit-def: $vgpr4
.LBB46_1400:
	s_delay_alu instid0(SALU_CYCLE_1)
	s_and_not1_b32 vcc_lo, exec_lo, s18
	s_cbranch_vccnz .LBB46_1402
; %bb.1401:
	s_wait_loadcnt 0x0
	global_load_b32 v4, v[2:3], off
.LBB46_1402:
	s_mov_b32 s18, 0
.LBB46_1403:
	s_delay_alu instid0(SALU_CYCLE_1)
	s_and_not1_b32 vcc_lo, exec_lo, s18
	s_cbranch_vccnz .LBB46_1405
; %bb.1404:
	s_wait_loadcnt 0x0
	global_load_u16 v4, v[2:3], off
.LBB46_1405:
	s_cbranch_execnz .LBB46_1411
.LBB46_1406:
	s_sext_i32_i16 s0, s0
	s_delay_alu instid0(SALU_CYCLE_1)
	s_cmp_gt_i32 s0, 0
	s_mov_b32 s0, 0
	s_cbranch_scc0 .LBB46_1408
; %bb.1407:
	s_wait_loadcnt 0x0
	global_load_u8 v4, v[2:3], off
	s_branch .LBB46_1409
.LBB46_1408:
	s_mov_b32 s0, -1
                                        ; implicit-def: $vgpr4
.LBB46_1409:
	s_delay_alu instid0(SALU_CYCLE_1)
	s_and_not1_b32 vcc_lo, exec_lo, s0
	s_cbranch_vccnz .LBB46_1411
; %bb.1410:
	s_wait_loadcnt 0x0
	global_load_u8 v4, v[2:3], off
.LBB46_1411:
	s_or_b32 s19, s19, exec_lo
.LBB46_1412:
	s_wait_xcnt 0x0
	s_or_b32 exec_lo, exec_lo, s17
	s_mov_b32 s0, 0
	s_mov_b32 s20, 0
                                        ; implicit-def: $sgpr17
                                        ; implicit-def: $vgpr2_vgpr3
                                        ; implicit-def: $vgpr1
	s_and_saveexec_b32 s18, s19
	s_cbranch_execz .LBB46_1426
; %bb.1413:
	s_wait_loadcnt 0x0
	v_and_b32_e32 v1, 0xff, v0
	s_delay_alu instid0(VALU_DEP_2) | instskip(SKIP_2) | instid1(VALU_DEP_2)
	v_mov_b32_e32 v2, v4
	s_mov_b32 s17, 0
	s_mov_b32 s0, exec_lo
	v_cmpx_ne_u16_e32 0, v1
	s_cbranch_execz .LBB46_1417
; %bb.1414:
	v_dual_mov_b32 v3, v0 :: v_dual_mov_b32 v1, v4
.LBB46_1415:                            ; =>This Inner Loop Header: Depth=1
	s_delay_alu instid0(VALU_DEP_1) | instskip(NEXT) | instid1(VALU_DEP_2)
	v_cvt_f32_ubyte0_e32 v6, v1
	v_mov_b32_e32 v2, v3
	s_delay_alu instid0(VALU_DEP_1) | instskip(NEXT) | instid1(VALU_DEP_1)
	v_cvt_f32_ubyte0_e32 v3, v2
	v_rcp_iflag_f32_e32 v5, v3
	v_nop
	s_delay_alu instid0(TRANS32_DEP_1) | instskip(NEXT) | instid1(VALU_DEP_1)
	v_mul_f32_e32 v5, v6, v5
	v_trunc_f32_e32 v5, v5
	s_delay_alu instid0(VALU_DEP_1) | instskip(SKIP_1) | instid1(VALU_DEP_2)
	v_fma_f32 v6, -v5, v3, v6
	v_cvt_u32_f32_e32 v5, v5
	v_cmp_ge_f32_e64 vcc_lo, |v6|, v3
	s_delay_alu instid0(VALU_DEP_1) | instskip(NEXT) | instid1(VALU_DEP_1)
	v_add_co_ci_u32_e64 v3, null, 0, v5, vcc_lo
	v_mul_lo_u32 v3, v3, v2
	s_delay_alu instid0(VALU_DEP_1) | instskip(NEXT) | instid1(VALU_DEP_1)
	v_sub_nc_u32_e32 v1, v1, v3
	v_and_b32_e32 v3, 0xff, v1
	v_mov_b32_e32 v1, v2
	s_delay_alu instid0(VALU_DEP_2) | instskip(SKIP_1) | instid1(SALU_CYCLE_1)
	v_cmp_eq_u16_e32 vcc_lo, 0, v3
	s_or_b32 s17, vcc_lo, s17
	s_and_not1_b32 exec_lo, exec_lo, s17
	s_cbranch_execnz .LBB46_1415
; %bb.1416:
	s_or_b32 exec_lo, exec_lo, s17
.LBB46_1417:
	s_delay_alu instid0(SALU_CYCLE_1) | instskip(SKIP_3) | instid1(VALU_DEP_2)
	s_or_b32 exec_lo, exec_lo, s0
	v_and_b32_e32 v3, 0xff, v2
	v_mov_b32_e32 v1, 0
	s_mov_b32 s0, exec_lo
	v_cmpx_ne_u16_e32 0, v3
	s_cbranch_execz .LBB46_1419
; %bb.1418:
	v_cvt_f32_ubyte0_e32 v1, v2
	v_cvt_f32_ubyte0_e32 v0, v0
	s_delay_alu instid0(VALU_DEP_2) | instskip(SKIP_1) | instid1(TRANS32_DEP_1)
	v_rcp_iflag_f32_e32 v2, v1
	v_nop
	v_mul_f32_e32 v2, v0, v2
	s_delay_alu instid0(VALU_DEP_1) | instskip(NEXT) | instid1(VALU_DEP_1)
	v_trunc_f32_e32 v2, v2
	v_fma_f32 v0, -v2, v1, v0
	v_cvt_u32_f32_e32 v2, v2
	s_delay_alu instid0(VALU_DEP_2) | instskip(NEXT) | instid1(VALU_DEP_1)
	v_cmp_ge_f32_e64 vcc_lo, |v0|, v1
	v_add_co_ci_u32_e64 v0, null, 0, v2, vcc_lo
	s_delay_alu instid0(VALU_DEP_1)
	v_mul_lo_u16 v1, v0, v4
.LBB46_1419:
	s_or_b32 exec_lo, exec_lo, s0
	v_mul_lo_u32 v2, v10, s8
	s_and_b32 s17, s11, 0xff
	s_delay_alu instid0(SALU_CYCLE_1) | instskip(NEXT) | instid1(VALU_DEP_1)
	s_cmp_lt_i32 s17, 11
	v_ashrrev_i32_e32 v3, 31, v2
	s_delay_alu instid0(VALU_DEP_1)
	v_add_nc_u64_e32 v[2:3], s[4:5], v[2:3]
	s_cbranch_scc1 .LBB46_1429
; %bb.1420:
	s_and_b32 s19, 0xffff, s17
	s_mov_b32 s20, -1
	s_cmp_gt_i32 s19, 25
	s_mov_b32 s0, s15
	s_cbranch_scc0 .LBB46_1457
; %bb.1421:
	s_cmp_gt_i32 s19, 28
	s_mov_b32 s0, s15
	s_cbranch_scc0 .LBB46_1441
; %bb.1422:
	;; [unrolled: 4-line block ×4, first 2 shown]
	s_cmp_eq_u32 s19, 46
	s_mov_b32 s0, -1
	s_cbranch_scc0 .LBB46_1430
; %bb.1425:
	v_cvt_f32_ubyte0_e32 v0, v1
	s_mov_b32 s0, 0
	s_mov_b32 s20, 0
	s_delay_alu instid0(VALU_DEP_1) | instskip(NEXT) | instid1(VALU_DEP_1)
	v_bfe_u32 v4, v0, 16, 1
	v_add3_u32 v0, v0, v4, 0x7fff
	s_delay_alu instid0(VALU_DEP_1)
	v_lshrrev_b32_e32 v0, 16, v0
	global_store_b32 v[2:3], v0, off
	s_branch .LBB46_1431
.LBB46_1426:
	s_or_b32 exec_lo, exec_lo, s18
	s_and_saveexec_b32 s18, s15
	s_cbranch_execnz .LBB46_1499
.LBB46_1427:
	s_or_b32 exec_lo, exec_lo, s18
	s_and_saveexec_b32 s15, s0
	s_delay_alu instid0(SALU_CYCLE_1)
	s_xor_b32 s0, exec_lo, s15
	s_cbranch_execz .LBB46_1500
.LBB46_1428:
	s_wait_loadcnt 0x0
	v_and_b32_e32 v0, 0xff, v1
	s_delay_alu instid0(VALU_DEP_1)
	v_cmp_ne_u16_e32 vcc_lo, 0, v0
	v_cndmask_b32_e64 v0, 0, 1, vcc_lo
	global_store_b8 v[2:3], v0, off
	s_wait_xcnt 0x0
	s_or_b32 exec_lo, exec_lo, s0
	s_and_saveexec_b32 s0, s20
	s_delay_alu instid0(SALU_CYCLE_1)
	s_xor_b32 s0, exec_lo, s0
	s_cbranch_execz .LBB46_1538
	s_branch .LBB46_1501
.LBB46_1429:
	s_mov_b32 s21, 0
	s_mov_b32 s20, -1
	s_mov_b32 s0, s15
	s_branch .LBB46_1498
.LBB46_1430:
	s_mov_b32 s20, 0
.LBB46_1431:
	s_delay_alu instid0(SALU_CYCLE_1)
	s_and_b32 vcc_lo, exec_lo, s20
	s_cbranch_vccz .LBB46_1436
; %bb.1432:
	s_cmp_eq_u32 s19, 44
	s_mov_b32 s0, -1
	s_cbranch_scc0 .LBB46_1436
; %bb.1433:
	v_cvt_f32_ubyte0_e32 v5, v1
	v_mov_b32_e32 v4, 0xff
	s_mov_b32 s20, exec_lo
	s_wait_xcnt 0x0
	s_delay_alu instid0(VALU_DEP_2) | instskip(NEXT) | instid1(VALU_DEP_1)
	v_lshrrev_b32_e32 v0, 23, v5
	v_cmpx_ne_u32_e32 0xff, v0
; %bb.1434:
	v_and_b32_e32 v4, 0x400000, v5
	v_and_or_b32 v5, 0x3fffff, v5, v0
	s_delay_alu instid0(VALU_DEP_2) | instskip(NEXT) | instid1(VALU_DEP_2)
	v_cmp_ne_u32_e32 vcc_lo, 0, v4
	v_cmp_ne_u32_e64 s0, 0, v5
	s_and_b32 s0, vcc_lo, s0
	s_delay_alu instid0(SALU_CYCLE_1) | instskip(NEXT) | instid1(VALU_DEP_1)
	v_cndmask_b32_e64 v4, 0, 1, s0
	v_add_nc_u32_e32 v4, v0, v4
; %bb.1435:
	s_or_b32 exec_lo, exec_lo, s20
	s_mov_b32 s0, 0
	global_store_b8 v[2:3], v4, off
.LBB46_1436:
	s_mov_b32 s20, 0
.LBB46_1437:
	s_delay_alu instid0(SALU_CYCLE_1)
	s_and_b32 vcc_lo, exec_lo, s20
	s_cbranch_vccz .LBB46_1440
; %bb.1438:
	s_cmp_eq_u32 s19, 29
	s_mov_b32 s0, -1
	s_cbranch_scc0 .LBB46_1440
; %bb.1439:
	s_wait_xcnt 0x0
	v_and_b32_e32 v4, 0xff, v1
	v_mov_b32_e32 v5, 0
	s_mov_b32 s0, 0
	s_mov_b32 s20, 0
	global_store_b64 v[2:3], v[4:5], off
	s_branch .LBB46_1441
.LBB46_1440:
	s_mov_b32 s20, 0
.LBB46_1441:
	s_delay_alu instid0(SALU_CYCLE_1)
	s_and_b32 vcc_lo, exec_lo, s20
	s_cbranch_vccz .LBB46_1456
; %bb.1442:
	s_cmp_lt_i32 s19, 27
	s_mov_b32 s20, -1
	s_cbranch_scc1 .LBB46_1448
; %bb.1443:
	s_wait_xcnt 0x0
	v_and_b32_e32 v0, 0xff, v1
	s_cmp_gt_i32 s19, 27
	s_cbranch_scc0 .LBB46_1445
; %bb.1444:
	s_mov_b32 s20, 0
	global_store_b32 v[2:3], v0, off
.LBB46_1445:
	s_and_not1_b32 vcc_lo, exec_lo, s20
	s_cbranch_vccnz .LBB46_1447
; %bb.1446:
	global_store_b16 v[2:3], v0, off
.LBB46_1447:
	s_mov_b32 s20, 0
.LBB46_1448:
	s_delay_alu instid0(SALU_CYCLE_1)
	s_and_not1_b32 vcc_lo, exec_lo, s20
	s_cbranch_vccnz .LBB46_1456
; %bb.1449:
	s_wait_xcnt 0x0
	v_cvt_f32_ubyte0_e32 v4, v1
	v_mov_b32_e32 v5, 0x80
	s_mov_b32 s20, exec_lo
	s_delay_alu instid0(VALU_DEP_2)
	v_cmpx_gt_u32_e32 0x43800000, v4
	s_cbranch_execz .LBB46_1455
; %bb.1450:
	s_mov_b32 s21, 0
	s_mov_b32 s22, exec_lo
                                        ; implicit-def: $vgpr0
	v_cmpx_lt_u32_e32 0x3bffffff, v4
	s_xor_b32 s22, exec_lo, s22
	s_cbranch_execz .LBB46_1553
; %bb.1451:
	v_bfe_u32 v0, v4, 20, 1
	s_mov_b32 s21, exec_lo
	s_delay_alu instid0(VALU_DEP_1) | instskip(NEXT) | instid1(VALU_DEP_1)
	v_add3_u32 v0, v4, v0, 0x487ffff
                                        ; implicit-def: $vgpr4
	v_lshrrev_b32_e32 v0, 20, v0
	s_and_not1_saveexec_b32 s22, s22
	s_cbranch_execnz .LBB46_1554
.LBB46_1452:
	s_or_b32 exec_lo, exec_lo, s22
	v_mov_b32_e32 v5, 0
	s_and_saveexec_b32 s22, s21
.LBB46_1453:
	v_mov_b32_e32 v5, v0
.LBB46_1454:
	s_or_b32 exec_lo, exec_lo, s22
.LBB46_1455:
	s_delay_alu instid0(SALU_CYCLE_1)
	s_or_b32 exec_lo, exec_lo, s20
	global_store_b8 v[2:3], v5, off
.LBB46_1456:
	s_mov_b32 s20, 0
.LBB46_1457:
	s_delay_alu instid0(SALU_CYCLE_1)
	s_and_b32 vcc_lo, exec_lo, s20
	s_mov_b32 s20, 0
	s_cbranch_vccz .LBB46_1497
; %bb.1458:
	s_cmp_gt_i32 s19, 22
	s_mov_b32 s21, -1
	s_cbranch_scc0 .LBB46_1490
; %bb.1459:
	s_cmp_lt_i32 s19, 24
	s_cbranch_scc1 .LBB46_1479
; %bb.1460:
	s_cmp_gt_i32 s19, 24
	s_cbranch_scc0 .LBB46_1468
; %bb.1461:
	s_wait_xcnt 0x0
	v_cvt_f32_ubyte0_e32 v4, v1
	v_mov_b32_e32 v5, 0x80
	s_mov_b32 s21, exec_lo
	s_delay_alu instid0(VALU_DEP_2)
	v_cmpx_gt_u32_e32 0x47800000, v4
	s_cbranch_execz .LBB46_1467
; %bb.1462:
	s_mov_b32 s22, 0
	s_mov_b32 s23, exec_lo
                                        ; implicit-def: $vgpr0
	v_cmpx_lt_u32_e32 0x37ffffff, v4
	s_xor_b32 s23, exec_lo, s23
	s_cbranch_execz .LBB46_1674
; %bb.1463:
	v_bfe_u32 v0, v4, 21, 1
	s_mov_b32 s22, exec_lo
	s_delay_alu instid0(VALU_DEP_1) | instskip(NEXT) | instid1(VALU_DEP_1)
	v_add3_u32 v0, v4, v0, 0x88fffff
                                        ; implicit-def: $vgpr4
	v_lshrrev_b32_e32 v0, 21, v0
	s_and_not1_saveexec_b32 s23, s23
	s_cbranch_execnz .LBB46_1675
.LBB46_1464:
	s_or_b32 exec_lo, exec_lo, s23
	v_mov_b32_e32 v5, 0
	s_and_saveexec_b32 s23, s22
.LBB46_1465:
	v_mov_b32_e32 v5, v0
.LBB46_1466:
	s_or_b32 exec_lo, exec_lo, s23
.LBB46_1467:
	s_delay_alu instid0(SALU_CYCLE_1)
	s_or_b32 exec_lo, exec_lo, s21
	s_mov_b32 s21, 0
	global_store_b8 v[2:3], v5, off
.LBB46_1468:
	s_and_b32 vcc_lo, exec_lo, s21
	s_cbranch_vccz .LBB46_1478
; %bb.1469:
	s_wait_xcnt 0x0
	v_cvt_f32_ubyte0_e32 v4, v1
	s_mov_b32 s21, exec_lo
                                        ; implicit-def: $vgpr0
	s_delay_alu instid0(VALU_DEP_1)
	v_cmpx_gt_u32_e32 0x43f00000, v4
	s_xor_b32 s21, exec_lo, s21
	s_cbranch_execz .LBB46_1475
; %bb.1470:
	s_mov_b32 s22, exec_lo
                                        ; implicit-def: $vgpr0
	v_cmpx_lt_u32_e32 0x3c7fffff, v4
	s_xor_b32 s22, exec_lo, s22
; %bb.1471:
	v_bfe_u32 v0, v4, 20, 1
	s_delay_alu instid0(VALU_DEP_1) | instskip(NEXT) | instid1(VALU_DEP_1)
	v_add3_u32 v0, v4, v0, 0x407ffff
	v_and_b32_e32 v4, 0xff00000, v0
	v_lshrrev_b32_e32 v0, 20, v0
	s_delay_alu instid0(VALU_DEP_2) | instskip(NEXT) | instid1(VALU_DEP_2)
	v_cmp_ne_u32_e32 vcc_lo, 0x7f00000, v4
                                        ; implicit-def: $vgpr4
	v_cndmask_b32_e32 v0, 0x7e, v0, vcc_lo
; %bb.1472:
	s_and_not1_saveexec_b32 s22, s22
; %bb.1473:
	v_add_f32_e32 v0, 0x46800000, v4
; %bb.1474:
	s_or_b32 exec_lo, exec_lo, s22
                                        ; implicit-def: $vgpr4
.LBB46_1475:
	s_and_not1_saveexec_b32 s21, s21
; %bb.1476:
	v_mov_b32_e32 v0, 0x7f
	v_cmp_lt_u32_e32 vcc_lo, 0x7f800000, v4
	s_delay_alu instid0(VALU_DEP_2)
	v_cndmask_b32_e32 v0, 0x7e, v0, vcc_lo
; %bb.1477:
	s_or_b32 exec_lo, exec_lo, s21
	global_store_b8 v[2:3], v0, off
.LBB46_1478:
	s_mov_b32 s21, 0
.LBB46_1479:
	s_delay_alu instid0(SALU_CYCLE_1)
	s_and_not1_b32 vcc_lo, exec_lo, s21
	s_cbranch_vccnz .LBB46_1489
; %bb.1480:
	s_wait_xcnt 0x0
	v_cvt_f32_ubyte0_e32 v4, v1
	s_mov_b32 s21, exec_lo
                                        ; implicit-def: $vgpr0
	s_delay_alu instid0(VALU_DEP_1)
	v_cmpx_gt_u32_e32 0x47800000, v4
	s_xor_b32 s21, exec_lo, s21
	s_cbranch_execz .LBB46_1486
; %bb.1481:
	s_mov_b32 s22, exec_lo
                                        ; implicit-def: $vgpr0
	v_cmpx_lt_u32_e32 0x387fffff, v4
	s_xor_b32 s22, exec_lo, s22
; %bb.1482:
	v_bfe_u32 v0, v4, 21, 1
	s_delay_alu instid0(VALU_DEP_1) | instskip(NEXT) | instid1(VALU_DEP_1)
	v_add3_u32 v0, v4, v0, 0x80fffff
                                        ; implicit-def: $vgpr4
	v_lshrrev_b32_e32 v0, 21, v0
; %bb.1483:
	s_and_not1_saveexec_b32 s22, s22
; %bb.1484:
	v_add_f32_e32 v0, 0x43000000, v4
; %bb.1485:
	s_or_b32 exec_lo, exec_lo, s22
                                        ; implicit-def: $vgpr4
.LBB46_1486:
	s_and_not1_saveexec_b32 s21, s21
; %bb.1487:
	v_mov_b32_e32 v0, 0x7f
	v_cmp_lt_u32_e32 vcc_lo, 0x7f800000, v4
	s_delay_alu instid0(VALU_DEP_2)
	v_cndmask_b32_e32 v0, 0x7c, v0, vcc_lo
; %bb.1488:
	s_or_b32 exec_lo, exec_lo, s21
	global_store_b8 v[2:3], v0, off
.LBB46_1489:
	s_mov_b32 s21, 0
.LBB46_1490:
	s_delay_alu instid0(SALU_CYCLE_1)
	s_and_not1_b32 vcc_lo, exec_lo, s21
	s_mov_b32 s21, 0
	s_cbranch_vccnz .LBB46_1498
; %bb.1491:
	s_cmp_gt_i32 s19, 14
	s_mov_b32 s21, -1
	s_cbranch_scc0 .LBB46_1495
; %bb.1492:
	s_cmp_eq_u32 s19, 15
	s_mov_b32 s0, -1
	s_cbranch_scc0 .LBB46_1494
; %bb.1493:
	s_wait_xcnt 0x0
	v_cvt_f32_ubyte0_e32 v0, v1
	s_mov_b32 s0, 0
	s_delay_alu instid0(VALU_DEP_1) | instskip(NEXT) | instid1(VALU_DEP_1)
	v_bfe_u32 v4, v0, 16, 1
	v_add3_u32 v0, v0, v4, 0x7fff
	global_store_d16_hi_b16 v[2:3], v0, off
.LBB46_1494:
	s_mov_b32 s21, 0
.LBB46_1495:
	s_delay_alu instid0(SALU_CYCLE_1)
	s_and_b32 vcc_lo, exec_lo, s21
	s_mov_b32 s21, 0
	s_cbranch_vccz .LBB46_1498
; %bb.1496:
	s_cmp_lg_u32 s19, 11
	s_mov_b32 s21, -1
	s_cselect_b32 s19, -1, 0
	s_and_not1_b32 s0, s0, exec_lo
	s_and_b32 s19, s19, exec_lo
	s_delay_alu instid0(SALU_CYCLE_1)
	s_or_b32 s0, s0, s19
	s_branch .LBB46_1498
.LBB46_1497:
	s_mov_b32 s21, 0
.LBB46_1498:
	s_and_not1_b32 s15, s15, exec_lo
	s_and_b32 s19, s0, exec_lo
	s_and_b32 s20, s20, exec_lo
	;; [unrolled: 1-line block ×3, first 2 shown]
	s_or_b32 s15, s15, s19
	s_wait_xcnt 0x0
	s_or_b32 exec_lo, exec_lo, s18
	s_and_saveexec_b32 s18, s15
	s_cbranch_execz .LBB46_1427
.LBB46_1499:
	s_or_b32 s16, s16, exec_lo
	s_and_not1_b32 s0, s0, exec_lo
	s_trap 2
	s_or_b32 exec_lo, exec_lo, s18
	s_and_saveexec_b32 s15, s0
	s_delay_alu instid0(SALU_CYCLE_1)
	s_xor_b32 s0, exec_lo, s15
	s_cbranch_execnz .LBB46_1428
.LBB46_1500:
	s_or_b32 exec_lo, exec_lo, s0
	s_and_saveexec_b32 s0, s20
	s_delay_alu instid0(SALU_CYCLE_1)
	s_xor_b32 s0, exec_lo, s0
	s_cbranch_execz .LBB46_1538
.LBB46_1501:
	s_sext_i32_i16 s18, s17
	s_mov_b32 s15, -1
	s_cmp_lt_i32 s18, 5
	s_cbranch_scc1 .LBB46_1522
; %bb.1502:
	s_cmp_lt_i32 s18, 8
	s_cbranch_scc1 .LBB46_1512
; %bb.1503:
	;; [unrolled: 3-line block ×3, first 2 shown]
	s_cmp_gt_i32 s18, 9
	s_cbranch_scc0 .LBB46_1506
; %bb.1505:
	s_wait_loadcnt 0x0
	v_and_b32_e32 v0, 0xff, v1
	v_mov_b32_e32 v6, 0
	s_mov_b32 s15, 0
	s_delay_alu instid0(VALU_DEP_2) | instskip(NEXT) | instid1(VALU_DEP_2)
	v_and_b32_e32 v0, 0xffff, v0
	v_mov_b32_e32 v7, v6
	s_delay_alu instid0(VALU_DEP_2)
	v_cvt_f64_u32_e32 v[4:5], v0
	global_store_b128 v[2:3], v[4:7], off
.LBB46_1506:
	s_and_not1_b32 vcc_lo, exec_lo, s15
	s_cbranch_vccnz .LBB46_1508
; %bb.1507:
	s_wait_loadcnt 0x0
	v_cvt_f32_ubyte0_e32 v4, v1
	v_mov_b32_e32 v5, 0
	global_store_b64 v[2:3], v[4:5], off
.LBB46_1508:
	s_mov_b32 s15, 0
.LBB46_1509:
	s_delay_alu instid0(SALU_CYCLE_1)
	s_and_not1_b32 vcc_lo, exec_lo, s15
	s_cbranch_vccnz .LBB46_1511
; %bb.1510:
	s_wait_loadcnt 0x0
	v_and_b32_e32 v0, 0xff, v1
	s_delay_alu instid0(VALU_DEP_1) | instskip(NEXT) | instid1(VALU_DEP_1)
	v_cvt_f16_u16_e32 v0, v0
	v_and_b32_e32 v0, 0xffff, v0
	global_store_b32 v[2:3], v0, off
.LBB46_1511:
	s_mov_b32 s15, 0
.LBB46_1512:
	s_delay_alu instid0(SALU_CYCLE_1)
	s_and_not1_b32 vcc_lo, exec_lo, s15
	s_cbranch_vccnz .LBB46_1521
; %bb.1513:
	s_sext_i32_i16 s18, s17
	s_mov_b32 s15, -1
	s_cmp_lt_i32 s18, 6
	s_cbranch_scc1 .LBB46_1519
; %bb.1514:
	s_cmp_gt_i32 s18, 6
	s_cbranch_scc0 .LBB46_1516
; %bb.1515:
	s_wait_loadcnt 0x0
	v_and_b32_e32 v0, 0xff, v1
	s_mov_b32 s15, 0
	s_delay_alu instid0(VALU_DEP_1) | instskip(NEXT) | instid1(VALU_DEP_1)
	v_and_b32_e32 v0, 0xffff, v0
	v_cvt_f64_u32_e32 v[4:5], v0
	global_store_b64 v[2:3], v[4:5], off
.LBB46_1516:
	s_and_not1_b32 vcc_lo, exec_lo, s15
	s_cbranch_vccnz .LBB46_1518
; %bb.1517:
	s_wait_loadcnt 0x0
	v_cvt_f32_ubyte0_e32 v0, v1
	global_store_b32 v[2:3], v0, off
.LBB46_1518:
	s_mov_b32 s15, 0
.LBB46_1519:
	s_delay_alu instid0(SALU_CYCLE_1)
	s_and_not1_b32 vcc_lo, exec_lo, s15
	s_cbranch_vccnz .LBB46_1521
; %bb.1520:
	s_wait_loadcnt 0x0
	v_and_b32_e32 v0, 0xff, v1
	s_delay_alu instid0(VALU_DEP_1)
	v_cvt_f16_u16_e32 v0, v0
	global_store_b16 v[2:3], v0, off
.LBB46_1521:
	s_mov_b32 s15, 0
.LBB46_1522:
	s_delay_alu instid0(SALU_CYCLE_1)
	s_and_not1_b32 vcc_lo, exec_lo, s15
	s_cbranch_vccnz .LBB46_1538
; %bb.1523:
	s_sext_i32_i16 s18, s17
	s_mov_b32 s15, -1
	s_cmp_lt_i32 s18, 2
	s_cbranch_scc1 .LBB46_1533
; %bb.1524:
	s_cmp_lt_i32 s18, 3
	s_cbranch_scc1 .LBB46_1530
; %bb.1525:
	s_cmp_gt_i32 s18, 3
	s_cbranch_scc0 .LBB46_1527
; %bb.1526:
	s_wait_loadcnt 0x0
	v_and_b32_e32 v4, 0xff, v1
	v_mov_b32_e32 v5, 0
	s_mov_b32 s15, 0
	global_store_b64 v[2:3], v[4:5], off
.LBB46_1527:
	s_and_not1_b32 vcc_lo, exec_lo, s15
	s_cbranch_vccnz .LBB46_1529
; %bb.1528:
	s_wait_loadcnt 0x0
	v_and_b32_e32 v0, 0xff, v1
	global_store_b32 v[2:3], v0, off
.LBB46_1529:
	s_mov_b32 s15, 0
.LBB46_1530:
	s_delay_alu instid0(SALU_CYCLE_1)
	s_and_not1_b32 vcc_lo, exec_lo, s15
	s_cbranch_vccnz .LBB46_1532
; %bb.1531:
	s_wait_loadcnt 0x0
	v_and_b32_e32 v0, 0xff, v1
	global_store_b16 v[2:3], v0, off
.LBB46_1532:
	s_mov_b32 s15, 0
.LBB46_1533:
	s_delay_alu instid0(SALU_CYCLE_1)
	s_and_not1_b32 vcc_lo, exec_lo, s15
	s_cbranch_vccnz .LBB46_1538
; %bb.1534:
	s_sext_i32_i16 s15, s17
	s_delay_alu instid0(SALU_CYCLE_1)
	s_cmp_gt_i32 s15, 0
	s_mov_b32 s15, -1
	s_cbranch_scc0 .LBB46_1536
; %bb.1535:
	s_mov_b32 s15, 0
	s_wait_loadcnt 0x0
	global_store_b8 v[2:3], v1, off
.LBB46_1536:
	s_and_not1_b32 vcc_lo, exec_lo, s15
	s_cbranch_vccnz .LBB46_1538
; %bb.1537:
	s_wait_loadcnt 0x0
	global_store_b8 v[2:3], v1, off
.LBB46_1538:
	s_wait_xcnt 0x0
	s_or_b32 exec_lo, exec_lo, s0
	s_delay_alu instid0(SALU_CYCLE_1)
	s_and_b32 s15, s16, exec_lo
                                        ; implicit-def: $vgpr10
.LBB46_1539:
	s_or_saveexec_b32 s14, s14
	s_mov_b32 s0, 0
                                        ; implicit-def: $sgpr16
                                        ; implicit-def: $vgpr0_vgpr1
                                        ; implicit-def: $vgpr5
	s_xor_b32 exec_lo, exec_lo, s14
	s_cbranch_execz .LBB46_2653
; %bb.1540:
	s_wait_loadcnt 0x0
	v_mul_lo_u32 v0, s9, v10
	s_and_b32 s0, s13, 0xff
	s_delay_alu instid0(SALU_CYCLE_1) | instskip(NEXT) | instid1(VALU_DEP_1)
	s_cmp_lt_i32 s0, 11
	v_ashrrev_i32_e32 v1, 31, v0
	s_delay_alu instid0(VALU_DEP_1)
	v_add_nc_u64_e32 v[2:3], s[6:7], v[0:1]
	s_cbranch_scc1 .LBB46_1547
; %bb.1541:
	s_and_b32 s12, 0xffff, s0
	s_mov_b32 s16, 0
	s_cmp_gt_i32 s12, 25
	s_cbranch_scc0 .LBB46_1549
; %bb.1542:
	s_cmp_gt_i32 s12, 28
	s_cbranch_scc0 .LBB46_1550
; %bb.1543:
	;; [unrolled: 3-line block ×4, first 2 shown]
	s_cmp_eq_u32 s12, 46
	s_mov_b32 s18, 0
	s_cbranch_scc0 .LBB46_1555
; %bb.1546:
	global_load_b32 v1, v[2:3], off
	s_mov_b32 s13, 0
	s_mov_b32 s17, -1
	s_wait_loadcnt 0x0
	v_lshlrev_b32_e32 v1, 16, v1
	s_delay_alu instid0(VALU_DEP_1) | instskip(NEXT) | instid1(VALU_DEP_1)
	v_trunc_f32_e32 v1, v1
	v_mul_f32_e64 v4, 0x2f800000, |v1|
	s_delay_alu instid0(VALU_DEP_1) | instskip(NEXT) | instid1(VALU_DEP_1)
	v_floor_f32_e32 v4, v4
	v_fma_f32 v4, 0xcf800000, v4, |v1|
	v_ashrrev_i32_e32 v1, 31, v1
	s_delay_alu instid0(VALU_DEP_2) | instskip(NEXT) | instid1(VALU_DEP_1)
	v_cvt_u32_f32_e32 v4, v4
	v_xor_b32_e32 v4, v4, v1
	s_delay_alu instid0(VALU_DEP_1)
	v_sub_nc_u32_e32 v4, v4, v1
	s_branch .LBB46_1557
.LBB46_1547:
	s_mov_b32 s17, 0
	s_mov_b32 s12, s15
                                        ; implicit-def: $vgpr4
	s_cbranch_execnz .LBB46_1615
.LBB46_1548:
	s_and_not1_b32 vcc_lo, exec_lo, s17
	s_cbranch_vccz .LBB46_1660
	s_branch .LBB46_2651
.LBB46_1549:
	s_mov_b32 s17, 0
	s_mov_b32 s13, 0
                                        ; implicit-def: $vgpr4
	s_cbranch_execnz .LBB46_1582
	s_branch .LBB46_1611
.LBB46_1550:
	s_mov_b32 s17, 0
	s_mov_b32 s13, 0
                                        ; implicit-def: $vgpr4
	s_cbranch_execz .LBB46_1581
	s_branch .LBB46_1566
.LBB46_1551:
	s_mov_b32 s17, 0
	s_mov_b32 s13, 0
                                        ; implicit-def: $vgpr4
	s_cbranch_execnz .LBB46_1562
	s_branch .LBB46_1565
.LBB46_1552:
	s_mov_b32 s18, -1
	s_mov_b32 s17, 0
	s_mov_b32 s13, 0
	s_branch .LBB46_1556
.LBB46_1553:
	s_and_not1_saveexec_b32 s22, s22
	s_cbranch_execz .LBB46_1452
.LBB46_1554:
	v_add_f32_e32 v0, 0x46000000, v4
	s_and_not1_b32 s21, s21, exec_lo
	s_delay_alu instid0(VALU_DEP_1) | instskip(NEXT) | instid1(VALU_DEP_1)
	v_and_b32_e32 v0, 0xff, v0
	v_cmp_ne_u32_e32 vcc_lo, 0, v0
	s_and_b32 s23, vcc_lo, exec_lo
	s_delay_alu instid0(SALU_CYCLE_1)
	s_or_b32 s21, s21, s23
	s_or_b32 exec_lo, exec_lo, s22
	v_mov_b32_e32 v5, 0
	s_and_saveexec_b32 s22, s21
	s_cbranch_execnz .LBB46_1453
	s_branch .LBB46_1454
.LBB46_1555:
	s_mov_b32 s13, -1
	s_mov_b32 s17, 0
.LBB46_1556:
                                        ; implicit-def: $vgpr4
.LBB46_1557:
	s_and_b32 vcc_lo, exec_lo, s18
	s_cbranch_vccz .LBB46_1560
; %bb.1558:
	s_cmp_eq_u32 s12, 44
	s_cbranch_scc0 .LBB46_1561
; %bb.1559:
	global_load_u8 v1, v[2:3], off
	s_mov_b32 s13, 0
	s_mov_b32 s17, -1
	s_wait_loadcnt 0x0
	v_lshlrev_b32_e32 v4, 23, v1
	v_cmp_ne_u32_e32 vcc_lo, 0, v1
	s_delay_alu instid0(VALU_DEP_2) | instskip(NEXT) | instid1(VALU_DEP_1)
	v_trunc_f32_e32 v4, v4
	v_mul_f32_e64 v5, 0x2f800000, |v4|
	s_delay_alu instid0(VALU_DEP_1) | instskip(NEXT) | instid1(VALU_DEP_1)
	v_floor_f32_e32 v5, v5
	v_fma_f32 v5, 0xcf800000, v5, |v4|
	v_ashrrev_i32_e32 v4, 31, v4
	s_delay_alu instid0(VALU_DEP_2) | instskip(NEXT) | instid1(VALU_DEP_1)
	v_cvt_u32_f32_e32 v5, v5
	v_xor_b32_e32 v5, v5, v4
	s_delay_alu instid0(VALU_DEP_1) | instskip(NEXT) | instid1(VALU_DEP_1)
	v_sub_nc_u32_e32 v4, v5, v4
	v_cndmask_b32_e32 v4, 0, v4, vcc_lo
.LBB46_1560:
	s_branch .LBB46_1565
.LBB46_1561:
	s_mov_b32 s13, -1
                                        ; implicit-def: $vgpr4
	s_branch .LBB46_1565
.LBB46_1562:
	s_cmp_eq_u32 s12, 29
	s_cbranch_scc0 .LBB46_1564
; %bb.1563:
	global_load_b64 v[4:5], v[2:3], off
	s_mov_b32 s13, 0
	s_mov_b32 s17, -1
	s_branch .LBB46_1565
.LBB46_1564:
	s_mov_b32 s13, -1
                                        ; implicit-def: $vgpr4
.LBB46_1565:
	s_branch .LBB46_1581
.LBB46_1566:
	s_cmp_lt_i32 s12, 27
	s_cbranch_scc1 .LBB46_1569
; %bb.1567:
	s_cmp_gt_i32 s12, 27
	s_cbranch_scc0 .LBB46_1570
; %bb.1568:
	s_wait_loadcnt 0x0
	global_load_b32 v4, v[2:3], off
	s_mov_b32 s17, 0
	s_branch .LBB46_1571
.LBB46_1569:
	s_mov_b32 s17, -1
                                        ; implicit-def: $vgpr4
	s_branch .LBB46_1574
.LBB46_1570:
	s_mov_b32 s17, -1
                                        ; implicit-def: $vgpr4
.LBB46_1571:
	s_delay_alu instid0(SALU_CYCLE_1)
	s_and_not1_b32 vcc_lo, exec_lo, s17
	s_cbranch_vccnz .LBB46_1573
; %bb.1572:
	s_wait_loadcnt 0x0
	global_load_u16 v4, v[2:3], off
.LBB46_1573:
	s_mov_b32 s17, 0
.LBB46_1574:
	s_delay_alu instid0(SALU_CYCLE_1)
	s_and_not1_b32 vcc_lo, exec_lo, s17
	s_cbranch_vccnz .LBB46_1580
; %bb.1575:
	global_load_u8 v1, v[2:3], off
	s_mov_b32 s18, 0
	s_mov_b32 s17, exec_lo
	s_wait_loadcnt 0x0
	v_cmpx_lt_i16_e32 0x7f, v1
	s_xor_b32 s17, exec_lo, s17
	s_cbranch_execz .LBB46_1591
; %bb.1576:
	v_cmp_ne_u16_e32 vcc_lo, 0x80, v1
	s_and_b32 s18, vcc_lo, exec_lo
	s_and_not1_saveexec_b32 s17, s17
	s_cbranch_execnz .LBB46_1592
.LBB46_1577:
	s_or_b32 exec_lo, exec_lo, s17
	v_mov_b32_e32 v4, 0
	s_and_saveexec_b32 s17, s18
	s_cbranch_execz .LBB46_1579
.LBB46_1578:
	v_and_b32_e32 v4, 0xffff, v1
	s_delay_alu instid0(VALU_DEP_1) | instskip(SKIP_1) | instid1(VALU_DEP_2)
	v_and_b32_e32 v5, 7, v4
	v_bfe_u32 v8, v4, 3, 4
	v_clz_i32_u32_e32 v6, v5
	s_delay_alu instid0(VALU_DEP_2) | instskip(NEXT) | instid1(VALU_DEP_2)
	v_cmp_eq_u32_e32 vcc_lo, 0, v8
	v_min_u32_e32 v6, 32, v6
	s_delay_alu instid0(VALU_DEP_1) | instskip(NEXT) | instid1(VALU_DEP_1)
	v_subrev_nc_u32_e32 v7, 28, v6
	v_dual_lshlrev_b32 v4, v7, v4 :: v_dual_sub_nc_u32 v6, 29, v6
	s_delay_alu instid0(VALU_DEP_1) | instskip(NEXT) | instid1(VALU_DEP_1)
	v_dual_lshlrev_b32 v1, 24, v1 :: v_dual_bitop2_b32 v4, 7, v4 bitop3:0x40
	v_dual_cndmask_b32 v6, v8, v6, vcc_lo :: v_dual_cndmask_b32 v4, v5, v4, vcc_lo
	s_delay_alu instid0(VALU_DEP_2) | instskip(NEXT) | instid1(VALU_DEP_2)
	v_and_b32_e32 v1, 0x80000000, v1
	v_lshl_add_u32 v5, v6, 23, 0x3b800000
	s_delay_alu instid0(VALU_DEP_3) | instskip(NEXT) | instid1(VALU_DEP_1)
	v_lshlrev_b32_e32 v4, 20, v4
	v_or3_b32 v1, v1, v5, v4
	s_delay_alu instid0(VALU_DEP_1) | instskip(NEXT) | instid1(VALU_DEP_1)
	v_trunc_f32_e32 v1, v1
	v_mul_f32_e64 v4, 0x2f800000, |v1|
	s_delay_alu instid0(VALU_DEP_1) | instskip(NEXT) | instid1(VALU_DEP_1)
	v_floor_f32_e32 v4, v4
	v_fma_f32 v4, 0xcf800000, v4, |v1|
	v_ashrrev_i32_e32 v1, 31, v1
	s_delay_alu instid0(VALU_DEP_2) | instskip(NEXT) | instid1(VALU_DEP_1)
	v_cvt_u32_f32_e32 v4, v4
	v_xor_b32_e32 v4, v4, v1
	s_delay_alu instid0(VALU_DEP_1)
	v_sub_nc_u32_e32 v4, v4, v1
.LBB46_1579:
	s_or_b32 exec_lo, exec_lo, s17
.LBB46_1580:
	s_mov_b32 s17, -1
.LBB46_1581:
	s_branch .LBB46_1611
.LBB46_1582:
	s_cmp_gt_i32 s12, 22
	s_cbranch_scc0 .LBB46_1590
; %bb.1583:
	s_cmp_lt_i32 s12, 24
	s_cbranch_scc1 .LBB46_1593
; %bb.1584:
	s_cmp_gt_i32 s12, 24
	s_cbranch_scc0 .LBB46_1594
; %bb.1585:
	global_load_u8 v1, v[2:3], off
	s_mov_b32 s17, 0
	s_mov_b32 s16, exec_lo
	s_wait_loadcnt 0x0
	v_cmpx_lt_i16_e32 0x7f, v1
	s_xor_b32 s16, exec_lo, s16
	s_cbranch_execz .LBB46_1605
; %bb.1586:
	v_cmp_ne_u16_e32 vcc_lo, 0x80, v1
	s_and_b32 s17, vcc_lo, exec_lo
	s_and_not1_saveexec_b32 s16, s16
	s_cbranch_execnz .LBB46_1606
.LBB46_1587:
	s_or_b32 exec_lo, exec_lo, s16
	v_mov_b32_e32 v4, 0
	s_and_saveexec_b32 s16, s17
	s_cbranch_execz .LBB46_1589
.LBB46_1588:
	v_and_b32_e32 v4, 0xffff, v1
	s_delay_alu instid0(VALU_DEP_1) | instskip(SKIP_1) | instid1(VALU_DEP_2)
	v_and_b32_e32 v5, 3, v4
	v_bfe_u32 v8, v4, 2, 5
	v_clz_i32_u32_e32 v6, v5
	s_delay_alu instid0(VALU_DEP_2) | instskip(NEXT) | instid1(VALU_DEP_2)
	v_cmp_eq_u32_e32 vcc_lo, 0, v8
	v_min_u32_e32 v6, 32, v6
	s_delay_alu instid0(VALU_DEP_1) | instskip(NEXT) | instid1(VALU_DEP_1)
	v_subrev_nc_u32_e32 v7, 29, v6
	v_dual_lshlrev_b32 v4, v7, v4 :: v_dual_sub_nc_u32 v6, 30, v6
	s_delay_alu instid0(VALU_DEP_1) | instskip(NEXT) | instid1(VALU_DEP_1)
	v_dual_lshlrev_b32 v1, 24, v1 :: v_dual_bitop2_b32 v4, 3, v4 bitop3:0x40
	v_dual_cndmask_b32 v6, v8, v6, vcc_lo :: v_dual_cndmask_b32 v4, v5, v4, vcc_lo
	s_delay_alu instid0(VALU_DEP_2) | instskip(NEXT) | instid1(VALU_DEP_2)
	v_and_b32_e32 v1, 0x80000000, v1
	v_lshl_add_u32 v5, v6, 23, 0x37800000
	s_delay_alu instid0(VALU_DEP_3) | instskip(NEXT) | instid1(VALU_DEP_1)
	v_lshlrev_b32_e32 v4, 21, v4
	v_or3_b32 v1, v1, v5, v4
	s_delay_alu instid0(VALU_DEP_1) | instskip(NEXT) | instid1(VALU_DEP_1)
	v_trunc_f32_e32 v1, v1
	v_mul_f32_e64 v4, 0x2f800000, |v1|
	s_delay_alu instid0(VALU_DEP_1) | instskip(NEXT) | instid1(VALU_DEP_1)
	v_floor_f32_e32 v4, v4
	v_fma_f32 v4, 0xcf800000, v4, |v1|
	v_ashrrev_i32_e32 v1, 31, v1
	s_delay_alu instid0(VALU_DEP_2) | instskip(NEXT) | instid1(VALU_DEP_1)
	v_cvt_u32_f32_e32 v4, v4
	v_xor_b32_e32 v4, v4, v1
	s_delay_alu instid0(VALU_DEP_1)
	v_sub_nc_u32_e32 v4, v4, v1
.LBB46_1589:
	s_or_b32 exec_lo, exec_lo, s16
	s_mov_b32 s16, 0
	s_branch .LBB46_1595
.LBB46_1590:
                                        ; implicit-def: $vgpr4
	s_mov_b32 s16, 0
	s_branch .LBB46_1601
.LBB46_1591:
	s_and_not1_saveexec_b32 s17, s17
	s_cbranch_execz .LBB46_1577
.LBB46_1592:
	v_cmp_ne_u16_e32 vcc_lo, 0, v1
	s_and_not1_b32 s18, s18, exec_lo
	s_and_b32 s19, vcc_lo, exec_lo
	s_delay_alu instid0(SALU_CYCLE_1)
	s_or_b32 s18, s18, s19
	s_or_b32 exec_lo, exec_lo, s17
	v_mov_b32_e32 v4, 0
	s_and_saveexec_b32 s17, s18
	s_cbranch_execnz .LBB46_1578
	s_branch .LBB46_1579
.LBB46_1593:
	s_mov_b32 s16, -1
                                        ; implicit-def: $vgpr4
	s_branch .LBB46_1598
.LBB46_1594:
	s_mov_b32 s16, -1
                                        ; implicit-def: $vgpr4
.LBB46_1595:
	s_delay_alu instid0(SALU_CYCLE_1)
	s_and_b32 vcc_lo, exec_lo, s16
	s_cbranch_vccz .LBB46_1597
; %bb.1596:
	global_load_u8 v1, v[2:3], off
	s_wait_loadcnt 0x0
	v_lshlrev_b32_e32 v1, 24, v1
	s_delay_alu instid0(VALU_DEP_1) | instskip(NEXT) | instid1(VALU_DEP_1)
	v_and_b32_e32 v4, 0x7f000000, v1
	v_clz_i32_u32_e32 v5, v4
	v_cmp_ne_u32_e32 vcc_lo, 0, v4
	v_add_nc_u32_e32 v7, 0x1000000, v4
	s_delay_alu instid0(VALU_DEP_3) | instskip(NEXT) | instid1(VALU_DEP_1)
	v_min_u32_e32 v5, 32, v5
	v_sub_nc_u32_e64 v5, v5, 4 clamp
	s_delay_alu instid0(VALU_DEP_1) | instskip(NEXT) | instid1(VALU_DEP_1)
	v_dual_lshlrev_b32 v6, v5, v4 :: v_dual_lshlrev_b32 v5, 23, v5
	v_lshrrev_b32_e32 v6, 4, v6
	s_delay_alu instid0(VALU_DEP_1) | instskip(NEXT) | instid1(VALU_DEP_1)
	v_dual_sub_nc_u32 v5, v6, v5 :: v_dual_ashrrev_i32 v6, 8, v7
	v_add_nc_u32_e32 v5, 0x3c000000, v5
	s_delay_alu instid0(VALU_DEP_1) | instskip(NEXT) | instid1(VALU_DEP_1)
	v_and_or_b32 v5, 0x7f800000, v6, v5
	v_cndmask_b32_e32 v4, 0, v5, vcc_lo
	s_delay_alu instid0(VALU_DEP_1) | instskip(NEXT) | instid1(VALU_DEP_1)
	v_and_or_b32 v1, 0x80000000, v1, v4
	v_trunc_f32_e32 v1, v1
	s_delay_alu instid0(VALU_DEP_1) | instskip(NEXT) | instid1(VALU_DEP_1)
	v_mul_f32_e64 v4, 0x2f800000, |v1|
	v_floor_f32_e32 v4, v4
	s_delay_alu instid0(VALU_DEP_1) | instskip(SKIP_1) | instid1(VALU_DEP_2)
	v_fma_f32 v4, 0xcf800000, v4, |v1|
	v_ashrrev_i32_e32 v1, 31, v1
	v_cvt_u32_f32_e32 v4, v4
	s_delay_alu instid0(VALU_DEP_1) | instskip(NEXT) | instid1(VALU_DEP_1)
	v_xor_b32_e32 v4, v4, v1
	v_sub_nc_u32_e32 v4, v4, v1
.LBB46_1597:
	s_mov_b32 s16, 0
.LBB46_1598:
	s_delay_alu instid0(SALU_CYCLE_1)
	s_and_not1_b32 vcc_lo, exec_lo, s16
	s_cbranch_vccnz .LBB46_1600
; %bb.1599:
	global_load_u8 v1, v[2:3], off
	s_wait_loadcnt 0x0
	v_lshlrev_b32_e32 v4, 25, v1
	v_lshlrev_b16 v1, 8, v1
	s_delay_alu instid0(VALU_DEP_1) | instskip(SKIP_1) | instid1(VALU_DEP_2)
	v_and_or_b32 v6, 0x7f00, v1, 0.5
	v_bfe_i32 v1, v1, 0, 16
	v_dual_add_f32 v6, -0.5, v6 :: v_dual_lshrrev_b32 v5, 4, v4
	v_cmp_gt_u32_e32 vcc_lo, 0x8000000, v4
	s_delay_alu instid0(VALU_DEP_2) | instskip(NEXT) | instid1(VALU_DEP_1)
	v_or_b32_e32 v5, 0x70000000, v5
	v_mul_f32_e32 v5, 0x7800000, v5
	s_delay_alu instid0(VALU_DEP_1) | instskip(NEXT) | instid1(VALU_DEP_1)
	v_cndmask_b32_e32 v4, v5, v6, vcc_lo
	v_and_or_b32 v1, 0x80000000, v1, v4
	s_delay_alu instid0(VALU_DEP_1) | instskip(NEXT) | instid1(VALU_DEP_1)
	v_trunc_f32_e32 v1, v1
	v_mul_f32_e64 v4, 0x2f800000, |v1|
	s_delay_alu instid0(VALU_DEP_1) | instskip(NEXT) | instid1(VALU_DEP_1)
	v_floor_f32_e32 v4, v4
	v_fma_f32 v4, 0xcf800000, v4, |v1|
	v_ashrrev_i32_e32 v1, 31, v1
	s_delay_alu instid0(VALU_DEP_2) | instskip(NEXT) | instid1(VALU_DEP_1)
	v_cvt_u32_f32_e32 v4, v4
	v_xor_b32_e32 v4, v4, v1
	s_delay_alu instid0(VALU_DEP_1)
	v_sub_nc_u32_e32 v4, v4, v1
.LBB46_1600:
	s_mov_b32 s17, -1
	s_mov_b32 s16, 0
	s_cbranch_execnz .LBB46_1611
.LBB46_1601:
	s_cmp_gt_i32 s12, 14
	s_cbranch_scc0 .LBB46_1604
; %bb.1602:
	s_cmp_eq_u32 s12, 15
	s_cbranch_scc0 .LBB46_1607
; %bb.1603:
	global_load_u16 v1, v[2:3], off
	s_mov_b32 s13, 0
	s_mov_b32 s17, -1
	s_wait_loadcnt 0x0
	v_lshlrev_b32_e32 v1, 16, v1
	s_delay_alu instid0(VALU_DEP_1) | instskip(NEXT) | instid1(VALU_DEP_1)
	v_trunc_f32_e32 v1, v1
	v_mul_f32_e64 v4, 0x2f800000, |v1|
	s_delay_alu instid0(VALU_DEP_1) | instskip(NEXT) | instid1(VALU_DEP_1)
	v_floor_f32_e32 v4, v4
	v_fma_f32 v4, 0xcf800000, v4, |v1|
	v_ashrrev_i32_e32 v1, 31, v1
	s_delay_alu instid0(VALU_DEP_2) | instskip(NEXT) | instid1(VALU_DEP_1)
	v_cvt_u32_f32_e32 v4, v4
	v_xor_b32_e32 v4, v4, v1
	s_delay_alu instid0(VALU_DEP_1)
	v_sub_nc_u32_e32 v4, v4, v1
	s_branch .LBB46_1609
.LBB46_1604:
	s_mov_b32 s16, -1
	s_branch .LBB46_1608
.LBB46_1605:
	s_and_not1_saveexec_b32 s16, s16
	s_cbranch_execz .LBB46_1587
.LBB46_1606:
	v_cmp_ne_u16_e32 vcc_lo, 0, v1
	s_and_not1_b32 s17, s17, exec_lo
	s_and_b32 s18, vcc_lo, exec_lo
	s_delay_alu instid0(SALU_CYCLE_1)
	s_or_b32 s17, s17, s18
	s_or_b32 exec_lo, exec_lo, s16
	v_mov_b32_e32 v4, 0
	s_and_saveexec_b32 s16, s17
	s_cbranch_execnz .LBB46_1588
	s_branch .LBB46_1589
.LBB46_1607:
	s_mov_b32 s13, -1
.LBB46_1608:
                                        ; implicit-def: $vgpr4
.LBB46_1609:
	s_and_b32 vcc_lo, exec_lo, s16
	s_mov_b32 s16, 0
	s_cbranch_vccz .LBB46_1611
; %bb.1610:
	s_cmp_lg_u32 s12, 11
	s_mov_b32 s16, -1
	s_cselect_b32 s13, -1, 0
.LBB46_1611:
	s_delay_alu instid0(SALU_CYCLE_1)
	s_and_b32 vcc_lo, exec_lo, s13
	s_mov_b32 s12, s15
	s_cbranch_vccnz .LBB46_1672
; %bb.1612:
	s_and_not1_b32 vcc_lo, exec_lo, s16
	s_cbranch_vccnz .LBB46_1614
.LBB46_1613:
	global_load_u8 v1, v[2:3], off
	s_mov_b32 s17, -1
	s_wait_loadcnt 0x0
	v_cmp_ne_u16_e32 vcc_lo, 0, v1
	v_cndmask_b32_e64 v4, 0, 1, vcc_lo
.LBB46_1614:
	s_branch .LBB46_1548
.LBB46_1615:
	s_and_b32 s13, 0xffff, s0
	s_delay_alu instid0(SALU_CYCLE_1)
	s_cmp_lt_i32 s13, 5
	s_cbranch_scc1 .LBB46_1620
; %bb.1616:
	s_cmp_lt_i32 s13, 8
	s_cbranch_scc1 .LBB46_1621
; %bb.1617:
	;; [unrolled: 3-line block ×3, first 2 shown]
	s_cmp_gt_i32 s13, 9
	s_cbranch_scc0 .LBB46_1623
; %bb.1619:
	s_wait_loadcnt 0x0
	global_load_b64 v[4:5], v[2:3], off
	s_mov_b32 s16, 0
	s_wait_loadcnt 0x0
	v_trunc_f64_e32 v[4:5], v[4:5]
	s_delay_alu instid0(VALU_DEP_1) | instskip(NEXT) | instid1(VALU_DEP_1)
	v_ldexp_f64 v[6:7], v[4:5], 0xffffffe0
	v_floor_f64_e32 v[6:7], v[6:7]
	s_delay_alu instid0(VALU_DEP_1) | instskip(NEXT) | instid1(VALU_DEP_1)
	v_fmamk_f64 v[4:5], v[6:7], 0xc1f00000, v[4:5]
	v_cvt_u32_f64_e32 v4, v[4:5]
	s_branch .LBB46_1624
.LBB46_1620:
                                        ; implicit-def: $vgpr4
	s_branch .LBB46_1641
.LBB46_1621:
                                        ; implicit-def: $vgpr4
	s_branch .LBB46_1630
.LBB46_1622:
	s_mov_b32 s16, -1
                                        ; implicit-def: $vgpr4
	s_branch .LBB46_1627
.LBB46_1623:
	s_mov_b32 s16, -1
                                        ; implicit-def: $vgpr4
.LBB46_1624:
	s_delay_alu instid0(SALU_CYCLE_1)
	s_and_not1_b32 vcc_lo, exec_lo, s16
	s_cbranch_vccnz .LBB46_1626
; %bb.1625:
	global_load_b32 v1, v[2:3], off
	s_wait_loadcnt 0x0
	v_trunc_f32_e32 v1, v1
	s_delay_alu instid0(VALU_DEP_1) | instskip(NEXT) | instid1(VALU_DEP_1)
	v_mul_f32_e64 v4, 0x2f800000, |v1|
	v_floor_f32_e32 v4, v4
	s_delay_alu instid0(VALU_DEP_1) | instskip(SKIP_1) | instid1(VALU_DEP_2)
	v_fma_f32 v4, 0xcf800000, v4, |v1|
	v_ashrrev_i32_e32 v1, 31, v1
	v_cvt_u32_f32_e32 v4, v4
	s_delay_alu instid0(VALU_DEP_1) | instskip(NEXT) | instid1(VALU_DEP_1)
	v_xor_b32_e32 v4, v4, v1
	v_sub_nc_u32_e32 v4, v4, v1
.LBB46_1626:
	s_mov_b32 s16, 0
.LBB46_1627:
	s_delay_alu instid0(SALU_CYCLE_1)
	s_and_not1_b32 vcc_lo, exec_lo, s16
	s_cbranch_vccnz .LBB46_1629
; %bb.1628:
	global_load_b32 v1, v[2:3], off
	s_wait_loadcnt 0x0
	v_cvt_f32_f16_e32 v1, v1
	s_delay_alu instid0(VALU_DEP_1)
	v_cvt_i32_f32_e32 v4, v1
.LBB46_1629:
	s_cbranch_execnz .LBB46_1640
.LBB46_1630:
	s_cmp_lt_i32 s13, 6
	s_cbranch_scc1 .LBB46_1633
; %bb.1631:
	s_cmp_gt_i32 s13, 6
	s_cbranch_scc0 .LBB46_1634
; %bb.1632:
	s_wait_loadcnt 0x0
	global_load_b64 v[4:5], v[2:3], off
	s_mov_b32 s16, 0
	s_wait_loadcnt 0x0
	v_trunc_f64_e32 v[4:5], v[4:5]
	s_delay_alu instid0(VALU_DEP_1) | instskip(NEXT) | instid1(VALU_DEP_1)
	v_ldexp_f64 v[6:7], v[4:5], 0xffffffe0
	v_floor_f64_e32 v[6:7], v[6:7]
	s_delay_alu instid0(VALU_DEP_1) | instskip(NEXT) | instid1(VALU_DEP_1)
	v_fmamk_f64 v[4:5], v[6:7], 0xc1f00000, v[4:5]
	v_cvt_u32_f64_e32 v4, v[4:5]
	s_branch .LBB46_1635
.LBB46_1633:
	s_mov_b32 s16, -1
                                        ; implicit-def: $vgpr4
	s_branch .LBB46_1638
.LBB46_1634:
	s_mov_b32 s16, -1
                                        ; implicit-def: $vgpr4
.LBB46_1635:
	s_delay_alu instid0(SALU_CYCLE_1)
	s_and_not1_b32 vcc_lo, exec_lo, s16
	s_cbranch_vccnz .LBB46_1637
; %bb.1636:
	global_load_b32 v1, v[2:3], off
	s_wait_loadcnt 0x0
	v_trunc_f32_e32 v1, v1
	s_delay_alu instid0(VALU_DEP_1) | instskip(NEXT) | instid1(VALU_DEP_1)
	v_mul_f32_e64 v4, 0x2f800000, |v1|
	v_floor_f32_e32 v4, v4
	s_delay_alu instid0(VALU_DEP_1) | instskip(SKIP_1) | instid1(VALU_DEP_2)
	v_fma_f32 v4, 0xcf800000, v4, |v1|
	v_ashrrev_i32_e32 v1, 31, v1
	v_cvt_u32_f32_e32 v4, v4
	s_delay_alu instid0(VALU_DEP_1) | instskip(NEXT) | instid1(VALU_DEP_1)
	v_xor_b32_e32 v4, v4, v1
	v_sub_nc_u32_e32 v4, v4, v1
.LBB46_1637:
	s_mov_b32 s16, 0
.LBB46_1638:
	s_delay_alu instid0(SALU_CYCLE_1)
	s_and_not1_b32 vcc_lo, exec_lo, s16
	s_cbranch_vccnz .LBB46_1640
; %bb.1639:
	global_load_u16 v1, v[2:3], off
	s_wait_loadcnt 0x0
	v_cvt_f32_f16_e32 v1, v1
	s_delay_alu instid0(VALU_DEP_1)
	v_cvt_i32_f32_e32 v4, v1
.LBB46_1640:
	s_cbranch_execnz .LBB46_1659
.LBB46_1641:
	s_cmp_lt_i32 s13, 2
	s_cbranch_scc1 .LBB46_1645
; %bb.1642:
	s_cmp_lt_i32 s13, 3
	s_cbranch_scc1 .LBB46_1646
; %bb.1643:
	s_cmp_gt_i32 s13, 3
	s_cbranch_scc0 .LBB46_1647
; %bb.1644:
	s_wait_loadcnt 0x0
	global_load_b64 v[4:5], v[2:3], off
	s_mov_b32 s16, 0
	s_branch .LBB46_1648
.LBB46_1645:
                                        ; implicit-def: $vgpr4
	s_branch .LBB46_1654
.LBB46_1646:
	s_mov_b32 s16, -1
                                        ; implicit-def: $vgpr4
	s_branch .LBB46_1651
.LBB46_1647:
	s_mov_b32 s16, -1
                                        ; implicit-def: $vgpr4
.LBB46_1648:
	s_delay_alu instid0(SALU_CYCLE_1)
	s_and_not1_b32 vcc_lo, exec_lo, s16
	s_cbranch_vccnz .LBB46_1650
; %bb.1649:
	s_wait_loadcnt 0x0
	global_load_b32 v4, v[2:3], off
.LBB46_1650:
	s_mov_b32 s16, 0
.LBB46_1651:
	s_delay_alu instid0(SALU_CYCLE_1)
	s_and_not1_b32 vcc_lo, exec_lo, s16
	s_cbranch_vccnz .LBB46_1653
; %bb.1652:
	s_wait_loadcnt 0x0
	global_load_u16 v4, v[2:3], off
.LBB46_1653:
	s_cbranch_execnz .LBB46_1659
.LBB46_1654:
	s_cmp_gt_i32 s13, 0
	s_mov_b32 s13, 0
	s_cbranch_scc0 .LBB46_1656
; %bb.1655:
	s_wait_loadcnt 0x0
	global_load_u8 v4, v[2:3], off
	s_branch .LBB46_1657
.LBB46_1656:
	s_mov_b32 s13, -1
                                        ; implicit-def: $vgpr4
.LBB46_1657:
	s_delay_alu instid0(SALU_CYCLE_1)
	s_and_not1_b32 vcc_lo, exec_lo, s13
	s_cbranch_vccnz .LBB46_1659
; %bb.1658:
	s_wait_loadcnt 0x0
	global_load_u8 v4, v[2:3], off
.LBB46_1659:
.LBB46_1660:
	s_wait_xcnt 0x0
	v_mul_lo_u32 v2, s10, v10
	s_and_b32 s1, s1, 0xff
	s_delay_alu instid0(SALU_CYCLE_1) | instskip(NEXT) | instid1(VALU_DEP_1)
	s_cmp_lt_i32 s1, 11
	v_ashrrev_i32_e32 v3, 31, v2
	s_delay_alu instid0(VALU_DEP_1)
	v_add_nc_u64_e32 v[6:7], s[2:3], v[2:3]
	s_cbranch_scc1 .LBB46_1667
; %bb.1661:
	s_and_b32 s13, 0xffff, s1
	s_mov_b32 s17, 0
	s_cmp_gt_i32 s13, 25
	s_cbranch_scc0 .LBB46_1669
; %bb.1662:
	s_cmp_gt_i32 s13, 28
	s_cbranch_scc0 .LBB46_1670
; %bb.1663:
	s_cmp_gt_i32 s13, 43
	s_cbranch_scc0 .LBB46_1671
; %bb.1664:
	s_cmp_gt_i32 s13, 45
	s_cbranch_scc0 .LBB46_1673
; %bb.1665:
	s_cmp_eq_u32 s13, 46
	s_mov_b32 s19, 0
	s_cbranch_scc0 .LBB46_1676
; %bb.1666:
	global_load_b32 v1, v[6:7], off
	s_mov_b32 s16, 0
	s_mov_b32 s18, -1
	s_wait_loadcnt 0x0
	v_lshlrev_b32_e32 v1, 16, v1
	s_delay_alu instid0(VALU_DEP_1) | instskip(NEXT) | instid1(VALU_DEP_1)
	v_trunc_f32_e32 v1, v1
	v_mul_f32_e64 v3, 0x2f800000, |v1|
	s_delay_alu instid0(VALU_DEP_1) | instskip(NEXT) | instid1(VALU_DEP_1)
	v_floor_f32_e32 v3, v3
	v_fma_f32 v3, 0xcf800000, v3, |v1|
	v_ashrrev_i32_e32 v1, 31, v1
	s_delay_alu instid0(VALU_DEP_2) | instskip(NEXT) | instid1(VALU_DEP_1)
	v_cvt_u32_f32_e32 v3, v3
	v_xor_b32_e32 v3, v3, v1
	s_delay_alu instid0(VALU_DEP_1)
	v_sub_nc_u32_e32 v8, v3, v1
	s_branch .LBB46_1678
.LBB46_1667:
	s_mov_b32 s18, 0
                                        ; implicit-def: $vgpr8
	s_cbranch_execnz .LBB46_1739
.LBB46_1668:
	s_and_not1_b32 vcc_lo, exec_lo, s18
	s_cbranch_vccnz .LBB46_2651
	s_branch .LBB46_1786
.LBB46_1669:
	s_mov_b32 s18, 0
	s_mov_b32 s16, 0
                                        ; implicit-def: $vgpr8
	s_cbranch_execnz .LBB46_1705
	s_branch .LBB46_1735
.LBB46_1670:
	s_mov_b32 s19, -1
	s_mov_b32 s18, 0
	s_mov_b32 s16, 0
                                        ; implicit-def: $vgpr8
	s_branch .LBB46_1688
.LBB46_1671:
	s_mov_b32 s19, -1
	s_mov_b32 s18, 0
	s_mov_b32 s16, 0
                                        ; implicit-def: $vgpr8
	s_branch .LBB46_1683
.LBB46_1672:
	s_or_b32 s12, s15, exec_lo
	s_trap 2
	s_cbranch_execz .LBB46_1613
	s_branch .LBB46_1614
.LBB46_1673:
	s_mov_b32 s19, -1
	s_mov_b32 s18, 0
	s_mov_b32 s16, 0
	s_branch .LBB46_1677
.LBB46_1674:
	s_and_not1_saveexec_b32 s23, s23
	s_cbranch_execz .LBB46_1464
.LBB46_1675:
	v_add_f32_e32 v0, 0x42800000, v4
	s_and_not1_b32 s22, s22, exec_lo
	s_delay_alu instid0(VALU_DEP_1) | instskip(NEXT) | instid1(VALU_DEP_1)
	v_and_b32_e32 v0, 0xff, v0
	v_cmp_ne_u32_e32 vcc_lo, 0, v0
	s_and_b32 s24, vcc_lo, exec_lo
	s_delay_alu instid0(SALU_CYCLE_1)
	s_or_b32 s22, s22, s24
	s_or_b32 exec_lo, exec_lo, s23
	v_mov_b32_e32 v5, 0
	s_and_saveexec_b32 s23, s22
	s_cbranch_execnz .LBB46_1465
	s_branch .LBB46_1466
.LBB46_1676:
	s_mov_b32 s16, -1
	s_mov_b32 s18, 0
.LBB46_1677:
                                        ; implicit-def: $vgpr8
.LBB46_1678:
	s_and_b32 vcc_lo, exec_lo, s19
	s_cbranch_vccz .LBB46_1682
; %bb.1679:
	s_cmp_eq_u32 s13, 44
	s_cbranch_scc0 .LBB46_1681
; %bb.1680:
	global_load_u8 v1, v[6:7], off
	s_mov_b32 s16, 0
	s_mov_b32 s18, -1
	s_wait_loadcnt 0x0
	v_lshlrev_b32_e32 v3, 23, v1
	v_cmp_ne_u32_e32 vcc_lo, 0, v1
	s_delay_alu instid0(VALU_DEP_2) | instskip(NEXT) | instid1(VALU_DEP_1)
	v_trunc_f32_e32 v3, v3
	v_mul_f32_e64 v5, 0x2f800000, |v3|
	s_delay_alu instid0(VALU_DEP_1) | instskip(NEXT) | instid1(VALU_DEP_1)
	v_floor_f32_e32 v5, v5
	v_fma_f32 v5, 0xcf800000, v5, |v3|
	v_ashrrev_i32_e32 v3, 31, v3
	s_delay_alu instid0(VALU_DEP_2) | instskip(NEXT) | instid1(VALU_DEP_1)
	v_cvt_u32_f32_e32 v5, v5
	v_xor_b32_e32 v5, v5, v3
	s_delay_alu instid0(VALU_DEP_1) | instskip(NEXT) | instid1(VALU_DEP_1)
	v_sub_nc_u32_e32 v3, v5, v3
	v_cndmask_b32_e32 v8, 0, v3, vcc_lo
	s_branch .LBB46_1682
.LBB46_1681:
	s_mov_b32 s16, -1
                                        ; implicit-def: $vgpr8
.LBB46_1682:
	s_mov_b32 s19, 0
.LBB46_1683:
	s_delay_alu instid0(SALU_CYCLE_1)
	s_and_b32 vcc_lo, exec_lo, s19
	s_cbranch_vccz .LBB46_1687
; %bb.1684:
	s_cmp_eq_u32 s13, 29
	s_cbranch_scc0 .LBB46_1686
; %bb.1685:
	global_load_b64 v[8:9], v[6:7], off
	s_mov_b32 s16, 0
	s_mov_b32 s18, -1
	s_branch .LBB46_1687
.LBB46_1686:
	s_mov_b32 s16, -1
                                        ; implicit-def: $vgpr8
.LBB46_1687:
	s_mov_b32 s19, 0
.LBB46_1688:
	s_delay_alu instid0(SALU_CYCLE_1)
	s_and_b32 vcc_lo, exec_lo, s19
	s_cbranch_vccz .LBB46_1704
; %bb.1689:
	s_cmp_lt_i32 s13, 27
	s_cbranch_scc1 .LBB46_1692
; %bb.1690:
	s_cmp_gt_i32 s13, 27
	s_cbranch_scc0 .LBB46_1693
; %bb.1691:
	s_wait_loadcnt 0x0
	global_load_b32 v8, v[6:7], off
	s_mov_b32 s18, 0
	s_branch .LBB46_1694
.LBB46_1692:
	s_mov_b32 s18, -1
                                        ; implicit-def: $vgpr8
	s_branch .LBB46_1697
.LBB46_1693:
	s_mov_b32 s18, -1
                                        ; implicit-def: $vgpr8
.LBB46_1694:
	s_delay_alu instid0(SALU_CYCLE_1)
	s_and_not1_b32 vcc_lo, exec_lo, s18
	s_cbranch_vccnz .LBB46_1696
; %bb.1695:
	s_wait_loadcnt 0x0
	global_load_u16 v8, v[6:7], off
.LBB46_1696:
	s_mov_b32 s18, 0
.LBB46_1697:
	s_delay_alu instid0(SALU_CYCLE_1)
	s_and_not1_b32 vcc_lo, exec_lo, s18
	s_cbranch_vccnz .LBB46_1703
; %bb.1698:
	global_load_u8 v1, v[6:7], off
	s_mov_b32 s19, 0
	s_mov_b32 s18, exec_lo
	s_wait_loadcnt 0x0
	v_cmpx_lt_i16_e32 0x7f, v1
	s_xor_b32 s18, exec_lo, s18
	s_cbranch_execz .LBB46_1714
; %bb.1699:
	v_cmp_ne_u16_e32 vcc_lo, 0x80, v1
	s_and_b32 s19, vcc_lo, exec_lo
	s_and_not1_saveexec_b32 s18, s18
	s_cbranch_execnz .LBB46_1715
.LBB46_1700:
	s_or_b32 exec_lo, exec_lo, s18
	v_mov_b32_e32 v8, 0
	s_and_saveexec_b32 s18, s19
	s_cbranch_execz .LBB46_1702
.LBB46_1701:
	v_and_b32_e32 v3, 0xffff, v1
	s_delay_alu instid0(VALU_DEP_1) | instskip(SKIP_1) | instid1(VALU_DEP_2)
	v_and_b32_e32 v5, 7, v3
	v_bfe_u32 v11, v3, 3, 4
	v_clz_i32_u32_e32 v8, v5
	s_delay_alu instid0(VALU_DEP_2) | instskip(NEXT) | instid1(VALU_DEP_2)
	v_cmp_eq_u32_e32 vcc_lo, 0, v11
	v_min_u32_e32 v8, 32, v8
	s_delay_alu instid0(VALU_DEP_1) | instskip(NEXT) | instid1(VALU_DEP_1)
	v_subrev_nc_u32_e32 v9, 28, v8
	v_dual_lshlrev_b32 v3, v9, v3 :: v_dual_sub_nc_u32 v8, 29, v8
	s_delay_alu instid0(VALU_DEP_1) | instskip(NEXT) | instid1(VALU_DEP_1)
	v_dual_lshlrev_b32 v1, 24, v1 :: v_dual_bitop2_b32 v3, 7, v3 bitop3:0x40
	v_dual_cndmask_b32 v8, v11, v8 :: v_dual_cndmask_b32 v3, v5, v3
	s_delay_alu instid0(VALU_DEP_2) | instskip(NEXT) | instid1(VALU_DEP_2)
	v_and_b32_e32 v1, 0x80000000, v1
	v_lshl_add_u32 v5, v8, 23, 0x3b800000
	s_delay_alu instid0(VALU_DEP_3) | instskip(NEXT) | instid1(VALU_DEP_1)
	v_lshlrev_b32_e32 v3, 20, v3
	v_or3_b32 v1, v1, v5, v3
	s_delay_alu instid0(VALU_DEP_1) | instskip(NEXT) | instid1(VALU_DEP_1)
	v_trunc_f32_e32 v1, v1
	v_mul_f32_e64 v3, 0x2f800000, |v1|
	s_delay_alu instid0(VALU_DEP_1) | instskip(NEXT) | instid1(VALU_DEP_1)
	v_floor_f32_e32 v3, v3
	v_fma_f32 v3, 0xcf800000, v3, |v1|
	v_ashrrev_i32_e32 v1, 31, v1
	s_delay_alu instid0(VALU_DEP_2) | instskip(NEXT) | instid1(VALU_DEP_1)
	v_cvt_u32_f32_e32 v3, v3
	v_xor_b32_e32 v3, v3, v1
	s_delay_alu instid0(VALU_DEP_1)
	v_sub_nc_u32_e32 v8, v3, v1
.LBB46_1702:
	s_or_b32 exec_lo, exec_lo, s18
.LBB46_1703:
	s_mov_b32 s18, -1
.LBB46_1704:
	s_branch .LBB46_1735
.LBB46_1705:
	s_cmp_gt_i32 s13, 22
	s_cbranch_scc0 .LBB46_1713
; %bb.1706:
	s_cmp_lt_i32 s13, 24
	s_cbranch_scc1 .LBB46_1716
; %bb.1707:
	s_cmp_gt_i32 s13, 24
	s_cbranch_scc0 .LBB46_1717
; %bb.1708:
	global_load_u8 v1, v[6:7], off
	s_mov_b32 s18, 0
	s_mov_b32 s17, exec_lo
	s_wait_loadcnt 0x0
	v_cmpx_lt_i16_e32 0x7f, v1
	s_xor_b32 s17, exec_lo, s17
	s_cbranch_execz .LBB46_1729
; %bb.1709:
	v_cmp_ne_u16_e32 vcc_lo, 0x80, v1
	s_and_b32 s18, vcc_lo, exec_lo
	s_and_not1_saveexec_b32 s17, s17
	s_cbranch_execnz .LBB46_1730
.LBB46_1710:
	s_or_b32 exec_lo, exec_lo, s17
	v_mov_b32_e32 v8, 0
	s_and_saveexec_b32 s17, s18
	s_cbranch_execz .LBB46_1712
.LBB46_1711:
	v_and_b32_e32 v3, 0xffff, v1
	s_delay_alu instid0(VALU_DEP_1) | instskip(SKIP_1) | instid1(VALU_DEP_2)
	v_and_b32_e32 v5, 3, v3
	v_bfe_u32 v11, v3, 2, 5
	v_clz_i32_u32_e32 v8, v5
	s_delay_alu instid0(VALU_DEP_2) | instskip(NEXT) | instid1(VALU_DEP_2)
	v_cmp_eq_u32_e32 vcc_lo, 0, v11
	v_min_u32_e32 v8, 32, v8
	s_delay_alu instid0(VALU_DEP_1) | instskip(NEXT) | instid1(VALU_DEP_1)
	v_subrev_nc_u32_e32 v9, 29, v8
	v_dual_lshlrev_b32 v3, v9, v3 :: v_dual_sub_nc_u32 v8, 30, v8
	s_delay_alu instid0(VALU_DEP_1) | instskip(NEXT) | instid1(VALU_DEP_1)
	v_dual_lshlrev_b32 v1, 24, v1 :: v_dual_bitop2_b32 v3, 3, v3 bitop3:0x40
	v_dual_cndmask_b32 v8, v11, v8 :: v_dual_cndmask_b32 v3, v5, v3
	s_delay_alu instid0(VALU_DEP_2) | instskip(NEXT) | instid1(VALU_DEP_2)
	v_and_b32_e32 v1, 0x80000000, v1
	v_lshl_add_u32 v5, v8, 23, 0x37800000
	s_delay_alu instid0(VALU_DEP_3) | instskip(NEXT) | instid1(VALU_DEP_1)
	v_lshlrev_b32_e32 v3, 21, v3
	v_or3_b32 v1, v1, v5, v3
	s_delay_alu instid0(VALU_DEP_1) | instskip(NEXT) | instid1(VALU_DEP_1)
	v_trunc_f32_e32 v1, v1
	v_mul_f32_e64 v3, 0x2f800000, |v1|
	s_delay_alu instid0(VALU_DEP_1) | instskip(NEXT) | instid1(VALU_DEP_1)
	v_floor_f32_e32 v3, v3
	v_fma_f32 v3, 0xcf800000, v3, |v1|
	v_ashrrev_i32_e32 v1, 31, v1
	s_delay_alu instid0(VALU_DEP_2) | instskip(NEXT) | instid1(VALU_DEP_1)
	v_cvt_u32_f32_e32 v3, v3
	v_xor_b32_e32 v3, v3, v1
	s_delay_alu instid0(VALU_DEP_1)
	v_sub_nc_u32_e32 v8, v3, v1
.LBB46_1712:
	s_or_b32 exec_lo, exec_lo, s17
	s_mov_b32 s17, 0
	s_branch .LBB46_1718
.LBB46_1713:
	s_mov_b32 s17, -1
                                        ; implicit-def: $vgpr8
	s_branch .LBB46_1724
.LBB46_1714:
	s_and_not1_saveexec_b32 s18, s18
	s_cbranch_execz .LBB46_1700
.LBB46_1715:
	v_cmp_ne_u16_e32 vcc_lo, 0, v1
	s_and_not1_b32 s19, s19, exec_lo
	s_and_b32 s20, vcc_lo, exec_lo
	s_delay_alu instid0(SALU_CYCLE_1)
	s_or_b32 s19, s19, s20
	s_or_b32 exec_lo, exec_lo, s18
	v_mov_b32_e32 v8, 0
	s_and_saveexec_b32 s18, s19
	s_cbranch_execnz .LBB46_1701
	s_branch .LBB46_1702
.LBB46_1716:
	s_mov_b32 s17, -1
                                        ; implicit-def: $vgpr8
	s_branch .LBB46_1721
.LBB46_1717:
	s_mov_b32 s17, -1
                                        ; implicit-def: $vgpr8
.LBB46_1718:
	s_delay_alu instid0(SALU_CYCLE_1)
	s_and_b32 vcc_lo, exec_lo, s17
	s_cbranch_vccz .LBB46_1720
; %bb.1719:
	global_load_u8 v1, v[6:7], off
	s_wait_loadcnt 0x0
	v_lshlrev_b32_e32 v1, 24, v1
	s_delay_alu instid0(VALU_DEP_1) | instskip(NEXT) | instid1(VALU_DEP_1)
	v_and_b32_e32 v3, 0x7f000000, v1
	v_clz_i32_u32_e32 v5, v3
	v_add_nc_u32_e32 v9, 0x1000000, v3
	v_cmp_ne_u32_e32 vcc_lo, 0, v3
	s_delay_alu instid0(VALU_DEP_3) | instskip(NEXT) | instid1(VALU_DEP_1)
	v_min_u32_e32 v5, 32, v5
	v_sub_nc_u32_e64 v5, v5, 4 clamp
	s_delay_alu instid0(VALU_DEP_1) | instskip(NEXT) | instid1(VALU_DEP_1)
	v_dual_lshlrev_b32 v8, v5, v3 :: v_dual_lshlrev_b32 v5, 23, v5
	v_lshrrev_b32_e32 v8, 4, v8
	s_delay_alu instid0(VALU_DEP_1) | instskip(SKIP_1) | instid1(VALU_DEP_2)
	v_sub_nc_u32_e32 v5, v8, v5
	v_ashrrev_i32_e32 v8, 8, v9
	v_add_nc_u32_e32 v5, 0x3c000000, v5
	s_delay_alu instid0(VALU_DEP_1) | instskip(NEXT) | instid1(VALU_DEP_1)
	v_and_or_b32 v5, 0x7f800000, v8, v5
	v_cndmask_b32_e32 v3, 0, v5, vcc_lo
	s_delay_alu instid0(VALU_DEP_1) | instskip(NEXT) | instid1(VALU_DEP_1)
	v_and_or_b32 v1, 0x80000000, v1, v3
	v_trunc_f32_e32 v1, v1
	s_delay_alu instid0(VALU_DEP_1) | instskip(NEXT) | instid1(VALU_DEP_1)
	v_mul_f32_e64 v3, 0x2f800000, |v1|
	v_floor_f32_e32 v3, v3
	s_delay_alu instid0(VALU_DEP_1) | instskip(SKIP_1) | instid1(VALU_DEP_2)
	v_fma_f32 v3, 0xcf800000, v3, |v1|
	v_ashrrev_i32_e32 v1, 31, v1
	v_cvt_u32_f32_e32 v3, v3
	s_delay_alu instid0(VALU_DEP_1) | instskip(NEXT) | instid1(VALU_DEP_1)
	v_xor_b32_e32 v3, v3, v1
	v_sub_nc_u32_e32 v8, v3, v1
.LBB46_1720:
	s_mov_b32 s17, 0
.LBB46_1721:
	s_delay_alu instid0(SALU_CYCLE_1)
	s_and_not1_b32 vcc_lo, exec_lo, s17
	s_cbranch_vccnz .LBB46_1723
; %bb.1722:
	global_load_u8 v1, v[6:7], off
	s_wait_loadcnt 0x0
	v_lshlrev_b32_e32 v3, 25, v1
	v_lshlrev_b16 v1, 8, v1
	s_delay_alu instid0(VALU_DEP_1) | instskip(SKIP_1) | instid1(VALU_DEP_2)
	v_and_or_b32 v8, 0x7f00, v1, 0.5
	v_bfe_i32 v1, v1, 0, 16
	v_dual_add_f32 v8, -0.5, v8 :: v_dual_lshrrev_b32 v5, 4, v3
	v_cmp_gt_u32_e32 vcc_lo, 0x8000000, v3
	s_delay_alu instid0(VALU_DEP_2) | instskip(NEXT) | instid1(VALU_DEP_1)
	v_or_b32_e32 v5, 0x70000000, v5
	v_mul_f32_e32 v5, 0x7800000, v5
	s_delay_alu instid0(VALU_DEP_1) | instskip(NEXT) | instid1(VALU_DEP_1)
	v_cndmask_b32_e32 v3, v5, v8, vcc_lo
	v_and_or_b32 v1, 0x80000000, v1, v3
	s_delay_alu instid0(VALU_DEP_1) | instskip(NEXT) | instid1(VALU_DEP_1)
	v_trunc_f32_e32 v1, v1
	v_mul_f32_e64 v3, 0x2f800000, |v1|
	s_delay_alu instid0(VALU_DEP_1) | instskip(NEXT) | instid1(VALU_DEP_1)
	v_floor_f32_e32 v3, v3
	v_fma_f32 v3, 0xcf800000, v3, |v1|
	v_ashrrev_i32_e32 v1, 31, v1
	s_delay_alu instid0(VALU_DEP_2) | instskip(NEXT) | instid1(VALU_DEP_1)
	v_cvt_u32_f32_e32 v3, v3
	v_xor_b32_e32 v3, v3, v1
	s_delay_alu instid0(VALU_DEP_1)
	v_sub_nc_u32_e32 v8, v3, v1
.LBB46_1723:
	s_mov_b32 s17, 0
	s_mov_b32 s18, -1
.LBB46_1724:
	s_and_not1_b32 vcc_lo, exec_lo, s17
	s_mov_b32 s17, 0
	s_cbranch_vccnz .LBB46_1735
; %bb.1725:
	s_cmp_gt_i32 s13, 14
	s_cbranch_scc0 .LBB46_1728
; %bb.1726:
	s_cmp_eq_u32 s13, 15
	s_cbranch_scc0 .LBB46_1731
; %bb.1727:
	global_load_u16 v1, v[6:7], off
	s_mov_b32 s16, 0
	s_mov_b32 s18, -1
	s_wait_loadcnt 0x0
	v_lshlrev_b32_e32 v1, 16, v1
	s_delay_alu instid0(VALU_DEP_1) | instskip(NEXT) | instid1(VALU_DEP_1)
	v_trunc_f32_e32 v1, v1
	v_mul_f32_e64 v3, 0x2f800000, |v1|
	s_delay_alu instid0(VALU_DEP_1) | instskip(NEXT) | instid1(VALU_DEP_1)
	v_floor_f32_e32 v3, v3
	v_fma_f32 v3, 0xcf800000, v3, |v1|
	v_ashrrev_i32_e32 v1, 31, v1
	s_delay_alu instid0(VALU_DEP_2) | instskip(NEXT) | instid1(VALU_DEP_1)
	v_cvt_u32_f32_e32 v3, v3
	v_xor_b32_e32 v3, v3, v1
	s_delay_alu instid0(VALU_DEP_1)
	v_sub_nc_u32_e32 v8, v3, v1
	s_branch .LBB46_1733
.LBB46_1728:
	s_mov_b32 s17, -1
	s_branch .LBB46_1732
.LBB46_1729:
	s_and_not1_saveexec_b32 s17, s17
	s_cbranch_execz .LBB46_1710
.LBB46_1730:
	v_cmp_ne_u16_e32 vcc_lo, 0, v1
	s_and_not1_b32 s18, s18, exec_lo
	s_and_b32 s19, vcc_lo, exec_lo
	s_delay_alu instid0(SALU_CYCLE_1)
	s_or_b32 s18, s18, s19
	s_or_b32 exec_lo, exec_lo, s17
	v_mov_b32_e32 v8, 0
	s_and_saveexec_b32 s17, s18
	s_cbranch_execnz .LBB46_1711
	s_branch .LBB46_1712
.LBB46_1731:
	s_mov_b32 s16, -1
.LBB46_1732:
                                        ; implicit-def: $vgpr8
.LBB46_1733:
	s_and_b32 vcc_lo, exec_lo, s17
	s_mov_b32 s17, 0
	s_cbranch_vccz .LBB46_1735
; %bb.1734:
	s_cmp_lg_u32 s13, 11
	s_mov_b32 s17, -1
	s_cselect_b32 s16, -1, 0
.LBB46_1735:
	s_delay_alu instid0(SALU_CYCLE_1)
	s_and_b32 vcc_lo, exec_lo, s16
	s_cbranch_vccnz .LBB46_1804
; %bb.1736:
	s_and_not1_b32 vcc_lo, exec_lo, s17
	s_cbranch_vccnz .LBB46_1738
.LBB46_1737:
	global_load_u8 v1, v[6:7], off
	s_mov_b32 s18, -1
	s_wait_loadcnt 0x0
	v_cmp_ne_u16_e32 vcc_lo, 0, v1
	v_cndmask_b32_e64 v8, 0, 1, vcc_lo
.LBB46_1738:
	s_branch .LBB46_1668
.LBB46_1739:
	s_and_b32 s13, 0xffff, s1
	s_delay_alu instid0(SALU_CYCLE_1)
	s_cmp_lt_i32 s13, 5
	s_cbranch_scc1 .LBB46_1744
; %bb.1740:
	s_cmp_lt_i32 s13, 8
	s_cbranch_scc1 .LBB46_1745
; %bb.1741:
	;; [unrolled: 3-line block ×3, first 2 shown]
	s_cmp_gt_i32 s13, 9
	s_cbranch_scc0 .LBB46_1747
; %bb.1743:
	s_wait_loadcnt 0x0
	global_load_b64 v[8:9], v[6:7], off
	s_mov_b32 s16, 0
	s_wait_loadcnt 0x0
	v_trunc_f64_e32 v[8:9], v[8:9]
	s_delay_alu instid0(VALU_DEP_1) | instskip(NEXT) | instid1(VALU_DEP_1)
	v_ldexp_f64 v[12:13], v[8:9], 0xffffffe0
	v_floor_f64_e32 v[12:13], v[12:13]
	s_delay_alu instid0(VALU_DEP_1) | instskip(NEXT) | instid1(VALU_DEP_1)
	v_fmamk_f64 v[8:9], v[12:13], 0xc1f00000, v[8:9]
	v_cvt_u32_f64_e32 v8, v[8:9]
	s_branch .LBB46_1748
.LBB46_1744:
                                        ; implicit-def: $vgpr8
	s_branch .LBB46_1766
.LBB46_1745:
	s_mov_b32 s16, -1
                                        ; implicit-def: $vgpr8
	s_branch .LBB46_1754
.LBB46_1746:
	s_mov_b32 s16, -1
                                        ; implicit-def: $vgpr8
	s_branch .LBB46_1751
.LBB46_1747:
	s_mov_b32 s16, -1
                                        ; implicit-def: $vgpr8
.LBB46_1748:
	s_delay_alu instid0(SALU_CYCLE_1)
	s_and_not1_b32 vcc_lo, exec_lo, s16
	s_cbranch_vccnz .LBB46_1750
; %bb.1749:
	global_load_b32 v1, v[6:7], off
	s_wait_loadcnt 0x0
	v_trunc_f32_e32 v1, v1
	s_delay_alu instid0(VALU_DEP_1) | instskip(NEXT) | instid1(VALU_DEP_1)
	v_mul_f32_e64 v3, 0x2f800000, |v1|
	v_floor_f32_e32 v3, v3
	s_delay_alu instid0(VALU_DEP_1) | instskip(SKIP_1) | instid1(VALU_DEP_2)
	v_fma_f32 v3, 0xcf800000, v3, |v1|
	v_ashrrev_i32_e32 v1, 31, v1
	v_cvt_u32_f32_e32 v3, v3
	s_delay_alu instid0(VALU_DEP_1) | instskip(NEXT) | instid1(VALU_DEP_1)
	v_xor_b32_e32 v3, v3, v1
	v_sub_nc_u32_e32 v8, v3, v1
.LBB46_1750:
	s_mov_b32 s16, 0
.LBB46_1751:
	s_delay_alu instid0(SALU_CYCLE_1)
	s_and_not1_b32 vcc_lo, exec_lo, s16
	s_cbranch_vccnz .LBB46_1753
; %bb.1752:
	global_load_b32 v1, v[6:7], off
	s_wait_loadcnt 0x0
	v_cvt_f32_f16_e32 v1, v1
	s_delay_alu instid0(VALU_DEP_1)
	v_cvt_i32_f32_e32 v8, v1
.LBB46_1753:
	s_mov_b32 s16, 0
.LBB46_1754:
	s_delay_alu instid0(SALU_CYCLE_1)
	s_and_not1_b32 vcc_lo, exec_lo, s16
	s_cbranch_vccnz .LBB46_1765
; %bb.1755:
	s_cmp_lt_i32 s13, 6
	s_cbranch_scc1 .LBB46_1758
; %bb.1756:
	s_cmp_gt_i32 s13, 6
	s_cbranch_scc0 .LBB46_1759
; %bb.1757:
	s_wait_loadcnt 0x0
	global_load_b64 v[8:9], v[6:7], off
	s_mov_b32 s16, 0
	s_wait_loadcnt 0x0
	v_trunc_f64_e32 v[8:9], v[8:9]
	s_delay_alu instid0(VALU_DEP_1) | instskip(NEXT) | instid1(VALU_DEP_1)
	v_ldexp_f64 v[12:13], v[8:9], 0xffffffe0
	v_floor_f64_e32 v[12:13], v[12:13]
	s_delay_alu instid0(VALU_DEP_1) | instskip(NEXT) | instid1(VALU_DEP_1)
	v_fmamk_f64 v[8:9], v[12:13], 0xc1f00000, v[8:9]
	v_cvt_u32_f64_e32 v8, v[8:9]
	s_branch .LBB46_1760
.LBB46_1758:
	s_mov_b32 s16, -1
                                        ; implicit-def: $vgpr8
	s_branch .LBB46_1763
.LBB46_1759:
	s_mov_b32 s16, -1
                                        ; implicit-def: $vgpr8
.LBB46_1760:
	s_delay_alu instid0(SALU_CYCLE_1)
	s_and_not1_b32 vcc_lo, exec_lo, s16
	s_cbranch_vccnz .LBB46_1762
; %bb.1761:
	global_load_b32 v1, v[6:7], off
	s_wait_loadcnt 0x0
	v_trunc_f32_e32 v1, v1
	s_delay_alu instid0(VALU_DEP_1) | instskip(NEXT) | instid1(VALU_DEP_1)
	v_mul_f32_e64 v3, 0x2f800000, |v1|
	v_floor_f32_e32 v3, v3
	s_delay_alu instid0(VALU_DEP_1) | instskip(SKIP_1) | instid1(VALU_DEP_2)
	v_fma_f32 v3, 0xcf800000, v3, |v1|
	v_ashrrev_i32_e32 v1, 31, v1
	v_cvt_u32_f32_e32 v3, v3
	s_delay_alu instid0(VALU_DEP_1) | instskip(NEXT) | instid1(VALU_DEP_1)
	v_xor_b32_e32 v3, v3, v1
	v_sub_nc_u32_e32 v8, v3, v1
.LBB46_1762:
	s_mov_b32 s16, 0
.LBB46_1763:
	s_delay_alu instid0(SALU_CYCLE_1)
	s_and_not1_b32 vcc_lo, exec_lo, s16
	s_cbranch_vccnz .LBB46_1765
; %bb.1764:
	global_load_u16 v1, v[6:7], off
	s_wait_loadcnt 0x0
	v_cvt_f32_f16_e32 v1, v1
	s_delay_alu instid0(VALU_DEP_1)
	v_cvt_i32_f32_e32 v8, v1
.LBB46_1765:
	s_cbranch_execnz .LBB46_1785
.LBB46_1766:
	s_cmp_lt_i32 s13, 2
	s_cbranch_scc1 .LBB46_1770
; %bb.1767:
	s_cmp_lt_i32 s13, 3
	s_cbranch_scc1 .LBB46_1771
; %bb.1768:
	s_cmp_gt_i32 s13, 3
	s_cbranch_scc0 .LBB46_1772
; %bb.1769:
	s_wait_loadcnt 0x0
	global_load_b64 v[8:9], v[6:7], off
	s_mov_b32 s16, 0
	s_branch .LBB46_1773
.LBB46_1770:
	s_mov_b32 s16, -1
                                        ; implicit-def: $vgpr8
	s_branch .LBB46_1779
.LBB46_1771:
	s_mov_b32 s16, -1
                                        ; implicit-def: $vgpr8
	s_branch .LBB46_1776
.LBB46_1772:
	s_mov_b32 s16, -1
                                        ; implicit-def: $vgpr8
.LBB46_1773:
	s_delay_alu instid0(SALU_CYCLE_1)
	s_and_not1_b32 vcc_lo, exec_lo, s16
	s_cbranch_vccnz .LBB46_1775
; %bb.1774:
	s_wait_loadcnt 0x0
	global_load_b32 v8, v[6:7], off
.LBB46_1775:
	s_mov_b32 s16, 0
.LBB46_1776:
	s_delay_alu instid0(SALU_CYCLE_1)
	s_and_not1_b32 vcc_lo, exec_lo, s16
	s_cbranch_vccnz .LBB46_1778
; %bb.1777:
	s_wait_loadcnt 0x0
	global_load_u16 v8, v[6:7], off
.LBB46_1778:
	s_mov_b32 s16, 0
.LBB46_1779:
	s_delay_alu instid0(SALU_CYCLE_1)
	s_and_not1_b32 vcc_lo, exec_lo, s16
	s_cbranch_vccnz .LBB46_1785
; %bb.1780:
	s_cmp_gt_i32 s13, 0
	s_mov_b32 s13, 0
	s_cbranch_scc0 .LBB46_1782
; %bb.1781:
	s_wait_loadcnt 0x0
	global_load_u8 v8, v[6:7], off
	s_branch .LBB46_1783
.LBB46_1782:
	s_mov_b32 s13, -1
                                        ; implicit-def: $vgpr8
.LBB46_1783:
	s_delay_alu instid0(SALU_CYCLE_1)
	s_and_not1_b32 vcc_lo, exec_lo, s13
	s_cbranch_vccnz .LBB46_1785
; %bb.1784:
	s_wait_loadcnt 0x0
	global_load_u8 v8, v[6:7], off
.LBB46_1785:
.LBB46_1786:
	s_wait_loadcnt 0x0
	s_delay_alu instid0(VALU_DEP_4) | instskip(SKIP_1) | instid1(VALU_DEP_1)
	v_and_b32_e32 v1, 0xff, v4
	s_mov_b32 s16, 0
	v_cmp_ne_u16_e32 vcc_lo, 0, v1
	s_delay_alu instid0(VALU_DEP_3)
	v_mov_b32_e32 v1, v8
	s_wait_xcnt 0x0
	s_and_saveexec_b32 s13, vcc_lo
	s_cbranch_execz .LBB46_1790
; %bb.1787:
	v_dual_mov_b32 v5, v4 :: v_dual_mov_b32 v3, v8
.LBB46_1788:                            ; =>This Inner Loop Header: Depth=1
	s_delay_alu instid0(VALU_DEP_1) | instskip(NEXT) | instid1(VALU_DEP_2)
	v_cvt_f32_ubyte0_e32 v7, v3
	v_mov_b32_e32 v1, v5
	s_delay_alu instid0(VALU_DEP_1) | instskip(NEXT) | instid1(VALU_DEP_1)
	v_cvt_f32_ubyte0_e32 v5, v1
	v_rcp_iflag_f32_e32 v6, v5
	v_nop
	s_delay_alu instid0(TRANS32_DEP_1) | instskip(NEXT) | instid1(VALU_DEP_1)
	v_mul_f32_e32 v6, v7, v6
	v_trunc_f32_e32 v6, v6
	s_delay_alu instid0(VALU_DEP_1) | instskip(SKIP_1) | instid1(VALU_DEP_2)
	v_fma_f32 v7, -v6, v5, v7
	v_cvt_u32_f32_e32 v6, v6
	v_cmp_ge_f32_e64 vcc_lo, |v7|, v5
	s_delay_alu instid0(VALU_DEP_1) | instskip(NEXT) | instid1(VALU_DEP_1)
	v_add_co_ci_u32_e64 v5, null, 0, v6, vcc_lo
	v_mul_lo_u32 v5, v5, v1
	s_delay_alu instid0(VALU_DEP_1) | instskip(NEXT) | instid1(VALU_DEP_1)
	v_sub_nc_u32_e32 v3, v3, v5
	v_and_b32_e32 v5, 0xff, v3
	v_mov_b32_e32 v3, v1
	s_delay_alu instid0(VALU_DEP_2) | instskip(SKIP_1) | instid1(SALU_CYCLE_1)
	v_cmp_eq_u16_e32 vcc_lo, 0, v5
	s_or_b32 s16, vcc_lo, s16
	s_and_not1_b32 exec_lo, exec_lo, s16
	s_cbranch_execnz .LBB46_1788
; %bb.1789:
	s_or_b32 exec_lo, exec_lo, s16
.LBB46_1790:
	s_delay_alu instid0(SALU_CYCLE_1) | instskip(SKIP_3) | instid1(VALU_DEP_2)
	s_or_b32 exec_lo, exec_lo, s13
	v_and_b32_e32 v3, 0xff, v1
	v_mov_b32_e32 v11, 0
	s_mov_b32 s13, exec_lo
	v_cmpx_ne_u16_e32 0, v3
	s_cbranch_execz .LBB46_1792
; %bb.1791:
	v_cvt_f32_ubyte0_e32 v1, v1
	v_cvt_f32_ubyte0_e32 v4, v4
	s_delay_alu instid0(VALU_DEP_2) | instskip(SKIP_1) | instid1(TRANS32_DEP_1)
	v_rcp_iflag_f32_e32 v3, v1
	v_nop
	v_mul_f32_e32 v3, v4, v3
	s_delay_alu instid0(VALU_DEP_1) | instskip(NEXT) | instid1(VALU_DEP_1)
	v_trunc_f32_e32 v3, v3
	v_fma_f32 v4, -v3, v1, v4
	v_cvt_u32_f32_e32 v3, v3
	s_delay_alu instid0(VALU_DEP_2) | instskip(NEXT) | instid1(VALU_DEP_1)
	v_cmp_ge_f32_e64 vcc_lo, |v4|, v1
	v_add_co_ci_u32_e64 v1, null, 0, v3, vcc_lo
	s_delay_alu instid0(VALU_DEP_1)
	v_mul_lo_u16 v11, v1, v8
.LBB46_1792:
	s_or_b32 exec_lo, exec_lo, s13
	s_lshl_b32 s9, s9, 7
	s_cmp_lt_i32 s0, 11
	v_add_nc_u32_e32 v0, s9, v0
	s_delay_alu instid0(VALU_DEP_1) | instskip(NEXT) | instid1(VALU_DEP_1)
	v_ashrrev_i32_e32 v1, 31, v0
	v_add_nc_u64_e32 v[6:7], s[6:7], v[0:1]
	s_cbranch_scc1 .LBB46_1799
; %bb.1793:
	s_and_b32 s13, 0xffff, s0
	s_mov_b32 s17, 0
	s_cmp_gt_i32 s13, 25
	s_cbranch_scc0 .LBB46_1801
; %bb.1794:
	s_cmp_gt_i32 s13, 28
	s_cbranch_scc0 .LBB46_1802
; %bb.1795:
	;; [unrolled: 3-line block ×4, first 2 shown]
	s_cmp_eq_u32 s13, 46
	s_mov_b32 s19, 0
	s_cbranch_scc0 .LBB46_1806
; %bb.1798:
	global_load_b32 v1, v[6:7], off
	s_mov_b32 s16, 0
	s_mov_b32 s18, -1
	s_wait_loadcnt 0x0
	v_lshlrev_b32_e32 v1, 16, v1
	s_delay_alu instid0(VALU_DEP_1) | instskip(NEXT) | instid1(VALU_DEP_1)
	v_trunc_f32_e32 v1, v1
	v_mul_f32_e64 v3, 0x2f800000, |v1|
	s_delay_alu instid0(VALU_DEP_1) | instskip(NEXT) | instid1(VALU_DEP_1)
	v_floor_f32_e32 v3, v3
	v_fma_f32 v3, 0xcf800000, v3, |v1|
	v_ashrrev_i32_e32 v1, 31, v1
	s_delay_alu instid0(VALU_DEP_2) | instskip(NEXT) | instid1(VALU_DEP_1)
	v_cvt_u32_f32_e32 v3, v3
	v_xor_b32_e32 v3, v3, v1
	s_delay_alu instid0(VALU_DEP_1)
	v_sub_nc_u32_e32 v4, v3, v1
	s_branch .LBB46_1808
.LBB46_1799:
	s_mov_b32 s18, 0
                                        ; implicit-def: $vgpr4
	s_cbranch_execnz .LBB46_1870
.LBB46_1800:
	s_and_not1_b32 vcc_lo, exec_lo, s18
	s_cbranch_vccnz .LBB46_2651
	s_branch .LBB46_1918
.LBB46_1801:
	s_mov_b32 s19, -1
	s_mov_b32 s18, 0
	s_mov_b32 s16, 0
                                        ; implicit-def: $vgpr4
	s_branch .LBB46_1835
.LBB46_1802:
	s_mov_b32 s19, -1
	s_mov_b32 s18, 0
	s_mov_b32 s16, 0
                                        ; implicit-def: $vgpr4
	s_branch .LBB46_1818
.LBB46_1803:
	s_mov_b32 s19, -1
	s_mov_b32 s18, 0
	s_mov_b32 s16, 0
                                        ; implicit-def: $vgpr4
	s_branch .LBB46_1813
.LBB46_1804:
	s_or_b32 s12, s12, exec_lo
	s_trap 2
	s_cbranch_execz .LBB46_1737
	s_branch .LBB46_1738
.LBB46_1805:
	s_mov_b32 s19, -1
	s_mov_b32 s18, 0
	s_mov_b32 s16, 0
	s_branch .LBB46_1807
.LBB46_1806:
	s_mov_b32 s16, -1
	s_mov_b32 s18, 0
.LBB46_1807:
                                        ; implicit-def: $vgpr4
.LBB46_1808:
	s_and_b32 vcc_lo, exec_lo, s19
	s_cbranch_vccz .LBB46_1812
; %bb.1809:
	s_cmp_eq_u32 s13, 44
	s_cbranch_scc0 .LBB46_1811
; %bb.1810:
	global_load_u8 v1, v[6:7], off
	s_mov_b32 s16, 0
	s_mov_b32 s18, -1
	s_wait_loadcnt 0x0
	v_lshlrev_b32_e32 v3, 23, v1
	v_cmp_ne_u32_e32 vcc_lo, 0, v1
	s_delay_alu instid0(VALU_DEP_2) | instskip(NEXT) | instid1(VALU_DEP_1)
	v_trunc_f32_e32 v3, v3
	v_mul_f32_e64 v4, 0x2f800000, |v3|
	s_delay_alu instid0(VALU_DEP_1) | instskip(NEXT) | instid1(VALU_DEP_1)
	v_floor_f32_e32 v4, v4
	v_fma_f32 v4, 0xcf800000, v4, |v3|
	v_ashrrev_i32_e32 v3, 31, v3
	s_delay_alu instid0(VALU_DEP_2) | instskip(NEXT) | instid1(VALU_DEP_1)
	v_cvt_u32_f32_e32 v4, v4
	v_xor_b32_e32 v4, v4, v3
	s_delay_alu instid0(VALU_DEP_1) | instskip(NEXT) | instid1(VALU_DEP_1)
	v_sub_nc_u32_e32 v3, v4, v3
	v_cndmask_b32_e32 v4, 0, v3, vcc_lo
	s_branch .LBB46_1812
.LBB46_1811:
	s_mov_b32 s16, -1
                                        ; implicit-def: $vgpr4
.LBB46_1812:
	s_mov_b32 s19, 0
.LBB46_1813:
	s_delay_alu instid0(SALU_CYCLE_1)
	s_and_b32 vcc_lo, exec_lo, s19
	s_cbranch_vccz .LBB46_1817
; %bb.1814:
	s_cmp_eq_u32 s13, 29
	s_cbranch_scc0 .LBB46_1816
; %bb.1815:
	global_load_b64 v[4:5], v[6:7], off
	s_mov_b32 s16, 0
	s_mov_b32 s18, -1
	s_branch .LBB46_1817
.LBB46_1816:
	s_mov_b32 s16, -1
                                        ; implicit-def: $vgpr4
.LBB46_1817:
	s_mov_b32 s19, 0
.LBB46_1818:
	s_delay_alu instid0(SALU_CYCLE_1)
	s_and_b32 vcc_lo, exec_lo, s19
	s_cbranch_vccz .LBB46_1834
; %bb.1819:
	s_cmp_lt_i32 s13, 27
	s_cbranch_scc1 .LBB46_1822
; %bb.1820:
	s_cmp_gt_i32 s13, 27
	s_cbranch_scc0 .LBB46_1823
; %bb.1821:
	s_wait_loadcnt 0x0
	global_load_b32 v4, v[6:7], off
	s_mov_b32 s18, 0
	s_branch .LBB46_1824
.LBB46_1822:
	s_mov_b32 s18, -1
                                        ; implicit-def: $vgpr4
	s_branch .LBB46_1827
.LBB46_1823:
	s_mov_b32 s18, -1
                                        ; implicit-def: $vgpr4
.LBB46_1824:
	s_delay_alu instid0(SALU_CYCLE_1)
	s_and_not1_b32 vcc_lo, exec_lo, s18
	s_cbranch_vccnz .LBB46_1826
; %bb.1825:
	s_wait_loadcnt 0x0
	global_load_u16 v4, v[6:7], off
.LBB46_1826:
	s_mov_b32 s18, 0
.LBB46_1827:
	s_delay_alu instid0(SALU_CYCLE_1)
	s_and_not1_b32 vcc_lo, exec_lo, s18
	s_cbranch_vccnz .LBB46_1833
; %bb.1828:
	global_load_u8 v1, v[6:7], off
	s_mov_b32 s19, 0
	s_mov_b32 s18, exec_lo
	s_wait_loadcnt 0x0
	v_cmpx_lt_i16_e32 0x7f, v1
	s_xor_b32 s18, exec_lo, s18
	s_cbranch_execz .LBB46_1845
; %bb.1829:
	v_cmp_ne_u16_e32 vcc_lo, 0x80, v1
	s_and_b32 s19, vcc_lo, exec_lo
	s_and_not1_saveexec_b32 s18, s18
	s_cbranch_execnz .LBB46_1846
.LBB46_1830:
	s_or_b32 exec_lo, exec_lo, s18
	v_mov_b32_e32 v4, 0
	s_and_saveexec_b32 s18, s19
	s_cbranch_execz .LBB46_1832
.LBB46_1831:
	v_and_b32_e32 v3, 0xffff, v1
	s_delay_alu instid0(VALU_DEP_1) | instskip(SKIP_1) | instid1(VALU_DEP_2)
	v_and_b32_e32 v4, 7, v3
	v_bfe_u32 v9, v3, 3, 4
	v_clz_i32_u32_e32 v5, v4
	s_delay_alu instid0(VALU_DEP_2) | instskip(NEXT) | instid1(VALU_DEP_2)
	v_cmp_eq_u32_e32 vcc_lo, 0, v9
	v_min_u32_e32 v5, 32, v5
	s_delay_alu instid0(VALU_DEP_1) | instskip(NEXT) | instid1(VALU_DEP_1)
	v_subrev_nc_u32_e32 v8, 28, v5
	v_dual_lshlrev_b32 v3, v8, v3 :: v_dual_sub_nc_u32 v5, 29, v5
	s_delay_alu instid0(VALU_DEP_1) | instskip(NEXT) | instid1(VALU_DEP_1)
	v_dual_lshlrev_b32 v1, 24, v1 :: v_dual_bitop2_b32 v3, 7, v3 bitop3:0x40
	v_dual_cndmask_b32 v3, v4, v3, vcc_lo :: v_dual_cndmask_b32 v5, v9, v5, vcc_lo
	s_delay_alu instid0(VALU_DEP_2) | instskip(NEXT) | instid1(VALU_DEP_2)
	v_and_b32_e32 v1, 0x80000000, v1
	v_lshlrev_b32_e32 v3, 20, v3
	s_delay_alu instid0(VALU_DEP_3) | instskip(NEXT) | instid1(VALU_DEP_1)
	v_lshl_add_u32 v4, v5, 23, 0x3b800000
	v_or3_b32 v1, v1, v4, v3
	s_delay_alu instid0(VALU_DEP_1) | instskip(NEXT) | instid1(VALU_DEP_1)
	v_trunc_f32_e32 v1, v1
	v_mul_f32_e64 v3, 0x2f800000, |v1|
	s_delay_alu instid0(VALU_DEP_1) | instskip(NEXT) | instid1(VALU_DEP_1)
	v_floor_f32_e32 v3, v3
	v_fma_f32 v3, 0xcf800000, v3, |v1|
	v_ashrrev_i32_e32 v1, 31, v1
	s_delay_alu instid0(VALU_DEP_2) | instskip(NEXT) | instid1(VALU_DEP_1)
	v_cvt_u32_f32_e32 v3, v3
	v_xor_b32_e32 v3, v3, v1
	s_delay_alu instid0(VALU_DEP_1)
	v_sub_nc_u32_e32 v4, v3, v1
.LBB46_1832:
	s_or_b32 exec_lo, exec_lo, s18
.LBB46_1833:
	s_mov_b32 s18, -1
.LBB46_1834:
	s_mov_b32 s19, 0
.LBB46_1835:
	s_delay_alu instid0(SALU_CYCLE_1)
	s_and_b32 vcc_lo, exec_lo, s19
	s_cbranch_vccz .LBB46_1866
; %bb.1836:
	s_cmp_gt_i32 s13, 22
	s_cbranch_scc0 .LBB46_1844
; %bb.1837:
	s_cmp_lt_i32 s13, 24
	s_cbranch_scc1 .LBB46_1847
; %bb.1838:
	s_cmp_gt_i32 s13, 24
	s_cbranch_scc0 .LBB46_1848
; %bb.1839:
	global_load_u8 v1, v[6:7], off
	s_mov_b32 s18, 0
	s_mov_b32 s17, exec_lo
	s_wait_loadcnt 0x0
	v_cmpx_lt_i16_e32 0x7f, v1
	s_xor_b32 s17, exec_lo, s17
	s_cbranch_execz .LBB46_1860
; %bb.1840:
	v_cmp_ne_u16_e32 vcc_lo, 0x80, v1
	s_and_b32 s18, vcc_lo, exec_lo
	s_and_not1_saveexec_b32 s17, s17
	s_cbranch_execnz .LBB46_1861
.LBB46_1841:
	s_or_b32 exec_lo, exec_lo, s17
	v_mov_b32_e32 v4, 0
	s_and_saveexec_b32 s17, s18
	s_cbranch_execz .LBB46_1843
.LBB46_1842:
	v_and_b32_e32 v3, 0xffff, v1
	s_delay_alu instid0(VALU_DEP_1) | instskip(SKIP_1) | instid1(VALU_DEP_2)
	v_and_b32_e32 v4, 3, v3
	v_bfe_u32 v9, v3, 2, 5
	v_clz_i32_u32_e32 v5, v4
	s_delay_alu instid0(VALU_DEP_2) | instskip(NEXT) | instid1(VALU_DEP_2)
	v_cmp_eq_u32_e32 vcc_lo, 0, v9
	v_min_u32_e32 v5, 32, v5
	s_delay_alu instid0(VALU_DEP_1) | instskip(NEXT) | instid1(VALU_DEP_1)
	v_subrev_nc_u32_e32 v8, 29, v5
	v_dual_lshlrev_b32 v3, v8, v3 :: v_dual_sub_nc_u32 v5, 30, v5
	s_delay_alu instid0(VALU_DEP_1) | instskip(NEXT) | instid1(VALU_DEP_1)
	v_dual_lshlrev_b32 v1, 24, v1 :: v_dual_bitop2_b32 v3, 3, v3 bitop3:0x40
	v_dual_cndmask_b32 v3, v4, v3, vcc_lo :: v_dual_cndmask_b32 v5, v9, v5, vcc_lo
	s_delay_alu instid0(VALU_DEP_2) | instskip(NEXT) | instid1(VALU_DEP_2)
	v_and_b32_e32 v1, 0x80000000, v1
	v_lshlrev_b32_e32 v3, 21, v3
	s_delay_alu instid0(VALU_DEP_3) | instskip(NEXT) | instid1(VALU_DEP_1)
	v_lshl_add_u32 v4, v5, 23, 0x37800000
	v_or3_b32 v1, v1, v4, v3
	s_delay_alu instid0(VALU_DEP_1) | instskip(NEXT) | instid1(VALU_DEP_1)
	v_trunc_f32_e32 v1, v1
	v_mul_f32_e64 v3, 0x2f800000, |v1|
	s_delay_alu instid0(VALU_DEP_1) | instskip(NEXT) | instid1(VALU_DEP_1)
	v_floor_f32_e32 v3, v3
	v_fma_f32 v3, 0xcf800000, v3, |v1|
	v_ashrrev_i32_e32 v1, 31, v1
	s_delay_alu instid0(VALU_DEP_2) | instskip(NEXT) | instid1(VALU_DEP_1)
	v_cvt_u32_f32_e32 v3, v3
	v_xor_b32_e32 v3, v3, v1
	s_delay_alu instid0(VALU_DEP_1)
	v_sub_nc_u32_e32 v4, v3, v1
.LBB46_1843:
	s_or_b32 exec_lo, exec_lo, s17
	s_mov_b32 s17, 0
	s_branch .LBB46_1849
.LBB46_1844:
	s_mov_b32 s17, -1
                                        ; implicit-def: $vgpr4
	s_branch .LBB46_1855
.LBB46_1845:
	s_and_not1_saveexec_b32 s18, s18
	s_cbranch_execz .LBB46_1830
.LBB46_1846:
	v_cmp_ne_u16_e32 vcc_lo, 0, v1
	s_and_not1_b32 s19, s19, exec_lo
	s_and_b32 s20, vcc_lo, exec_lo
	s_delay_alu instid0(SALU_CYCLE_1)
	s_or_b32 s19, s19, s20
	s_or_b32 exec_lo, exec_lo, s18
	v_mov_b32_e32 v4, 0
	s_and_saveexec_b32 s18, s19
	s_cbranch_execnz .LBB46_1831
	s_branch .LBB46_1832
.LBB46_1847:
	s_mov_b32 s17, -1
                                        ; implicit-def: $vgpr4
	s_branch .LBB46_1852
.LBB46_1848:
	s_mov_b32 s17, -1
                                        ; implicit-def: $vgpr4
.LBB46_1849:
	s_delay_alu instid0(SALU_CYCLE_1)
	s_and_b32 vcc_lo, exec_lo, s17
	s_cbranch_vccz .LBB46_1851
; %bb.1850:
	global_load_u8 v1, v[6:7], off
	s_wait_loadcnt 0x0
	v_lshlrev_b32_e32 v1, 24, v1
	s_delay_alu instid0(VALU_DEP_1) | instskip(NEXT) | instid1(VALU_DEP_1)
	v_and_b32_e32 v3, 0x7f000000, v1
	v_clz_i32_u32_e32 v4, v3
	v_cmp_ne_u32_e32 vcc_lo, 0, v3
	v_add_nc_u32_e32 v8, 0x1000000, v3
	s_delay_alu instid0(VALU_DEP_3) | instskip(NEXT) | instid1(VALU_DEP_1)
	v_min_u32_e32 v4, 32, v4
	v_sub_nc_u32_e64 v4, v4, 4 clamp
	s_delay_alu instid0(VALU_DEP_1) | instskip(NEXT) | instid1(VALU_DEP_1)
	v_dual_lshlrev_b32 v5, v4, v3 :: v_dual_lshlrev_b32 v4, 23, v4
	v_lshrrev_b32_e32 v5, 4, v5
	s_delay_alu instid0(VALU_DEP_1) | instskip(SKIP_1) | instid1(VALU_DEP_2)
	v_sub_nc_u32_e32 v4, v5, v4
	v_ashrrev_i32_e32 v5, 8, v8
	v_add_nc_u32_e32 v4, 0x3c000000, v4
	s_delay_alu instid0(VALU_DEP_1) | instskip(NEXT) | instid1(VALU_DEP_1)
	v_and_or_b32 v4, 0x7f800000, v5, v4
	v_cndmask_b32_e32 v3, 0, v4, vcc_lo
	s_delay_alu instid0(VALU_DEP_1) | instskip(NEXT) | instid1(VALU_DEP_1)
	v_and_or_b32 v1, 0x80000000, v1, v3
	v_trunc_f32_e32 v1, v1
	s_delay_alu instid0(VALU_DEP_1) | instskip(NEXT) | instid1(VALU_DEP_1)
	v_mul_f32_e64 v3, 0x2f800000, |v1|
	v_floor_f32_e32 v3, v3
	s_delay_alu instid0(VALU_DEP_1) | instskip(SKIP_1) | instid1(VALU_DEP_2)
	v_fma_f32 v3, 0xcf800000, v3, |v1|
	v_ashrrev_i32_e32 v1, 31, v1
	v_cvt_u32_f32_e32 v3, v3
	s_delay_alu instid0(VALU_DEP_1) | instskip(NEXT) | instid1(VALU_DEP_1)
	v_xor_b32_e32 v3, v3, v1
	v_sub_nc_u32_e32 v4, v3, v1
.LBB46_1851:
	s_mov_b32 s17, 0
.LBB46_1852:
	s_delay_alu instid0(SALU_CYCLE_1)
	s_and_not1_b32 vcc_lo, exec_lo, s17
	s_cbranch_vccnz .LBB46_1854
; %bb.1853:
	global_load_u8 v1, v[6:7], off
	s_wait_loadcnt 0x0
	v_lshlrev_b32_e32 v3, 25, v1
	v_lshlrev_b16 v1, 8, v1
	s_delay_alu instid0(VALU_DEP_1) | instskip(NEXT) | instid1(VALU_DEP_3)
	v_and_or_b32 v5, 0x7f00, v1, 0.5
	v_lshrrev_b32_e32 v4, 4, v3
	v_bfe_i32 v1, v1, 0, 16
	s_delay_alu instid0(VALU_DEP_3) | instskip(NEXT) | instid1(VALU_DEP_3)
	v_add_f32_e32 v5, -0.5, v5
	v_or_b32_e32 v4, 0x70000000, v4
	s_delay_alu instid0(VALU_DEP_1) | instskip(SKIP_1) | instid1(VALU_DEP_2)
	v_mul_f32_e32 v4, 0x7800000, v4
	v_cmp_gt_u32_e32 vcc_lo, 0x8000000, v3
	v_cndmask_b32_e32 v3, v4, v5, vcc_lo
	s_delay_alu instid0(VALU_DEP_1) | instskip(NEXT) | instid1(VALU_DEP_1)
	v_and_or_b32 v1, 0x80000000, v1, v3
	v_trunc_f32_e32 v1, v1
	s_delay_alu instid0(VALU_DEP_1) | instskip(NEXT) | instid1(VALU_DEP_1)
	v_mul_f32_e64 v3, 0x2f800000, |v1|
	v_floor_f32_e32 v3, v3
	s_delay_alu instid0(VALU_DEP_1) | instskip(SKIP_1) | instid1(VALU_DEP_2)
	v_fma_f32 v3, 0xcf800000, v3, |v1|
	v_ashrrev_i32_e32 v1, 31, v1
	v_cvt_u32_f32_e32 v3, v3
	s_delay_alu instid0(VALU_DEP_1) | instskip(NEXT) | instid1(VALU_DEP_1)
	v_xor_b32_e32 v3, v3, v1
	v_sub_nc_u32_e32 v4, v3, v1
.LBB46_1854:
	s_mov_b32 s17, 0
	s_mov_b32 s18, -1
.LBB46_1855:
	s_and_not1_b32 vcc_lo, exec_lo, s17
	s_mov_b32 s17, 0
	s_cbranch_vccnz .LBB46_1866
; %bb.1856:
	s_cmp_gt_i32 s13, 14
	s_cbranch_scc0 .LBB46_1859
; %bb.1857:
	s_cmp_eq_u32 s13, 15
	s_cbranch_scc0 .LBB46_1862
; %bb.1858:
	global_load_u16 v1, v[6:7], off
	s_mov_b32 s16, 0
	s_mov_b32 s18, -1
	s_wait_loadcnt 0x0
	v_lshlrev_b32_e32 v1, 16, v1
	s_delay_alu instid0(VALU_DEP_1) | instskip(NEXT) | instid1(VALU_DEP_1)
	v_trunc_f32_e32 v1, v1
	v_mul_f32_e64 v3, 0x2f800000, |v1|
	s_delay_alu instid0(VALU_DEP_1) | instskip(NEXT) | instid1(VALU_DEP_1)
	v_floor_f32_e32 v3, v3
	v_fma_f32 v3, 0xcf800000, v3, |v1|
	v_ashrrev_i32_e32 v1, 31, v1
	s_delay_alu instid0(VALU_DEP_2) | instskip(NEXT) | instid1(VALU_DEP_1)
	v_cvt_u32_f32_e32 v3, v3
	v_xor_b32_e32 v3, v3, v1
	s_delay_alu instid0(VALU_DEP_1)
	v_sub_nc_u32_e32 v4, v3, v1
	s_branch .LBB46_1864
.LBB46_1859:
	s_mov_b32 s17, -1
	s_branch .LBB46_1863
.LBB46_1860:
	s_and_not1_saveexec_b32 s17, s17
	s_cbranch_execz .LBB46_1841
.LBB46_1861:
	v_cmp_ne_u16_e32 vcc_lo, 0, v1
	s_and_not1_b32 s18, s18, exec_lo
	s_and_b32 s19, vcc_lo, exec_lo
	s_delay_alu instid0(SALU_CYCLE_1)
	s_or_b32 s18, s18, s19
	s_or_b32 exec_lo, exec_lo, s17
	v_mov_b32_e32 v4, 0
	s_and_saveexec_b32 s17, s18
	s_cbranch_execnz .LBB46_1842
	s_branch .LBB46_1843
.LBB46_1862:
	s_mov_b32 s16, -1
.LBB46_1863:
                                        ; implicit-def: $vgpr4
.LBB46_1864:
	s_and_b32 vcc_lo, exec_lo, s17
	s_mov_b32 s17, 0
	s_cbranch_vccz .LBB46_1866
; %bb.1865:
	s_cmp_lg_u32 s13, 11
	s_mov_b32 s17, -1
	s_cselect_b32 s16, -1, 0
.LBB46_1866:
	s_delay_alu instid0(SALU_CYCLE_1)
	s_and_b32 vcc_lo, exec_lo, s16
	s_cbranch_vccnz .LBB46_1929
; %bb.1867:
	s_and_not1_b32 vcc_lo, exec_lo, s17
	s_cbranch_vccnz .LBB46_1869
.LBB46_1868:
	global_load_u8 v1, v[6:7], off
	s_mov_b32 s18, -1
	s_wait_loadcnt 0x0
	v_cmp_ne_u16_e32 vcc_lo, 0, v1
	v_cndmask_b32_e64 v4, 0, 1, vcc_lo
.LBB46_1869:
	s_branch .LBB46_1800
.LBB46_1870:
	s_and_b32 s13, 0xffff, s0
	s_delay_alu instid0(SALU_CYCLE_1)
	s_cmp_lt_i32 s13, 5
	s_cbranch_scc1 .LBB46_1875
; %bb.1871:
	s_cmp_lt_i32 s13, 8
	s_cbranch_scc1 .LBB46_1876
; %bb.1872:
	;; [unrolled: 3-line block ×3, first 2 shown]
	s_cmp_gt_i32 s13, 9
	s_cbranch_scc0 .LBB46_1878
; %bb.1874:
	s_wait_loadcnt 0x0
	global_load_b64 v[4:5], v[6:7], off
	s_mov_b32 s16, 0
	s_wait_loadcnt 0x0
	v_trunc_f64_e32 v[4:5], v[4:5]
	s_delay_alu instid0(VALU_DEP_1) | instskip(NEXT) | instid1(VALU_DEP_1)
	v_ldexp_f64 v[8:9], v[4:5], 0xffffffe0
	v_floor_f64_e32 v[8:9], v[8:9]
	s_delay_alu instid0(VALU_DEP_1) | instskip(NEXT) | instid1(VALU_DEP_1)
	v_fmamk_f64 v[4:5], v[8:9], 0xc1f00000, v[4:5]
	v_cvt_u32_f64_e32 v4, v[4:5]
	s_branch .LBB46_1879
.LBB46_1875:
	s_mov_b32 s16, -1
                                        ; implicit-def: $vgpr4
	s_branch .LBB46_1897
.LBB46_1876:
	s_mov_b32 s16, -1
                                        ; implicit-def: $vgpr4
	s_branch .LBB46_1885
.LBB46_1877:
	s_mov_b32 s16, -1
                                        ; implicit-def: $vgpr4
	s_branch .LBB46_1882
.LBB46_1878:
	s_mov_b32 s16, -1
                                        ; implicit-def: $vgpr4
.LBB46_1879:
	s_delay_alu instid0(SALU_CYCLE_1)
	s_and_not1_b32 vcc_lo, exec_lo, s16
	s_cbranch_vccnz .LBB46_1881
; %bb.1880:
	global_load_b32 v1, v[6:7], off
	s_wait_loadcnt 0x0
	v_trunc_f32_e32 v1, v1
	s_delay_alu instid0(VALU_DEP_1) | instskip(NEXT) | instid1(VALU_DEP_1)
	v_mul_f32_e64 v3, 0x2f800000, |v1|
	v_floor_f32_e32 v3, v3
	s_delay_alu instid0(VALU_DEP_1) | instskip(SKIP_1) | instid1(VALU_DEP_2)
	v_fma_f32 v3, 0xcf800000, v3, |v1|
	v_ashrrev_i32_e32 v1, 31, v1
	v_cvt_u32_f32_e32 v3, v3
	s_delay_alu instid0(VALU_DEP_1) | instskip(NEXT) | instid1(VALU_DEP_1)
	v_xor_b32_e32 v3, v3, v1
	v_sub_nc_u32_e32 v4, v3, v1
.LBB46_1881:
	s_mov_b32 s16, 0
.LBB46_1882:
	s_delay_alu instid0(SALU_CYCLE_1)
	s_and_not1_b32 vcc_lo, exec_lo, s16
	s_cbranch_vccnz .LBB46_1884
; %bb.1883:
	global_load_b32 v1, v[6:7], off
	s_wait_loadcnt 0x0
	v_cvt_f32_f16_e32 v1, v1
	s_delay_alu instid0(VALU_DEP_1)
	v_cvt_i32_f32_e32 v4, v1
.LBB46_1884:
	s_mov_b32 s16, 0
.LBB46_1885:
	s_delay_alu instid0(SALU_CYCLE_1)
	s_and_not1_b32 vcc_lo, exec_lo, s16
	s_cbranch_vccnz .LBB46_1896
; %bb.1886:
	s_cmp_lt_i32 s13, 6
	s_cbranch_scc1 .LBB46_1889
; %bb.1887:
	s_cmp_gt_i32 s13, 6
	s_cbranch_scc0 .LBB46_1890
; %bb.1888:
	s_wait_loadcnt 0x0
	global_load_b64 v[4:5], v[6:7], off
	s_mov_b32 s16, 0
	s_wait_loadcnt 0x0
	v_trunc_f64_e32 v[4:5], v[4:5]
	s_delay_alu instid0(VALU_DEP_1) | instskip(NEXT) | instid1(VALU_DEP_1)
	v_ldexp_f64 v[8:9], v[4:5], 0xffffffe0
	v_floor_f64_e32 v[8:9], v[8:9]
	s_delay_alu instid0(VALU_DEP_1) | instskip(NEXT) | instid1(VALU_DEP_1)
	v_fmamk_f64 v[4:5], v[8:9], 0xc1f00000, v[4:5]
	v_cvt_u32_f64_e32 v4, v[4:5]
	s_branch .LBB46_1891
.LBB46_1889:
	s_mov_b32 s16, -1
                                        ; implicit-def: $vgpr4
	s_branch .LBB46_1894
.LBB46_1890:
	s_mov_b32 s16, -1
                                        ; implicit-def: $vgpr4
.LBB46_1891:
	s_delay_alu instid0(SALU_CYCLE_1)
	s_and_not1_b32 vcc_lo, exec_lo, s16
	s_cbranch_vccnz .LBB46_1893
; %bb.1892:
	global_load_b32 v1, v[6:7], off
	s_wait_loadcnt 0x0
	v_trunc_f32_e32 v1, v1
	s_delay_alu instid0(VALU_DEP_1) | instskip(NEXT) | instid1(VALU_DEP_1)
	v_mul_f32_e64 v3, 0x2f800000, |v1|
	v_floor_f32_e32 v3, v3
	s_delay_alu instid0(VALU_DEP_1) | instskip(SKIP_1) | instid1(VALU_DEP_2)
	v_fma_f32 v3, 0xcf800000, v3, |v1|
	v_ashrrev_i32_e32 v1, 31, v1
	v_cvt_u32_f32_e32 v3, v3
	s_delay_alu instid0(VALU_DEP_1) | instskip(NEXT) | instid1(VALU_DEP_1)
	v_xor_b32_e32 v3, v3, v1
	v_sub_nc_u32_e32 v4, v3, v1
.LBB46_1893:
	s_mov_b32 s16, 0
.LBB46_1894:
	s_delay_alu instid0(SALU_CYCLE_1)
	s_and_not1_b32 vcc_lo, exec_lo, s16
	s_cbranch_vccnz .LBB46_1896
; %bb.1895:
	global_load_u16 v1, v[6:7], off
	s_wait_loadcnt 0x0
	v_cvt_f32_f16_e32 v1, v1
	s_delay_alu instid0(VALU_DEP_1)
	v_cvt_i32_f32_e32 v4, v1
.LBB46_1896:
	s_mov_b32 s16, 0
.LBB46_1897:
	s_delay_alu instid0(SALU_CYCLE_1)
	s_and_not1_b32 vcc_lo, exec_lo, s16
	s_cbranch_vccnz .LBB46_1917
; %bb.1898:
	s_cmp_lt_i32 s13, 2
	s_cbranch_scc1 .LBB46_1902
; %bb.1899:
	s_cmp_lt_i32 s13, 3
	s_cbranch_scc1 .LBB46_1903
; %bb.1900:
	s_cmp_gt_i32 s13, 3
	s_cbranch_scc0 .LBB46_1904
; %bb.1901:
	s_wait_loadcnt 0x0
	global_load_b64 v[4:5], v[6:7], off
	s_mov_b32 s16, 0
	s_branch .LBB46_1905
.LBB46_1902:
	s_mov_b32 s16, -1
                                        ; implicit-def: $vgpr4
	s_branch .LBB46_1911
.LBB46_1903:
	s_mov_b32 s16, -1
                                        ; implicit-def: $vgpr4
	s_branch .LBB46_1908
.LBB46_1904:
	s_mov_b32 s16, -1
                                        ; implicit-def: $vgpr4
.LBB46_1905:
	s_delay_alu instid0(SALU_CYCLE_1)
	s_and_not1_b32 vcc_lo, exec_lo, s16
	s_cbranch_vccnz .LBB46_1907
; %bb.1906:
	s_wait_loadcnt 0x0
	global_load_b32 v4, v[6:7], off
.LBB46_1907:
	s_mov_b32 s16, 0
.LBB46_1908:
	s_delay_alu instid0(SALU_CYCLE_1)
	s_and_not1_b32 vcc_lo, exec_lo, s16
	s_cbranch_vccnz .LBB46_1910
; %bb.1909:
	s_wait_loadcnt 0x0
	global_load_u16 v4, v[6:7], off
.LBB46_1910:
	s_mov_b32 s16, 0
.LBB46_1911:
	s_delay_alu instid0(SALU_CYCLE_1)
	s_and_not1_b32 vcc_lo, exec_lo, s16
	s_cbranch_vccnz .LBB46_1917
; %bb.1912:
	s_cmp_gt_i32 s13, 0
	s_mov_b32 s13, 0
	s_cbranch_scc0 .LBB46_1914
; %bb.1913:
	s_wait_loadcnt 0x0
	global_load_u8 v4, v[6:7], off
	s_branch .LBB46_1915
.LBB46_1914:
	s_mov_b32 s13, -1
                                        ; implicit-def: $vgpr4
.LBB46_1915:
	s_delay_alu instid0(SALU_CYCLE_1)
	s_and_not1_b32 vcc_lo, exec_lo, s13
	s_cbranch_vccnz .LBB46_1917
; %bb.1916:
	s_wait_loadcnt 0x0
	global_load_u8 v4, v[6:7], off
.LBB46_1917:
.LBB46_1918:
	s_lshl_b32 s10, s10, 7
	s_cmp_lt_i32 s1, 11
	v_add_nc_u32_e32 v2, s10, v2
	s_delay_alu instid0(VALU_DEP_1) | instskip(SKIP_1) | instid1(VALU_DEP_1)
	v_ashrrev_i32_e32 v3, 31, v2
	s_wait_xcnt 0x0
	v_add_nc_u64_e32 v[6:7], s[2:3], v[2:3]
	s_cbranch_scc1 .LBB46_1925
; %bb.1919:
	s_and_b32 s13, 0xffff, s1
	s_mov_b32 s17, 0
	s_cmp_gt_i32 s13, 25
	s_cbranch_scc0 .LBB46_1926
; %bb.1920:
	s_cmp_gt_i32 s13, 28
	s_cbranch_scc0 .LBB46_1927
; %bb.1921:
	;; [unrolled: 3-line block ×4, first 2 shown]
	s_cmp_eq_u32 s13, 46
	s_mov_b32 s19, 0
	s_cbranch_scc0 .LBB46_1931
; %bb.1924:
	global_load_b32 v1, v[6:7], off
	s_mov_b32 s16, 0
	s_mov_b32 s18, -1
	s_wait_loadcnt 0x0
	v_lshlrev_b32_e32 v1, 16, v1
	s_delay_alu instid0(VALU_DEP_1) | instskip(NEXT) | instid1(VALU_DEP_1)
	v_trunc_f32_e32 v1, v1
	v_mul_f32_e64 v3, 0x2f800000, |v1|
	s_delay_alu instid0(VALU_DEP_1) | instskip(NEXT) | instid1(VALU_DEP_1)
	v_floor_f32_e32 v3, v3
	v_fma_f32 v3, 0xcf800000, v3, |v1|
	v_ashrrev_i32_e32 v1, 31, v1
	s_delay_alu instid0(VALU_DEP_2) | instskip(NEXT) | instid1(VALU_DEP_1)
	v_cvt_u32_f32_e32 v3, v3
	v_xor_b32_e32 v3, v3, v1
	s_delay_alu instid0(VALU_DEP_1)
	v_sub_nc_u32_e32 v8, v3, v1
	s_branch .LBB46_1933
.LBB46_1925:
	s_mov_b32 s13, -1
	s_mov_b32 s18, 0
                                        ; implicit-def: $vgpr8
	s_branch .LBB46_1995
.LBB46_1926:
	s_mov_b32 s19, -1
	s_mov_b32 s18, 0
	s_mov_b32 s16, 0
                                        ; implicit-def: $vgpr8
	s_branch .LBB46_1960
.LBB46_1927:
	s_mov_b32 s19, -1
	s_mov_b32 s18, 0
	s_mov_b32 s16, 0
                                        ; implicit-def: $vgpr8
	s_branch .LBB46_1943
.LBB46_1928:
	s_mov_b32 s19, -1
	s_mov_b32 s18, 0
	s_mov_b32 s16, 0
                                        ; implicit-def: $vgpr8
	s_branch .LBB46_1938
.LBB46_1929:
	s_or_b32 s12, s12, exec_lo
	s_trap 2
	s_cbranch_execz .LBB46_1868
	s_branch .LBB46_1869
.LBB46_1930:
	s_mov_b32 s19, -1
	s_mov_b32 s18, 0
	s_mov_b32 s16, 0
	s_branch .LBB46_1932
.LBB46_1931:
	s_mov_b32 s16, -1
	s_mov_b32 s18, 0
.LBB46_1932:
                                        ; implicit-def: $vgpr8
.LBB46_1933:
	s_and_b32 vcc_lo, exec_lo, s19
	s_cbranch_vccz .LBB46_1937
; %bb.1934:
	s_cmp_eq_u32 s13, 44
	s_cbranch_scc0 .LBB46_1936
; %bb.1935:
	global_load_u8 v1, v[6:7], off
	s_mov_b32 s16, 0
	s_mov_b32 s18, -1
	s_wait_loadcnt 0x0
	v_lshlrev_b32_e32 v3, 23, v1
	v_cmp_ne_u32_e32 vcc_lo, 0, v1
	s_delay_alu instid0(VALU_DEP_2) | instskip(NEXT) | instid1(VALU_DEP_1)
	v_trunc_f32_e32 v3, v3
	v_mul_f32_e64 v5, 0x2f800000, |v3|
	s_delay_alu instid0(VALU_DEP_1) | instskip(NEXT) | instid1(VALU_DEP_1)
	v_floor_f32_e32 v5, v5
	v_fma_f32 v5, 0xcf800000, v5, |v3|
	v_ashrrev_i32_e32 v3, 31, v3
	s_delay_alu instid0(VALU_DEP_2) | instskip(NEXT) | instid1(VALU_DEP_1)
	v_cvt_u32_f32_e32 v5, v5
	v_xor_b32_e32 v5, v5, v3
	s_delay_alu instid0(VALU_DEP_1) | instskip(NEXT) | instid1(VALU_DEP_1)
	v_sub_nc_u32_e32 v3, v5, v3
	v_cndmask_b32_e32 v8, 0, v3, vcc_lo
	s_branch .LBB46_1937
.LBB46_1936:
	s_mov_b32 s16, -1
                                        ; implicit-def: $vgpr8
.LBB46_1937:
	s_mov_b32 s19, 0
.LBB46_1938:
	s_delay_alu instid0(SALU_CYCLE_1)
	s_and_b32 vcc_lo, exec_lo, s19
	s_cbranch_vccz .LBB46_1942
; %bb.1939:
	s_cmp_eq_u32 s13, 29
	s_cbranch_scc0 .LBB46_1941
; %bb.1940:
	global_load_b64 v[8:9], v[6:7], off
	s_mov_b32 s16, 0
	s_mov_b32 s18, -1
	s_branch .LBB46_1942
.LBB46_1941:
	s_mov_b32 s16, -1
                                        ; implicit-def: $vgpr8
.LBB46_1942:
	s_mov_b32 s19, 0
.LBB46_1943:
	s_delay_alu instid0(SALU_CYCLE_1)
	s_and_b32 vcc_lo, exec_lo, s19
	s_cbranch_vccz .LBB46_1959
; %bb.1944:
	s_cmp_lt_i32 s13, 27
	s_cbranch_scc1 .LBB46_1947
; %bb.1945:
	s_cmp_gt_i32 s13, 27
	s_cbranch_scc0 .LBB46_1948
; %bb.1946:
	s_wait_loadcnt 0x0
	global_load_b32 v8, v[6:7], off
	s_mov_b32 s18, 0
	s_branch .LBB46_1949
.LBB46_1947:
	s_mov_b32 s18, -1
                                        ; implicit-def: $vgpr8
	s_branch .LBB46_1952
.LBB46_1948:
	s_mov_b32 s18, -1
                                        ; implicit-def: $vgpr8
.LBB46_1949:
	s_delay_alu instid0(SALU_CYCLE_1)
	s_and_not1_b32 vcc_lo, exec_lo, s18
	s_cbranch_vccnz .LBB46_1951
; %bb.1950:
	s_wait_loadcnt 0x0
	global_load_u16 v8, v[6:7], off
.LBB46_1951:
	s_mov_b32 s18, 0
.LBB46_1952:
	s_delay_alu instid0(SALU_CYCLE_1)
	s_and_not1_b32 vcc_lo, exec_lo, s18
	s_cbranch_vccnz .LBB46_1958
; %bb.1953:
	global_load_u8 v1, v[6:7], off
	s_mov_b32 s19, 0
	s_mov_b32 s18, exec_lo
	s_wait_loadcnt 0x0
	v_cmpx_lt_i16_e32 0x7f, v1
	s_xor_b32 s18, exec_lo, s18
	s_cbranch_execz .LBB46_1970
; %bb.1954:
	v_cmp_ne_u16_e32 vcc_lo, 0x80, v1
	s_and_b32 s19, vcc_lo, exec_lo
	s_and_not1_saveexec_b32 s18, s18
	s_cbranch_execnz .LBB46_1971
.LBB46_1955:
	s_or_b32 exec_lo, exec_lo, s18
	v_mov_b32_e32 v8, 0
	s_and_saveexec_b32 s18, s19
	s_cbranch_execz .LBB46_1957
.LBB46_1956:
	v_and_b32_e32 v3, 0xffff, v1
	s_delay_alu instid0(VALU_DEP_1) | instskip(SKIP_1) | instid1(VALU_DEP_2)
	v_and_b32_e32 v5, 7, v3
	v_bfe_u32 v12, v3, 3, 4
	v_clz_i32_u32_e32 v8, v5
	s_delay_alu instid0(VALU_DEP_2) | instskip(NEXT) | instid1(VALU_DEP_2)
	v_cmp_eq_u32_e32 vcc_lo, 0, v12
	v_min_u32_e32 v8, 32, v8
	s_delay_alu instid0(VALU_DEP_1) | instskip(NEXT) | instid1(VALU_DEP_1)
	v_subrev_nc_u32_e32 v9, 28, v8
	v_dual_lshlrev_b32 v3, v9, v3 :: v_dual_sub_nc_u32 v8, 29, v8
	s_delay_alu instid0(VALU_DEP_1) | instskip(NEXT) | instid1(VALU_DEP_1)
	v_dual_lshlrev_b32 v1, 24, v1 :: v_dual_bitop2_b32 v3, 7, v3 bitop3:0x40
	v_dual_cndmask_b32 v8, v12, v8 :: v_dual_cndmask_b32 v3, v5, v3
	s_delay_alu instid0(VALU_DEP_2) | instskip(NEXT) | instid1(VALU_DEP_2)
	v_and_b32_e32 v1, 0x80000000, v1
	v_lshl_add_u32 v5, v8, 23, 0x3b800000
	s_delay_alu instid0(VALU_DEP_3) | instskip(NEXT) | instid1(VALU_DEP_1)
	v_lshlrev_b32_e32 v3, 20, v3
	v_or3_b32 v1, v1, v5, v3
	s_delay_alu instid0(VALU_DEP_1) | instskip(NEXT) | instid1(VALU_DEP_1)
	v_trunc_f32_e32 v1, v1
	v_mul_f32_e64 v3, 0x2f800000, |v1|
	s_delay_alu instid0(VALU_DEP_1) | instskip(NEXT) | instid1(VALU_DEP_1)
	v_floor_f32_e32 v3, v3
	v_fma_f32 v3, 0xcf800000, v3, |v1|
	v_ashrrev_i32_e32 v1, 31, v1
	s_delay_alu instid0(VALU_DEP_2) | instskip(NEXT) | instid1(VALU_DEP_1)
	v_cvt_u32_f32_e32 v3, v3
	v_xor_b32_e32 v3, v3, v1
	s_delay_alu instid0(VALU_DEP_1)
	v_sub_nc_u32_e32 v8, v3, v1
.LBB46_1957:
	s_or_b32 exec_lo, exec_lo, s18
.LBB46_1958:
	s_mov_b32 s18, -1
.LBB46_1959:
	s_mov_b32 s19, 0
.LBB46_1960:
	s_delay_alu instid0(SALU_CYCLE_1)
	s_and_b32 vcc_lo, exec_lo, s19
	s_cbranch_vccz .LBB46_1991
; %bb.1961:
	s_cmp_gt_i32 s13, 22
	s_cbranch_scc0 .LBB46_1969
; %bb.1962:
	s_cmp_lt_i32 s13, 24
	s_cbranch_scc1 .LBB46_1972
; %bb.1963:
	s_cmp_gt_i32 s13, 24
	s_cbranch_scc0 .LBB46_1973
; %bb.1964:
	global_load_u8 v1, v[6:7], off
	s_mov_b32 s18, 0
	s_mov_b32 s17, exec_lo
	s_wait_loadcnt 0x0
	v_cmpx_lt_i16_e32 0x7f, v1
	s_xor_b32 s17, exec_lo, s17
	s_cbranch_execz .LBB46_1985
; %bb.1965:
	v_cmp_ne_u16_e32 vcc_lo, 0x80, v1
	s_and_b32 s18, vcc_lo, exec_lo
	s_and_not1_saveexec_b32 s17, s17
	s_cbranch_execnz .LBB46_1986
.LBB46_1966:
	s_or_b32 exec_lo, exec_lo, s17
	v_mov_b32_e32 v8, 0
	s_and_saveexec_b32 s17, s18
	s_cbranch_execz .LBB46_1968
.LBB46_1967:
	v_and_b32_e32 v3, 0xffff, v1
	s_delay_alu instid0(VALU_DEP_1) | instskip(SKIP_1) | instid1(VALU_DEP_2)
	v_and_b32_e32 v5, 3, v3
	v_bfe_u32 v12, v3, 2, 5
	v_clz_i32_u32_e32 v8, v5
	s_delay_alu instid0(VALU_DEP_2) | instskip(NEXT) | instid1(VALU_DEP_2)
	v_cmp_eq_u32_e32 vcc_lo, 0, v12
	v_min_u32_e32 v8, 32, v8
	s_delay_alu instid0(VALU_DEP_1) | instskip(NEXT) | instid1(VALU_DEP_1)
	v_subrev_nc_u32_e32 v9, 29, v8
	v_dual_lshlrev_b32 v3, v9, v3 :: v_dual_sub_nc_u32 v8, 30, v8
	s_delay_alu instid0(VALU_DEP_1) | instskip(NEXT) | instid1(VALU_DEP_1)
	v_dual_lshlrev_b32 v1, 24, v1 :: v_dual_bitop2_b32 v3, 3, v3 bitop3:0x40
	v_dual_cndmask_b32 v8, v12, v8 :: v_dual_cndmask_b32 v3, v5, v3
	s_delay_alu instid0(VALU_DEP_2) | instskip(NEXT) | instid1(VALU_DEP_2)
	v_and_b32_e32 v1, 0x80000000, v1
	v_lshl_add_u32 v5, v8, 23, 0x37800000
	s_delay_alu instid0(VALU_DEP_3) | instskip(NEXT) | instid1(VALU_DEP_1)
	v_lshlrev_b32_e32 v3, 21, v3
	v_or3_b32 v1, v1, v5, v3
	s_delay_alu instid0(VALU_DEP_1) | instskip(NEXT) | instid1(VALU_DEP_1)
	v_trunc_f32_e32 v1, v1
	v_mul_f32_e64 v3, 0x2f800000, |v1|
	s_delay_alu instid0(VALU_DEP_1) | instskip(NEXT) | instid1(VALU_DEP_1)
	v_floor_f32_e32 v3, v3
	v_fma_f32 v3, 0xcf800000, v3, |v1|
	v_ashrrev_i32_e32 v1, 31, v1
	s_delay_alu instid0(VALU_DEP_2) | instskip(NEXT) | instid1(VALU_DEP_1)
	v_cvt_u32_f32_e32 v3, v3
	v_xor_b32_e32 v3, v3, v1
	s_delay_alu instid0(VALU_DEP_1)
	v_sub_nc_u32_e32 v8, v3, v1
.LBB46_1968:
	s_or_b32 exec_lo, exec_lo, s17
	s_mov_b32 s17, 0
	s_branch .LBB46_1974
.LBB46_1969:
	s_mov_b32 s17, -1
                                        ; implicit-def: $vgpr8
	s_branch .LBB46_1980
.LBB46_1970:
	s_and_not1_saveexec_b32 s18, s18
	s_cbranch_execz .LBB46_1955
.LBB46_1971:
	v_cmp_ne_u16_e32 vcc_lo, 0, v1
	s_and_not1_b32 s19, s19, exec_lo
	s_and_b32 s20, vcc_lo, exec_lo
	s_delay_alu instid0(SALU_CYCLE_1)
	s_or_b32 s19, s19, s20
	s_or_b32 exec_lo, exec_lo, s18
	v_mov_b32_e32 v8, 0
	s_and_saveexec_b32 s18, s19
	s_cbranch_execnz .LBB46_1956
	s_branch .LBB46_1957
.LBB46_1972:
	s_mov_b32 s17, -1
                                        ; implicit-def: $vgpr8
	s_branch .LBB46_1977
.LBB46_1973:
	s_mov_b32 s17, -1
                                        ; implicit-def: $vgpr8
.LBB46_1974:
	s_delay_alu instid0(SALU_CYCLE_1)
	s_and_b32 vcc_lo, exec_lo, s17
	s_cbranch_vccz .LBB46_1976
; %bb.1975:
	global_load_u8 v1, v[6:7], off
	s_wait_loadcnt 0x0
	v_lshlrev_b32_e32 v1, 24, v1
	s_delay_alu instid0(VALU_DEP_1) | instskip(NEXT) | instid1(VALU_DEP_1)
	v_and_b32_e32 v3, 0x7f000000, v1
	v_clz_i32_u32_e32 v5, v3
	v_add_nc_u32_e32 v9, 0x1000000, v3
	v_cmp_ne_u32_e32 vcc_lo, 0, v3
	s_delay_alu instid0(VALU_DEP_3) | instskip(NEXT) | instid1(VALU_DEP_1)
	v_min_u32_e32 v5, 32, v5
	v_sub_nc_u32_e64 v5, v5, 4 clamp
	s_delay_alu instid0(VALU_DEP_1) | instskip(NEXT) | instid1(VALU_DEP_1)
	v_dual_lshlrev_b32 v8, v5, v3 :: v_dual_lshlrev_b32 v5, 23, v5
	v_lshrrev_b32_e32 v8, 4, v8
	s_delay_alu instid0(VALU_DEP_1) | instskip(SKIP_1) | instid1(VALU_DEP_2)
	v_sub_nc_u32_e32 v5, v8, v5
	v_ashrrev_i32_e32 v8, 8, v9
	v_add_nc_u32_e32 v5, 0x3c000000, v5
	s_delay_alu instid0(VALU_DEP_1) | instskip(NEXT) | instid1(VALU_DEP_1)
	v_and_or_b32 v5, 0x7f800000, v8, v5
	v_cndmask_b32_e32 v3, 0, v5, vcc_lo
	s_delay_alu instid0(VALU_DEP_1) | instskip(NEXT) | instid1(VALU_DEP_1)
	v_and_or_b32 v1, 0x80000000, v1, v3
	v_trunc_f32_e32 v1, v1
	s_delay_alu instid0(VALU_DEP_1) | instskip(NEXT) | instid1(VALU_DEP_1)
	v_mul_f32_e64 v3, 0x2f800000, |v1|
	v_floor_f32_e32 v3, v3
	s_delay_alu instid0(VALU_DEP_1) | instskip(SKIP_1) | instid1(VALU_DEP_2)
	v_fma_f32 v3, 0xcf800000, v3, |v1|
	v_ashrrev_i32_e32 v1, 31, v1
	v_cvt_u32_f32_e32 v3, v3
	s_delay_alu instid0(VALU_DEP_1) | instskip(NEXT) | instid1(VALU_DEP_1)
	v_xor_b32_e32 v3, v3, v1
	v_sub_nc_u32_e32 v8, v3, v1
.LBB46_1976:
	s_mov_b32 s17, 0
.LBB46_1977:
	s_delay_alu instid0(SALU_CYCLE_1)
	s_and_not1_b32 vcc_lo, exec_lo, s17
	s_cbranch_vccnz .LBB46_1979
; %bb.1978:
	global_load_u8 v1, v[6:7], off
	s_wait_loadcnt 0x0
	v_lshlrev_b32_e32 v3, 25, v1
	v_lshlrev_b16 v1, 8, v1
	s_delay_alu instid0(VALU_DEP_1) | instskip(SKIP_1) | instid1(VALU_DEP_2)
	v_and_or_b32 v8, 0x7f00, v1, 0.5
	v_bfe_i32 v1, v1, 0, 16
	v_dual_add_f32 v8, -0.5, v8 :: v_dual_lshrrev_b32 v5, 4, v3
	v_cmp_gt_u32_e32 vcc_lo, 0x8000000, v3
	s_delay_alu instid0(VALU_DEP_2) | instskip(NEXT) | instid1(VALU_DEP_1)
	v_or_b32_e32 v5, 0x70000000, v5
	v_mul_f32_e32 v5, 0x7800000, v5
	s_delay_alu instid0(VALU_DEP_1) | instskip(NEXT) | instid1(VALU_DEP_1)
	v_cndmask_b32_e32 v3, v5, v8, vcc_lo
	v_and_or_b32 v1, 0x80000000, v1, v3
	s_delay_alu instid0(VALU_DEP_1) | instskip(NEXT) | instid1(VALU_DEP_1)
	v_trunc_f32_e32 v1, v1
	v_mul_f32_e64 v3, 0x2f800000, |v1|
	s_delay_alu instid0(VALU_DEP_1) | instskip(NEXT) | instid1(VALU_DEP_1)
	v_floor_f32_e32 v3, v3
	v_fma_f32 v3, 0xcf800000, v3, |v1|
	v_ashrrev_i32_e32 v1, 31, v1
	s_delay_alu instid0(VALU_DEP_2) | instskip(NEXT) | instid1(VALU_DEP_1)
	v_cvt_u32_f32_e32 v3, v3
	v_xor_b32_e32 v3, v3, v1
	s_delay_alu instid0(VALU_DEP_1)
	v_sub_nc_u32_e32 v8, v3, v1
.LBB46_1979:
	s_mov_b32 s17, 0
	s_mov_b32 s18, -1
.LBB46_1980:
	s_and_not1_b32 vcc_lo, exec_lo, s17
	s_mov_b32 s17, 0
	s_cbranch_vccnz .LBB46_1991
; %bb.1981:
	s_cmp_gt_i32 s13, 14
	s_cbranch_scc0 .LBB46_1984
; %bb.1982:
	s_cmp_eq_u32 s13, 15
	s_cbranch_scc0 .LBB46_1987
; %bb.1983:
	global_load_u16 v1, v[6:7], off
	s_mov_b32 s16, 0
	s_mov_b32 s18, -1
	s_wait_loadcnt 0x0
	v_lshlrev_b32_e32 v1, 16, v1
	s_delay_alu instid0(VALU_DEP_1) | instskip(NEXT) | instid1(VALU_DEP_1)
	v_trunc_f32_e32 v1, v1
	v_mul_f32_e64 v3, 0x2f800000, |v1|
	s_delay_alu instid0(VALU_DEP_1) | instskip(NEXT) | instid1(VALU_DEP_1)
	v_floor_f32_e32 v3, v3
	v_fma_f32 v3, 0xcf800000, v3, |v1|
	v_ashrrev_i32_e32 v1, 31, v1
	s_delay_alu instid0(VALU_DEP_2) | instskip(NEXT) | instid1(VALU_DEP_1)
	v_cvt_u32_f32_e32 v3, v3
	v_xor_b32_e32 v3, v3, v1
	s_delay_alu instid0(VALU_DEP_1)
	v_sub_nc_u32_e32 v8, v3, v1
	s_branch .LBB46_1989
.LBB46_1984:
	s_mov_b32 s17, -1
	s_branch .LBB46_1988
.LBB46_1985:
	s_and_not1_saveexec_b32 s17, s17
	s_cbranch_execz .LBB46_1966
.LBB46_1986:
	v_cmp_ne_u16_e32 vcc_lo, 0, v1
	s_and_not1_b32 s18, s18, exec_lo
	s_and_b32 s19, vcc_lo, exec_lo
	s_delay_alu instid0(SALU_CYCLE_1)
	s_or_b32 s18, s18, s19
	s_or_b32 exec_lo, exec_lo, s17
	v_mov_b32_e32 v8, 0
	s_and_saveexec_b32 s17, s18
	s_cbranch_execnz .LBB46_1967
	s_branch .LBB46_1968
.LBB46_1987:
	s_mov_b32 s16, -1
.LBB46_1988:
                                        ; implicit-def: $vgpr8
.LBB46_1989:
	s_and_b32 vcc_lo, exec_lo, s17
	s_mov_b32 s17, 0
	s_cbranch_vccz .LBB46_1991
; %bb.1990:
	s_cmp_lg_u32 s13, 11
	s_mov_b32 s17, -1
	s_cselect_b32 s16, -1, 0
.LBB46_1991:
	s_delay_alu instid0(SALU_CYCLE_1)
	s_and_b32 vcc_lo, exec_lo, s16
	s_cbranch_vccnz .LBB46_2062
; %bb.1992:
	s_and_not1_b32 vcc_lo, exec_lo, s17
	s_cbranch_vccnz .LBB46_1994
.LBB46_1993:
	global_load_u8 v1, v[6:7], off
	s_mov_b32 s18, -1
	s_wait_loadcnt 0x0
	v_cmp_ne_u16_e32 vcc_lo, 0, v1
	v_cndmask_b32_e64 v8, 0, 1, vcc_lo
.LBB46_1994:
	s_mov_b32 s13, 0
.LBB46_1995:
	s_delay_alu instid0(SALU_CYCLE_1)
	s_and_b32 vcc_lo, exec_lo, s13
	s_cbranch_vccz .LBB46_2044
; %bb.1996:
	s_and_b32 s13, 0xffff, s1
	s_delay_alu instid0(SALU_CYCLE_1)
	s_cmp_lt_i32 s13, 5
	s_cbranch_scc1 .LBB46_2001
; %bb.1997:
	s_cmp_lt_i32 s13, 8
	s_cbranch_scc1 .LBB46_2002
; %bb.1998:
	;; [unrolled: 3-line block ×3, first 2 shown]
	s_cmp_gt_i32 s13, 9
	s_cbranch_scc0 .LBB46_2004
; %bb.2000:
	s_wait_loadcnt 0x0
	global_load_b64 v[8:9], v[6:7], off
	s_mov_b32 s16, 0
	s_wait_loadcnt 0x0
	v_trunc_f64_e32 v[8:9], v[8:9]
	s_delay_alu instid0(VALU_DEP_1) | instskip(NEXT) | instid1(VALU_DEP_1)
	v_ldexp_f64 v[12:13], v[8:9], 0xffffffe0
	v_floor_f64_e32 v[12:13], v[12:13]
	s_delay_alu instid0(VALU_DEP_1) | instskip(NEXT) | instid1(VALU_DEP_1)
	v_fmamk_f64 v[8:9], v[12:13], 0xc1f00000, v[8:9]
	v_cvt_u32_f64_e32 v8, v[8:9]
	s_branch .LBB46_2005
.LBB46_2001:
	s_mov_b32 s16, -1
                                        ; implicit-def: $vgpr8
	s_branch .LBB46_2023
.LBB46_2002:
	s_mov_b32 s16, -1
                                        ; implicit-def: $vgpr8
	s_branch .LBB46_2011
.LBB46_2003:
	s_mov_b32 s16, -1
                                        ; implicit-def: $vgpr8
	s_branch .LBB46_2008
.LBB46_2004:
	s_mov_b32 s16, -1
                                        ; implicit-def: $vgpr8
.LBB46_2005:
	s_delay_alu instid0(SALU_CYCLE_1)
	s_and_not1_b32 vcc_lo, exec_lo, s16
	s_cbranch_vccnz .LBB46_2007
; %bb.2006:
	global_load_b32 v1, v[6:7], off
	s_wait_loadcnt 0x0
	v_trunc_f32_e32 v1, v1
	s_delay_alu instid0(VALU_DEP_1) | instskip(NEXT) | instid1(VALU_DEP_1)
	v_mul_f32_e64 v3, 0x2f800000, |v1|
	v_floor_f32_e32 v3, v3
	s_delay_alu instid0(VALU_DEP_1) | instskip(SKIP_1) | instid1(VALU_DEP_2)
	v_fma_f32 v3, 0xcf800000, v3, |v1|
	v_ashrrev_i32_e32 v1, 31, v1
	v_cvt_u32_f32_e32 v3, v3
	s_delay_alu instid0(VALU_DEP_1) | instskip(NEXT) | instid1(VALU_DEP_1)
	v_xor_b32_e32 v3, v3, v1
	v_sub_nc_u32_e32 v8, v3, v1
.LBB46_2007:
	s_mov_b32 s16, 0
.LBB46_2008:
	s_delay_alu instid0(SALU_CYCLE_1)
	s_and_not1_b32 vcc_lo, exec_lo, s16
	s_cbranch_vccnz .LBB46_2010
; %bb.2009:
	global_load_b32 v1, v[6:7], off
	s_wait_loadcnt 0x0
	v_cvt_f32_f16_e32 v1, v1
	s_delay_alu instid0(VALU_DEP_1)
	v_cvt_i32_f32_e32 v8, v1
.LBB46_2010:
	s_mov_b32 s16, 0
.LBB46_2011:
	s_delay_alu instid0(SALU_CYCLE_1)
	s_and_not1_b32 vcc_lo, exec_lo, s16
	s_cbranch_vccnz .LBB46_2022
; %bb.2012:
	s_cmp_lt_i32 s13, 6
	s_cbranch_scc1 .LBB46_2015
; %bb.2013:
	s_cmp_gt_i32 s13, 6
	s_cbranch_scc0 .LBB46_2016
; %bb.2014:
	s_wait_loadcnt 0x0
	global_load_b64 v[8:9], v[6:7], off
	s_mov_b32 s16, 0
	s_wait_loadcnt 0x0
	v_trunc_f64_e32 v[8:9], v[8:9]
	s_delay_alu instid0(VALU_DEP_1) | instskip(NEXT) | instid1(VALU_DEP_1)
	v_ldexp_f64 v[12:13], v[8:9], 0xffffffe0
	v_floor_f64_e32 v[12:13], v[12:13]
	s_delay_alu instid0(VALU_DEP_1) | instskip(NEXT) | instid1(VALU_DEP_1)
	v_fmamk_f64 v[8:9], v[12:13], 0xc1f00000, v[8:9]
	v_cvt_u32_f64_e32 v8, v[8:9]
	s_branch .LBB46_2017
.LBB46_2015:
	s_mov_b32 s16, -1
                                        ; implicit-def: $vgpr8
	s_branch .LBB46_2020
.LBB46_2016:
	s_mov_b32 s16, -1
                                        ; implicit-def: $vgpr8
.LBB46_2017:
	s_delay_alu instid0(SALU_CYCLE_1)
	s_and_not1_b32 vcc_lo, exec_lo, s16
	s_cbranch_vccnz .LBB46_2019
; %bb.2018:
	global_load_b32 v1, v[6:7], off
	s_wait_loadcnt 0x0
	v_trunc_f32_e32 v1, v1
	s_delay_alu instid0(VALU_DEP_1) | instskip(NEXT) | instid1(VALU_DEP_1)
	v_mul_f32_e64 v3, 0x2f800000, |v1|
	v_floor_f32_e32 v3, v3
	s_delay_alu instid0(VALU_DEP_1) | instskip(SKIP_1) | instid1(VALU_DEP_2)
	v_fma_f32 v3, 0xcf800000, v3, |v1|
	v_ashrrev_i32_e32 v1, 31, v1
	v_cvt_u32_f32_e32 v3, v3
	s_delay_alu instid0(VALU_DEP_1) | instskip(NEXT) | instid1(VALU_DEP_1)
	v_xor_b32_e32 v3, v3, v1
	v_sub_nc_u32_e32 v8, v3, v1
.LBB46_2019:
	s_mov_b32 s16, 0
.LBB46_2020:
	s_delay_alu instid0(SALU_CYCLE_1)
	s_and_not1_b32 vcc_lo, exec_lo, s16
	s_cbranch_vccnz .LBB46_2022
; %bb.2021:
	global_load_u16 v1, v[6:7], off
	s_wait_loadcnt 0x0
	v_cvt_f32_f16_e32 v1, v1
	s_delay_alu instid0(VALU_DEP_1)
	v_cvt_i32_f32_e32 v8, v1
.LBB46_2022:
	s_mov_b32 s16, 0
.LBB46_2023:
	s_delay_alu instid0(SALU_CYCLE_1)
	s_and_not1_b32 vcc_lo, exec_lo, s16
	s_cbranch_vccnz .LBB46_2043
; %bb.2024:
	s_cmp_lt_i32 s13, 2
	s_cbranch_scc1 .LBB46_2028
; %bb.2025:
	s_cmp_lt_i32 s13, 3
	s_cbranch_scc1 .LBB46_2029
; %bb.2026:
	s_cmp_gt_i32 s13, 3
	s_cbranch_scc0 .LBB46_2030
; %bb.2027:
	s_wait_loadcnt 0x0
	global_load_b64 v[8:9], v[6:7], off
	s_mov_b32 s16, 0
	s_branch .LBB46_2031
.LBB46_2028:
	s_mov_b32 s16, -1
                                        ; implicit-def: $vgpr8
	s_branch .LBB46_2037
.LBB46_2029:
	s_mov_b32 s16, -1
                                        ; implicit-def: $vgpr8
	s_branch .LBB46_2034
.LBB46_2030:
	s_mov_b32 s16, -1
                                        ; implicit-def: $vgpr8
.LBB46_2031:
	s_delay_alu instid0(SALU_CYCLE_1)
	s_and_not1_b32 vcc_lo, exec_lo, s16
	s_cbranch_vccnz .LBB46_2033
; %bb.2032:
	s_wait_loadcnt 0x0
	global_load_b32 v8, v[6:7], off
.LBB46_2033:
	s_mov_b32 s16, 0
.LBB46_2034:
	s_delay_alu instid0(SALU_CYCLE_1)
	s_and_not1_b32 vcc_lo, exec_lo, s16
	s_cbranch_vccnz .LBB46_2036
; %bb.2035:
	s_wait_loadcnt 0x0
	global_load_u16 v8, v[6:7], off
.LBB46_2036:
	s_mov_b32 s16, 0
.LBB46_2037:
	s_delay_alu instid0(SALU_CYCLE_1)
	s_and_not1_b32 vcc_lo, exec_lo, s16
	s_cbranch_vccnz .LBB46_2043
; %bb.2038:
	s_cmp_gt_i32 s13, 0
	s_mov_b32 s13, 0
	s_cbranch_scc0 .LBB46_2040
; %bb.2039:
	s_wait_loadcnt 0x0
	global_load_u8 v8, v[6:7], off
	s_branch .LBB46_2041
.LBB46_2040:
	s_mov_b32 s13, -1
                                        ; implicit-def: $vgpr8
.LBB46_2041:
	s_delay_alu instid0(SALU_CYCLE_1)
	s_and_not1_b32 vcc_lo, exec_lo, s13
	s_cbranch_vccnz .LBB46_2043
; %bb.2042:
	s_wait_loadcnt 0x0
	global_load_u8 v8, v[6:7], off
.LBB46_2043:
	s_mov_b32 s18, -1
.LBB46_2044:
	s_delay_alu instid0(SALU_CYCLE_1)
	s_and_not1_b32 vcc_lo, exec_lo, s18
	s_cbranch_vccnz .LBB46_2651
; %bb.2045:
	s_wait_loadcnt 0x0
	s_delay_alu instid0(VALU_DEP_4) | instskip(SKIP_1) | instid1(VALU_DEP_1)
	v_and_b32_e32 v1, 0xff, v4
	s_mov_b32 s16, 0
	v_cmp_ne_u16_e32 vcc_lo, 0, v1
	s_delay_alu instid0(VALU_DEP_3)
	v_mov_b32_e32 v1, v8
	s_wait_xcnt 0x0
	s_and_saveexec_b32 s13, vcc_lo
	s_cbranch_execz .LBB46_2049
; %bb.2046:
	v_dual_mov_b32 v5, v4 :: v_dual_mov_b32 v3, v8
.LBB46_2047:                            ; =>This Inner Loop Header: Depth=1
	s_delay_alu instid0(VALU_DEP_1) | instskip(NEXT) | instid1(VALU_DEP_2)
	v_cvt_f32_ubyte0_e32 v7, v3
	v_mov_b32_e32 v1, v5
	s_delay_alu instid0(VALU_DEP_1) | instskip(NEXT) | instid1(VALU_DEP_1)
	v_cvt_f32_ubyte0_e32 v5, v1
	v_rcp_iflag_f32_e32 v6, v5
	v_nop
	s_delay_alu instid0(TRANS32_DEP_1) | instskip(NEXT) | instid1(VALU_DEP_1)
	v_mul_f32_e32 v6, v7, v6
	v_trunc_f32_e32 v6, v6
	s_delay_alu instid0(VALU_DEP_1) | instskip(SKIP_1) | instid1(VALU_DEP_2)
	v_fma_f32 v7, -v6, v5, v7
	v_cvt_u32_f32_e32 v6, v6
	v_cmp_ge_f32_e64 vcc_lo, |v7|, v5
	s_delay_alu instid0(VALU_DEP_1) | instskip(NEXT) | instid1(VALU_DEP_1)
	v_add_co_ci_u32_e64 v5, null, 0, v6, vcc_lo
	v_mul_lo_u32 v5, v5, v1
	s_delay_alu instid0(VALU_DEP_1) | instskip(NEXT) | instid1(VALU_DEP_1)
	v_sub_nc_u32_e32 v3, v3, v5
	v_and_b32_e32 v5, 0xff, v3
	v_mov_b32_e32 v3, v1
	s_delay_alu instid0(VALU_DEP_2) | instskip(SKIP_1) | instid1(SALU_CYCLE_1)
	v_cmp_eq_u16_e32 vcc_lo, 0, v5
	s_or_b32 s16, vcc_lo, s16
	s_and_not1_b32 exec_lo, exec_lo, s16
	s_cbranch_execnz .LBB46_2047
; %bb.2048:
	s_or_b32 exec_lo, exec_lo, s16
.LBB46_2049:
	s_delay_alu instid0(SALU_CYCLE_1) | instskip(SKIP_3) | instid1(VALU_DEP_2)
	s_or_b32 exec_lo, exec_lo, s13
	v_and_b32_e32 v3, 0xff, v1
	v_mov_b32_e32 v12, 0
	s_mov_b32 s13, exec_lo
	v_cmpx_ne_u16_e32 0, v3
	s_cbranch_execz .LBB46_2051
; %bb.2050:
	v_cvt_f32_ubyte0_e32 v1, v1
	v_cvt_f32_ubyte0_e32 v4, v4
	s_delay_alu instid0(VALU_DEP_2) | instskip(SKIP_1) | instid1(TRANS32_DEP_1)
	v_rcp_iflag_f32_e32 v3, v1
	v_nop
	v_mul_f32_e32 v3, v4, v3
	s_delay_alu instid0(VALU_DEP_1) | instskip(NEXT) | instid1(VALU_DEP_1)
	v_trunc_f32_e32 v3, v3
	v_fma_f32 v4, -v3, v1, v4
	v_cvt_u32_f32_e32 v3, v3
	s_delay_alu instid0(VALU_DEP_2) | instskip(NEXT) | instid1(VALU_DEP_1)
	v_cmp_ge_f32_e64 vcc_lo, |v4|, v1
	v_add_co_ci_u32_e64 v1, null, 0, v3, vcc_lo
	s_delay_alu instid0(VALU_DEP_1)
	v_mul_lo_u16 v12, v1, v8
.LBB46_2051:
	s_or_b32 exec_lo, exec_lo, s13
	v_add_nc_u32_e32 v0, s9, v0
	s_cmp_lt_i32 s0, 11
	s_delay_alu instid0(VALU_DEP_1) | instskip(NEXT) | instid1(VALU_DEP_1)
	v_ashrrev_i32_e32 v1, 31, v0
	v_add_nc_u64_e32 v[6:7], s[6:7], v[0:1]
	s_cbranch_scc1 .LBB46_2058
; %bb.2052:
	s_and_b32 s13, 0xffff, s0
	s_mov_b32 s17, 0
	s_cmp_gt_i32 s13, 25
	s_cbranch_scc0 .LBB46_2059
; %bb.2053:
	s_cmp_gt_i32 s13, 28
	s_cbranch_scc0 .LBB46_2060
; %bb.2054:
	;; [unrolled: 3-line block ×4, first 2 shown]
	s_cmp_eq_u32 s13, 46
	s_mov_b32 s19, 0
	s_cbranch_scc0 .LBB46_2064
; %bb.2057:
	global_load_b32 v1, v[6:7], off
	s_mov_b32 s16, 0
	s_mov_b32 s18, -1
	s_wait_loadcnt 0x0
	v_lshlrev_b32_e32 v1, 16, v1
	s_delay_alu instid0(VALU_DEP_1) | instskip(NEXT) | instid1(VALU_DEP_1)
	v_trunc_f32_e32 v1, v1
	v_mul_f32_e64 v3, 0x2f800000, |v1|
	s_delay_alu instid0(VALU_DEP_1) | instskip(NEXT) | instid1(VALU_DEP_1)
	v_floor_f32_e32 v3, v3
	v_fma_f32 v3, 0xcf800000, v3, |v1|
	v_ashrrev_i32_e32 v1, 31, v1
	s_delay_alu instid0(VALU_DEP_2) | instskip(NEXT) | instid1(VALU_DEP_1)
	v_cvt_u32_f32_e32 v3, v3
	v_xor_b32_e32 v3, v3, v1
	s_delay_alu instid0(VALU_DEP_1)
	v_sub_nc_u32_e32 v4, v3, v1
	s_branch .LBB46_2066
.LBB46_2058:
	s_mov_b32 s13, -1
	s_mov_b32 s18, 0
                                        ; implicit-def: $vgpr4
	s_branch .LBB46_2128
.LBB46_2059:
	s_mov_b32 s19, -1
	s_mov_b32 s18, 0
	s_mov_b32 s16, 0
                                        ; implicit-def: $vgpr4
	s_branch .LBB46_2093
.LBB46_2060:
	s_mov_b32 s19, -1
	s_mov_b32 s18, 0
	s_mov_b32 s16, 0
                                        ; implicit-def: $vgpr4
	s_branch .LBB46_2076
.LBB46_2061:
	s_mov_b32 s19, -1
	s_mov_b32 s18, 0
	s_mov_b32 s16, 0
                                        ; implicit-def: $vgpr4
	s_branch .LBB46_2071
.LBB46_2062:
	s_or_b32 s12, s12, exec_lo
	s_trap 2
	s_cbranch_execz .LBB46_1993
	s_branch .LBB46_1994
.LBB46_2063:
	s_mov_b32 s19, -1
	s_mov_b32 s18, 0
	s_mov_b32 s16, 0
	s_branch .LBB46_2065
.LBB46_2064:
	s_mov_b32 s16, -1
	s_mov_b32 s18, 0
.LBB46_2065:
                                        ; implicit-def: $vgpr4
.LBB46_2066:
	s_and_b32 vcc_lo, exec_lo, s19
	s_cbranch_vccz .LBB46_2070
; %bb.2067:
	s_cmp_eq_u32 s13, 44
	s_cbranch_scc0 .LBB46_2069
; %bb.2068:
	global_load_u8 v1, v[6:7], off
	s_mov_b32 s16, 0
	s_mov_b32 s18, -1
	s_wait_loadcnt 0x0
	v_lshlrev_b32_e32 v3, 23, v1
	v_cmp_ne_u32_e32 vcc_lo, 0, v1
	s_delay_alu instid0(VALU_DEP_2) | instskip(NEXT) | instid1(VALU_DEP_1)
	v_trunc_f32_e32 v3, v3
	v_mul_f32_e64 v4, 0x2f800000, |v3|
	s_delay_alu instid0(VALU_DEP_1) | instskip(NEXT) | instid1(VALU_DEP_1)
	v_floor_f32_e32 v4, v4
	v_fma_f32 v4, 0xcf800000, v4, |v3|
	v_ashrrev_i32_e32 v3, 31, v3
	s_delay_alu instid0(VALU_DEP_2) | instskip(NEXT) | instid1(VALU_DEP_1)
	v_cvt_u32_f32_e32 v4, v4
	v_xor_b32_e32 v4, v4, v3
	s_delay_alu instid0(VALU_DEP_1) | instskip(NEXT) | instid1(VALU_DEP_1)
	v_sub_nc_u32_e32 v3, v4, v3
	v_cndmask_b32_e32 v4, 0, v3, vcc_lo
	s_branch .LBB46_2070
.LBB46_2069:
	s_mov_b32 s16, -1
                                        ; implicit-def: $vgpr4
.LBB46_2070:
	s_mov_b32 s19, 0
.LBB46_2071:
	s_delay_alu instid0(SALU_CYCLE_1)
	s_and_b32 vcc_lo, exec_lo, s19
	s_cbranch_vccz .LBB46_2075
; %bb.2072:
	s_cmp_eq_u32 s13, 29
	s_cbranch_scc0 .LBB46_2074
; %bb.2073:
	global_load_b64 v[4:5], v[6:7], off
	s_mov_b32 s16, 0
	s_mov_b32 s18, -1
	s_branch .LBB46_2075
.LBB46_2074:
	s_mov_b32 s16, -1
                                        ; implicit-def: $vgpr4
.LBB46_2075:
	s_mov_b32 s19, 0
.LBB46_2076:
	s_delay_alu instid0(SALU_CYCLE_1)
	s_and_b32 vcc_lo, exec_lo, s19
	s_cbranch_vccz .LBB46_2092
; %bb.2077:
	s_cmp_lt_i32 s13, 27
	s_cbranch_scc1 .LBB46_2080
; %bb.2078:
	s_cmp_gt_i32 s13, 27
	s_cbranch_scc0 .LBB46_2081
; %bb.2079:
	s_wait_loadcnt 0x0
	global_load_b32 v4, v[6:7], off
	s_mov_b32 s18, 0
	s_branch .LBB46_2082
.LBB46_2080:
	s_mov_b32 s18, -1
                                        ; implicit-def: $vgpr4
	s_branch .LBB46_2085
.LBB46_2081:
	s_mov_b32 s18, -1
                                        ; implicit-def: $vgpr4
.LBB46_2082:
	s_delay_alu instid0(SALU_CYCLE_1)
	s_and_not1_b32 vcc_lo, exec_lo, s18
	s_cbranch_vccnz .LBB46_2084
; %bb.2083:
	s_wait_loadcnt 0x0
	global_load_u16 v4, v[6:7], off
.LBB46_2084:
	s_mov_b32 s18, 0
.LBB46_2085:
	s_delay_alu instid0(SALU_CYCLE_1)
	s_and_not1_b32 vcc_lo, exec_lo, s18
	s_cbranch_vccnz .LBB46_2091
; %bb.2086:
	global_load_u8 v1, v[6:7], off
	s_mov_b32 s19, 0
	s_mov_b32 s18, exec_lo
	s_wait_loadcnt 0x0
	v_cmpx_lt_i16_e32 0x7f, v1
	s_xor_b32 s18, exec_lo, s18
	s_cbranch_execz .LBB46_2103
; %bb.2087:
	v_cmp_ne_u16_e32 vcc_lo, 0x80, v1
	s_and_b32 s19, vcc_lo, exec_lo
	s_and_not1_saveexec_b32 s18, s18
	s_cbranch_execnz .LBB46_2104
.LBB46_2088:
	s_or_b32 exec_lo, exec_lo, s18
	v_mov_b32_e32 v4, 0
	s_and_saveexec_b32 s18, s19
	s_cbranch_execz .LBB46_2090
.LBB46_2089:
	v_and_b32_e32 v3, 0xffff, v1
	s_delay_alu instid0(VALU_DEP_1) | instskip(SKIP_1) | instid1(VALU_DEP_2)
	v_and_b32_e32 v4, 7, v3
	v_bfe_u32 v9, v3, 3, 4
	v_clz_i32_u32_e32 v5, v4
	s_delay_alu instid0(VALU_DEP_2) | instskip(NEXT) | instid1(VALU_DEP_2)
	v_cmp_eq_u32_e32 vcc_lo, 0, v9
	v_min_u32_e32 v5, 32, v5
	s_delay_alu instid0(VALU_DEP_1) | instskip(NEXT) | instid1(VALU_DEP_1)
	v_subrev_nc_u32_e32 v8, 28, v5
	v_dual_lshlrev_b32 v3, v8, v3 :: v_dual_sub_nc_u32 v5, 29, v5
	s_delay_alu instid0(VALU_DEP_1) | instskip(NEXT) | instid1(VALU_DEP_1)
	v_dual_lshlrev_b32 v1, 24, v1 :: v_dual_bitop2_b32 v3, 7, v3 bitop3:0x40
	v_dual_cndmask_b32 v3, v4, v3, vcc_lo :: v_dual_cndmask_b32 v5, v9, v5, vcc_lo
	s_delay_alu instid0(VALU_DEP_2) | instskip(NEXT) | instid1(VALU_DEP_2)
	v_and_b32_e32 v1, 0x80000000, v1
	v_lshlrev_b32_e32 v3, 20, v3
	s_delay_alu instid0(VALU_DEP_3) | instskip(NEXT) | instid1(VALU_DEP_1)
	v_lshl_add_u32 v4, v5, 23, 0x3b800000
	v_or3_b32 v1, v1, v4, v3
	s_delay_alu instid0(VALU_DEP_1) | instskip(NEXT) | instid1(VALU_DEP_1)
	v_trunc_f32_e32 v1, v1
	v_mul_f32_e64 v3, 0x2f800000, |v1|
	s_delay_alu instid0(VALU_DEP_1) | instskip(NEXT) | instid1(VALU_DEP_1)
	v_floor_f32_e32 v3, v3
	v_fma_f32 v3, 0xcf800000, v3, |v1|
	v_ashrrev_i32_e32 v1, 31, v1
	s_delay_alu instid0(VALU_DEP_2) | instskip(NEXT) | instid1(VALU_DEP_1)
	v_cvt_u32_f32_e32 v3, v3
	v_xor_b32_e32 v3, v3, v1
	s_delay_alu instid0(VALU_DEP_1)
	v_sub_nc_u32_e32 v4, v3, v1
.LBB46_2090:
	s_or_b32 exec_lo, exec_lo, s18
.LBB46_2091:
	s_mov_b32 s18, -1
.LBB46_2092:
	s_mov_b32 s19, 0
.LBB46_2093:
	s_delay_alu instid0(SALU_CYCLE_1)
	s_and_b32 vcc_lo, exec_lo, s19
	s_cbranch_vccz .LBB46_2124
; %bb.2094:
	s_cmp_gt_i32 s13, 22
	s_cbranch_scc0 .LBB46_2102
; %bb.2095:
	s_cmp_lt_i32 s13, 24
	s_cbranch_scc1 .LBB46_2105
; %bb.2096:
	s_cmp_gt_i32 s13, 24
	s_cbranch_scc0 .LBB46_2106
; %bb.2097:
	global_load_u8 v1, v[6:7], off
	s_mov_b32 s18, 0
	s_mov_b32 s17, exec_lo
	s_wait_loadcnt 0x0
	v_cmpx_lt_i16_e32 0x7f, v1
	s_xor_b32 s17, exec_lo, s17
	s_cbranch_execz .LBB46_2118
; %bb.2098:
	v_cmp_ne_u16_e32 vcc_lo, 0x80, v1
	s_and_b32 s18, vcc_lo, exec_lo
	s_and_not1_saveexec_b32 s17, s17
	s_cbranch_execnz .LBB46_2119
.LBB46_2099:
	s_or_b32 exec_lo, exec_lo, s17
	v_mov_b32_e32 v4, 0
	s_and_saveexec_b32 s17, s18
	s_cbranch_execz .LBB46_2101
.LBB46_2100:
	v_and_b32_e32 v3, 0xffff, v1
	s_delay_alu instid0(VALU_DEP_1) | instskip(SKIP_1) | instid1(VALU_DEP_2)
	v_and_b32_e32 v4, 3, v3
	v_bfe_u32 v9, v3, 2, 5
	v_clz_i32_u32_e32 v5, v4
	s_delay_alu instid0(VALU_DEP_2) | instskip(NEXT) | instid1(VALU_DEP_2)
	v_cmp_eq_u32_e32 vcc_lo, 0, v9
	v_min_u32_e32 v5, 32, v5
	s_delay_alu instid0(VALU_DEP_1) | instskip(NEXT) | instid1(VALU_DEP_1)
	v_subrev_nc_u32_e32 v8, 29, v5
	v_dual_lshlrev_b32 v3, v8, v3 :: v_dual_sub_nc_u32 v5, 30, v5
	s_delay_alu instid0(VALU_DEP_1) | instskip(NEXT) | instid1(VALU_DEP_1)
	v_dual_lshlrev_b32 v1, 24, v1 :: v_dual_bitop2_b32 v3, 3, v3 bitop3:0x40
	v_dual_cndmask_b32 v3, v4, v3, vcc_lo :: v_dual_cndmask_b32 v5, v9, v5, vcc_lo
	s_delay_alu instid0(VALU_DEP_2) | instskip(NEXT) | instid1(VALU_DEP_2)
	v_and_b32_e32 v1, 0x80000000, v1
	v_lshlrev_b32_e32 v3, 21, v3
	s_delay_alu instid0(VALU_DEP_3) | instskip(NEXT) | instid1(VALU_DEP_1)
	v_lshl_add_u32 v4, v5, 23, 0x37800000
	v_or3_b32 v1, v1, v4, v3
	s_delay_alu instid0(VALU_DEP_1) | instskip(NEXT) | instid1(VALU_DEP_1)
	v_trunc_f32_e32 v1, v1
	v_mul_f32_e64 v3, 0x2f800000, |v1|
	s_delay_alu instid0(VALU_DEP_1) | instskip(NEXT) | instid1(VALU_DEP_1)
	v_floor_f32_e32 v3, v3
	v_fma_f32 v3, 0xcf800000, v3, |v1|
	v_ashrrev_i32_e32 v1, 31, v1
	s_delay_alu instid0(VALU_DEP_2) | instskip(NEXT) | instid1(VALU_DEP_1)
	v_cvt_u32_f32_e32 v3, v3
	v_xor_b32_e32 v3, v3, v1
	s_delay_alu instid0(VALU_DEP_1)
	v_sub_nc_u32_e32 v4, v3, v1
.LBB46_2101:
	s_or_b32 exec_lo, exec_lo, s17
	s_mov_b32 s17, 0
	s_branch .LBB46_2107
.LBB46_2102:
	s_mov_b32 s17, -1
                                        ; implicit-def: $vgpr4
	s_branch .LBB46_2113
.LBB46_2103:
	s_and_not1_saveexec_b32 s18, s18
	s_cbranch_execz .LBB46_2088
.LBB46_2104:
	v_cmp_ne_u16_e32 vcc_lo, 0, v1
	s_and_not1_b32 s19, s19, exec_lo
	s_and_b32 s20, vcc_lo, exec_lo
	s_delay_alu instid0(SALU_CYCLE_1)
	s_or_b32 s19, s19, s20
	s_or_b32 exec_lo, exec_lo, s18
	v_mov_b32_e32 v4, 0
	s_and_saveexec_b32 s18, s19
	s_cbranch_execnz .LBB46_2089
	s_branch .LBB46_2090
.LBB46_2105:
	s_mov_b32 s17, -1
                                        ; implicit-def: $vgpr4
	s_branch .LBB46_2110
.LBB46_2106:
	s_mov_b32 s17, -1
                                        ; implicit-def: $vgpr4
.LBB46_2107:
	s_delay_alu instid0(SALU_CYCLE_1)
	s_and_b32 vcc_lo, exec_lo, s17
	s_cbranch_vccz .LBB46_2109
; %bb.2108:
	global_load_u8 v1, v[6:7], off
	s_wait_loadcnt 0x0
	v_lshlrev_b32_e32 v1, 24, v1
	s_delay_alu instid0(VALU_DEP_1) | instskip(NEXT) | instid1(VALU_DEP_1)
	v_and_b32_e32 v3, 0x7f000000, v1
	v_clz_i32_u32_e32 v4, v3
	v_cmp_ne_u32_e32 vcc_lo, 0, v3
	v_add_nc_u32_e32 v8, 0x1000000, v3
	s_delay_alu instid0(VALU_DEP_3) | instskip(NEXT) | instid1(VALU_DEP_1)
	v_min_u32_e32 v4, 32, v4
	v_sub_nc_u32_e64 v4, v4, 4 clamp
	s_delay_alu instid0(VALU_DEP_1) | instskip(NEXT) | instid1(VALU_DEP_1)
	v_dual_lshlrev_b32 v5, v4, v3 :: v_dual_lshlrev_b32 v4, 23, v4
	v_lshrrev_b32_e32 v5, 4, v5
	s_delay_alu instid0(VALU_DEP_1) | instskip(SKIP_1) | instid1(VALU_DEP_2)
	v_sub_nc_u32_e32 v4, v5, v4
	v_ashrrev_i32_e32 v5, 8, v8
	v_add_nc_u32_e32 v4, 0x3c000000, v4
	s_delay_alu instid0(VALU_DEP_1) | instskip(NEXT) | instid1(VALU_DEP_1)
	v_and_or_b32 v4, 0x7f800000, v5, v4
	v_cndmask_b32_e32 v3, 0, v4, vcc_lo
	s_delay_alu instid0(VALU_DEP_1) | instskip(NEXT) | instid1(VALU_DEP_1)
	v_and_or_b32 v1, 0x80000000, v1, v3
	v_trunc_f32_e32 v1, v1
	s_delay_alu instid0(VALU_DEP_1) | instskip(NEXT) | instid1(VALU_DEP_1)
	v_mul_f32_e64 v3, 0x2f800000, |v1|
	v_floor_f32_e32 v3, v3
	s_delay_alu instid0(VALU_DEP_1) | instskip(SKIP_1) | instid1(VALU_DEP_2)
	v_fma_f32 v3, 0xcf800000, v3, |v1|
	v_ashrrev_i32_e32 v1, 31, v1
	v_cvt_u32_f32_e32 v3, v3
	s_delay_alu instid0(VALU_DEP_1) | instskip(NEXT) | instid1(VALU_DEP_1)
	v_xor_b32_e32 v3, v3, v1
	v_sub_nc_u32_e32 v4, v3, v1
.LBB46_2109:
	s_mov_b32 s17, 0
.LBB46_2110:
	s_delay_alu instid0(SALU_CYCLE_1)
	s_and_not1_b32 vcc_lo, exec_lo, s17
	s_cbranch_vccnz .LBB46_2112
; %bb.2111:
	global_load_u8 v1, v[6:7], off
	s_wait_loadcnt 0x0
	v_lshlrev_b32_e32 v3, 25, v1
	v_lshlrev_b16 v1, 8, v1
	s_delay_alu instid0(VALU_DEP_1) | instskip(NEXT) | instid1(VALU_DEP_3)
	v_and_or_b32 v5, 0x7f00, v1, 0.5
	v_lshrrev_b32_e32 v4, 4, v3
	v_bfe_i32 v1, v1, 0, 16
	s_delay_alu instid0(VALU_DEP_3) | instskip(NEXT) | instid1(VALU_DEP_3)
	v_add_f32_e32 v5, -0.5, v5
	v_or_b32_e32 v4, 0x70000000, v4
	s_delay_alu instid0(VALU_DEP_1) | instskip(SKIP_1) | instid1(VALU_DEP_2)
	v_mul_f32_e32 v4, 0x7800000, v4
	v_cmp_gt_u32_e32 vcc_lo, 0x8000000, v3
	v_cndmask_b32_e32 v3, v4, v5, vcc_lo
	s_delay_alu instid0(VALU_DEP_1) | instskip(NEXT) | instid1(VALU_DEP_1)
	v_and_or_b32 v1, 0x80000000, v1, v3
	v_trunc_f32_e32 v1, v1
	s_delay_alu instid0(VALU_DEP_1) | instskip(NEXT) | instid1(VALU_DEP_1)
	v_mul_f32_e64 v3, 0x2f800000, |v1|
	v_floor_f32_e32 v3, v3
	s_delay_alu instid0(VALU_DEP_1) | instskip(SKIP_1) | instid1(VALU_DEP_2)
	v_fma_f32 v3, 0xcf800000, v3, |v1|
	v_ashrrev_i32_e32 v1, 31, v1
	v_cvt_u32_f32_e32 v3, v3
	s_delay_alu instid0(VALU_DEP_1) | instskip(NEXT) | instid1(VALU_DEP_1)
	v_xor_b32_e32 v3, v3, v1
	v_sub_nc_u32_e32 v4, v3, v1
.LBB46_2112:
	s_mov_b32 s17, 0
	s_mov_b32 s18, -1
.LBB46_2113:
	s_and_not1_b32 vcc_lo, exec_lo, s17
	s_mov_b32 s17, 0
	s_cbranch_vccnz .LBB46_2124
; %bb.2114:
	s_cmp_gt_i32 s13, 14
	s_cbranch_scc0 .LBB46_2117
; %bb.2115:
	s_cmp_eq_u32 s13, 15
	s_cbranch_scc0 .LBB46_2120
; %bb.2116:
	global_load_u16 v1, v[6:7], off
	s_mov_b32 s16, 0
	s_mov_b32 s18, -1
	s_wait_loadcnt 0x0
	v_lshlrev_b32_e32 v1, 16, v1
	s_delay_alu instid0(VALU_DEP_1) | instskip(NEXT) | instid1(VALU_DEP_1)
	v_trunc_f32_e32 v1, v1
	v_mul_f32_e64 v3, 0x2f800000, |v1|
	s_delay_alu instid0(VALU_DEP_1) | instskip(NEXT) | instid1(VALU_DEP_1)
	v_floor_f32_e32 v3, v3
	v_fma_f32 v3, 0xcf800000, v3, |v1|
	v_ashrrev_i32_e32 v1, 31, v1
	s_delay_alu instid0(VALU_DEP_2) | instskip(NEXT) | instid1(VALU_DEP_1)
	v_cvt_u32_f32_e32 v3, v3
	v_xor_b32_e32 v3, v3, v1
	s_delay_alu instid0(VALU_DEP_1)
	v_sub_nc_u32_e32 v4, v3, v1
	s_branch .LBB46_2122
.LBB46_2117:
	s_mov_b32 s17, -1
	s_branch .LBB46_2121
.LBB46_2118:
	s_and_not1_saveexec_b32 s17, s17
	s_cbranch_execz .LBB46_2099
.LBB46_2119:
	v_cmp_ne_u16_e32 vcc_lo, 0, v1
	s_and_not1_b32 s18, s18, exec_lo
	s_and_b32 s19, vcc_lo, exec_lo
	s_delay_alu instid0(SALU_CYCLE_1)
	s_or_b32 s18, s18, s19
	s_or_b32 exec_lo, exec_lo, s17
	v_mov_b32_e32 v4, 0
	s_and_saveexec_b32 s17, s18
	s_cbranch_execnz .LBB46_2100
	s_branch .LBB46_2101
.LBB46_2120:
	s_mov_b32 s16, -1
.LBB46_2121:
                                        ; implicit-def: $vgpr4
.LBB46_2122:
	s_and_b32 vcc_lo, exec_lo, s17
	s_mov_b32 s17, 0
	s_cbranch_vccz .LBB46_2124
; %bb.2123:
	s_cmp_lg_u32 s13, 11
	s_mov_b32 s17, -1
	s_cselect_b32 s16, -1, 0
.LBB46_2124:
	s_delay_alu instid0(SALU_CYCLE_1)
	s_and_b32 vcc_lo, exec_lo, s16
	s_cbranch_vccnz .LBB46_2189
; %bb.2125:
	s_and_not1_b32 vcc_lo, exec_lo, s17
	s_cbranch_vccnz .LBB46_2127
.LBB46_2126:
	global_load_u8 v1, v[6:7], off
	s_mov_b32 s18, -1
	s_wait_loadcnt 0x0
	v_cmp_ne_u16_e32 vcc_lo, 0, v1
	v_cndmask_b32_e64 v4, 0, 1, vcc_lo
.LBB46_2127:
	s_mov_b32 s13, 0
.LBB46_2128:
	s_delay_alu instid0(SALU_CYCLE_1)
	s_and_b32 vcc_lo, exec_lo, s13
	s_cbranch_vccz .LBB46_2177
; %bb.2129:
	s_and_b32 s13, 0xffff, s0
	s_delay_alu instid0(SALU_CYCLE_1)
	s_cmp_lt_i32 s13, 5
	s_cbranch_scc1 .LBB46_2134
; %bb.2130:
	s_cmp_lt_i32 s13, 8
	s_cbranch_scc1 .LBB46_2135
; %bb.2131:
	;; [unrolled: 3-line block ×3, first 2 shown]
	s_cmp_gt_i32 s13, 9
	s_cbranch_scc0 .LBB46_2137
; %bb.2133:
	s_wait_loadcnt 0x0
	global_load_b64 v[4:5], v[6:7], off
	s_mov_b32 s16, 0
	s_wait_loadcnt 0x0
	v_trunc_f64_e32 v[4:5], v[4:5]
	s_delay_alu instid0(VALU_DEP_1) | instskip(NEXT) | instid1(VALU_DEP_1)
	v_ldexp_f64 v[8:9], v[4:5], 0xffffffe0
	v_floor_f64_e32 v[8:9], v[8:9]
	s_delay_alu instid0(VALU_DEP_1) | instskip(NEXT) | instid1(VALU_DEP_1)
	v_fmamk_f64 v[4:5], v[8:9], 0xc1f00000, v[4:5]
	v_cvt_u32_f64_e32 v4, v[4:5]
	s_branch .LBB46_2138
.LBB46_2134:
	s_mov_b32 s16, -1
                                        ; implicit-def: $vgpr4
	s_branch .LBB46_2156
.LBB46_2135:
	s_mov_b32 s16, -1
                                        ; implicit-def: $vgpr4
	s_branch .LBB46_2144
.LBB46_2136:
	s_mov_b32 s16, -1
                                        ; implicit-def: $vgpr4
	s_branch .LBB46_2141
.LBB46_2137:
	s_mov_b32 s16, -1
                                        ; implicit-def: $vgpr4
.LBB46_2138:
	s_delay_alu instid0(SALU_CYCLE_1)
	s_and_not1_b32 vcc_lo, exec_lo, s16
	s_cbranch_vccnz .LBB46_2140
; %bb.2139:
	global_load_b32 v1, v[6:7], off
	s_wait_loadcnt 0x0
	v_trunc_f32_e32 v1, v1
	s_delay_alu instid0(VALU_DEP_1) | instskip(NEXT) | instid1(VALU_DEP_1)
	v_mul_f32_e64 v3, 0x2f800000, |v1|
	v_floor_f32_e32 v3, v3
	s_delay_alu instid0(VALU_DEP_1) | instskip(SKIP_1) | instid1(VALU_DEP_2)
	v_fma_f32 v3, 0xcf800000, v3, |v1|
	v_ashrrev_i32_e32 v1, 31, v1
	v_cvt_u32_f32_e32 v3, v3
	s_delay_alu instid0(VALU_DEP_1) | instskip(NEXT) | instid1(VALU_DEP_1)
	v_xor_b32_e32 v3, v3, v1
	v_sub_nc_u32_e32 v4, v3, v1
.LBB46_2140:
	s_mov_b32 s16, 0
.LBB46_2141:
	s_delay_alu instid0(SALU_CYCLE_1)
	s_and_not1_b32 vcc_lo, exec_lo, s16
	s_cbranch_vccnz .LBB46_2143
; %bb.2142:
	global_load_b32 v1, v[6:7], off
	s_wait_loadcnt 0x0
	v_cvt_f32_f16_e32 v1, v1
	s_delay_alu instid0(VALU_DEP_1)
	v_cvt_i32_f32_e32 v4, v1
.LBB46_2143:
	s_mov_b32 s16, 0
.LBB46_2144:
	s_delay_alu instid0(SALU_CYCLE_1)
	s_and_not1_b32 vcc_lo, exec_lo, s16
	s_cbranch_vccnz .LBB46_2155
; %bb.2145:
	s_cmp_lt_i32 s13, 6
	s_cbranch_scc1 .LBB46_2148
; %bb.2146:
	s_cmp_gt_i32 s13, 6
	s_cbranch_scc0 .LBB46_2149
; %bb.2147:
	s_wait_loadcnt 0x0
	global_load_b64 v[4:5], v[6:7], off
	s_mov_b32 s16, 0
	s_wait_loadcnt 0x0
	v_trunc_f64_e32 v[4:5], v[4:5]
	s_delay_alu instid0(VALU_DEP_1) | instskip(NEXT) | instid1(VALU_DEP_1)
	v_ldexp_f64 v[8:9], v[4:5], 0xffffffe0
	v_floor_f64_e32 v[8:9], v[8:9]
	s_delay_alu instid0(VALU_DEP_1) | instskip(NEXT) | instid1(VALU_DEP_1)
	v_fmamk_f64 v[4:5], v[8:9], 0xc1f00000, v[4:5]
	v_cvt_u32_f64_e32 v4, v[4:5]
	s_branch .LBB46_2150
.LBB46_2148:
	s_mov_b32 s16, -1
                                        ; implicit-def: $vgpr4
	s_branch .LBB46_2153
.LBB46_2149:
	s_mov_b32 s16, -1
                                        ; implicit-def: $vgpr4
.LBB46_2150:
	s_delay_alu instid0(SALU_CYCLE_1)
	s_and_not1_b32 vcc_lo, exec_lo, s16
	s_cbranch_vccnz .LBB46_2152
; %bb.2151:
	global_load_b32 v1, v[6:7], off
	s_wait_loadcnt 0x0
	v_trunc_f32_e32 v1, v1
	s_delay_alu instid0(VALU_DEP_1) | instskip(NEXT) | instid1(VALU_DEP_1)
	v_mul_f32_e64 v3, 0x2f800000, |v1|
	v_floor_f32_e32 v3, v3
	s_delay_alu instid0(VALU_DEP_1) | instskip(SKIP_1) | instid1(VALU_DEP_2)
	v_fma_f32 v3, 0xcf800000, v3, |v1|
	v_ashrrev_i32_e32 v1, 31, v1
	v_cvt_u32_f32_e32 v3, v3
	s_delay_alu instid0(VALU_DEP_1) | instskip(NEXT) | instid1(VALU_DEP_1)
	v_xor_b32_e32 v3, v3, v1
	v_sub_nc_u32_e32 v4, v3, v1
.LBB46_2152:
	s_mov_b32 s16, 0
.LBB46_2153:
	s_delay_alu instid0(SALU_CYCLE_1)
	s_and_not1_b32 vcc_lo, exec_lo, s16
	s_cbranch_vccnz .LBB46_2155
; %bb.2154:
	global_load_u16 v1, v[6:7], off
	s_wait_loadcnt 0x0
	v_cvt_f32_f16_e32 v1, v1
	s_delay_alu instid0(VALU_DEP_1)
	v_cvt_i32_f32_e32 v4, v1
.LBB46_2155:
	s_mov_b32 s16, 0
.LBB46_2156:
	s_delay_alu instid0(SALU_CYCLE_1)
	s_and_not1_b32 vcc_lo, exec_lo, s16
	s_cbranch_vccnz .LBB46_2176
; %bb.2157:
	s_cmp_lt_i32 s13, 2
	s_cbranch_scc1 .LBB46_2161
; %bb.2158:
	s_cmp_lt_i32 s13, 3
	s_cbranch_scc1 .LBB46_2162
; %bb.2159:
	s_cmp_gt_i32 s13, 3
	s_cbranch_scc0 .LBB46_2163
; %bb.2160:
	s_wait_loadcnt 0x0
	global_load_b64 v[4:5], v[6:7], off
	s_mov_b32 s16, 0
	s_branch .LBB46_2164
.LBB46_2161:
	s_mov_b32 s16, -1
                                        ; implicit-def: $vgpr4
	s_branch .LBB46_2170
.LBB46_2162:
	s_mov_b32 s16, -1
                                        ; implicit-def: $vgpr4
	s_branch .LBB46_2167
.LBB46_2163:
	s_mov_b32 s16, -1
                                        ; implicit-def: $vgpr4
.LBB46_2164:
	s_delay_alu instid0(SALU_CYCLE_1)
	s_and_not1_b32 vcc_lo, exec_lo, s16
	s_cbranch_vccnz .LBB46_2166
; %bb.2165:
	s_wait_loadcnt 0x0
	global_load_b32 v4, v[6:7], off
.LBB46_2166:
	s_mov_b32 s16, 0
.LBB46_2167:
	s_delay_alu instid0(SALU_CYCLE_1)
	s_and_not1_b32 vcc_lo, exec_lo, s16
	s_cbranch_vccnz .LBB46_2169
; %bb.2168:
	s_wait_loadcnt 0x0
	global_load_u16 v4, v[6:7], off
.LBB46_2169:
	s_mov_b32 s16, 0
.LBB46_2170:
	s_delay_alu instid0(SALU_CYCLE_1)
	s_and_not1_b32 vcc_lo, exec_lo, s16
	s_cbranch_vccnz .LBB46_2176
; %bb.2171:
	s_cmp_gt_i32 s13, 0
	s_mov_b32 s13, 0
	s_cbranch_scc0 .LBB46_2173
; %bb.2172:
	s_wait_loadcnt 0x0
	global_load_u8 v4, v[6:7], off
	s_branch .LBB46_2174
.LBB46_2173:
	s_mov_b32 s13, -1
                                        ; implicit-def: $vgpr4
.LBB46_2174:
	s_delay_alu instid0(SALU_CYCLE_1)
	s_and_not1_b32 vcc_lo, exec_lo, s13
	s_cbranch_vccnz .LBB46_2176
; %bb.2175:
	s_wait_loadcnt 0x0
	global_load_u8 v4, v[6:7], off
.LBB46_2176:
	s_mov_b32 s18, -1
.LBB46_2177:
	s_delay_alu instid0(SALU_CYCLE_1)
	s_and_not1_b32 vcc_lo, exec_lo, s18
	s_cbranch_vccnz .LBB46_2651
; %bb.2178:
	v_add_nc_u32_e32 v2, s10, v2
	s_cmp_lt_i32 s1, 11
	s_delay_alu instid0(VALU_DEP_1) | instskip(SKIP_1) | instid1(VALU_DEP_1)
	v_ashrrev_i32_e32 v3, 31, v2
	s_wait_xcnt 0x0
	v_add_nc_u64_e32 v[6:7], s[2:3], v[2:3]
	s_cbranch_scc1 .LBB46_2185
; %bb.2179:
	s_and_b32 s13, 0xffff, s1
	s_mov_b32 s17, 0
	s_cmp_gt_i32 s13, 25
	s_cbranch_scc0 .LBB46_2186
; %bb.2180:
	s_cmp_gt_i32 s13, 28
	s_cbranch_scc0 .LBB46_2187
; %bb.2181:
	;; [unrolled: 3-line block ×4, first 2 shown]
	s_cmp_eq_u32 s13, 46
	s_mov_b32 s19, 0
	s_cbranch_scc0 .LBB46_2193
; %bb.2184:
	global_load_b32 v1, v[6:7], off
	s_mov_b32 s16, 0
	s_mov_b32 s18, -1
	s_wait_loadcnt 0x0
	v_lshlrev_b32_e32 v1, 16, v1
	s_delay_alu instid0(VALU_DEP_1) | instskip(NEXT) | instid1(VALU_DEP_1)
	v_trunc_f32_e32 v1, v1
	v_mul_f32_e64 v3, 0x2f800000, |v1|
	s_delay_alu instid0(VALU_DEP_1) | instskip(NEXT) | instid1(VALU_DEP_1)
	v_floor_f32_e32 v3, v3
	v_fma_f32 v3, 0xcf800000, v3, |v1|
	v_ashrrev_i32_e32 v1, 31, v1
	s_delay_alu instid0(VALU_DEP_2) | instskip(NEXT) | instid1(VALU_DEP_1)
	v_cvt_u32_f32_e32 v3, v3
	v_xor_b32_e32 v3, v3, v1
	s_delay_alu instid0(VALU_DEP_1)
	v_sub_nc_u32_e32 v8, v3, v1
	s_branch .LBB46_2195
.LBB46_2185:
	s_mov_b32 s13, -1
	s_mov_b32 s18, 0
                                        ; implicit-def: $vgpr8
	s_branch .LBB46_2257
.LBB46_2186:
	s_mov_b32 s19, -1
	s_mov_b32 s18, 0
	s_mov_b32 s16, 0
                                        ; implicit-def: $vgpr8
	s_branch .LBB46_2222
.LBB46_2187:
	s_mov_b32 s19, -1
	s_mov_b32 s18, 0
	s_mov_b32 s16, 0
                                        ; implicit-def: $vgpr8
	s_branch .LBB46_2205
.LBB46_2188:
	s_mov_b32 s19, -1
	s_mov_b32 s18, 0
	s_mov_b32 s16, 0
                                        ; implicit-def: $vgpr8
	s_branch .LBB46_2200
.LBB46_2189:
	s_or_b32 s12, s12, exec_lo
	s_trap 2
	s_cbranch_execz .LBB46_2126
	s_branch .LBB46_2127
.LBB46_2190:
	s_mov_b32 s19, -1
	s_mov_b32 s18, 0
	s_mov_b32 s16, 0
	s_branch .LBB46_2194
.LBB46_2191:
	s_and_not1_saveexec_b32 s31, s31
	s_cbranch_execz .LBB46_1081
.LBB46_2192:
	v_add_f32_e32 v3, 0x42800000, v4
	s_and_not1_b32 s30, s30, exec_lo
	s_delay_alu instid0(VALU_DEP_1) | instskip(NEXT) | instid1(VALU_DEP_1)
	v_and_b32_e32 v3, 0xff, v3
	v_cmp_ne_u32_e32 vcc_lo, 0, v3
	s_and_b32 s33, vcc_lo, exec_lo
	s_delay_alu instid0(SALU_CYCLE_1)
	s_or_b32 s30, s30, s33
	s_or_b32 exec_lo, exec_lo, s31
	v_mov_b32_e32 v5, 0
	s_and_saveexec_b32 s31, s30
	s_cbranch_execnz .LBB46_1082
	s_branch .LBB46_1083
.LBB46_2193:
	s_mov_b32 s16, -1
	s_mov_b32 s18, 0
.LBB46_2194:
                                        ; implicit-def: $vgpr8
.LBB46_2195:
	s_and_b32 vcc_lo, exec_lo, s19
	s_cbranch_vccz .LBB46_2199
; %bb.2196:
	s_cmp_eq_u32 s13, 44
	s_cbranch_scc0 .LBB46_2198
; %bb.2197:
	global_load_u8 v1, v[6:7], off
	s_mov_b32 s16, 0
	s_mov_b32 s18, -1
	s_wait_loadcnt 0x0
	v_lshlrev_b32_e32 v3, 23, v1
	v_cmp_ne_u32_e32 vcc_lo, 0, v1
	s_delay_alu instid0(VALU_DEP_2) | instskip(NEXT) | instid1(VALU_DEP_1)
	v_trunc_f32_e32 v3, v3
	v_mul_f32_e64 v5, 0x2f800000, |v3|
	s_delay_alu instid0(VALU_DEP_1) | instskip(NEXT) | instid1(VALU_DEP_1)
	v_floor_f32_e32 v5, v5
	v_fma_f32 v5, 0xcf800000, v5, |v3|
	v_ashrrev_i32_e32 v3, 31, v3
	s_delay_alu instid0(VALU_DEP_2) | instskip(NEXT) | instid1(VALU_DEP_1)
	v_cvt_u32_f32_e32 v5, v5
	v_xor_b32_e32 v5, v5, v3
	s_delay_alu instid0(VALU_DEP_1) | instskip(NEXT) | instid1(VALU_DEP_1)
	v_sub_nc_u32_e32 v3, v5, v3
	v_cndmask_b32_e32 v8, 0, v3, vcc_lo
	s_branch .LBB46_2199
.LBB46_2198:
	s_mov_b32 s16, -1
                                        ; implicit-def: $vgpr8
.LBB46_2199:
	s_mov_b32 s19, 0
.LBB46_2200:
	s_delay_alu instid0(SALU_CYCLE_1)
	s_and_b32 vcc_lo, exec_lo, s19
	s_cbranch_vccz .LBB46_2204
; %bb.2201:
	s_cmp_eq_u32 s13, 29
	s_cbranch_scc0 .LBB46_2203
; %bb.2202:
	global_load_b64 v[8:9], v[6:7], off
	s_mov_b32 s16, 0
	s_mov_b32 s18, -1
	s_branch .LBB46_2204
.LBB46_2203:
	s_mov_b32 s16, -1
                                        ; implicit-def: $vgpr8
.LBB46_2204:
	s_mov_b32 s19, 0
.LBB46_2205:
	s_delay_alu instid0(SALU_CYCLE_1)
	s_and_b32 vcc_lo, exec_lo, s19
	s_cbranch_vccz .LBB46_2221
; %bb.2206:
	s_cmp_lt_i32 s13, 27
	s_cbranch_scc1 .LBB46_2209
; %bb.2207:
	s_cmp_gt_i32 s13, 27
	s_cbranch_scc0 .LBB46_2210
; %bb.2208:
	s_wait_loadcnt 0x0
	global_load_b32 v8, v[6:7], off
	s_mov_b32 s18, 0
	s_branch .LBB46_2211
.LBB46_2209:
	s_mov_b32 s18, -1
                                        ; implicit-def: $vgpr8
	s_branch .LBB46_2214
.LBB46_2210:
	s_mov_b32 s18, -1
                                        ; implicit-def: $vgpr8
.LBB46_2211:
	s_delay_alu instid0(SALU_CYCLE_1)
	s_and_not1_b32 vcc_lo, exec_lo, s18
	s_cbranch_vccnz .LBB46_2213
; %bb.2212:
	s_wait_loadcnt 0x0
	global_load_u16 v8, v[6:7], off
.LBB46_2213:
	s_mov_b32 s18, 0
.LBB46_2214:
	s_delay_alu instid0(SALU_CYCLE_1)
	s_and_not1_b32 vcc_lo, exec_lo, s18
	s_cbranch_vccnz .LBB46_2220
; %bb.2215:
	global_load_u8 v1, v[6:7], off
	s_mov_b32 s19, 0
	s_mov_b32 s18, exec_lo
	s_wait_loadcnt 0x0
	v_cmpx_lt_i16_e32 0x7f, v1
	s_xor_b32 s18, exec_lo, s18
	s_cbranch_execz .LBB46_2232
; %bb.2216:
	v_cmp_ne_u16_e32 vcc_lo, 0x80, v1
	s_and_b32 s19, vcc_lo, exec_lo
	s_and_not1_saveexec_b32 s18, s18
	s_cbranch_execnz .LBB46_2233
.LBB46_2217:
	s_or_b32 exec_lo, exec_lo, s18
	v_mov_b32_e32 v8, 0
	s_and_saveexec_b32 s18, s19
	s_cbranch_execz .LBB46_2219
.LBB46_2218:
	v_and_b32_e32 v3, 0xffff, v1
	s_delay_alu instid0(VALU_DEP_1) | instskip(SKIP_1) | instid1(VALU_DEP_2)
	v_and_b32_e32 v5, 7, v3
	v_bfe_u32 v13, v3, 3, 4
	v_clz_i32_u32_e32 v8, v5
	s_delay_alu instid0(VALU_DEP_2) | instskip(NEXT) | instid1(VALU_DEP_2)
	v_cmp_eq_u32_e32 vcc_lo, 0, v13
	v_min_u32_e32 v8, 32, v8
	s_delay_alu instid0(VALU_DEP_1) | instskip(NEXT) | instid1(VALU_DEP_1)
	v_subrev_nc_u32_e32 v9, 28, v8
	v_dual_lshlrev_b32 v3, v9, v3 :: v_dual_sub_nc_u32 v8, 29, v8
	s_delay_alu instid0(VALU_DEP_1) | instskip(NEXT) | instid1(VALU_DEP_2)
	v_dual_lshlrev_b32 v1, 24, v1 :: v_dual_bitop2_b32 v3, 7, v3 bitop3:0x40
	v_cndmask_b32_e32 v8, v13, v8, vcc_lo
	s_delay_alu instid0(VALU_DEP_2) | instskip(NEXT) | instid1(VALU_DEP_3)
	v_cndmask_b32_e32 v3, v5, v3, vcc_lo
	v_and_b32_e32 v1, 0x80000000, v1
	s_delay_alu instid0(VALU_DEP_3) | instskip(NEXT) | instid1(VALU_DEP_3)
	v_lshl_add_u32 v5, v8, 23, 0x3b800000
	v_lshlrev_b32_e32 v3, 20, v3
	s_delay_alu instid0(VALU_DEP_1) | instskip(NEXT) | instid1(VALU_DEP_1)
	v_or3_b32 v1, v1, v5, v3
	v_trunc_f32_e32 v1, v1
	s_delay_alu instid0(VALU_DEP_1) | instskip(NEXT) | instid1(VALU_DEP_1)
	v_mul_f32_e64 v3, 0x2f800000, |v1|
	v_floor_f32_e32 v3, v3
	s_delay_alu instid0(VALU_DEP_1) | instskip(SKIP_1) | instid1(VALU_DEP_2)
	v_fma_f32 v3, 0xcf800000, v3, |v1|
	v_ashrrev_i32_e32 v1, 31, v1
	v_cvt_u32_f32_e32 v3, v3
	s_delay_alu instid0(VALU_DEP_1) | instskip(NEXT) | instid1(VALU_DEP_1)
	v_xor_b32_e32 v3, v3, v1
	v_sub_nc_u32_e32 v8, v3, v1
.LBB46_2219:
	s_or_b32 exec_lo, exec_lo, s18
.LBB46_2220:
	s_mov_b32 s18, -1
.LBB46_2221:
	s_mov_b32 s19, 0
.LBB46_2222:
	s_delay_alu instid0(SALU_CYCLE_1)
	s_and_b32 vcc_lo, exec_lo, s19
	s_cbranch_vccz .LBB46_2253
; %bb.2223:
	s_cmp_gt_i32 s13, 22
	s_cbranch_scc0 .LBB46_2231
; %bb.2224:
	s_cmp_lt_i32 s13, 24
	s_cbranch_scc1 .LBB46_2234
; %bb.2225:
	s_cmp_gt_i32 s13, 24
	s_cbranch_scc0 .LBB46_2235
; %bb.2226:
	global_load_u8 v1, v[6:7], off
	s_mov_b32 s18, 0
	s_mov_b32 s17, exec_lo
	s_wait_loadcnt 0x0
	v_cmpx_lt_i16_e32 0x7f, v1
	s_xor_b32 s17, exec_lo, s17
	s_cbranch_execz .LBB46_2247
; %bb.2227:
	v_cmp_ne_u16_e32 vcc_lo, 0x80, v1
	s_and_b32 s18, vcc_lo, exec_lo
	s_and_not1_saveexec_b32 s17, s17
	s_cbranch_execnz .LBB46_2248
.LBB46_2228:
	s_or_b32 exec_lo, exec_lo, s17
	v_mov_b32_e32 v8, 0
	s_and_saveexec_b32 s17, s18
	s_cbranch_execz .LBB46_2230
.LBB46_2229:
	v_and_b32_e32 v3, 0xffff, v1
	s_delay_alu instid0(VALU_DEP_1) | instskip(SKIP_1) | instid1(VALU_DEP_2)
	v_and_b32_e32 v5, 3, v3
	v_bfe_u32 v13, v3, 2, 5
	v_clz_i32_u32_e32 v8, v5
	s_delay_alu instid0(VALU_DEP_2) | instskip(NEXT) | instid1(VALU_DEP_2)
	v_cmp_eq_u32_e32 vcc_lo, 0, v13
	v_min_u32_e32 v8, 32, v8
	s_delay_alu instid0(VALU_DEP_1) | instskip(NEXT) | instid1(VALU_DEP_1)
	v_subrev_nc_u32_e32 v9, 29, v8
	v_dual_lshlrev_b32 v3, v9, v3 :: v_dual_sub_nc_u32 v8, 30, v8
	s_delay_alu instid0(VALU_DEP_1) | instskip(NEXT) | instid1(VALU_DEP_2)
	v_dual_lshlrev_b32 v1, 24, v1 :: v_dual_bitop2_b32 v3, 3, v3 bitop3:0x40
	v_cndmask_b32_e32 v8, v13, v8, vcc_lo
	s_delay_alu instid0(VALU_DEP_2) | instskip(NEXT) | instid1(VALU_DEP_3)
	v_cndmask_b32_e32 v3, v5, v3, vcc_lo
	v_and_b32_e32 v1, 0x80000000, v1
	s_delay_alu instid0(VALU_DEP_3) | instskip(NEXT) | instid1(VALU_DEP_3)
	v_lshl_add_u32 v5, v8, 23, 0x37800000
	v_lshlrev_b32_e32 v3, 21, v3
	s_delay_alu instid0(VALU_DEP_1) | instskip(NEXT) | instid1(VALU_DEP_1)
	v_or3_b32 v1, v1, v5, v3
	v_trunc_f32_e32 v1, v1
	s_delay_alu instid0(VALU_DEP_1) | instskip(NEXT) | instid1(VALU_DEP_1)
	v_mul_f32_e64 v3, 0x2f800000, |v1|
	v_floor_f32_e32 v3, v3
	s_delay_alu instid0(VALU_DEP_1) | instskip(SKIP_1) | instid1(VALU_DEP_2)
	v_fma_f32 v3, 0xcf800000, v3, |v1|
	v_ashrrev_i32_e32 v1, 31, v1
	v_cvt_u32_f32_e32 v3, v3
	s_delay_alu instid0(VALU_DEP_1) | instskip(NEXT) | instid1(VALU_DEP_1)
	v_xor_b32_e32 v3, v3, v1
	v_sub_nc_u32_e32 v8, v3, v1
.LBB46_2230:
	s_or_b32 exec_lo, exec_lo, s17
	s_mov_b32 s17, 0
	s_branch .LBB46_2236
.LBB46_2231:
	s_mov_b32 s17, -1
                                        ; implicit-def: $vgpr8
	s_branch .LBB46_2242
.LBB46_2232:
	s_and_not1_saveexec_b32 s18, s18
	s_cbranch_execz .LBB46_2217
.LBB46_2233:
	v_cmp_ne_u16_e32 vcc_lo, 0, v1
	s_and_not1_b32 s19, s19, exec_lo
	s_and_b32 s20, vcc_lo, exec_lo
	s_delay_alu instid0(SALU_CYCLE_1)
	s_or_b32 s19, s19, s20
	s_or_b32 exec_lo, exec_lo, s18
	v_mov_b32_e32 v8, 0
	s_and_saveexec_b32 s18, s19
	s_cbranch_execnz .LBB46_2218
	s_branch .LBB46_2219
.LBB46_2234:
	s_mov_b32 s17, -1
                                        ; implicit-def: $vgpr8
	s_branch .LBB46_2239
.LBB46_2235:
	s_mov_b32 s17, -1
                                        ; implicit-def: $vgpr8
.LBB46_2236:
	s_delay_alu instid0(SALU_CYCLE_1)
	s_and_b32 vcc_lo, exec_lo, s17
	s_cbranch_vccz .LBB46_2238
; %bb.2237:
	global_load_u8 v1, v[6:7], off
	s_wait_loadcnt 0x0
	v_lshlrev_b32_e32 v1, 24, v1
	s_delay_alu instid0(VALU_DEP_1) | instskip(NEXT) | instid1(VALU_DEP_1)
	v_and_b32_e32 v3, 0x7f000000, v1
	v_clz_i32_u32_e32 v5, v3
	v_add_nc_u32_e32 v9, 0x1000000, v3
	v_cmp_ne_u32_e32 vcc_lo, 0, v3
	s_delay_alu instid0(VALU_DEP_3) | instskip(NEXT) | instid1(VALU_DEP_1)
	v_min_u32_e32 v5, 32, v5
	v_sub_nc_u32_e64 v5, v5, 4 clamp
	s_delay_alu instid0(VALU_DEP_1) | instskip(NEXT) | instid1(VALU_DEP_1)
	v_dual_lshlrev_b32 v8, v5, v3 :: v_dual_lshlrev_b32 v5, 23, v5
	v_lshrrev_b32_e32 v8, 4, v8
	s_delay_alu instid0(VALU_DEP_1) | instskip(SKIP_1) | instid1(VALU_DEP_2)
	v_sub_nc_u32_e32 v5, v8, v5
	v_ashrrev_i32_e32 v8, 8, v9
	v_add_nc_u32_e32 v5, 0x3c000000, v5
	s_delay_alu instid0(VALU_DEP_1) | instskip(NEXT) | instid1(VALU_DEP_1)
	v_and_or_b32 v5, 0x7f800000, v8, v5
	v_cndmask_b32_e32 v3, 0, v5, vcc_lo
	s_delay_alu instid0(VALU_DEP_1) | instskip(NEXT) | instid1(VALU_DEP_1)
	v_and_or_b32 v1, 0x80000000, v1, v3
	v_trunc_f32_e32 v1, v1
	s_delay_alu instid0(VALU_DEP_1) | instskip(NEXT) | instid1(VALU_DEP_1)
	v_mul_f32_e64 v3, 0x2f800000, |v1|
	v_floor_f32_e32 v3, v3
	s_delay_alu instid0(VALU_DEP_1) | instskip(SKIP_1) | instid1(VALU_DEP_2)
	v_fma_f32 v3, 0xcf800000, v3, |v1|
	v_ashrrev_i32_e32 v1, 31, v1
	v_cvt_u32_f32_e32 v3, v3
	s_delay_alu instid0(VALU_DEP_1) | instskip(NEXT) | instid1(VALU_DEP_1)
	v_xor_b32_e32 v3, v3, v1
	v_sub_nc_u32_e32 v8, v3, v1
.LBB46_2238:
	s_mov_b32 s17, 0
.LBB46_2239:
	s_delay_alu instid0(SALU_CYCLE_1)
	s_and_not1_b32 vcc_lo, exec_lo, s17
	s_cbranch_vccnz .LBB46_2241
; %bb.2240:
	global_load_u8 v1, v[6:7], off
	s_wait_loadcnt 0x0
	v_lshlrev_b32_e32 v3, 25, v1
	v_lshlrev_b16 v1, 8, v1
	s_delay_alu instid0(VALU_DEP_1) | instskip(SKIP_1) | instid1(VALU_DEP_2)
	v_and_or_b32 v8, 0x7f00, v1, 0.5
	v_bfe_i32 v1, v1, 0, 16
	v_dual_add_f32 v8, -0.5, v8 :: v_dual_lshrrev_b32 v5, 4, v3
	v_cmp_gt_u32_e32 vcc_lo, 0x8000000, v3
	s_delay_alu instid0(VALU_DEP_2) | instskip(NEXT) | instid1(VALU_DEP_1)
	v_or_b32_e32 v5, 0x70000000, v5
	v_mul_f32_e32 v5, 0x7800000, v5
	s_delay_alu instid0(VALU_DEP_1) | instskip(NEXT) | instid1(VALU_DEP_1)
	v_cndmask_b32_e32 v3, v5, v8, vcc_lo
	v_and_or_b32 v1, 0x80000000, v1, v3
	s_delay_alu instid0(VALU_DEP_1) | instskip(NEXT) | instid1(VALU_DEP_1)
	v_trunc_f32_e32 v1, v1
	v_mul_f32_e64 v3, 0x2f800000, |v1|
	s_delay_alu instid0(VALU_DEP_1) | instskip(NEXT) | instid1(VALU_DEP_1)
	v_floor_f32_e32 v3, v3
	v_fma_f32 v3, 0xcf800000, v3, |v1|
	v_ashrrev_i32_e32 v1, 31, v1
	s_delay_alu instid0(VALU_DEP_2) | instskip(NEXT) | instid1(VALU_DEP_1)
	v_cvt_u32_f32_e32 v3, v3
	v_xor_b32_e32 v3, v3, v1
	s_delay_alu instid0(VALU_DEP_1)
	v_sub_nc_u32_e32 v8, v3, v1
.LBB46_2241:
	s_mov_b32 s17, 0
	s_mov_b32 s18, -1
.LBB46_2242:
	s_and_not1_b32 vcc_lo, exec_lo, s17
	s_mov_b32 s17, 0
	s_cbranch_vccnz .LBB46_2253
; %bb.2243:
	s_cmp_gt_i32 s13, 14
	s_cbranch_scc0 .LBB46_2246
; %bb.2244:
	s_cmp_eq_u32 s13, 15
	s_cbranch_scc0 .LBB46_2249
; %bb.2245:
	global_load_u16 v1, v[6:7], off
	s_mov_b32 s16, 0
	s_mov_b32 s18, -1
	s_wait_loadcnt 0x0
	v_lshlrev_b32_e32 v1, 16, v1
	s_delay_alu instid0(VALU_DEP_1) | instskip(NEXT) | instid1(VALU_DEP_1)
	v_trunc_f32_e32 v1, v1
	v_mul_f32_e64 v3, 0x2f800000, |v1|
	s_delay_alu instid0(VALU_DEP_1) | instskip(NEXT) | instid1(VALU_DEP_1)
	v_floor_f32_e32 v3, v3
	v_fma_f32 v3, 0xcf800000, v3, |v1|
	v_ashrrev_i32_e32 v1, 31, v1
	s_delay_alu instid0(VALU_DEP_2) | instskip(NEXT) | instid1(VALU_DEP_1)
	v_cvt_u32_f32_e32 v3, v3
	v_xor_b32_e32 v3, v3, v1
	s_delay_alu instid0(VALU_DEP_1)
	v_sub_nc_u32_e32 v8, v3, v1
	s_branch .LBB46_2251
.LBB46_2246:
	s_mov_b32 s17, -1
	s_branch .LBB46_2250
.LBB46_2247:
	s_and_not1_saveexec_b32 s17, s17
	s_cbranch_execz .LBB46_2228
.LBB46_2248:
	v_cmp_ne_u16_e32 vcc_lo, 0, v1
	s_and_not1_b32 s18, s18, exec_lo
	s_and_b32 s19, vcc_lo, exec_lo
	s_delay_alu instid0(SALU_CYCLE_1)
	s_or_b32 s18, s18, s19
	s_or_b32 exec_lo, exec_lo, s17
	v_mov_b32_e32 v8, 0
	s_and_saveexec_b32 s17, s18
	s_cbranch_execnz .LBB46_2229
	s_branch .LBB46_2230
.LBB46_2249:
	s_mov_b32 s16, -1
.LBB46_2250:
                                        ; implicit-def: $vgpr8
.LBB46_2251:
	s_and_b32 vcc_lo, exec_lo, s17
	s_mov_b32 s17, 0
	s_cbranch_vccz .LBB46_2253
; %bb.2252:
	s_cmp_lg_u32 s13, 11
	s_mov_b32 s17, -1
	s_cselect_b32 s16, -1, 0
.LBB46_2253:
	s_delay_alu instid0(SALU_CYCLE_1)
	s_and_b32 vcc_lo, exec_lo, s16
	s_cbranch_vccnz .LBB46_2324
; %bb.2254:
	s_and_not1_b32 vcc_lo, exec_lo, s17
	s_cbranch_vccnz .LBB46_2256
.LBB46_2255:
	global_load_u8 v1, v[6:7], off
	s_mov_b32 s18, -1
	s_wait_loadcnt 0x0
	v_cmp_ne_u16_e32 vcc_lo, 0, v1
	v_cndmask_b32_e64 v8, 0, 1, vcc_lo
.LBB46_2256:
	s_mov_b32 s13, 0
.LBB46_2257:
	s_delay_alu instid0(SALU_CYCLE_1)
	s_and_b32 vcc_lo, exec_lo, s13
	s_cbranch_vccz .LBB46_2306
; %bb.2258:
	s_and_b32 s13, 0xffff, s1
	s_delay_alu instid0(SALU_CYCLE_1)
	s_cmp_lt_i32 s13, 5
	s_cbranch_scc1 .LBB46_2263
; %bb.2259:
	s_cmp_lt_i32 s13, 8
	s_cbranch_scc1 .LBB46_2264
; %bb.2260:
	;; [unrolled: 3-line block ×3, first 2 shown]
	s_cmp_gt_i32 s13, 9
	s_cbranch_scc0 .LBB46_2266
; %bb.2262:
	s_wait_loadcnt 0x0
	global_load_b64 v[8:9], v[6:7], off
	s_mov_b32 s16, 0
	s_wait_loadcnt 0x0
	v_trunc_f64_e32 v[8:9], v[8:9]
	s_delay_alu instid0(VALU_DEP_1) | instskip(NEXT) | instid1(VALU_DEP_1)
	v_ldexp_f64 v[14:15], v[8:9], 0xffffffe0
	v_floor_f64_e32 v[14:15], v[14:15]
	s_delay_alu instid0(VALU_DEP_1) | instskip(NEXT) | instid1(VALU_DEP_1)
	v_fmamk_f64 v[8:9], v[14:15], 0xc1f00000, v[8:9]
	v_cvt_u32_f64_e32 v8, v[8:9]
	s_branch .LBB46_2267
.LBB46_2263:
	s_mov_b32 s16, -1
                                        ; implicit-def: $vgpr8
	s_branch .LBB46_2285
.LBB46_2264:
	s_mov_b32 s16, -1
                                        ; implicit-def: $vgpr8
	s_branch .LBB46_2273
.LBB46_2265:
	s_mov_b32 s16, -1
                                        ; implicit-def: $vgpr8
	s_branch .LBB46_2270
.LBB46_2266:
	s_mov_b32 s16, -1
                                        ; implicit-def: $vgpr8
.LBB46_2267:
	s_delay_alu instid0(SALU_CYCLE_1)
	s_and_not1_b32 vcc_lo, exec_lo, s16
	s_cbranch_vccnz .LBB46_2269
; %bb.2268:
	global_load_b32 v1, v[6:7], off
	s_wait_loadcnt 0x0
	v_trunc_f32_e32 v1, v1
	s_delay_alu instid0(VALU_DEP_1) | instskip(NEXT) | instid1(VALU_DEP_1)
	v_mul_f32_e64 v3, 0x2f800000, |v1|
	v_floor_f32_e32 v3, v3
	s_delay_alu instid0(VALU_DEP_1) | instskip(SKIP_1) | instid1(VALU_DEP_2)
	v_fma_f32 v3, 0xcf800000, v3, |v1|
	v_ashrrev_i32_e32 v1, 31, v1
	v_cvt_u32_f32_e32 v3, v3
	s_delay_alu instid0(VALU_DEP_1) | instskip(NEXT) | instid1(VALU_DEP_1)
	v_xor_b32_e32 v3, v3, v1
	v_sub_nc_u32_e32 v8, v3, v1
.LBB46_2269:
	s_mov_b32 s16, 0
.LBB46_2270:
	s_delay_alu instid0(SALU_CYCLE_1)
	s_and_not1_b32 vcc_lo, exec_lo, s16
	s_cbranch_vccnz .LBB46_2272
; %bb.2271:
	global_load_b32 v1, v[6:7], off
	s_wait_loadcnt 0x0
	v_cvt_f32_f16_e32 v1, v1
	s_delay_alu instid0(VALU_DEP_1)
	v_cvt_i32_f32_e32 v8, v1
.LBB46_2272:
	s_mov_b32 s16, 0
.LBB46_2273:
	s_delay_alu instid0(SALU_CYCLE_1)
	s_and_not1_b32 vcc_lo, exec_lo, s16
	s_cbranch_vccnz .LBB46_2284
; %bb.2274:
	s_cmp_lt_i32 s13, 6
	s_cbranch_scc1 .LBB46_2277
; %bb.2275:
	s_cmp_gt_i32 s13, 6
	s_cbranch_scc0 .LBB46_2278
; %bb.2276:
	s_wait_loadcnt 0x0
	global_load_b64 v[8:9], v[6:7], off
	s_mov_b32 s16, 0
	s_wait_loadcnt 0x0
	v_trunc_f64_e32 v[8:9], v[8:9]
	s_delay_alu instid0(VALU_DEP_1) | instskip(NEXT) | instid1(VALU_DEP_1)
	v_ldexp_f64 v[14:15], v[8:9], 0xffffffe0
	v_floor_f64_e32 v[14:15], v[14:15]
	s_delay_alu instid0(VALU_DEP_1) | instskip(NEXT) | instid1(VALU_DEP_1)
	v_fmamk_f64 v[8:9], v[14:15], 0xc1f00000, v[8:9]
	v_cvt_u32_f64_e32 v8, v[8:9]
	s_branch .LBB46_2279
.LBB46_2277:
	s_mov_b32 s16, -1
                                        ; implicit-def: $vgpr8
	s_branch .LBB46_2282
.LBB46_2278:
	s_mov_b32 s16, -1
                                        ; implicit-def: $vgpr8
.LBB46_2279:
	s_delay_alu instid0(SALU_CYCLE_1)
	s_and_not1_b32 vcc_lo, exec_lo, s16
	s_cbranch_vccnz .LBB46_2281
; %bb.2280:
	global_load_b32 v1, v[6:7], off
	s_wait_loadcnt 0x0
	v_trunc_f32_e32 v1, v1
	s_delay_alu instid0(VALU_DEP_1) | instskip(NEXT) | instid1(VALU_DEP_1)
	v_mul_f32_e64 v3, 0x2f800000, |v1|
	v_floor_f32_e32 v3, v3
	s_delay_alu instid0(VALU_DEP_1) | instskip(SKIP_1) | instid1(VALU_DEP_2)
	v_fma_f32 v3, 0xcf800000, v3, |v1|
	v_ashrrev_i32_e32 v1, 31, v1
	v_cvt_u32_f32_e32 v3, v3
	s_delay_alu instid0(VALU_DEP_1) | instskip(NEXT) | instid1(VALU_DEP_1)
	v_xor_b32_e32 v3, v3, v1
	v_sub_nc_u32_e32 v8, v3, v1
.LBB46_2281:
	s_mov_b32 s16, 0
.LBB46_2282:
	s_delay_alu instid0(SALU_CYCLE_1)
	s_and_not1_b32 vcc_lo, exec_lo, s16
	s_cbranch_vccnz .LBB46_2284
; %bb.2283:
	global_load_u16 v1, v[6:7], off
	s_wait_loadcnt 0x0
	v_cvt_f32_f16_e32 v1, v1
	s_delay_alu instid0(VALU_DEP_1)
	v_cvt_i32_f32_e32 v8, v1
.LBB46_2284:
	s_mov_b32 s16, 0
.LBB46_2285:
	s_delay_alu instid0(SALU_CYCLE_1)
	s_and_not1_b32 vcc_lo, exec_lo, s16
	s_cbranch_vccnz .LBB46_2305
; %bb.2286:
	s_cmp_lt_i32 s13, 2
	s_cbranch_scc1 .LBB46_2290
; %bb.2287:
	s_cmp_lt_i32 s13, 3
	s_cbranch_scc1 .LBB46_2291
; %bb.2288:
	s_cmp_gt_i32 s13, 3
	s_cbranch_scc0 .LBB46_2292
; %bb.2289:
	s_wait_loadcnt 0x0
	global_load_b64 v[8:9], v[6:7], off
	s_mov_b32 s16, 0
	s_branch .LBB46_2293
.LBB46_2290:
	s_mov_b32 s16, -1
                                        ; implicit-def: $vgpr8
	s_branch .LBB46_2299
.LBB46_2291:
	s_mov_b32 s16, -1
                                        ; implicit-def: $vgpr8
	s_branch .LBB46_2296
.LBB46_2292:
	s_mov_b32 s16, -1
                                        ; implicit-def: $vgpr8
.LBB46_2293:
	s_delay_alu instid0(SALU_CYCLE_1)
	s_and_not1_b32 vcc_lo, exec_lo, s16
	s_cbranch_vccnz .LBB46_2295
; %bb.2294:
	s_wait_loadcnt 0x0
	global_load_b32 v8, v[6:7], off
.LBB46_2295:
	s_mov_b32 s16, 0
.LBB46_2296:
	s_delay_alu instid0(SALU_CYCLE_1)
	s_and_not1_b32 vcc_lo, exec_lo, s16
	s_cbranch_vccnz .LBB46_2298
; %bb.2297:
	s_wait_loadcnt 0x0
	global_load_u16 v8, v[6:7], off
.LBB46_2298:
	s_mov_b32 s16, 0
.LBB46_2299:
	s_delay_alu instid0(SALU_CYCLE_1)
	s_and_not1_b32 vcc_lo, exec_lo, s16
	s_cbranch_vccnz .LBB46_2305
; %bb.2300:
	s_cmp_gt_i32 s13, 0
	s_mov_b32 s13, 0
	s_cbranch_scc0 .LBB46_2302
; %bb.2301:
	s_wait_loadcnt 0x0
	global_load_u8 v8, v[6:7], off
	s_branch .LBB46_2303
.LBB46_2302:
	s_mov_b32 s13, -1
                                        ; implicit-def: $vgpr8
.LBB46_2303:
	s_delay_alu instid0(SALU_CYCLE_1)
	s_and_not1_b32 vcc_lo, exec_lo, s13
	s_cbranch_vccnz .LBB46_2305
; %bb.2304:
	s_wait_loadcnt 0x0
	global_load_u8 v8, v[6:7], off
.LBB46_2305:
	s_mov_b32 s18, -1
.LBB46_2306:
	s_delay_alu instid0(SALU_CYCLE_1)
	s_and_not1_b32 vcc_lo, exec_lo, s18
	s_cbranch_vccnz .LBB46_2651
; %bb.2307:
	s_wait_loadcnt 0x0
	s_delay_alu instid0(VALU_DEP_4) | instskip(SKIP_1) | instid1(VALU_DEP_1)
	v_and_b32_e32 v1, 0xff, v4
	s_mov_b32 s16, 0
	v_cmp_ne_u16_e32 vcc_lo, 0, v1
	s_delay_alu instid0(VALU_DEP_3)
	v_mov_b32_e32 v1, v8
	s_wait_xcnt 0x0
	s_and_saveexec_b32 s13, vcc_lo
	s_cbranch_execz .LBB46_2311
; %bb.2308:
	v_dual_mov_b32 v5, v4 :: v_dual_mov_b32 v3, v8
.LBB46_2309:                            ; =>This Inner Loop Header: Depth=1
	s_delay_alu instid0(VALU_DEP_1) | instskip(NEXT) | instid1(VALU_DEP_2)
	v_cvt_f32_ubyte0_e32 v7, v3
	v_mov_b32_e32 v1, v5
	s_delay_alu instid0(VALU_DEP_1) | instskip(NEXT) | instid1(VALU_DEP_1)
	v_cvt_f32_ubyte0_e32 v5, v1
	v_rcp_iflag_f32_e32 v6, v5
	v_nop
	s_delay_alu instid0(TRANS32_DEP_1) | instskip(NEXT) | instid1(VALU_DEP_1)
	v_mul_f32_e32 v6, v7, v6
	v_trunc_f32_e32 v6, v6
	s_delay_alu instid0(VALU_DEP_1) | instskip(SKIP_1) | instid1(VALU_DEP_2)
	v_fma_f32 v7, -v6, v5, v7
	v_cvt_u32_f32_e32 v6, v6
	v_cmp_ge_f32_e64 vcc_lo, |v7|, v5
	s_delay_alu instid0(VALU_DEP_1) | instskip(NEXT) | instid1(VALU_DEP_1)
	v_add_co_ci_u32_e64 v5, null, 0, v6, vcc_lo
	v_mul_lo_u32 v5, v5, v1
	s_delay_alu instid0(VALU_DEP_1) | instskip(NEXT) | instid1(VALU_DEP_1)
	v_sub_nc_u32_e32 v3, v3, v5
	v_and_b32_e32 v5, 0xff, v3
	v_mov_b32_e32 v3, v1
	s_delay_alu instid0(VALU_DEP_2) | instskip(SKIP_1) | instid1(SALU_CYCLE_1)
	v_cmp_eq_u16_e32 vcc_lo, 0, v5
	s_or_b32 s16, vcc_lo, s16
	s_and_not1_b32 exec_lo, exec_lo, s16
	s_cbranch_execnz .LBB46_2309
; %bb.2310:
	s_or_b32 exec_lo, exec_lo, s16
.LBB46_2311:
	s_delay_alu instid0(SALU_CYCLE_1) | instskip(SKIP_3) | instid1(VALU_DEP_2)
	s_or_b32 exec_lo, exec_lo, s13
	v_and_b32_e32 v3, 0xff, v1
	v_mov_b32_e32 v6, 0
	s_mov_b32 s13, exec_lo
	v_cmpx_ne_u16_e32 0, v3
	s_cbranch_execz .LBB46_2313
; %bb.2312:
	v_cvt_f32_ubyte0_e32 v1, v1
	v_cvt_f32_ubyte0_e32 v4, v4
	s_delay_alu instid0(VALU_DEP_2) | instskip(SKIP_1) | instid1(TRANS32_DEP_1)
	v_rcp_iflag_f32_e32 v3, v1
	v_nop
	v_mul_f32_e32 v3, v4, v3
	s_delay_alu instid0(VALU_DEP_1) | instskip(NEXT) | instid1(VALU_DEP_1)
	v_trunc_f32_e32 v3, v3
	v_fma_f32 v4, -v3, v1, v4
	v_cvt_u32_f32_e32 v3, v3
	s_delay_alu instid0(VALU_DEP_2) | instskip(NEXT) | instid1(VALU_DEP_1)
	v_cmp_ge_f32_e64 vcc_lo, |v4|, v1
	v_add_co_ci_u32_e64 v1, null, 0, v3, vcc_lo
	s_delay_alu instid0(VALU_DEP_1)
	v_mul_lo_u16 v6, v1, v8
.LBB46_2313:
	s_or_b32 exec_lo, exec_lo, s13
	v_add_nc_u32_e32 v0, s9, v0
	s_cmp_lt_i32 s0, 11
	s_delay_alu instid0(VALU_DEP_1) | instskip(NEXT) | instid1(VALU_DEP_1)
	v_ashrrev_i32_e32 v1, 31, v0
	v_add_nc_u64_e32 v[4:5], s[6:7], v[0:1]
	s_cbranch_scc1 .LBB46_2320
; %bb.2314:
	s_and_b32 s6, 0xffff, s0
	s_mov_b32 s9, 0
	s_cmp_gt_i32 s6, 25
	s_cbranch_scc0 .LBB46_2321
; %bb.2315:
	s_cmp_gt_i32 s6, 28
	s_cbranch_scc0 .LBB46_2322
; %bb.2316:
	;; [unrolled: 3-line block ×4, first 2 shown]
	s_cmp_eq_u32 s6, 46
	s_mov_b32 s16, 0
	s_cbranch_scc0 .LBB46_2326
; %bb.2319:
	global_load_b32 v0, v[4:5], off
	s_mov_b32 s7, 0
	s_mov_b32 s13, -1
	s_wait_loadcnt 0x0
	v_lshlrev_b32_e32 v0, 16, v0
	s_delay_alu instid0(VALU_DEP_1) | instskip(NEXT) | instid1(VALU_DEP_1)
	v_trunc_f32_e32 v0, v0
	v_mul_f32_e64 v1, 0x2f800000, |v0|
	s_delay_alu instid0(VALU_DEP_1) | instskip(NEXT) | instid1(VALU_DEP_1)
	v_floor_f32_e32 v1, v1
	v_fma_f32 v1, 0xcf800000, v1, |v0|
	v_ashrrev_i32_e32 v0, 31, v0
	s_delay_alu instid0(VALU_DEP_2) | instskip(NEXT) | instid1(VALU_DEP_1)
	v_cvt_u32_f32_e32 v1, v1
	v_xor_b32_e32 v1, v1, v0
	s_delay_alu instid0(VALU_DEP_1)
	v_sub_nc_u32_e32 v0, v1, v0
	s_branch .LBB46_2328
.LBB46_2320:
	s_mov_b32 s6, -1
	s_mov_b32 s13, 0
                                        ; implicit-def: $vgpr0
	s_branch .LBB46_2390
.LBB46_2321:
	s_mov_b32 s16, -1
	s_mov_b32 s13, 0
	s_mov_b32 s7, 0
                                        ; implicit-def: $vgpr0
	s_branch .LBB46_2355
.LBB46_2322:
	s_mov_b32 s16, -1
	s_mov_b32 s13, 0
	s_mov_b32 s7, 0
                                        ; implicit-def: $vgpr0
	s_branch .LBB46_2338
.LBB46_2323:
	s_mov_b32 s16, -1
	s_mov_b32 s13, 0
	s_mov_b32 s7, 0
                                        ; implicit-def: $vgpr0
	s_branch .LBB46_2333
.LBB46_2324:
	s_or_b32 s12, s12, exec_lo
	s_trap 2
	s_cbranch_execz .LBB46_2255
	s_branch .LBB46_2256
.LBB46_2325:
	s_mov_b32 s16, -1
	s_mov_b32 s13, 0
	s_mov_b32 s7, 0
	s_branch .LBB46_2327
.LBB46_2326:
	s_mov_b32 s7, -1
	s_mov_b32 s13, 0
.LBB46_2327:
                                        ; implicit-def: $vgpr0
.LBB46_2328:
	s_and_b32 vcc_lo, exec_lo, s16
	s_cbranch_vccz .LBB46_2332
; %bb.2329:
	s_cmp_eq_u32 s6, 44
	s_cbranch_scc0 .LBB46_2331
; %bb.2330:
	global_load_u8 v0, v[4:5], off
	s_mov_b32 s7, 0
	s_mov_b32 s13, -1
	s_wait_loadcnt 0x0
	v_lshlrev_b32_e32 v1, 23, v0
	v_cmp_ne_u32_e32 vcc_lo, 0, v0
	s_delay_alu instid0(VALU_DEP_2) | instskip(NEXT) | instid1(VALU_DEP_1)
	v_trunc_f32_e32 v1, v1
	v_mul_f32_e64 v3, 0x2f800000, |v1|
	s_delay_alu instid0(VALU_DEP_1) | instskip(NEXT) | instid1(VALU_DEP_1)
	v_floor_f32_e32 v3, v3
	v_fma_f32 v3, 0xcf800000, v3, |v1|
	v_ashrrev_i32_e32 v1, 31, v1
	s_delay_alu instid0(VALU_DEP_2) | instskip(NEXT) | instid1(VALU_DEP_1)
	v_cvt_u32_f32_e32 v3, v3
	v_xor_b32_e32 v3, v3, v1
	s_delay_alu instid0(VALU_DEP_1) | instskip(NEXT) | instid1(VALU_DEP_1)
	v_sub_nc_u32_e32 v1, v3, v1
	v_cndmask_b32_e32 v0, 0, v1, vcc_lo
	s_branch .LBB46_2332
.LBB46_2331:
	s_mov_b32 s7, -1
                                        ; implicit-def: $vgpr0
.LBB46_2332:
	s_mov_b32 s16, 0
.LBB46_2333:
	s_delay_alu instid0(SALU_CYCLE_1)
	s_and_b32 vcc_lo, exec_lo, s16
	s_cbranch_vccz .LBB46_2337
; %bb.2334:
	s_cmp_eq_u32 s6, 29
	s_cbranch_scc0 .LBB46_2336
; %bb.2335:
	global_load_b64 v[0:1], v[4:5], off
	s_mov_b32 s7, 0
	s_mov_b32 s13, -1
	s_branch .LBB46_2337
.LBB46_2336:
	s_mov_b32 s7, -1
                                        ; implicit-def: $vgpr0
.LBB46_2337:
	s_mov_b32 s16, 0
.LBB46_2338:
	s_delay_alu instid0(SALU_CYCLE_1)
	s_and_b32 vcc_lo, exec_lo, s16
	s_cbranch_vccz .LBB46_2354
; %bb.2339:
	s_cmp_lt_i32 s6, 27
	s_cbranch_scc1 .LBB46_2342
; %bb.2340:
	s_cmp_gt_i32 s6, 27
	s_cbranch_scc0 .LBB46_2343
; %bb.2341:
	s_wait_loadcnt 0x0
	global_load_b32 v0, v[4:5], off
	s_mov_b32 s13, 0
	s_branch .LBB46_2344
.LBB46_2342:
	s_mov_b32 s13, -1
                                        ; implicit-def: $vgpr0
	s_branch .LBB46_2347
.LBB46_2343:
	s_mov_b32 s13, -1
                                        ; implicit-def: $vgpr0
.LBB46_2344:
	s_delay_alu instid0(SALU_CYCLE_1)
	s_and_not1_b32 vcc_lo, exec_lo, s13
	s_cbranch_vccnz .LBB46_2346
; %bb.2345:
	s_wait_loadcnt 0x0
	global_load_u16 v0, v[4:5], off
.LBB46_2346:
	s_mov_b32 s13, 0
.LBB46_2347:
	s_delay_alu instid0(SALU_CYCLE_1)
	s_and_not1_b32 vcc_lo, exec_lo, s13
	s_cbranch_vccnz .LBB46_2353
; %bb.2348:
	s_wait_loadcnt 0x0
	global_load_u8 v1, v[4:5], off
	s_mov_b32 s16, 0
	s_mov_b32 s13, exec_lo
	s_wait_loadcnt 0x0
	v_cmpx_lt_i16_e32 0x7f, v1
	s_xor_b32 s13, exec_lo, s13
	s_cbranch_execz .LBB46_2365
; %bb.2349:
	v_cmp_ne_u16_e32 vcc_lo, 0x80, v1
	s_and_b32 s16, vcc_lo, exec_lo
	s_and_not1_saveexec_b32 s13, s13
	s_cbranch_execnz .LBB46_2366
.LBB46_2350:
	s_or_b32 exec_lo, exec_lo, s13
	v_mov_b32_e32 v0, 0
	s_and_saveexec_b32 s13, s16
	s_cbranch_execz .LBB46_2352
.LBB46_2351:
	v_and_b32_e32 v0, 0xffff, v1
	s_delay_alu instid0(VALU_DEP_1) | instskip(SKIP_1) | instid1(VALU_DEP_2)
	v_and_b32_e32 v3, 7, v0
	v_bfe_u32 v9, v0, 3, 4
	v_clz_i32_u32_e32 v7, v3
	s_delay_alu instid0(VALU_DEP_2) | instskip(NEXT) | instid1(VALU_DEP_2)
	v_cmp_eq_u32_e32 vcc_lo, 0, v9
	v_min_u32_e32 v7, 32, v7
	s_delay_alu instid0(VALU_DEP_1) | instskip(NEXT) | instid1(VALU_DEP_1)
	v_subrev_nc_u32_e32 v8, 28, v7
	v_dual_lshlrev_b32 v0, v8, v0 :: v_dual_sub_nc_u32 v7, 29, v7
	s_delay_alu instid0(VALU_DEP_1) | instskip(NEXT) | instid1(VALU_DEP_1)
	v_dual_lshlrev_b32 v1, 24, v1 :: v_dual_bitop2_b32 v0, 7, v0 bitop3:0x40
	v_dual_cndmask_b32 v7, v9, v7 :: v_dual_cndmask_b32 v0, v3, v0
	s_delay_alu instid0(VALU_DEP_2) | instskip(NEXT) | instid1(VALU_DEP_2)
	v_and_b32_e32 v1, 0x80000000, v1
	v_lshl_add_u32 v3, v7, 23, 0x3b800000
	s_delay_alu instid0(VALU_DEP_3) | instskip(NEXT) | instid1(VALU_DEP_1)
	v_lshlrev_b32_e32 v0, 20, v0
	v_or3_b32 v0, v1, v3, v0
	s_delay_alu instid0(VALU_DEP_1) | instskip(NEXT) | instid1(VALU_DEP_1)
	v_trunc_f32_e32 v0, v0
	v_mul_f32_e64 v1, 0x2f800000, |v0|
	s_delay_alu instid0(VALU_DEP_1) | instskip(NEXT) | instid1(VALU_DEP_1)
	v_floor_f32_e32 v1, v1
	v_fma_f32 v1, 0xcf800000, v1, |v0|
	v_ashrrev_i32_e32 v0, 31, v0
	s_delay_alu instid0(VALU_DEP_2) | instskip(NEXT) | instid1(VALU_DEP_1)
	v_cvt_u32_f32_e32 v1, v1
	v_xor_b32_e32 v1, v1, v0
	s_delay_alu instid0(VALU_DEP_1)
	v_sub_nc_u32_e32 v0, v1, v0
.LBB46_2352:
	s_or_b32 exec_lo, exec_lo, s13
.LBB46_2353:
	s_mov_b32 s13, -1
.LBB46_2354:
	s_mov_b32 s16, 0
.LBB46_2355:
	s_delay_alu instid0(SALU_CYCLE_1)
	s_and_b32 vcc_lo, exec_lo, s16
	s_cbranch_vccz .LBB46_2386
; %bb.2356:
	s_cmp_gt_i32 s6, 22
	s_cbranch_scc0 .LBB46_2364
; %bb.2357:
	s_cmp_lt_i32 s6, 24
	s_cbranch_scc1 .LBB46_2367
; %bb.2358:
	s_cmp_gt_i32 s6, 24
	s_cbranch_scc0 .LBB46_2368
; %bb.2359:
	s_wait_loadcnt 0x0
	global_load_u8 v1, v[4:5], off
	s_mov_b32 s13, 0
	s_mov_b32 s9, exec_lo
	s_wait_loadcnt 0x0
	v_cmpx_lt_i16_e32 0x7f, v1
	s_xor_b32 s9, exec_lo, s9
	s_cbranch_execz .LBB46_2380
; %bb.2360:
	v_cmp_ne_u16_e32 vcc_lo, 0x80, v1
	s_and_b32 s13, vcc_lo, exec_lo
	s_and_not1_saveexec_b32 s9, s9
	s_cbranch_execnz .LBB46_2381
.LBB46_2361:
	s_or_b32 exec_lo, exec_lo, s9
	v_mov_b32_e32 v0, 0
	s_and_saveexec_b32 s9, s13
	s_cbranch_execz .LBB46_2363
.LBB46_2362:
	v_and_b32_e32 v0, 0xffff, v1
	s_delay_alu instid0(VALU_DEP_1) | instskip(SKIP_1) | instid1(VALU_DEP_2)
	v_and_b32_e32 v3, 3, v0
	v_bfe_u32 v9, v0, 2, 5
	v_clz_i32_u32_e32 v7, v3
	s_delay_alu instid0(VALU_DEP_2) | instskip(NEXT) | instid1(VALU_DEP_2)
	v_cmp_eq_u32_e32 vcc_lo, 0, v9
	v_min_u32_e32 v7, 32, v7
	s_delay_alu instid0(VALU_DEP_1) | instskip(NEXT) | instid1(VALU_DEP_1)
	v_subrev_nc_u32_e32 v8, 29, v7
	v_dual_lshlrev_b32 v0, v8, v0 :: v_dual_sub_nc_u32 v7, 30, v7
	s_delay_alu instid0(VALU_DEP_1) | instskip(NEXT) | instid1(VALU_DEP_1)
	v_dual_lshlrev_b32 v1, 24, v1 :: v_dual_bitop2_b32 v0, 3, v0 bitop3:0x40
	v_dual_cndmask_b32 v7, v9, v7 :: v_dual_cndmask_b32 v0, v3, v0
	s_delay_alu instid0(VALU_DEP_2) | instskip(NEXT) | instid1(VALU_DEP_2)
	v_and_b32_e32 v1, 0x80000000, v1
	v_lshl_add_u32 v3, v7, 23, 0x37800000
	s_delay_alu instid0(VALU_DEP_3) | instskip(NEXT) | instid1(VALU_DEP_1)
	v_lshlrev_b32_e32 v0, 21, v0
	v_or3_b32 v0, v1, v3, v0
	s_delay_alu instid0(VALU_DEP_1) | instskip(NEXT) | instid1(VALU_DEP_1)
	v_trunc_f32_e32 v0, v0
	v_mul_f32_e64 v1, 0x2f800000, |v0|
	s_delay_alu instid0(VALU_DEP_1) | instskip(NEXT) | instid1(VALU_DEP_1)
	v_floor_f32_e32 v1, v1
	v_fma_f32 v1, 0xcf800000, v1, |v0|
	v_ashrrev_i32_e32 v0, 31, v0
	s_delay_alu instid0(VALU_DEP_2) | instskip(NEXT) | instid1(VALU_DEP_1)
	v_cvt_u32_f32_e32 v1, v1
	v_xor_b32_e32 v1, v1, v0
	s_delay_alu instid0(VALU_DEP_1)
	v_sub_nc_u32_e32 v0, v1, v0
.LBB46_2363:
	s_or_b32 exec_lo, exec_lo, s9
	s_mov_b32 s9, 0
	s_branch .LBB46_2369
.LBB46_2364:
	s_mov_b32 s9, -1
                                        ; implicit-def: $vgpr0
	s_branch .LBB46_2375
.LBB46_2365:
	s_and_not1_saveexec_b32 s13, s13
	s_cbranch_execz .LBB46_2350
.LBB46_2366:
	v_cmp_ne_u16_e32 vcc_lo, 0, v1
	s_and_not1_b32 s16, s16, exec_lo
	s_and_b32 s17, vcc_lo, exec_lo
	s_delay_alu instid0(SALU_CYCLE_1)
	s_or_b32 s16, s16, s17
	s_or_b32 exec_lo, exec_lo, s13
	v_mov_b32_e32 v0, 0
	s_and_saveexec_b32 s13, s16
	s_cbranch_execnz .LBB46_2351
	s_branch .LBB46_2352
.LBB46_2367:
	s_mov_b32 s9, -1
                                        ; implicit-def: $vgpr0
	s_branch .LBB46_2372
.LBB46_2368:
	s_mov_b32 s9, -1
                                        ; implicit-def: $vgpr0
.LBB46_2369:
	s_delay_alu instid0(SALU_CYCLE_1)
	s_and_b32 vcc_lo, exec_lo, s9
	s_cbranch_vccz .LBB46_2371
; %bb.2370:
	s_wait_loadcnt 0x0
	global_load_u8 v0, v[4:5], off
	s_wait_loadcnt 0x0
	v_lshlrev_b32_e32 v0, 24, v0
	s_delay_alu instid0(VALU_DEP_1) | instskip(NEXT) | instid1(VALU_DEP_1)
	v_and_b32_e32 v1, 0x7f000000, v0
	v_clz_i32_u32_e32 v3, v1
	v_cmp_ne_u32_e32 vcc_lo, 0, v1
	v_add_nc_u32_e32 v8, 0x1000000, v1
	s_delay_alu instid0(VALU_DEP_3) | instskip(NEXT) | instid1(VALU_DEP_1)
	v_min_u32_e32 v3, 32, v3
	v_sub_nc_u32_e64 v3, v3, 4 clamp
	s_delay_alu instid0(VALU_DEP_1) | instskip(NEXT) | instid1(VALU_DEP_1)
	v_dual_lshlrev_b32 v7, v3, v1 :: v_dual_lshlrev_b32 v3, 23, v3
	v_lshrrev_b32_e32 v7, 4, v7
	s_delay_alu instid0(VALU_DEP_1) | instskip(NEXT) | instid1(VALU_DEP_1)
	v_dual_sub_nc_u32 v3, v7, v3 :: v_dual_ashrrev_i32 v7, 8, v8
	v_add_nc_u32_e32 v3, 0x3c000000, v3
	s_delay_alu instid0(VALU_DEP_1) | instskip(NEXT) | instid1(VALU_DEP_1)
	v_and_or_b32 v3, 0x7f800000, v7, v3
	v_cndmask_b32_e32 v1, 0, v3, vcc_lo
	s_delay_alu instid0(VALU_DEP_1) | instskip(NEXT) | instid1(VALU_DEP_1)
	v_and_or_b32 v0, 0x80000000, v0, v1
	v_trunc_f32_e32 v0, v0
	s_delay_alu instid0(VALU_DEP_1) | instskip(NEXT) | instid1(VALU_DEP_1)
	v_mul_f32_e64 v1, 0x2f800000, |v0|
	v_floor_f32_e32 v1, v1
	s_delay_alu instid0(VALU_DEP_1) | instskip(SKIP_1) | instid1(VALU_DEP_2)
	v_fma_f32 v1, 0xcf800000, v1, |v0|
	v_ashrrev_i32_e32 v0, 31, v0
	v_cvt_u32_f32_e32 v1, v1
	s_delay_alu instid0(VALU_DEP_1) | instskip(NEXT) | instid1(VALU_DEP_1)
	v_xor_b32_e32 v1, v1, v0
	v_sub_nc_u32_e32 v0, v1, v0
.LBB46_2371:
	s_mov_b32 s9, 0
.LBB46_2372:
	s_delay_alu instid0(SALU_CYCLE_1)
	s_and_not1_b32 vcc_lo, exec_lo, s9
	s_cbranch_vccnz .LBB46_2374
; %bb.2373:
	s_wait_loadcnt 0x0
	global_load_u8 v0, v[4:5], off
	s_wait_loadcnt 0x0
	v_lshlrev_b32_e32 v1, 25, v0
	v_lshlrev_b16 v0, 8, v0
	s_delay_alu instid0(VALU_DEP_1) | instskip(SKIP_1) | instid1(VALU_DEP_2)
	v_and_or_b32 v7, 0x7f00, v0, 0.5
	v_bfe_i32 v0, v0, 0, 16
	v_dual_add_f32 v7, -0.5, v7 :: v_dual_lshrrev_b32 v3, 4, v1
	v_cmp_gt_u32_e32 vcc_lo, 0x8000000, v1
	s_delay_alu instid0(VALU_DEP_2) | instskip(NEXT) | instid1(VALU_DEP_1)
	v_or_b32_e32 v3, 0x70000000, v3
	v_mul_f32_e32 v3, 0x7800000, v3
	s_delay_alu instid0(VALU_DEP_1) | instskip(NEXT) | instid1(VALU_DEP_1)
	v_cndmask_b32_e32 v1, v3, v7, vcc_lo
	v_and_or_b32 v0, 0x80000000, v0, v1
	s_delay_alu instid0(VALU_DEP_1) | instskip(NEXT) | instid1(VALU_DEP_1)
	v_trunc_f32_e32 v0, v0
	v_mul_f32_e64 v1, 0x2f800000, |v0|
	s_delay_alu instid0(VALU_DEP_1) | instskip(NEXT) | instid1(VALU_DEP_1)
	v_floor_f32_e32 v1, v1
	v_fma_f32 v1, 0xcf800000, v1, |v0|
	v_ashrrev_i32_e32 v0, 31, v0
	s_delay_alu instid0(VALU_DEP_2) | instskip(NEXT) | instid1(VALU_DEP_1)
	v_cvt_u32_f32_e32 v1, v1
	v_xor_b32_e32 v1, v1, v0
	s_delay_alu instid0(VALU_DEP_1)
	v_sub_nc_u32_e32 v0, v1, v0
.LBB46_2374:
	s_mov_b32 s9, 0
	s_mov_b32 s13, -1
.LBB46_2375:
	s_and_not1_b32 vcc_lo, exec_lo, s9
	s_mov_b32 s9, 0
	s_cbranch_vccnz .LBB46_2386
; %bb.2376:
	s_cmp_gt_i32 s6, 14
	s_cbranch_scc0 .LBB46_2379
; %bb.2377:
	s_cmp_eq_u32 s6, 15
	s_cbranch_scc0 .LBB46_2382
; %bb.2378:
	s_wait_loadcnt 0x0
	global_load_u16 v0, v[4:5], off
	s_mov_b32 s7, 0
	s_mov_b32 s13, -1
	s_wait_loadcnt 0x0
	v_lshlrev_b32_e32 v0, 16, v0
	s_delay_alu instid0(VALU_DEP_1) | instskip(NEXT) | instid1(VALU_DEP_1)
	v_trunc_f32_e32 v0, v0
	v_mul_f32_e64 v1, 0x2f800000, |v0|
	s_delay_alu instid0(VALU_DEP_1) | instskip(NEXT) | instid1(VALU_DEP_1)
	v_floor_f32_e32 v1, v1
	v_fma_f32 v1, 0xcf800000, v1, |v0|
	v_ashrrev_i32_e32 v0, 31, v0
	s_delay_alu instid0(VALU_DEP_2) | instskip(NEXT) | instid1(VALU_DEP_1)
	v_cvt_u32_f32_e32 v1, v1
	v_xor_b32_e32 v1, v1, v0
	s_delay_alu instid0(VALU_DEP_1)
	v_sub_nc_u32_e32 v0, v1, v0
	s_branch .LBB46_2384
.LBB46_2379:
	s_mov_b32 s9, -1
	s_branch .LBB46_2383
.LBB46_2380:
	s_and_not1_saveexec_b32 s9, s9
	s_cbranch_execz .LBB46_2361
.LBB46_2381:
	v_cmp_ne_u16_e32 vcc_lo, 0, v1
	s_and_not1_b32 s13, s13, exec_lo
	s_and_b32 s16, vcc_lo, exec_lo
	s_delay_alu instid0(SALU_CYCLE_1)
	s_or_b32 s13, s13, s16
	s_or_b32 exec_lo, exec_lo, s9
	v_mov_b32_e32 v0, 0
	s_and_saveexec_b32 s9, s13
	s_cbranch_execnz .LBB46_2362
	s_branch .LBB46_2363
.LBB46_2382:
	s_mov_b32 s7, -1
.LBB46_2383:
                                        ; implicit-def: $vgpr0
.LBB46_2384:
	s_and_b32 vcc_lo, exec_lo, s9
	s_mov_b32 s9, 0
	s_cbranch_vccz .LBB46_2386
; %bb.2385:
	s_cmp_lg_u32 s6, 11
	s_mov_b32 s9, -1
	s_cselect_b32 s7, -1, 0
.LBB46_2386:
	s_delay_alu instid0(SALU_CYCLE_1)
	s_and_b32 vcc_lo, exec_lo, s7
	s_cbranch_vccnz .LBB46_2451
; %bb.2387:
	s_and_not1_b32 vcc_lo, exec_lo, s9
	s_cbranch_vccnz .LBB46_2389
.LBB46_2388:
	s_wait_loadcnt 0x0
	global_load_u8 v0, v[4:5], off
	s_mov_b32 s13, -1
	s_wait_loadcnt 0x0
	v_cmp_ne_u16_e32 vcc_lo, 0, v0
	v_cndmask_b32_e64 v0, 0, 1, vcc_lo
.LBB46_2389:
	s_mov_b32 s6, 0
.LBB46_2390:
	s_delay_alu instid0(SALU_CYCLE_1)
	s_and_b32 vcc_lo, exec_lo, s6
	s_cbranch_vccz .LBB46_2439
; %bb.2391:
	s_and_b32 s0, 0xffff, s0
	s_delay_alu instid0(SALU_CYCLE_1)
	s_cmp_lt_i32 s0, 5
	s_cbranch_scc1 .LBB46_2396
; %bb.2392:
	s_cmp_lt_i32 s0, 8
	s_cbranch_scc1 .LBB46_2397
; %bb.2393:
	;; [unrolled: 3-line block ×3, first 2 shown]
	s_cmp_gt_i32 s0, 9
	s_cbranch_scc0 .LBB46_2399
; %bb.2395:
	s_wait_loadcnt 0x0
	global_load_b64 v[0:1], v[4:5], off
	s_mov_b32 s6, 0
	s_wait_loadcnt 0x0
	v_trunc_f64_e32 v[0:1], v[0:1]
	s_delay_alu instid0(VALU_DEP_1) | instskip(NEXT) | instid1(VALU_DEP_1)
	v_ldexp_f64 v[8:9], v[0:1], 0xffffffe0
	v_floor_f64_e32 v[8:9], v[8:9]
	s_delay_alu instid0(VALU_DEP_1) | instskip(NEXT) | instid1(VALU_DEP_1)
	v_fmamk_f64 v[0:1], v[8:9], 0xc1f00000, v[0:1]
	v_cvt_u32_f64_e32 v0, v[0:1]
	s_branch .LBB46_2400
.LBB46_2396:
	s_mov_b32 s6, -1
                                        ; implicit-def: $vgpr0
	s_branch .LBB46_2418
.LBB46_2397:
	s_mov_b32 s6, -1
                                        ; implicit-def: $vgpr0
	s_branch .LBB46_2406
.LBB46_2398:
	s_mov_b32 s6, -1
                                        ; implicit-def: $vgpr0
	s_branch .LBB46_2403
.LBB46_2399:
	s_mov_b32 s6, -1
                                        ; implicit-def: $vgpr0
.LBB46_2400:
	s_delay_alu instid0(SALU_CYCLE_1)
	s_and_not1_b32 vcc_lo, exec_lo, s6
	s_cbranch_vccnz .LBB46_2402
; %bb.2401:
	s_wait_loadcnt 0x0
	global_load_b32 v0, v[4:5], off
	s_wait_loadcnt 0x0
	v_trunc_f32_e32 v0, v0
	s_delay_alu instid0(VALU_DEP_1) | instskip(NEXT) | instid1(VALU_DEP_1)
	v_mul_f32_e64 v1, 0x2f800000, |v0|
	v_floor_f32_e32 v1, v1
	s_delay_alu instid0(VALU_DEP_1) | instskip(SKIP_1) | instid1(VALU_DEP_2)
	v_fma_f32 v1, 0xcf800000, v1, |v0|
	v_ashrrev_i32_e32 v0, 31, v0
	v_cvt_u32_f32_e32 v1, v1
	s_delay_alu instid0(VALU_DEP_1) | instskip(NEXT) | instid1(VALU_DEP_1)
	v_xor_b32_e32 v1, v1, v0
	v_sub_nc_u32_e32 v0, v1, v0
.LBB46_2402:
	s_mov_b32 s6, 0
.LBB46_2403:
	s_delay_alu instid0(SALU_CYCLE_1)
	s_and_not1_b32 vcc_lo, exec_lo, s6
	s_cbranch_vccnz .LBB46_2405
; %bb.2404:
	s_wait_loadcnt 0x0
	global_load_b32 v0, v[4:5], off
	s_wait_loadcnt 0x0
	v_cvt_f32_f16_e32 v0, v0
	s_delay_alu instid0(VALU_DEP_1)
	v_cvt_i32_f32_e32 v0, v0
.LBB46_2405:
	s_mov_b32 s6, 0
.LBB46_2406:
	s_delay_alu instid0(SALU_CYCLE_1)
	s_and_not1_b32 vcc_lo, exec_lo, s6
	s_cbranch_vccnz .LBB46_2417
; %bb.2407:
	s_cmp_lt_i32 s0, 6
	s_cbranch_scc1 .LBB46_2410
; %bb.2408:
	s_cmp_gt_i32 s0, 6
	s_cbranch_scc0 .LBB46_2411
; %bb.2409:
	s_wait_loadcnt 0x0
	global_load_b64 v[0:1], v[4:5], off
	s_mov_b32 s6, 0
	s_wait_loadcnt 0x0
	v_trunc_f64_e32 v[0:1], v[0:1]
	s_delay_alu instid0(VALU_DEP_1) | instskip(NEXT) | instid1(VALU_DEP_1)
	v_ldexp_f64 v[8:9], v[0:1], 0xffffffe0
	v_floor_f64_e32 v[8:9], v[8:9]
	s_delay_alu instid0(VALU_DEP_1) | instskip(NEXT) | instid1(VALU_DEP_1)
	v_fmamk_f64 v[0:1], v[8:9], 0xc1f00000, v[0:1]
	v_cvt_u32_f64_e32 v0, v[0:1]
	s_branch .LBB46_2412
.LBB46_2410:
	s_mov_b32 s6, -1
                                        ; implicit-def: $vgpr0
	s_branch .LBB46_2415
.LBB46_2411:
	s_mov_b32 s6, -1
                                        ; implicit-def: $vgpr0
.LBB46_2412:
	s_delay_alu instid0(SALU_CYCLE_1)
	s_and_not1_b32 vcc_lo, exec_lo, s6
	s_cbranch_vccnz .LBB46_2414
; %bb.2413:
	s_wait_loadcnt 0x0
	global_load_b32 v0, v[4:5], off
	s_wait_loadcnt 0x0
	v_trunc_f32_e32 v0, v0
	s_delay_alu instid0(VALU_DEP_1) | instskip(NEXT) | instid1(VALU_DEP_1)
	v_mul_f32_e64 v1, 0x2f800000, |v0|
	v_floor_f32_e32 v1, v1
	s_delay_alu instid0(VALU_DEP_1) | instskip(SKIP_1) | instid1(VALU_DEP_2)
	v_fma_f32 v1, 0xcf800000, v1, |v0|
	v_ashrrev_i32_e32 v0, 31, v0
	v_cvt_u32_f32_e32 v1, v1
	s_delay_alu instid0(VALU_DEP_1) | instskip(NEXT) | instid1(VALU_DEP_1)
	v_xor_b32_e32 v1, v1, v0
	v_sub_nc_u32_e32 v0, v1, v0
.LBB46_2414:
	s_mov_b32 s6, 0
.LBB46_2415:
	s_delay_alu instid0(SALU_CYCLE_1)
	s_and_not1_b32 vcc_lo, exec_lo, s6
	s_cbranch_vccnz .LBB46_2417
; %bb.2416:
	s_wait_loadcnt 0x0
	global_load_u16 v0, v[4:5], off
	s_wait_loadcnt 0x0
	v_cvt_f32_f16_e32 v0, v0
	s_delay_alu instid0(VALU_DEP_1)
	v_cvt_i32_f32_e32 v0, v0
.LBB46_2417:
	s_mov_b32 s6, 0
.LBB46_2418:
	s_delay_alu instid0(SALU_CYCLE_1)
	s_and_not1_b32 vcc_lo, exec_lo, s6
	s_cbranch_vccnz .LBB46_2438
; %bb.2419:
	s_cmp_lt_i32 s0, 2
	s_cbranch_scc1 .LBB46_2423
; %bb.2420:
	s_cmp_lt_i32 s0, 3
	s_cbranch_scc1 .LBB46_2424
; %bb.2421:
	s_cmp_gt_i32 s0, 3
	s_cbranch_scc0 .LBB46_2425
; %bb.2422:
	s_wait_loadcnt 0x0
	global_load_b64 v[0:1], v[4:5], off
	s_mov_b32 s6, 0
	s_branch .LBB46_2426
.LBB46_2423:
	s_mov_b32 s6, -1
                                        ; implicit-def: $vgpr0
	s_branch .LBB46_2432
.LBB46_2424:
	s_mov_b32 s6, -1
                                        ; implicit-def: $vgpr0
	s_branch .LBB46_2429
.LBB46_2425:
	s_mov_b32 s6, -1
                                        ; implicit-def: $vgpr0
.LBB46_2426:
	s_delay_alu instid0(SALU_CYCLE_1)
	s_and_not1_b32 vcc_lo, exec_lo, s6
	s_cbranch_vccnz .LBB46_2428
; %bb.2427:
	s_wait_loadcnt 0x0
	global_load_b32 v0, v[4:5], off
.LBB46_2428:
	s_mov_b32 s6, 0
.LBB46_2429:
	s_delay_alu instid0(SALU_CYCLE_1)
	s_and_not1_b32 vcc_lo, exec_lo, s6
	s_cbranch_vccnz .LBB46_2431
; %bb.2430:
	s_wait_loadcnt 0x0
	global_load_u16 v0, v[4:5], off
.LBB46_2431:
	s_mov_b32 s6, 0
.LBB46_2432:
	s_delay_alu instid0(SALU_CYCLE_1)
	s_and_not1_b32 vcc_lo, exec_lo, s6
	s_cbranch_vccnz .LBB46_2438
; %bb.2433:
	s_cmp_gt_i32 s0, 0
	s_mov_b32 s0, 0
	s_cbranch_scc0 .LBB46_2435
; %bb.2434:
	s_wait_loadcnt 0x0
	global_load_u8 v0, v[4:5], off
	s_branch .LBB46_2436
.LBB46_2435:
	s_mov_b32 s0, -1
                                        ; implicit-def: $vgpr0
.LBB46_2436:
	s_delay_alu instid0(SALU_CYCLE_1)
	s_and_not1_b32 vcc_lo, exec_lo, s0
	s_cbranch_vccnz .LBB46_2438
; %bb.2437:
	s_wait_loadcnt 0x0
	global_load_u8 v0, v[4:5], off
.LBB46_2438:
	s_mov_b32 s13, -1
.LBB46_2439:
	s_delay_alu instid0(SALU_CYCLE_1)
	s_and_not1_b32 vcc_lo, exec_lo, s13
	s_cbranch_vccnz .LBB46_2651
; %bb.2440:
	v_add_nc_u32_e32 v2, s10, v2
	s_cmp_lt_i32 s1, 11
	s_delay_alu instid0(VALU_DEP_1) | instskip(NEXT) | instid1(VALU_DEP_1)
	v_ashrrev_i32_e32 v3, 31, v2
	v_add_nc_u64_e32 v[2:3], s[2:3], v[2:3]
	s_cbranch_scc1 .LBB46_2447
; %bb.2441:
	s_and_b32 s0, 0xffff, s1
	s_mov_b32 s3, 0
	s_cmp_gt_i32 s0, 25
	s_cbranch_scc0 .LBB46_2448
; %bb.2442:
	s_cmp_gt_i32 s0, 28
	s_cbranch_scc0 .LBB46_2449
; %bb.2443:
	;; [unrolled: 3-line block ×4, first 2 shown]
	s_cmp_eq_u32 s0, 46
	s_mov_b32 s7, 0
	s_cbranch_scc0 .LBB46_2453
; %bb.2446:
	s_wait_loadcnt 0x0
	global_load_b32 v1, v[2:3], off
	s_mov_b32 s2, 0
	s_mov_b32 s6, -1
	s_wait_loadcnt 0x0
	v_lshlrev_b32_e32 v1, 16, v1
	s_delay_alu instid0(VALU_DEP_1) | instskip(SKIP_1) | instid1(VALU_DEP_1)
	v_trunc_f32_e32 v1, v1
	s_wait_xcnt 0x1
	v_mul_f32_e64 v4, 0x2f800000, |v1|
	s_delay_alu instid0(VALU_DEP_1) | instskip(NEXT) | instid1(VALU_DEP_1)
	v_floor_f32_e32 v4, v4
	v_fma_f32 v4, 0xcf800000, v4, |v1|
	v_ashrrev_i32_e32 v1, 31, v1
	s_delay_alu instid0(VALU_DEP_2) | instskip(NEXT) | instid1(VALU_DEP_1)
	v_cvt_u32_f32_e32 v4, v4
	v_xor_b32_e32 v4, v4, v1
	s_delay_alu instid0(VALU_DEP_1)
	v_sub_nc_u32_e32 v4, v4, v1
	s_branch .LBB46_2455
.LBB46_2447:
	s_mov_b32 s0, -1
	s_mov_b32 s6, 0
                                        ; implicit-def: $vgpr4
	s_branch .LBB46_2517
.LBB46_2448:
	s_mov_b32 s7, -1
	s_mov_b32 s6, 0
	s_mov_b32 s2, 0
                                        ; implicit-def: $vgpr4
	s_branch .LBB46_2482
.LBB46_2449:
	s_mov_b32 s7, -1
	s_mov_b32 s6, 0
	s_mov_b32 s2, 0
                                        ; implicit-def: $vgpr4
	s_branch .LBB46_2465
.LBB46_2450:
	s_mov_b32 s7, -1
	s_mov_b32 s6, 0
	s_mov_b32 s2, 0
                                        ; implicit-def: $vgpr4
	s_branch .LBB46_2460
.LBB46_2451:
	s_or_b32 s12, s12, exec_lo
	s_trap 2
	s_cbranch_execz .LBB46_2388
	s_branch .LBB46_2389
.LBB46_2452:
	s_mov_b32 s7, -1
	s_mov_b32 s6, 0
	s_mov_b32 s2, 0
	s_branch .LBB46_2454
.LBB46_2453:
	s_mov_b32 s2, -1
	s_mov_b32 s6, 0
.LBB46_2454:
                                        ; implicit-def: $vgpr4
.LBB46_2455:
	s_and_b32 vcc_lo, exec_lo, s7
	s_cbranch_vccz .LBB46_2459
; %bb.2456:
	s_cmp_eq_u32 s0, 44
	s_cbranch_scc0 .LBB46_2458
; %bb.2457:
	s_wait_loadcnt 0x0
	global_load_u8 v1, v[2:3], off
	s_mov_b32 s2, 0
	s_mov_b32 s6, -1
	s_wait_loadcnt 0x0
	s_wait_xcnt 0x1
	v_lshlrev_b32_e32 v4, 23, v1
	v_cmp_ne_u32_e32 vcc_lo, 0, v1
	s_delay_alu instid0(VALU_DEP_2) | instskip(NEXT) | instid1(VALU_DEP_1)
	v_trunc_f32_e32 v4, v4
	v_mul_f32_e64 v5, 0x2f800000, |v4|
	s_delay_alu instid0(VALU_DEP_1) | instskip(NEXT) | instid1(VALU_DEP_1)
	v_floor_f32_e32 v5, v5
	v_fma_f32 v5, 0xcf800000, v5, |v4|
	v_ashrrev_i32_e32 v4, 31, v4
	s_delay_alu instid0(VALU_DEP_2) | instskip(NEXT) | instid1(VALU_DEP_1)
	v_cvt_u32_f32_e32 v5, v5
	v_xor_b32_e32 v5, v5, v4
	s_delay_alu instid0(VALU_DEP_1) | instskip(NEXT) | instid1(VALU_DEP_1)
	v_sub_nc_u32_e32 v4, v5, v4
	v_cndmask_b32_e32 v4, 0, v4, vcc_lo
	s_branch .LBB46_2459
.LBB46_2458:
	s_mov_b32 s2, -1
                                        ; implicit-def: $vgpr4
.LBB46_2459:
	s_mov_b32 s7, 0
.LBB46_2460:
	s_delay_alu instid0(SALU_CYCLE_1)
	s_and_b32 vcc_lo, exec_lo, s7
	s_cbranch_vccz .LBB46_2464
; %bb.2461:
	s_cmp_eq_u32 s0, 29
	s_cbranch_scc0 .LBB46_2463
; %bb.2462:
	global_load_b64 v[4:5], v[2:3], off
	s_mov_b32 s2, 0
	s_mov_b32 s6, -1
	s_branch .LBB46_2464
.LBB46_2463:
	s_mov_b32 s2, -1
                                        ; implicit-def: $vgpr4
.LBB46_2464:
	s_mov_b32 s7, 0
.LBB46_2465:
	s_delay_alu instid0(SALU_CYCLE_1)
	s_and_b32 vcc_lo, exec_lo, s7
	s_cbranch_vccz .LBB46_2481
; %bb.2466:
	s_cmp_lt_i32 s0, 27
	s_cbranch_scc1 .LBB46_2469
; %bb.2467:
	s_cmp_gt_i32 s0, 27
	s_cbranch_scc0 .LBB46_2470
; %bb.2468:
	s_wait_loadcnt 0x0
	global_load_b32 v4, v[2:3], off
	s_mov_b32 s6, 0
	s_branch .LBB46_2471
.LBB46_2469:
	s_mov_b32 s6, -1
                                        ; implicit-def: $vgpr4
	s_branch .LBB46_2474
.LBB46_2470:
	s_mov_b32 s6, -1
                                        ; implicit-def: $vgpr4
.LBB46_2471:
	s_delay_alu instid0(SALU_CYCLE_1)
	s_and_not1_b32 vcc_lo, exec_lo, s6
	s_cbranch_vccnz .LBB46_2473
; %bb.2472:
	s_wait_loadcnt 0x0
	global_load_u16 v4, v[2:3], off
.LBB46_2473:
	s_mov_b32 s6, 0
.LBB46_2474:
	s_delay_alu instid0(SALU_CYCLE_1)
	s_and_not1_b32 vcc_lo, exec_lo, s6
	s_cbranch_vccnz .LBB46_2480
; %bb.2475:
	s_wait_loadcnt 0x0
	global_load_u8 v1, v[2:3], off
	s_mov_b32 s7, 0
	s_mov_b32 s6, exec_lo
	s_wait_loadcnt 0x0
	v_cmpx_lt_i16_e32 0x7f, v1
	s_xor_b32 s6, exec_lo, s6
	s_cbranch_execz .LBB46_2492
; %bb.2476:
	v_cmp_ne_u16_e32 vcc_lo, 0x80, v1
	s_and_b32 s7, vcc_lo, exec_lo
	s_and_not1_saveexec_b32 s6, s6
	s_cbranch_execnz .LBB46_2493
.LBB46_2477:
	s_or_b32 exec_lo, exec_lo, s6
	v_mov_b32_e32 v4, 0
	s_and_saveexec_b32 s6, s7
	s_cbranch_execz .LBB46_2479
.LBB46_2478:
	v_and_b32_e32 v4, 0xffff, v1
	s_delay_alu instid0(VALU_DEP_1) | instskip(SKIP_1) | instid1(VALU_DEP_2)
	v_and_b32_e32 v5, 7, v4
	v_bfe_u32 v9, v4, 3, 4
	v_clz_i32_u32_e32 v7, v5
	s_delay_alu instid0(VALU_DEP_2) | instskip(NEXT) | instid1(VALU_DEP_2)
	v_cmp_eq_u32_e32 vcc_lo, 0, v9
	v_min_u32_e32 v7, 32, v7
	s_delay_alu instid0(VALU_DEP_1) | instskip(NEXT) | instid1(VALU_DEP_1)
	v_subrev_nc_u32_e32 v8, 28, v7
	v_dual_lshlrev_b32 v4, v8, v4 :: v_dual_sub_nc_u32 v7, 29, v7
	s_delay_alu instid0(VALU_DEP_1) | instskip(NEXT) | instid1(VALU_DEP_2)
	v_dual_lshlrev_b32 v1, 24, v1 :: v_dual_bitop2_b32 v4, 7, v4 bitop3:0x40
	v_cndmask_b32_e32 v7, v9, v7, vcc_lo
	s_delay_alu instid0(VALU_DEP_2) | instskip(NEXT) | instid1(VALU_DEP_3)
	v_cndmask_b32_e32 v4, v5, v4, vcc_lo
	v_and_b32_e32 v1, 0x80000000, v1
	s_delay_alu instid0(VALU_DEP_3) | instskip(NEXT) | instid1(VALU_DEP_3)
	v_lshl_add_u32 v5, v7, 23, 0x3b800000
	v_lshlrev_b32_e32 v4, 20, v4
	s_delay_alu instid0(VALU_DEP_1) | instskip(NEXT) | instid1(VALU_DEP_1)
	v_or3_b32 v1, v1, v5, v4
	v_trunc_f32_e32 v1, v1
	s_delay_alu instid0(VALU_DEP_1) | instskip(NEXT) | instid1(VALU_DEP_1)
	v_mul_f32_e64 v4, 0x2f800000, |v1|
	v_floor_f32_e32 v4, v4
	s_delay_alu instid0(VALU_DEP_1) | instskip(SKIP_1) | instid1(VALU_DEP_2)
	v_fma_f32 v4, 0xcf800000, v4, |v1|
	v_ashrrev_i32_e32 v1, 31, v1
	v_cvt_u32_f32_e32 v4, v4
	s_delay_alu instid0(VALU_DEP_1) | instskip(NEXT) | instid1(VALU_DEP_1)
	v_xor_b32_e32 v4, v4, v1
	v_sub_nc_u32_e32 v4, v4, v1
.LBB46_2479:
	s_or_b32 exec_lo, exec_lo, s6
.LBB46_2480:
	s_mov_b32 s6, -1
.LBB46_2481:
	s_mov_b32 s7, 0
.LBB46_2482:
	s_delay_alu instid0(SALU_CYCLE_1)
	s_and_b32 vcc_lo, exec_lo, s7
	s_cbranch_vccz .LBB46_2513
; %bb.2483:
	s_cmp_gt_i32 s0, 22
	s_cbranch_scc0 .LBB46_2491
; %bb.2484:
	s_cmp_lt_i32 s0, 24
	s_cbranch_scc1 .LBB46_2494
; %bb.2485:
	s_cmp_gt_i32 s0, 24
	s_cbranch_scc0 .LBB46_2495
; %bb.2486:
	s_wait_loadcnt 0x0
	global_load_u8 v1, v[2:3], off
	s_mov_b32 s6, 0
	s_mov_b32 s3, exec_lo
	s_wait_loadcnt 0x0
	v_cmpx_lt_i16_e32 0x7f, v1
	s_xor_b32 s3, exec_lo, s3
	s_cbranch_execz .LBB46_2507
; %bb.2487:
	v_cmp_ne_u16_e32 vcc_lo, 0x80, v1
	s_and_b32 s6, vcc_lo, exec_lo
	s_and_not1_saveexec_b32 s3, s3
	s_cbranch_execnz .LBB46_2508
.LBB46_2488:
	s_or_b32 exec_lo, exec_lo, s3
	v_mov_b32_e32 v4, 0
	s_and_saveexec_b32 s3, s6
	s_cbranch_execz .LBB46_2490
.LBB46_2489:
	v_and_b32_e32 v4, 0xffff, v1
	s_delay_alu instid0(VALU_DEP_1) | instskip(SKIP_1) | instid1(VALU_DEP_2)
	v_and_b32_e32 v5, 3, v4
	v_bfe_u32 v9, v4, 2, 5
	v_clz_i32_u32_e32 v7, v5
	s_delay_alu instid0(VALU_DEP_2) | instskip(NEXT) | instid1(VALU_DEP_2)
	v_cmp_eq_u32_e32 vcc_lo, 0, v9
	v_min_u32_e32 v7, 32, v7
	s_delay_alu instid0(VALU_DEP_1) | instskip(NEXT) | instid1(VALU_DEP_1)
	v_subrev_nc_u32_e32 v8, 29, v7
	v_dual_lshlrev_b32 v4, v8, v4 :: v_dual_sub_nc_u32 v7, 30, v7
	s_delay_alu instid0(VALU_DEP_1) | instskip(NEXT) | instid1(VALU_DEP_2)
	v_dual_lshlrev_b32 v1, 24, v1 :: v_dual_bitop2_b32 v4, 3, v4 bitop3:0x40
	v_cndmask_b32_e32 v7, v9, v7, vcc_lo
	s_delay_alu instid0(VALU_DEP_2) | instskip(NEXT) | instid1(VALU_DEP_3)
	v_cndmask_b32_e32 v4, v5, v4, vcc_lo
	v_and_b32_e32 v1, 0x80000000, v1
	s_delay_alu instid0(VALU_DEP_3) | instskip(NEXT) | instid1(VALU_DEP_3)
	v_lshl_add_u32 v5, v7, 23, 0x37800000
	v_lshlrev_b32_e32 v4, 21, v4
	s_delay_alu instid0(VALU_DEP_1) | instskip(NEXT) | instid1(VALU_DEP_1)
	v_or3_b32 v1, v1, v5, v4
	v_trunc_f32_e32 v1, v1
	s_delay_alu instid0(VALU_DEP_1) | instskip(NEXT) | instid1(VALU_DEP_1)
	v_mul_f32_e64 v4, 0x2f800000, |v1|
	v_floor_f32_e32 v4, v4
	s_delay_alu instid0(VALU_DEP_1) | instskip(SKIP_1) | instid1(VALU_DEP_2)
	v_fma_f32 v4, 0xcf800000, v4, |v1|
	v_ashrrev_i32_e32 v1, 31, v1
	v_cvt_u32_f32_e32 v4, v4
	s_delay_alu instid0(VALU_DEP_1) | instskip(NEXT) | instid1(VALU_DEP_1)
	v_xor_b32_e32 v4, v4, v1
	v_sub_nc_u32_e32 v4, v4, v1
.LBB46_2490:
	s_or_b32 exec_lo, exec_lo, s3
	s_mov_b32 s3, 0
	s_branch .LBB46_2496
.LBB46_2491:
	s_mov_b32 s3, -1
                                        ; implicit-def: $vgpr4
	s_branch .LBB46_2502
.LBB46_2492:
	s_and_not1_saveexec_b32 s6, s6
	s_cbranch_execz .LBB46_2477
.LBB46_2493:
	v_cmp_ne_u16_e32 vcc_lo, 0, v1
	s_and_not1_b32 s7, s7, exec_lo
	s_and_b32 s9, vcc_lo, exec_lo
	s_delay_alu instid0(SALU_CYCLE_1)
	s_or_b32 s7, s7, s9
	s_or_b32 exec_lo, exec_lo, s6
	v_mov_b32_e32 v4, 0
	s_and_saveexec_b32 s6, s7
	s_cbranch_execnz .LBB46_2478
	s_branch .LBB46_2479
.LBB46_2494:
	s_mov_b32 s3, -1
                                        ; implicit-def: $vgpr4
	s_branch .LBB46_2499
.LBB46_2495:
	s_mov_b32 s3, -1
                                        ; implicit-def: $vgpr4
.LBB46_2496:
	s_delay_alu instid0(SALU_CYCLE_1)
	s_and_b32 vcc_lo, exec_lo, s3
	s_cbranch_vccz .LBB46_2498
; %bb.2497:
	s_wait_loadcnt 0x0
	global_load_u8 v1, v[2:3], off
	s_wait_loadcnt 0x0
	v_lshlrev_b32_e32 v1, 24, v1
	s_wait_xcnt 0x1
	s_delay_alu instid0(VALU_DEP_1) | instskip(NEXT) | instid1(VALU_DEP_1)
	v_and_b32_e32 v4, 0x7f000000, v1
	v_clz_i32_u32_e32 v5, v4
	v_add_nc_u32_e32 v8, 0x1000000, v4
	v_cmp_ne_u32_e32 vcc_lo, 0, v4
	s_delay_alu instid0(VALU_DEP_3) | instskip(NEXT) | instid1(VALU_DEP_1)
	v_min_u32_e32 v5, 32, v5
	v_sub_nc_u32_e64 v5, v5, 4 clamp
	s_delay_alu instid0(VALU_DEP_1) | instskip(NEXT) | instid1(VALU_DEP_1)
	v_dual_lshlrev_b32 v7, v5, v4 :: v_dual_lshlrev_b32 v5, 23, v5
	v_lshrrev_b32_e32 v7, 4, v7
	s_delay_alu instid0(VALU_DEP_1) | instskip(NEXT) | instid1(VALU_DEP_1)
	v_dual_sub_nc_u32 v5, v7, v5 :: v_dual_ashrrev_i32 v7, 8, v8
	v_add_nc_u32_e32 v5, 0x3c000000, v5
	s_delay_alu instid0(VALU_DEP_1) | instskip(NEXT) | instid1(VALU_DEP_1)
	v_and_or_b32 v5, 0x7f800000, v7, v5
	v_cndmask_b32_e32 v4, 0, v5, vcc_lo
	s_delay_alu instid0(VALU_DEP_1) | instskip(NEXT) | instid1(VALU_DEP_1)
	v_and_or_b32 v1, 0x80000000, v1, v4
	v_trunc_f32_e32 v1, v1
	s_delay_alu instid0(VALU_DEP_1) | instskip(NEXT) | instid1(VALU_DEP_1)
	v_mul_f32_e64 v4, 0x2f800000, |v1|
	v_floor_f32_e32 v4, v4
	s_delay_alu instid0(VALU_DEP_1) | instskip(SKIP_1) | instid1(VALU_DEP_2)
	v_fma_f32 v4, 0xcf800000, v4, |v1|
	v_ashrrev_i32_e32 v1, 31, v1
	v_cvt_u32_f32_e32 v4, v4
	s_delay_alu instid0(VALU_DEP_1) | instskip(NEXT) | instid1(VALU_DEP_1)
	v_xor_b32_e32 v4, v4, v1
	v_sub_nc_u32_e32 v4, v4, v1
.LBB46_2498:
	s_mov_b32 s3, 0
.LBB46_2499:
	s_delay_alu instid0(SALU_CYCLE_1)
	s_and_not1_b32 vcc_lo, exec_lo, s3
	s_cbranch_vccnz .LBB46_2501
; %bb.2500:
	s_wait_loadcnt 0x0
	global_load_u8 v1, v[2:3], off
	s_wait_loadcnt 0x0
	s_wait_xcnt 0x1
	v_lshlrev_b32_e32 v4, 25, v1
	v_lshlrev_b16 v1, 8, v1
	s_delay_alu instid0(VALU_DEP_1) | instskip(SKIP_1) | instid1(VALU_DEP_2)
	v_and_or_b32 v7, 0x7f00, v1, 0.5
	v_bfe_i32 v1, v1, 0, 16
	v_dual_add_f32 v7, -0.5, v7 :: v_dual_lshrrev_b32 v5, 4, v4
	v_cmp_gt_u32_e32 vcc_lo, 0x8000000, v4
	s_delay_alu instid0(VALU_DEP_2) | instskip(NEXT) | instid1(VALU_DEP_1)
	v_or_b32_e32 v5, 0x70000000, v5
	v_mul_f32_e32 v5, 0x7800000, v5
	s_delay_alu instid0(VALU_DEP_1) | instskip(NEXT) | instid1(VALU_DEP_1)
	v_cndmask_b32_e32 v4, v5, v7, vcc_lo
	v_and_or_b32 v1, 0x80000000, v1, v4
	s_delay_alu instid0(VALU_DEP_1) | instskip(NEXT) | instid1(VALU_DEP_1)
	v_trunc_f32_e32 v1, v1
	v_mul_f32_e64 v4, 0x2f800000, |v1|
	s_delay_alu instid0(VALU_DEP_1) | instskip(NEXT) | instid1(VALU_DEP_1)
	v_floor_f32_e32 v4, v4
	v_fma_f32 v4, 0xcf800000, v4, |v1|
	v_ashrrev_i32_e32 v1, 31, v1
	s_delay_alu instid0(VALU_DEP_2) | instskip(NEXT) | instid1(VALU_DEP_1)
	v_cvt_u32_f32_e32 v4, v4
	v_xor_b32_e32 v4, v4, v1
	s_delay_alu instid0(VALU_DEP_1)
	v_sub_nc_u32_e32 v4, v4, v1
.LBB46_2501:
	s_mov_b32 s3, 0
	s_mov_b32 s6, -1
.LBB46_2502:
	s_and_not1_b32 vcc_lo, exec_lo, s3
	s_mov_b32 s3, 0
	s_cbranch_vccnz .LBB46_2513
; %bb.2503:
	s_cmp_gt_i32 s0, 14
	s_cbranch_scc0 .LBB46_2506
; %bb.2504:
	s_cmp_eq_u32 s0, 15
	s_cbranch_scc0 .LBB46_2509
; %bb.2505:
	s_wait_loadcnt 0x0
	global_load_u16 v1, v[2:3], off
	s_mov_b32 s2, 0
	s_mov_b32 s6, -1
	s_wait_loadcnt 0x0
	v_lshlrev_b32_e32 v1, 16, v1
	s_delay_alu instid0(VALU_DEP_1) | instskip(SKIP_1) | instid1(VALU_DEP_1)
	v_trunc_f32_e32 v1, v1
	s_wait_xcnt 0x1
	v_mul_f32_e64 v4, 0x2f800000, |v1|
	s_delay_alu instid0(VALU_DEP_1) | instskip(NEXT) | instid1(VALU_DEP_1)
	v_floor_f32_e32 v4, v4
	v_fma_f32 v4, 0xcf800000, v4, |v1|
	v_ashrrev_i32_e32 v1, 31, v1
	s_delay_alu instid0(VALU_DEP_2) | instskip(NEXT) | instid1(VALU_DEP_1)
	v_cvt_u32_f32_e32 v4, v4
	v_xor_b32_e32 v4, v4, v1
	s_delay_alu instid0(VALU_DEP_1)
	v_sub_nc_u32_e32 v4, v4, v1
	s_branch .LBB46_2511
.LBB46_2506:
	s_mov_b32 s3, -1
	s_branch .LBB46_2510
.LBB46_2507:
	s_and_not1_saveexec_b32 s3, s3
	s_cbranch_execz .LBB46_2488
.LBB46_2508:
	v_cmp_ne_u16_e32 vcc_lo, 0, v1
	s_and_not1_b32 s6, s6, exec_lo
	s_and_b32 s7, vcc_lo, exec_lo
	s_delay_alu instid0(SALU_CYCLE_1)
	s_or_b32 s6, s6, s7
	s_or_b32 exec_lo, exec_lo, s3
	v_mov_b32_e32 v4, 0
	s_and_saveexec_b32 s3, s6
	s_cbranch_execnz .LBB46_2489
	s_branch .LBB46_2490
.LBB46_2509:
	s_mov_b32 s2, -1
.LBB46_2510:
                                        ; implicit-def: $vgpr4
.LBB46_2511:
	s_and_b32 vcc_lo, exec_lo, s3
	s_mov_b32 s3, 0
	s_cbranch_vccz .LBB46_2513
; %bb.2512:
	s_cmp_lg_u32 s0, 11
	s_mov_b32 s3, -1
	s_cselect_b32 s2, -1, 0
.LBB46_2513:
	s_delay_alu instid0(SALU_CYCLE_1)
	s_and_b32 vcc_lo, exec_lo, s2
	s_cbranch_vccnz .LBB46_3053
; %bb.2514:
	s_and_not1_b32 vcc_lo, exec_lo, s3
	s_cbranch_vccnz .LBB46_2516
.LBB46_2515:
	s_wait_loadcnt 0x0
	global_load_u8 v1, v[2:3], off
	s_mov_b32 s6, -1
	s_wait_loadcnt 0x0
	v_cmp_ne_u16_e32 vcc_lo, 0, v1
	s_wait_xcnt 0x1
	v_cndmask_b32_e64 v4, 0, 1, vcc_lo
.LBB46_2516:
	s_mov_b32 s0, 0
.LBB46_2517:
	s_delay_alu instid0(SALU_CYCLE_1)
	s_and_b32 vcc_lo, exec_lo, s0
	s_cbranch_vccz .LBB46_2566
; %bb.2518:
	s_and_b32 s0, 0xffff, s1
	s_delay_alu instid0(SALU_CYCLE_1)
	s_cmp_lt_i32 s0, 5
	s_cbranch_scc1 .LBB46_2523
; %bb.2519:
	s_cmp_lt_i32 s0, 8
	s_cbranch_scc1 .LBB46_2524
; %bb.2520:
	;; [unrolled: 3-line block ×3, first 2 shown]
	s_cmp_gt_i32 s0, 9
	s_cbranch_scc0 .LBB46_2526
; %bb.2522:
	s_wait_loadcnt 0x0
	global_load_b64 v[4:5], v[2:3], off
	s_mov_b32 s1, 0
	s_wait_loadcnt 0x0
	v_trunc_f64_e32 v[4:5], v[4:5]
	s_delay_alu instid0(VALU_DEP_1) | instskip(NEXT) | instid1(VALU_DEP_1)
	v_ldexp_f64 v[8:9], v[4:5], 0xffffffe0
	v_floor_f64_e32 v[8:9], v[8:9]
	s_delay_alu instid0(VALU_DEP_1) | instskip(NEXT) | instid1(VALU_DEP_1)
	v_fmamk_f64 v[4:5], v[8:9], 0xc1f00000, v[4:5]
	v_cvt_u32_f64_e32 v4, v[4:5]
	s_branch .LBB46_2527
.LBB46_2523:
	s_mov_b32 s1, -1
                                        ; implicit-def: $vgpr4
	s_branch .LBB46_2545
.LBB46_2524:
	s_mov_b32 s1, -1
                                        ; implicit-def: $vgpr4
	s_branch .LBB46_2533
.LBB46_2525:
	s_mov_b32 s1, -1
                                        ; implicit-def: $vgpr4
	s_branch .LBB46_2530
.LBB46_2526:
	s_mov_b32 s1, -1
                                        ; implicit-def: $vgpr4
.LBB46_2527:
	s_delay_alu instid0(SALU_CYCLE_1)
	s_and_not1_b32 vcc_lo, exec_lo, s1
	s_cbranch_vccnz .LBB46_2529
; %bb.2528:
	s_wait_loadcnt 0x0
	global_load_b32 v1, v[2:3], off
	s_wait_loadcnt 0x0
	v_trunc_f32_e32 v1, v1
	s_wait_xcnt 0x1
	s_delay_alu instid0(VALU_DEP_1) | instskip(NEXT) | instid1(VALU_DEP_1)
	v_mul_f32_e64 v4, 0x2f800000, |v1|
	v_floor_f32_e32 v4, v4
	s_delay_alu instid0(VALU_DEP_1) | instskip(SKIP_1) | instid1(VALU_DEP_2)
	v_fma_f32 v4, 0xcf800000, v4, |v1|
	v_ashrrev_i32_e32 v1, 31, v1
	v_cvt_u32_f32_e32 v4, v4
	s_delay_alu instid0(VALU_DEP_1) | instskip(NEXT) | instid1(VALU_DEP_1)
	v_xor_b32_e32 v4, v4, v1
	v_sub_nc_u32_e32 v4, v4, v1
.LBB46_2529:
	s_mov_b32 s1, 0
.LBB46_2530:
	s_delay_alu instid0(SALU_CYCLE_1)
	s_and_not1_b32 vcc_lo, exec_lo, s1
	s_cbranch_vccnz .LBB46_2532
; %bb.2531:
	s_wait_loadcnt 0x0
	global_load_b32 v1, v[2:3], off
	s_wait_loadcnt 0x0
	v_cvt_f32_f16_e32 v1, v1
	s_wait_xcnt 0x1
	s_delay_alu instid0(VALU_DEP_1)
	v_cvt_i32_f32_e32 v4, v1
.LBB46_2532:
	s_mov_b32 s1, 0
.LBB46_2533:
	s_delay_alu instid0(SALU_CYCLE_1)
	s_and_not1_b32 vcc_lo, exec_lo, s1
	s_cbranch_vccnz .LBB46_2544
; %bb.2534:
	s_cmp_lt_i32 s0, 6
	s_cbranch_scc1 .LBB46_2537
; %bb.2535:
	s_cmp_gt_i32 s0, 6
	s_cbranch_scc0 .LBB46_2538
; %bb.2536:
	s_wait_loadcnt 0x0
	global_load_b64 v[4:5], v[2:3], off
	s_mov_b32 s1, 0
	s_wait_loadcnt 0x0
	v_trunc_f64_e32 v[4:5], v[4:5]
	s_delay_alu instid0(VALU_DEP_1) | instskip(NEXT) | instid1(VALU_DEP_1)
	v_ldexp_f64 v[8:9], v[4:5], 0xffffffe0
	v_floor_f64_e32 v[8:9], v[8:9]
	s_delay_alu instid0(VALU_DEP_1) | instskip(NEXT) | instid1(VALU_DEP_1)
	v_fmamk_f64 v[4:5], v[8:9], 0xc1f00000, v[4:5]
	v_cvt_u32_f64_e32 v4, v[4:5]
	s_branch .LBB46_2539
.LBB46_2537:
	s_mov_b32 s1, -1
                                        ; implicit-def: $vgpr4
	s_branch .LBB46_2542
.LBB46_2538:
	s_mov_b32 s1, -1
                                        ; implicit-def: $vgpr4
.LBB46_2539:
	s_delay_alu instid0(SALU_CYCLE_1)
	s_and_not1_b32 vcc_lo, exec_lo, s1
	s_cbranch_vccnz .LBB46_2541
; %bb.2540:
	s_wait_loadcnt 0x0
	global_load_b32 v1, v[2:3], off
	s_wait_loadcnt 0x0
	v_trunc_f32_e32 v1, v1
	s_wait_xcnt 0x1
	s_delay_alu instid0(VALU_DEP_1) | instskip(NEXT) | instid1(VALU_DEP_1)
	v_mul_f32_e64 v4, 0x2f800000, |v1|
	v_floor_f32_e32 v4, v4
	s_delay_alu instid0(VALU_DEP_1) | instskip(SKIP_1) | instid1(VALU_DEP_2)
	v_fma_f32 v4, 0xcf800000, v4, |v1|
	v_ashrrev_i32_e32 v1, 31, v1
	v_cvt_u32_f32_e32 v4, v4
	s_delay_alu instid0(VALU_DEP_1) | instskip(NEXT) | instid1(VALU_DEP_1)
	v_xor_b32_e32 v4, v4, v1
	v_sub_nc_u32_e32 v4, v4, v1
.LBB46_2541:
	s_mov_b32 s1, 0
.LBB46_2542:
	s_delay_alu instid0(SALU_CYCLE_1)
	s_and_not1_b32 vcc_lo, exec_lo, s1
	s_cbranch_vccnz .LBB46_2544
; %bb.2543:
	s_wait_loadcnt 0x0
	global_load_u16 v1, v[2:3], off
	s_wait_loadcnt 0x0
	v_cvt_f32_f16_e32 v1, v1
	s_wait_xcnt 0x1
	s_delay_alu instid0(VALU_DEP_1)
	v_cvt_i32_f32_e32 v4, v1
.LBB46_2544:
	s_mov_b32 s1, 0
.LBB46_2545:
	s_delay_alu instid0(SALU_CYCLE_1)
	s_and_not1_b32 vcc_lo, exec_lo, s1
	s_cbranch_vccnz .LBB46_2565
; %bb.2546:
	s_cmp_lt_i32 s0, 2
	s_cbranch_scc1 .LBB46_2550
; %bb.2547:
	s_cmp_lt_i32 s0, 3
	s_cbranch_scc1 .LBB46_2551
; %bb.2548:
	s_cmp_gt_i32 s0, 3
	s_cbranch_scc0 .LBB46_2552
; %bb.2549:
	s_wait_loadcnt 0x0
	global_load_b64 v[4:5], v[2:3], off
	s_mov_b32 s1, 0
	s_branch .LBB46_2553
.LBB46_2550:
	s_mov_b32 s1, -1
                                        ; implicit-def: $vgpr4
	s_branch .LBB46_2559
.LBB46_2551:
	s_mov_b32 s1, -1
                                        ; implicit-def: $vgpr4
	s_branch .LBB46_2556
.LBB46_2552:
	s_mov_b32 s1, -1
                                        ; implicit-def: $vgpr4
.LBB46_2553:
	s_delay_alu instid0(SALU_CYCLE_1)
	s_and_not1_b32 vcc_lo, exec_lo, s1
	s_cbranch_vccnz .LBB46_2555
; %bb.2554:
	s_wait_loadcnt 0x0
	global_load_b32 v4, v[2:3], off
.LBB46_2555:
	s_mov_b32 s1, 0
.LBB46_2556:
	s_delay_alu instid0(SALU_CYCLE_1)
	s_and_not1_b32 vcc_lo, exec_lo, s1
	s_cbranch_vccnz .LBB46_2558
; %bb.2557:
	s_wait_loadcnt 0x0
	global_load_u16 v4, v[2:3], off
.LBB46_2558:
	s_mov_b32 s1, 0
.LBB46_2559:
	s_delay_alu instid0(SALU_CYCLE_1)
	s_and_not1_b32 vcc_lo, exec_lo, s1
	s_cbranch_vccnz .LBB46_2565
; %bb.2560:
	s_cmp_gt_i32 s0, 0
	s_mov_b32 s0, 0
	s_cbranch_scc0 .LBB46_2562
; %bb.2561:
	s_wait_loadcnt 0x0
	global_load_u8 v4, v[2:3], off
	s_branch .LBB46_2563
.LBB46_2562:
	s_mov_b32 s0, -1
                                        ; implicit-def: $vgpr4
.LBB46_2563:
	s_delay_alu instid0(SALU_CYCLE_1)
	s_and_not1_b32 vcc_lo, exec_lo, s0
	s_cbranch_vccnz .LBB46_2565
; %bb.2564:
	s_wait_loadcnt 0x0
	global_load_u8 v4, v[2:3], off
.LBB46_2565:
	s_mov_b32 s6, -1
.LBB46_2566:
	s_delay_alu instid0(SALU_CYCLE_1)
	s_and_not1_b32 vcc_lo, exec_lo, s6
	s_cbranch_vccnz .LBB46_2651
; %bb.2567:
	s_wait_loadcnt 0x0
	s_delay_alu instid0(VALU_DEP_4) | instskip(SKIP_1) | instid1(VALU_DEP_1)
	v_and_b32_e32 v1, 0xff, v0
	s_mov_b32 s1, 0
	v_cmp_ne_u16_e32 vcc_lo, 0, v1
	s_delay_alu instid0(VALU_DEP_3)
	v_mov_b32_e32 v1, v4
	s_wait_xcnt 0x0
	s_and_saveexec_b32 s0, vcc_lo
	s_cbranch_execz .LBB46_2571
; %bb.2568:
	v_dual_mov_b32 v3, v0 :: v_dual_mov_b32 v2, v4
.LBB46_2569:                            ; =>This Inner Loop Header: Depth=1
	s_delay_alu instid0(VALU_DEP_1) | instskip(NEXT) | instid1(VALU_DEP_2)
	v_cvt_f32_ubyte0_e32 v7, v2
	v_mov_b32_e32 v1, v3
	s_delay_alu instid0(VALU_DEP_1) | instskip(NEXT) | instid1(VALU_DEP_1)
	v_cvt_f32_ubyte0_e32 v3, v1
	v_rcp_iflag_f32_e32 v5, v3
	v_nop
	s_delay_alu instid0(TRANS32_DEP_1) | instskip(NEXT) | instid1(VALU_DEP_1)
	v_mul_f32_e32 v5, v7, v5
	v_trunc_f32_e32 v5, v5
	s_delay_alu instid0(VALU_DEP_1) | instskip(SKIP_1) | instid1(VALU_DEP_2)
	v_fma_f32 v7, -v5, v3, v7
	v_cvt_u32_f32_e32 v5, v5
	v_cmp_ge_f32_e64 vcc_lo, |v7|, v3
	s_delay_alu instid0(VALU_DEP_1) | instskip(NEXT) | instid1(VALU_DEP_1)
	v_add_co_ci_u32_e64 v3, null, 0, v5, vcc_lo
	v_mul_lo_u32 v3, v3, v1
	s_delay_alu instid0(VALU_DEP_1) | instskip(NEXT) | instid1(VALU_DEP_1)
	v_sub_nc_u32_e32 v2, v2, v3
	v_and_b32_e32 v3, 0xff, v2
	v_mov_b32_e32 v2, v1
	s_delay_alu instid0(VALU_DEP_2) | instskip(SKIP_1) | instid1(SALU_CYCLE_1)
	v_cmp_eq_u16_e32 vcc_lo, 0, v3
	s_or_b32 s1, vcc_lo, s1
	s_and_not1_b32 exec_lo, exec_lo, s1
	s_cbranch_execnz .LBB46_2569
; %bb.2570:
	s_or_b32 exec_lo, exec_lo, s1
.LBB46_2571:
	s_delay_alu instid0(SALU_CYCLE_1) | instskip(SKIP_3) | instid1(VALU_DEP_2)
	s_or_b32 exec_lo, exec_lo, s0
	v_and_b32_e32 v2, 0xff, v1
	v_mov_b32_e32 v5, 0
	s_mov_b32 s0, exec_lo
	v_cmpx_ne_u16_e32 0, v2
	s_cbranch_execz .LBB46_2573
; %bb.2572:
	v_cvt_f32_ubyte0_e32 v1, v1
	v_cvt_f32_ubyte0_e32 v0, v0
	s_delay_alu instid0(VALU_DEP_2) | instskip(SKIP_1) | instid1(TRANS32_DEP_1)
	v_rcp_iflag_f32_e32 v2, v1
	v_nop
	v_mul_f32_e32 v2, v0, v2
	s_delay_alu instid0(VALU_DEP_1) | instskip(NEXT) | instid1(VALU_DEP_1)
	v_trunc_f32_e32 v2, v2
	v_fma_f32 v0, -v2, v1, v0
	v_cvt_u32_f32_e32 v2, v2
	s_delay_alu instid0(VALU_DEP_2) | instskip(NEXT) | instid1(VALU_DEP_1)
	v_cmp_ge_f32_e64 vcc_lo, |v0|, v1
	v_add_co_ci_u32_e64 v0, null, 0, v2, vcc_lo
	s_delay_alu instid0(VALU_DEP_1)
	v_mul_lo_u16 v5, v0, v4
.LBB46_2573:
	s_or_b32 exec_lo, exec_lo, s0
	v_mul_lo_u32 v0, s8, v10
	s_and_b32 s16, s11, 0xff
	s_delay_alu instid0(SALU_CYCLE_1) | instskip(NEXT) | instid1(VALU_DEP_1)
	s_cmp_lt_i32 s16, 11
	v_ashrrev_i32_e32 v1, 31, v0
	s_delay_alu instid0(VALU_DEP_1)
	v_add_nc_u64_e32 v[2:3], s[4:5], v[0:1]
	s_cbranch_scc1 .LBB46_2696
; %bb.2574:
	s_and_b32 s1, 0xffff, s16
	s_mov_b32 s6, -1
	s_mov_b32 s2, 0
	s_cmp_gt_i32 s1, 25
	s_mov_b32 s3, 0
	s_mov_b32 s0, 0
	s_cbranch_scc0 .LBB46_2607
; %bb.2575:
	s_cmp_gt_i32 s1, 28
	s_cbranch_scc0 .LBB46_2590
; %bb.2576:
	s_cmp_gt_i32 s1, 43
	;; [unrolled: 3-line block ×3, first 2 shown]
	s_cbranch_scc0 .LBB46_2580
; %bb.2578:
	s_mov_b32 s0, -1
	s_mov_b32 s6, 0
	s_cmp_eq_u32 s1, 46
	s_cbranch_scc0 .LBB46_2580
; %bb.2579:
	v_cvt_f32_ubyte0_e32 v1, v11
	s_mov_b32 s0, 0
	s_mov_b32 s3, -1
	s_delay_alu instid0(VALU_DEP_1) | instskip(NEXT) | instid1(VALU_DEP_1)
	v_bfe_u32 v4, v1, 16, 1
	v_add3_u32 v1, v1, v4, 0x7fff
	s_delay_alu instid0(VALU_DEP_1)
	v_lshrrev_b32_e32 v1, 16, v1
	global_store_b32 v[2:3], v1, off
.LBB46_2580:
	s_and_b32 vcc_lo, exec_lo, s6
	s_cbranch_vccz .LBB46_2585
; %bb.2581:
	s_cmp_eq_u32 s1, 44
	s_mov_b32 s0, -1
	s_cbranch_scc0 .LBB46_2585
; %bb.2582:
	v_cvt_f32_ubyte0_e32 v7, v11
	s_mov_b32 s3, exec_lo
	s_wait_xcnt 0x0
	s_delay_alu instid0(VALU_DEP_1) | instskip(NEXT) | instid1(VALU_DEP_1)
	v_dual_mov_b32 v4, 0xff :: v_dual_lshrrev_b32 v1, 23, v7
	v_cmpx_ne_u32_e32 0xff, v1
; %bb.2583:
	v_and_b32_e32 v4, 0x400000, v7
	v_and_or_b32 v7, 0x3fffff, v7, v1
	s_delay_alu instid0(VALU_DEP_2) | instskip(NEXT) | instid1(VALU_DEP_2)
	v_cmp_ne_u32_e32 vcc_lo, 0, v4
	v_cmp_ne_u32_e64 s0, 0, v7
	s_and_b32 s0, vcc_lo, s0
	s_delay_alu instid0(SALU_CYCLE_1) | instskip(NEXT) | instid1(VALU_DEP_1)
	v_cndmask_b32_e64 v4, 0, 1, s0
	v_add_nc_u32_e32 v4, v1, v4
; %bb.2584:
	s_or_b32 exec_lo, exec_lo, s3
	s_mov_b32 s0, 0
	s_mov_b32 s3, -1
	global_store_b8 v[2:3], v4, off
.LBB46_2585:
	s_mov_b32 s6, 0
.LBB46_2586:
	s_delay_alu instid0(SALU_CYCLE_1)
	s_and_b32 vcc_lo, exec_lo, s6
	s_cbranch_vccz .LBB46_2589
; %bb.2587:
	s_cmp_eq_u32 s1, 29
	s_mov_b32 s0, -1
	s_cbranch_scc0 .LBB46_2589
; %bb.2588:
	v_and_b32_e32 v8, 0xff, v11
	v_mov_b32_e32 v9, 0
	s_mov_b32 s0, 0
	s_mov_b32 s3, -1
	global_store_b64 v[2:3], v[8:9], off
.LBB46_2589:
	s_mov_b32 s6, 0
.LBB46_2590:
	s_delay_alu instid0(SALU_CYCLE_1)
	s_and_b32 vcc_lo, exec_lo, s6
	s_cbranch_vccz .LBB46_2606
; %bb.2591:
	s_cmp_lt_i32 s1, 27
	s_mov_b32 s3, -1
	s_cbranch_scc1 .LBB46_2597
; %bb.2592:
	s_cmp_gt_i32 s1, 27
	s_cbranch_scc0 .LBB46_2594
; %bb.2593:
	s_wait_xcnt 0x0
	v_and_b32_e32 v1, 0xff, v11
	s_mov_b32 s3, 0
	global_store_b32 v[2:3], v1, off
.LBB46_2594:
	s_and_not1_b32 vcc_lo, exec_lo, s3
	s_cbranch_vccnz .LBB46_2596
; %bb.2595:
	s_wait_xcnt 0x0
	v_and_b32_e32 v1, 0xff, v11
	global_store_b16 v[2:3], v1, off
.LBB46_2596:
	s_mov_b32 s3, 0
.LBB46_2597:
	s_delay_alu instid0(SALU_CYCLE_1)
	s_and_not1_b32 vcc_lo, exec_lo, s3
	s_cbranch_vccnz .LBB46_2605
; %bb.2598:
	s_wait_xcnt 0x0
	v_cvt_f32_ubyte0_e32 v4, v11
	v_mov_b32_e32 v7, 0x80
	s_mov_b32 s3, exec_lo
	s_delay_alu instid0(VALU_DEP_2)
	v_cmpx_gt_u32_e32 0x43800000, v4
	s_cbranch_execz .LBB46_2604
; %bb.2599:
	s_mov_b32 s6, 0
	s_mov_b32 s7, exec_lo
                                        ; implicit-def: $vgpr1
	v_cmpx_lt_u32_e32 0x3bffffff, v4
	s_xor_b32 s7, exec_lo, s7
	s_cbranch_execz .LBB46_3054
; %bb.2600:
	v_bfe_u32 v1, v4, 20, 1
	s_mov_b32 s6, exec_lo
	s_delay_alu instid0(VALU_DEP_1) | instskip(NEXT) | instid1(VALU_DEP_1)
	v_add3_u32 v1, v4, v1, 0x487ffff
                                        ; implicit-def: $vgpr4
	v_lshrrev_b32_e32 v1, 20, v1
	s_and_not1_saveexec_b32 s7, s7
	s_cbranch_execnz .LBB46_3055
.LBB46_2601:
	s_or_b32 exec_lo, exec_lo, s7
	v_mov_b32_e32 v7, 0
	s_and_saveexec_b32 s7, s6
.LBB46_2602:
	v_mov_b32_e32 v7, v1
.LBB46_2603:
	s_or_b32 exec_lo, exec_lo, s7
.LBB46_2604:
	s_delay_alu instid0(SALU_CYCLE_1)
	s_or_b32 exec_lo, exec_lo, s3
	global_store_b8 v[2:3], v7, off
.LBB46_2605:
	s_mov_b32 s3, -1
.LBB46_2606:
	s_mov_b32 s6, 0
.LBB46_2607:
	s_delay_alu instid0(SALU_CYCLE_1)
	s_and_b32 vcc_lo, exec_lo, s6
	s_cbranch_vccz .LBB46_2647
; %bb.2608:
	s_cmp_gt_i32 s1, 22
	s_mov_b32 s2, -1
	s_cbranch_scc0 .LBB46_2640
; %bb.2609:
	s_cmp_lt_i32 s1, 24
	s_cbranch_scc1 .LBB46_2629
; %bb.2610:
	s_cmp_gt_i32 s1, 24
	s_cbranch_scc0 .LBB46_2618
; %bb.2611:
	s_wait_xcnt 0x0
	v_cvt_f32_ubyte0_e32 v4, v11
	v_mov_b32_e32 v7, 0x80
	s_mov_b32 s2, exec_lo
	s_delay_alu instid0(VALU_DEP_2)
	v_cmpx_gt_u32_e32 0x47800000, v4
	s_cbranch_execz .LBB46_2617
; %bb.2612:
	s_mov_b32 s3, 0
	s_mov_b32 s6, exec_lo
                                        ; implicit-def: $vgpr1
	v_cmpx_lt_u32_e32 0x37ffffff, v4
	s_xor_b32 s6, exec_lo, s6
	s_cbranch_execz .LBB46_3057
; %bb.2613:
	v_bfe_u32 v1, v4, 21, 1
	s_mov_b32 s3, exec_lo
	s_delay_alu instid0(VALU_DEP_1) | instskip(NEXT) | instid1(VALU_DEP_1)
	v_add3_u32 v1, v4, v1, 0x88fffff
                                        ; implicit-def: $vgpr4
	v_lshrrev_b32_e32 v1, 21, v1
	s_and_not1_saveexec_b32 s6, s6
	s_cbranch_execnz .LBB46_3058
.LBB46_2614:
	s_or_b32 exec_lo, exec_lo, s6
	v_mov_b32_e32 v7, 0
	s_and_saveexec_b32 s6, s3
.LBB46_2615:
	v_mov_b32_e32 v7, v1
.LBB46_2616:
	s_or_b32 exec_lo, exec_lo, s6
.LBB46_2617:
	s_delay_alu instid0(SALU_CYCLE_1)
	s_or_b32 exec_lo, exec_lo, s2
	s_mov_b32 s2, 0
	global_store_b8 v[2:3], v7, off
.LBB46_2618:
	s_and_b32 vcc_lo, exec_lo, s2
	s_cbranch_vccz .LBB46_2628
; %bb.2619:
	s_wait_xcnt 0x0
	v_cvt_f32_ubyte0_e32 v4, v11
	s_mov_b32 s2, exec_lo
                                        ; implicit-def: $vgpr1
	s_delay_alu instid0(VALU_DEP_1)
	v_cmpx_gt_u32_e32 0x43f00000, v4
	s_xor_b32 s2, exec_lo, s2
	s_cbranch_execz .LBB46_2625
; %bb.2620:
	s_mov_b32 s3, exec_lo
                                        ; implicit-def: $vgpr1
	v_cmpx_lt_u32_e32 0x3c7fffff, v4
	s_xor_b32 s3, exec_lo, s3
; %bb.2621:
	v_bfe_u32 v1, v4, 20, 1
	s_delay_alu instid0(VALU_DEP_1) | instskip(NEXT) | instid1(VALU_DEP_1)
	v_add3_u32 v1, v4, v1, 0x407ffff
	v_and_b32_e32 v4, 0xff00000, v1
	v_lshrrev_b32_e32 v1, 20, v1
	s_delay_alu instid0(VALU_DEP_2) | instskip(NEXT) | instid1(VALU_DEP_2)
	v_cmp_ne_u32_e32 vcc_lo, 0x7f00000, v4
                                        ; implicit-def: $vgpr4
	v_cndmask_b32_e32 v1, 0x7e, v1, vcc_lo
; %bb.2622:
	s_and_not1_saveexec_b32 s3, s3
; %bb.2623:
	v_add_f32_e32 v1, 0x46800000, v4
; %bb.2624:
	s_or_b32 exec_lo, exec_lo, s3
                                        ; implicit-def: $vgpr4
.LBB46_2625:
	s_and_not1_saveexec_b32 s2, s2
; %bb.2626:
	v_mov_b32_e32 v1, 0x7f
	v_cmp_lt_u32_e32 vcc_lo, 0x7f800000, v4
	s_delay_alu instid0(VALU_DEP_2)
	v_cndmask_b32_e32 v1, 0x7e, v1, vcc_lo
; %bb.2627:
	s_or_b32 exec_lo, exec_lo, s2
	global_store_b8 v[2:3], v1, off
.LBB46_2628:
	s_mov_b32 s2, 0
.LBB46_2629:
	s_delay_alu instid0(SALU_CYCLE_1)
	s_and_not1_b32 vcc_lo, exec_lo, s2
	s_cbranch_vccnz .LBB46_2639
; %bb.2630:
	s_wait_xcnt 0x0
	v_cvt_f32_ubyte0_e32 v4, v11
	s_mov_b32 s2, exec_lo
                                        ; implicit-def: $vgpr1
	s_delay_alu instid0(VALU_DEP_1)
	v_cmpx_gt_u32_e32 0x47800000, v4
	s_xor_b32 s2, exec_lo, s2
	s_cbranch_execz .LBB46_2636
; %bb.2631:
	s_mov_b32 s3, exec_lo
                                        ; implicit-def: $vgpr1
	v_cmpx_lt_u32_e32 0x387fffff, v4
	s_xor_b32 s3, exec_lo, s3
; %bb.2632:
	v_bfe_u32 v1, v4, 21, 1
	s_delay_alu instid0(VALU_DEP_1) | instskip(NEXT) | instid1(VALU_DEP_1)
	v_add3_u32 v1, v4, v1, 0x80fffff
                                        ; implicit-def: $vgpr4
	v_lshrrev_b32_e32 v1, 21, v1
; %bb.2633:
	s_and_not1_saveexec_b32 s3, s3
; %bb.2634:
	v_add_f32_e32 v1, 0x43000000, v4
; %bb.2635:
	s_or_b32 exec_lo, exec_lo, s3
                                        ; implicit-def: $vgpr4
.LBB46_2636:
	s_and_not1_saveexec_b32 s2, s2
; %bb.2637:
	v_mov_b32_e32 v1, 0x7f
	v_cmp_lt_u32_e32 vcc_lo, 0x7f800000, v4
	s_delay_alu instid0(VALU_DEP_2)
	v_cndmask_b32_e32 v1, 0x7c, v1, vcc_lo
; %bb.2638:
	s_or_b32 exec_lo, exec_lo, s2
	global_store_b8 v[2:3], v1, off
.LBB46_2639:
	s_mov_b32 s2, 0
	s_mov_b32 s3, -1
.LBB46_2640:
	s_and_not1_b32 vcc_lo, exec_lo, s2
	s_mov_b32 s2, 0
	s_cbranch_vccnz .LBB46_2647
; %bb.2641:
	s_cmp_gt_i32 s1, 14
	s_mov_b32 s2, -1
	s_cbranch_scc0 .LBB46_2645
; %bb.2642:
	s_cmp_eq_u32 s1, 15
	s_mov_b32 s0, -1
	s_cbranch_scc0 .LBB46_2644
; %bb.2643:
	s_wait_xcnt 0x0
	v_cvt_f32_ubyte0_e32 v1, v11
	s_mov_b32 s0, 0
	s_mov_b32 s3, -1
	s_delay_alu instid0(VALU_DEP_1) | instskip(NEXT) | instid1(VALU_DEP_1)
	v_bfe_u32 v4, v1, 16, 1
	v_add3_u32 v1, v1, v4, 0x7fff
	global_store_d16_hi_b16 v[2:3], v1, off
.LBB46_2644:
	s_mov_b32 s2, 0
.LBB46_2645:
	s_delay_alu instid0(SALU_CYCLE_1)
	s_and_b32 vcc_lo, exec_lo, s2
	s_mov_b32 s2, 0
	s_cbranch_vccz .LBB46_2647
; %bb.2646:
	s_cmp_lg_u32 s1, 11
	s_mov_b32 s2, -1
	s_cselect_b32 s0, -1, 0
.LBB46_2647:
	s_delay_alu instid0(SALU_CYCLE_1)
	s_and_b32 vcc_lo, exec_lo, s0
	s_cbranch_vccnz .LBB46_3056
; %bb.2648:
	s_and_not1_b32 vcc_lo, exec_lo, s2
	s_cbranch_vccnz .LBB46_2650
.LBB46_2649:
	s_wait_xcnt 0x0
	v_and_b32_e32 v1, 0xff, v11
	s_mov_b32 s3, -1
	s_delay_alu instid0(VALU_DEP_1)
	v_cmp_ne_u16_e32 vcc_lo, 0, v1
	v_cndmask_b32_e64 v1, 0, 1, vcc_lo
	global_store_b8 v[2:3], v1, off
.LBB46_2650:
	s_mov_b32 s0, 0
	s_branch .LBB46_2697
.LBB46_2651:
	s_mov_b32 s0, 0
	s_mov_b32 s2, 0
                                        ; implicit-def: $sgpr16
                                        ; implicit-def: $vgpr0_vgpr1
                                        ; implicit-def: $vgpr5
.LBB46_2652:
	s_and_not1_b32 s1, s15, exec_lo
	s_and_b32 s3, s12, exec_lo
	s_and_b32 s0, s0, exec_lo
	;; [unrolled: 1-line block ×3, first 2 shown]
	s_or_b32 s15, s1, s3
.LBB46_2653:
	s_wait_xcnt 0x0
	s_or_b32 exec_lo, exec_lo, s14
	s_and_saveexec_b32 s1, s15
	s_cbranch_execz .LBB46_2656
; %bb.2654:
	; divergent unreachable
	s_or_b32 exec_lo, exec_lo, s1
	s_and_saveexec_b32 s1, s12
	s_delay_alu instid0(SALU_CYCLE_1)
	s_xor_b32 s1, exec_lo, s1
	s_cbranch_execnz .LBB46_2657
.LBB46_2655:
	s_or_b32 exec_lo, exec_lo, s1
	s_and_saveexec_b32 s1, s0
	s_cbranch_execnz .LBB46_2658
	s_branch .LBB46_2695
.LBB46_2656:
	s_or_b32 exec_lo, exec_lo, s1
	s_and_saveexec_b32 s1, s12
	s_delay_alu instid0(SALU_CYCLE_1)
	s_xor_b32 s1, exec_lo, s1
	s_cbranch_execz .LBB46_2655
.LBB46_2657:
	s_wait_loadcnt 0x0
	v_and_b32_e32 v2, 0xff, v5
	s_delay_alu instid0(VALU_DEP_1)
	v_cmp_ne_u16_e32 vcc_lo, 0, v2
	v_cndmask_b32_e64 v2, 0, 1, vcc_lo
	global_store_b8 v[0:1], v2, off
	s_wait_xcnt 0x0
	s_or_b32 exec_lo, exec_lo, s1
	s_and_saveexec_b32 s1, s0
	s_cbranch_execz .LBB46_2695
.LBB46_2658:
	s_sext_i32_i16 s1, s16
	s_mov_b32 s0, -1
	s_cmp_lt_i32 s1, 5
	s_cbranch_scc1 .LBB46_2679
; %bb.2659:
	s_cmp_lt_i32 s1, 8
	s_cbranch_scc1 .LBB46_2669
; %bb.2660:
	;; [unrolled: 3-line block ×3, first 2 shown]
	s_cmp_gt_i32 s1, 9
	s_cbranch_scc0 .LBB46_2663
; %bb.2662:
	s_wait_loadcnt 0x0
	v_and_b32_e32 v2, 0xff, v5
	v_mov_b32_e32 v8, 0
	s_mov_b32 s0, 0
	s_delay_alu instid0(VALU_DEP_2) | instskip(NEXT) | instid1(VALU_DEP_2)
	v_and_b32_e32 v2, 0xffff, v2
	v_mov_b32_e32 v9, v8
	s_delay_alu instid0(VALU_DEP_2)
	v_cvt_f64_u32_e32 v[6:7], v2
	global_store_b128 v[0:1], v[6:9], off
.LBB46_2663:
	s_and_not1_b32 vcc_lo, exec_lo, s0
	s_cbranch_vccnz .LBB46_2665
; %bb.2664:
	s_wait_loadcnt 0x0
	v_cvt_f32_ubyte0_e32 v2, v5
	v_mov_b32_e32 v3, 0
	global_store_b64 v[0:1], v[2:3], off
.LBB46_2665:
	s_mov_b32 s0, 0
.LBB46_2666:
	s_delay_alu instid0(SALU_CYCLE_1)
	s_and_not1_b32 vcc_lo, exec_lo, s0
	s_cbranch_vccnz .LBB46_2668
; %bb.2667:
	s_wait_loadcnt 0x0
	v_and_b32_e32 v2, 0xff, v5
	s_delay_alu instid0(VALU_DEP_1) | instskip(NEXT) | instid1(VALU_DEP_1)
	v_cvt_f16_u16_e32 v2, v2
	v_and_b32_e32 v2, 0xffff, v2
	global_store_b32 v[0:1], v2, off
.LBB46_2668:
	s_mov_b32 s0, 0
.LBB46_2669:
	s_delay_alu instid0(SALU_CYCLE_1)
	s_and_not1_b32 vcc_lo, exec_lo, s0
	s_cbranch_vccnz .LBB46_2678
; %bb.2670:
	s_sext_i32_i16 s1, s16
	s_mov_b32 s0, -1
	s_cmp_lt_i32 s1, 6
	s_cbranch_scc1 .LBB46_2676
; %bb.2671:
	s_cmp_gt_i32 s1, 6
	s_cbranch_scc0 .LBB46_2673
; %bb.2672:
	s_wait_loadcnt 0x0
	v_and_b32_e32 v2, 0xff, v5
	s_mov_b32 s0, 0
	s_delay_alu instid0(VALU_DEP_1) | instskip(NEXT) | instid1(VALU_DEP_1)
	v_and_b32_e32 v2, 0xffff, v2
	v_cvt_f64_u32_e32 v[2:3], v2
	global_store_b64 v[0:1], v[2:3], off
.LBB46_2673:
	s_and_not1_b32 vcc_lo, exec_lo, s0
	s_cbranch_vccnz .LBB46_2675
; %bb.2674:
	s_wait_loadcnt 0x0
	v_cvt_f32_ubyte0_e32 v2, v5
	global_store_b32 v[0:1], v2, off
.LBB46_2675:
	s_mov_b32 s0, 0
.LBB46_2676:
	s_delay_alu instid0(SALU_CYCLE_1)
	s_and_not1_b32 vcc_lo, exec_lo, s0
	s_cbranch_vccnz .LBB46_2678
; %bb.2677:
	s_wait_loadcnt 0x0
	v_and_b32_e32 v2, 0xff, v5
	s_delay_alu instid0(VALU_DEP_1)
	v_cvt_f16_u16_e32 v2, v2
	global_store_b16 v[0:1], v2, off
.LBB46_2678:
	s_mov_b32 s0, 0
.LBB46_2679:
	s_delay_alu instid0(SALU_CYCLE_1)
	s_and_not1_b32 vcc_lo, exec_lo, s0
	s_cbranch_vccnz .LBB46_2695
; %bb.2680:
	s_sext_i32_i16 s1, s16
	s_mov_b32 s0, -1
	s_cmp_lt_i32 s1, 2
	s_cbranch_scc1 .LBB46_2690
; %bb.2681:
	s_cmp_lt_i32 s1, 3
	s_cbranch_scc1 .LBB46_2687
; %bb.2682:
	s_cmp_gt_i32 s1, 3
	s_cbranch_scc0 .LBB46_2684
; %bb.2683:
	s_wait_loadcnt 0x0
	v_and_b32_e32 v2, 0xff, v5
	v_mov_b32_e32 v3, 0
	s_mov_b32 s0, 0
	global_store_b64 v[0:1], v[2:3], off
.LBB46_2684:
	s_and_not1_b32 vcc_lo, exec_lo, s0
	s_cbranch_vccnz .LBB46_2686
; %bb.2685:
	s_wait_loadcnt 0x0
	v_and_b32_e32 v2, 0xff, v5
	global_store_b32 v[0:1], v2, off
.LBB46_2686:
	s_mov_b32 s0, 0
.LBB46_2687:
	s_delay_alu instid0(SALU_CYCLE_1)
	s_and_not1_b32 vcc_lo, exec_lo, s0
	s_cbranch_vccnz .LBB46_2689
; %bb.2688:
	s_wait_loadcnt 0x0
	v_and_b32_e32 v2, 0xff, v5
	global_store_b16 v[0:1], v2, off
.LBB46_2689:
	s_mov_b32 s0, 0
.LBB46_2690:
	s_delay_alu instid0(SALU_CYCLE_1)
	s_and_not1_b32 vcc_lo, exec_lo, s0
	s_cbranch_vccnz .LBB46_2695
; %bb.2691:
	s_sext_i32_i16 s0, s16
	s_delay_alu instid0(SALU_CYCLE_1)
	s_cmp_gt_i32 s0, 0
	s_mov_b32 s0, -1
	s_cbranch_scc0 .LBB46_2693
; %bb.2692:
	s_mov_b32 s0, 0
	s_wait_loadcnt 0x0
	global_store_b8 v[0:1], v5, off
.LBB46_2693:
	s_and_not1_b32 vcc_lo, exec_lo, s0
	s_cbranch_vccnz .LBB46_2695
; %bb.2694:
	s_wait_loadcnt 0x0
	global_store_b8 v[0:1], v5, off
	s_endpgm
.LBB46_2695:
	s_endpgm
.LBB46_2696:
	s_mov_b32 s0, -1
	s_mov_b32 s3, 0
.LBB46_2697:
	s_and_b32 vcc_lo, exec_lo, s0
	s_cbranch_vccz .LBB46_2736
; %bb.2698:
	s_and_b32 s0, 0xffff, s16
	s_mov_b32 s1, -1
	s_cmp_lt_i32 s0, 5
	s_cbranch_scc1 .LBB46_2719
; %bb.2699:
	s_cmp_lt_i32 s0, 8
	s_cbranch_scc1 .LBB46_2709
; %bb.2700:
	s_cmp_lt_i32 s0, 9
	s_cbranch_scc1 .LBB46_2706
; %bb.2701:
	s_cmp_gt_i32 s0, 9
	s_cbranch_scc0 .LBB46_2703
; %bb.2702:
	s_wait_xcnt 0x0
	v_and_b32_e32 v1, 0xff, v11
	v_mov_b32_e32 v16, 0
	s_mov_b32 s1, 0
	s_delay_alu instid0(VALU_DEP_2) | instskip(NEXT) | instid1(VALU_DEP_2)
	v_and_b32_e32 v1, 0xffff, v1
	v_mov_b32_e32 v17, v16
	s_delay_alu instid0(VALU_DEP_2)
	v_cvt_f64_u32_e32 v[14:15], v1
	global_store_b128 v[2:3], v[14:17], off
.LBB46_2703:
	s_and_not1_b32 vcc_lo, exec_lo, s1
	s_cbranch_vccnz .LBB46_2705
; %bb.2704:
	s_wait_xcnt 0x0
	v_cvt_f32_ubyte0_e32 v8, v11
	v_mov_b32_e32 v9, 0
	global_store_b64 v[2:3], v[8:9], off
.LBB46_2705:
	s_mov_b32 s1, 0
.LBB46_2706:
	s_delay_alu instid0(SALU_CYCLE_1)
	s_and_not1_b32 vcc_lo, exec_lo, s1
	s_cbranch_vccnz .LBB46_2708
; %bb.2707:
	s_wait_xcnt 0x0
	v_and_b32_e32 v1, 0xff, v11
	s_delay_alu instid0(VALU_DEP_1) | instskip(NEXT) | instid1(VALU_DEP_1)
	v_cvt_f16_u16_e32 v1, v1
	v_and_b32_e32 v1, 0xffff, v1
	global_store_b32 v[2:3], v1, off
.LBB46_2708:
	s_mov_b32 s1, 0
.LBB46_2709:
	s_delay_alu instid0(SALU_CYCLE_1)
	s_and_not1_b32 vcc_lo, exec_lo, s1
	s_cbranch_vccnz .LBB46_2718
; %bb.2710:
	s_cmp_lt_i32 s0, 6
	s_mov_b32 s1, -1
	s_cbranch_scc1 .LBB46_2716
; %bb.2711:
	s_cmp_gt_i32 s0, 6
	s_cbranch_scc0 .LBB46_2713
; %bb.2712:
	s_wait_xcnt 0x0
	v_and_b32_e32 v1, 0xff, v11
	s_mov_b32 s1, 0
	s_delay_alu instid0(VALU_DEP_1) | instskip(NEXT) | instid1(VALU_DEP_1)
	v_and_b32_e32 v1, 0xffff, v1
	v_cvt_f64_u32_e32 v[8:9], v1
	global_store_b64 v[2:3], v[8:9], off
.LBB46_2713:
	s_and_not1_b32 vcc_lo, exec_lo, s1
	s_cbranch_vccnz .LBB46_2715
; %bb.2714:
	s_wait_xcnt 0x0
	v_cvt_f32_ubyte0_e32 v1, v11
	global_store_b32 v[2:3], v1, off
.LBB46_2715:
	s_mov_b32 s1, 0
.LBB46_2716:
	s_delay_alu instid0(SALU_CYCLE_1)
	s_and_not1_b32 vcc_lo, exec_lo, s1
	s_cbranch_vccnz .LBB46_2718
; %bb.2717:
	s_wait_xcnt 0x0
	v_and_b32_e32 v1, 0xff, v11
	s_delay_alu instid0(VALU_DEP_1)
	v_cvt_f16_u16_e32 v1, v1
	global_store_b16 v[2:3], v1, off
.LBB46_2718:
	s_mov_b32 s1, 0
.LBB46_2719:
	s_delay_alu instid0(SALU_CYCLE_1)
	s_and_not1_b32 vcc_lo, exec_lo, s1
	s_cbranch_vccnz .LBB46_2735
; %bb.2720:
	s_cmp_lt_i32 s0, 2
	s_mov_b32 s1, -1
	s_cbranch_scc1 .LBB46_2730
; %bb.2721:
	s_cmp_lt_i32 s0, 3
	s_cbranch_scc1 .LBB46_2727
; %bb.2722:
	s_cmp_gt_i32 s0, 3
	s_cbranch_scc0 .LBB46_2724
; %bb.2723:
	s_wait_xcnt 0x0
	v_and_b32_e32 v8, 0xff, v11
	v_mov_b32_e32 v9, 0
	s_mov_b32 s1, 0
	global_store_b64 v[2:3], v[8:9], off
.LBB46_2724:
	s_and_not1_b32 vcc_lo, exec_lo, s1
	s_cbranch_vccnz .LBB46_2726
; %bb.2725:
	s_wait_xcnt 0x0
	v_and_b32_e32 v1, 0xff, v11
	global_store_b32 v[2:3], v1, off
.LBB46_2726:
	s_mov_b32 s1, 0
.LBB46_2727:
	s_delay_alu instid0(SALU_CYCLE_1)
	s_and_not1_b32 vcc_lo, exec_lo, s1
	s_cbranch_vccnz .LBB46_2729
; %bb.2728:
	s_wait_xcnt 0x0
	v_and_b32_e32 v1, 0xff, v11
	global_store_b16 v[2:3], v1, off
.LBB46_2729:
	s_mov_b32 s1, 0
.LBB46_2730:
	s_delay_alu instid0(SALU_CYCLE_1)
	s_and_not1_b32 vcc_lo, exec_lo, s1
	s_cbranch_vccnz .LBB46_2735
; %bb.2731:
	s_cmp_gt_i32 s0, 0
	s_mov_b32 s0, -1
	s_cbranch_scc0 .LBB46_2733
; %bb.2732:
	s_mov_b32 s0, 0
	global_store_b8 v[2:3], v11, off
.LBB46_2733:
	s_and_not1_b32 vcc_lo, exec_lo, s0
	s_cbranch_vccnz .LBB46_2735
; %bb.2734:
	global_store_b8 v[2:3], v11, off
.LBB46_2735:
	s_mov_b32 s3, -1
.LBB46_2736:
	s_delay_alu instid0(SALU_CYCLE_1)
	s_and_not1_b32 vcc_lo, exec_lo, s3
	s_cbranch_vccnz .LBB46_3051
; %bb.2737:
	s_lshl_b32 s1, s8, 7
	s_cmp_lt_i32 s16, 11
	v_add_nc_u32_e32 v0, s1, v0
	s_wait_xcnt 0x0
	s_delay_alu instid0(VALU_DEP_1) | instskip(NEXT) | instid1(VALU_DEP_1)
	v_ashrrev_i32_e32 v1, 31, v0
	v_add_nc_u64_e32 v[2:3], s[4:5], v[0:1]
	s_cbranch_scc1 .LBB46_2815
; %bb.2738:
	s_and_b32 s2, 0xffff, s16
	s_mov_b32 s7, -1
	s_mov_b32 s3, 0
	s_cmp_gt_i32 s2, 25
	s_mov_b32 s6, 0
	s_mov_b32 s0, 0
	s_cbranch_scc0 .LBB46_2771
; %bb.2739:
	s_cmp_gt_i32 s2, 28
	s_cbranch_scc0 .LBB46_2754
; %bb.2740:
	s_cmp_gt_i32 s2, 43
	;; [unrolled: 3-line block ×3, first 2 shown]
	s_cbranch_scc0 .LBB46_2744
; %bb.2742:
	s_mov_b32 s0, -1
	s_mov_b32 s7, 0
	s_cmp_eq_u32 s2, 46
	s_cbranch_scc0 .LBB46_2744
; %bb.2743:
	v_cvt_f32_ubyte0_e32 v1, v12
	s_mov_b32 s0, 0
	s_mov_b32 s6, -1
	s_delay_alu instid0(VALU_DEP_1) | instskip(NEXT) | instid1(VALU_DEP_1)
	v_bfe_u32 v4, v1, 16, 1
	v_add3_u32 v1, v1, v4, 0x7fff
	s_delay_alu instid0(VALU_DEP_1)
	v_lshrrev_b32_e32 v1, 16, v1
	global_store_b32 v[2:3], v1, off
.LBB46_2744:
	s_and_b32 vcc_lo, exec_lo, s7
	s_cbranch_vccz .LBB46_2749
; %bb.2745:
	s_cmp_eq_u32 s2, 44
	s_mov_b32 s0, -1
	s_cbranch_scc0 .LBB46_2749
; %bb.2746:
	v_cvt_f32_ubyte0_e32 v7, v12
	s_mov_b32 s6, exec_lo
	s_wait_xcnt 0x0
	s_delay_alu instid0(VALU_DEP_1) | instskip(NEXT) | instid1(VALU_DEP_1)
	v_dual_mov_b32 v4, 0xff :: v_dual_lshrrev_b32 v1, 23, v7
	v_cmpx_ne_u32_e32 0xff, v1
; %bb.2747:
	v_and_b32_e32 v4, 0x400000, v7
	v_and_or_b32 v7, 0x3fffff, v7, v1
	s_delay_alu instid0(VALU_DEP_2) | instskip(NEXT) | instid1(VALU_DEP_2)
	v_cmp_ne_u32_e32 vcc_lo, 0, v4
	v_cmp_ne_u32_e64 s0, 0, v7
	s_and_b32 s0, vcc_lo, s0
	s_delay_alu instid0(SALU_CYCLE_1) | instskip(NEXT) | instid1(VALU_DEP_1)
	v_cndmask_b32_e64 v4, 0, 1, s0
	v_add_nc_u32_e32 v4, v1, v4
; %bb.2748:
	s_or_b32 exec_lo, exec_lo, s6
	s_mov_b32 s0, 0
	s_mov_b32 s6, -1
	global_store_b8 v[2:3], v4, off
.LBB46_2749:
	s_mov_b32 s7, 0
.LBB46_2750:
	s_delay_alu instid0(SALU_CYCLE_1)
	s_and_b32 vcc_lo, exec_lo, s7
	s_cbranch_vccz .LBB46_2753
; %bb.2751:
	s_cmp_eq_u32 s2, 29
	s_mov_b32 s0, -1
	s_cbranch_scc0 .LBB46_2753
; %bb.2752:
	v_and_b32_e32 v8, 0xff, v12
	v_mov_b32_e32 v9, 0
	s_mov_b32 s0, 0
	s_mov_b32 s6, -1
	global_store_b64 v[2:3], v[8:9], off
.LBB46_2753:
	s_mov_b32 s7, 0
.LBB46_2754:
	s_delay_alu instid0(SALU_CYCLE_1)
	s_and_b32 vcc_lo, exec_lo, s7
	s_cbranch_vccz .LBB46_2770
; %bb.2755:
	s_cmp_lt_i32 s2, 27
	s_mov_b32 s6, -1
	s_cbranch_scc1 .LBB46_2761
; %bb.2756:
	s_cmp_gt_i32 s2, 27
	s_cbranch_scc0 .LBB46_2758
; %bb.2757:
	s_wait_xcnt 0x0
	v_and_b32_e32 v1, 0xff, v12
	s_mov_b32 s6, 0
	global_store_b32 v[2:3], v1, off
.LBB46_2758:
	s_and_not1_b32 vcc_lo, exec_lo, s6
	s_cbranch_vccnz .LBB46_2760
; %bb.2759:
	s_wait_xcnt 0x0
	v_and_b32_e32 v1, 0xff, v12
	global_store_b16 v[2:3], v1, off
.LBB46_2760:
	s_mov_b32 s6, 0
.LBB46_2761:
	s_delay_alu instid0(SALU_CYCLE_1)
	s_and_not1_b32 vcc_lo, exec_lo, s6
	s_cbranch_vccnz .LBB46_2769
; %bb.2762:
	s_wait_xcnt 0x0
	v_cvt_f32_ubyte0_e32 v4, v12
	v_mov_b32_e32 v7, 0x80
	s_mov_b32 s6, exec_lo
	s_delay_alu instid0(VALU_DEP_2)
	v_cmpx_gt_u32_e32 0x43800000, v4
	s_cbranch_execz .LBB46_2768
; %bb.2763:
	s_mov_b32 s7, 0
	s_mov_b32 s8, exec_lo
                                        ; implicit-def: $vgpr1
	v_cmpx_lt_u32_e32 0x3bffffff, v4
	s_xor_b32 s8, exec_lo, s8
	s_cbranch_execz .LBB46_3059
; %bb.2764:
	v_bfe_u32 v1, v4, 20, 1
	s_mov_b32 s7, exec_lo
	s_delay_alu instid0(VALU_DEP_1) | instskip(NEXT) | instid1(VALU_DEP_1)
	v_add3_u32 v1, v4, v1, 0x487ffff
                                        ; implicit-def: $vgpr4
	v_lshrrev_b32_e32 v1, 20, v1
	s_and_not1_saveexec_b32 s8, s8
	s_cbranch_execnz .LBB46_3060
.LBB46_2765:
	s_or_b32 exec_lo, exec_lo, s8
	v_mov_b32_e32 v7, 0
	s_and_saveexec_b32 s8, s7
.LBB46_2766:
	v_mov_b32_e32 v7, v1
.LBB46_2767:
	s_or_b32 exec_lo, exec_lo, s8
.LBB46_2768:
	s_delay_alu instid0(SALU_CYCLE_1)
	s_or_b32 exec_lo, exec_lo, s6
	global_store_b8 v[2:3], v7, off
.LBB46_2769:
	s_mov_b32 s6, -1
.LBB46_2770:
	s_mov_b32 s7, 0
.LBB46_2771:
	s_delay_alu instid0(SALU_CYCLE_1)
	s_and_b32 vcc_lo, exec_lo, s7
	s_cbranch_vccz .LBB46_2811
; %bb.2772:
	s_cmp_gt_i32 s2, 22
	s_mov_b32 s3, -1
	s_cbranch_scc0 .LBB46_2804
; %bb.2773:
	s_cmp_lt_i32 s2, 24
	s_cbranch_scc1 .LBB46_2793
; %bb.2774:
	s_cmp_gt_i32 s2, 24
	s_cbranch_scc0 .LBB46_2782
; %bb.2775:
	s_wait_xcnt 0x0
	v_cvt_f32_ubyte0_e32 v4, v12
	v_mov_b32_e32 v7, 0x80
	s_mov_b32 s3, exec_lo
	s_delay_alu instid0(VALU_DEP_2)
	v_cmpx_gt_u32_e32 0x47800000, v4
	s_cbranch_execz .LBB46_2781
; %bb.2776:
	s_mov_b32 s6, 0
	s_mov_b32 s7, exec_lo
                                        ; implicit-def: $vgpr1
	v_cmpx_lt_u32_e32 0x37ffffff, v4
	s_xor_b32 s7, exec_lo, s7
	s_cbranch_execz .LBB46_3062
; %bb.2777:
	v_bfe_u32 v1, v4, 21, 1
	s_mov_b32 s6, exec_lo
	s_delay_alu instid0(VALU_DEP_1) | instskip(NEXT) | instid1(VALU_DEP_1)
	v_add3_u32 v1, v4, v1, 0x88fffff
                                        ; implicit-def: $vgpr4
	v_lshrrev_b32_e32 v1, 21, v1
	s_and_not1_saveexec_b32 s7, s7
	s_cbranch_execnz .LBB46_3063
.LBB46_2778:
	s_or_b32 exec_lo, exec_lo, s7
	v_mov_b32_e32 v7, 0
	s_and_saveexec_b32 s7, s6
.LBB46_2779:
	v_mov_b32_e32 v7, v1
.LBB46_2780:
	s_or_b32 exec_lo, exec_lo, s7
.LBB46_2781:
	s_delay_alu instid0(SALU_CYCLE_1)
	s_or_b32 exec_lo, exec_lo, s3
	s_mov_b32 s3, 0
	global_store_b8 v[2:3], v7, off
.LBB46_2782:
	s_and_b32 vcc_lo, exec_lo, s3
	s_cbranch_vccz .LBB46_2792
; %bb.2783:
	s_wait_xcnt 0x0
	v_cvt_f32_ubyte0_e32 v4, v12
	s_mov_b32 s3, exec_lo
                                        ; implicit-def: $vgpr1
	s_delay_alu instid0(VALU_DEP_1)
	v_cmpx_gt_u32_e32 0x43f00000, v4
	s_xor_b32 s3, exec_lo, s3
	s_cbranch_execz .LBB46_2789
; %bb.2784:
	s_mov_b32 s6, exec_lo
                                        ; implicit-def: $vgpr1
	v_cmpx_lt_u32_e32 0x3c7fffff, v4
	s_xor_b32 s6, exec_lo, s6
; %bb.2785:
	v_bfe_u32 v1, v4, 20, 1
	s_delay_alu instid0(VALU_DEP_1) | instskip(NEXT) | instid1(VALU_DEP_1)
	v_add3_u32 v1, v4, v1, 0x407ffff
	v_and_b32_e32 v4, 0xff00000, v1
	v_lshrrev_b32_e32 v1, 20, v1
	s_delay_alu instid0(VALU_DEP_2) | instskip(NEXT) | instid1(VALU_DEP_2)
	v_cmp_ne_u32_e32 vcc_lo, 0x7f00000, v4
                                        ; implicit-def: $vgpr4
	v_cndmask_b32_e32 v1, 0x7e, v1, vcc_lo
; %bb.2786:
	s_and_not1_saveexec_b32 s6, s6
; %bb.2787:
	v_add_f32_e32 v1, 0x46800000, v4
; %bb.2788:
	s_or_b32 exec_lo, exec_lo, s6
                                        ; implicit-def: $vgpr4
.LBB46_2789:
	s_and_not1_saveexec_b32 s3, s3
; %bb.2790:
	v_mov_b32_e32 v1, 0x7f
	v_cmp_lt_u32_e32 vcc_lo, 0x7f800000, v4
	s_delay_alu instid0(VALU_DEP_2)
	v_cndmask_b32_e32 v1, 0x7e, v1, vcc_lo
; %bb.2791:
	s_or_b32 exec_lo, exec_lo, s3
	global_store_b8 v[2:3], v1, off
.LBB46_2792:
	s_mov_b32 s3, 0
.LBB46_2793:
	s_delay_alu instid0(SALU_CYCLE_1)
	s_and_not1_b32 vcc_lo, exec_lo, s3
	s_cbranch_vccnz .LBB46_2803
; %bb.2794:
	s_wait_xcnt 0x0
	v_cvt_f32_ubyte0_e32 v4, v12
	s_mov_b32 s3, exec_lo
                                        ; implicit-def: $vgpr1
	s_delay_alu instid0(VALU_DEP_1)
	v_cmpx_gt_u32_e32 0x47800000, v4
	s_xor_b32 s3, exec_lo, s3
	s_cbranch_execz .LBB46_2800
; %bb.2795:
	s_mov_b32 s6, exec_lo
                                        ; implicit-def: $vgpr1
	v_cmpx_lt_u32_e32 0x387fffff, v4
	s_xor_b32 s6, exec_lo, s6
; %bb.2796:
	v_bfe_u32 v1, v4, 21, 1
	s_delay_alu instid0(VALU_DEP_1) | instskip(NEXT) | instid1(VALU_DEP_1)
	v_add3_u32 v1, v4, v1, 0x80fffff
                                        ; implicit-def: $vgpr4
	v_lshrrev_b32_e32 v1, 21, v1
; %bb.2797:
	s_and_not1_saveexec_b32 s6, s6
; %bb.2798:
	v_add_f32_e32 v1, 0x43000000, v4
; %bb.2799:
	s_or_b32 exec_lo, exec_lo, s6
                                        ; implicit-def: $vgpr4
.LBB46_2800:
	s_and_not1_saveexec_b32 s3, s3
; %bb.2801:
	v_mov_b32_e32 v1, 0x7f
	v_cmp_lt_u32_e32 vcc_lo, 0x7f800000, v4
	s_delay_alu instid0(VALU_DEP_2)
	v_cndmask_b32_e32 v1, 0x7c, v1, vcc_lo
; %bb.2802:
	s_or_b32 exec_lo, exec_lo, s3
	global_store_b8 v[2:3], v1, off
.LBB46_2803:
	s_mov_b32 s3, 0
	s_mov_b32 s6, -1
.LBB46_2804:
	s_and_not1_b32 vcc_lo, exec_lo, s3
	s_mov_b32 s3, 0
	s_cbranch_vccnz .LBB46_2811
; %bb.2805:
	s_cmp_gt_i32 s2, 14
	s_mov_b32 s3, -1
	s_cbranch_scc0 .LBB46_2809
; %bb.2806:
	s_cmp_eq_u32 s2, 15
	s_mov_b32 s0, -1
	s_cbranch_scc0 .LBB46_2808
; %bb.2807:
	s_wait_xcnt 0x0
	v_cvt_f32_ubyte0_e32 v1, v12
	s_mov_b32 s0, 0
	s_mov_b32 s6, -1
	s_delay_alu instid0(VALU_DEP_1) | instskip(NEXT) | instid1(VALU_DEP_1)
	v_bfe_u32 v4, v1, 16, 1
	v_add3_u32 v1, v1, v4, 0x7fff
	global_store_d16_hi_b16 v[2:3], v1, off
.LBB46_2808:
	s_mov_b32 s3, 0
.LBB46_2809:
	s_delay_alu instid0(SALU_CYCLE_1)
	s_and_b32 vcc_lo, exec_lo, s3
	s_mov_b32 s3, 0
	s_cbranch_vccz .LBB46_2811
; %bb.2810:
	s_cmp_lg_u32 s2, 11
	s_mov_b32 s3, -1
	s_cselect_b32 s0, -1, 0
.LBB46_2811:
	s_delay_alu instid0(SALU_CYCLE_1)
	s_and_b32 vcc_lo, exec_lo, s0
	s_cbranch_vccnz .LBB46_3061
; %bb.2812:
	s_and_not1_b32 vcc_lo, exec_lo, s3
	s_cbranch_vccnz .LBB46_2814
.LBB46_2813:
	s_wait_xcnt 0x0
	v_and_b32_e32 v1, 0xff, v12
	s_mov_b32 s6, -1
	s_delay_alu instid0(VALU_DEP_1)
	v_cmp_ne_u16_e32 vcc_lo, 0, v1
	v_cndmask_b32_e64 v1, 0, 1, vcc_lo
	global_store_b8 v[2:3], v1, off
.LBB46_2814:
	s_mov_b32 s0, 0
	s_branch .LBB46_2816
.LBB46_2815:
	s_mov_b32 s0, -1
	s_mov_b32 s6, 0
.LBB46_2816:
	s_and_b32 vcc_lo, exec_lo, s0
	s_cbranch_vccz .LBB46_2855
; %bb.2817:
	s_and_b32 s0, 0xffff, s16
	s_mov_b32 s2, -1
	s_cmp_lt_i32 s0, 5
	s_cbranch_scc1 .LBB46_2838
; %bb.2818:
	s_cmp_lt_i32 s0, 8
	s_cbranch_scc1 .LBB46_2828
; %bb.2819:
	;; [unrolled: 3-line block ×3, first 2 shown]
	s_cmp_gt_i32 s0, 9
	s_cbranch_scc0 .LBB46_2822
; %bb.2821:
	s_wait_xcnt 0x0
	v_and_b32_e32 v1, 0xff, v12
	v_mov_b32_e32 v10, 0
	s_mov_b32 s2, 0
	s_delay_alu instid0(VALU_DEP_2) | instskip(NEXT) | instid1(VALU_DEP_2)
	v_and_b32_e32 v1, 0xffff, v1
	v_mov_b32_e32 v11, v10
	s_delay_alu instid0(VALU_DEP_2)
	v_cvt_f64_u32_e32 v[8:9], v1
	global_store_b128 v[2:3], v[8:11], off
.LBB46_2822:
	s_and_not1_b32 vcc_lo, exec_lo, s2
	s_cbranch_vccnz .LBB46_2824
; %bb.2823:
	s_wait_xcnt 0x0
	v_cvt_f32_ubyte0_e32 v8, v12
	v_mov_b32_e32 v9, 0
	global_store_b64 v[2:3], v[8:9], off
.LBB46_2824:
	s_mov_b32 s2, 0
.LBB46_2825:
	s_delay_alu instid0(SALU_CYCLE_1)
	s_and_not1_b32 vcc_lo, exec_lo, s2
	s_cbranch_vccnz .LBB46_2827
; %bb.2826:
	s_wait_xcnt 0x0
	v_and_b32_e32 v1, 0xff, v12
	s_delay_alu instid0(VALU_DEP_1) | instskip(NEXT) | instid1(VALU_DEP_1)
	v_cvt_f16_u16_e32 v1, v1
	v_and_b32_e32 v1, 0xffff, v1
	global_store_b32 v[2:3], v1, off
.LBB46_2827:
	s_mov_b32 s2, 0
.LBB46_2828:
	s_delay_alu instid0(SALU_CYCLE_1)
	s_and_not1_b32 vcc_lo, exec_lo, s2
	s_cbranch_vccnz .LBB46_2837
; %bb.2829:
	s_cmp_lt_i32 s0, 6
	s_mov_b32 s2, -1
	s_cbranch_scc1 .LBB46_2835
; %bb.2830:
	s_cmp_gt_i32 s0, 6
	s_cbranch_scc0 .LBB46_2832
; %bb.2831:
	s_wait_xcnt 0x0
	v_and_b32_e32 v1, 0xff, v12
	s_mov_b32 s2, 0
	s_delay_alu instid0(VALU_DEP_1) | instskip(NEXT) | instid1(VALU_DEP_1)
	v_and_b32_e32 v1, 0xffff, v1
	v_cvt_f64_u32_e32 v[8:9], v1
	global_store_b64 v[2:3], v[8:9], off
.LBB46_2832:
	s_and_not1_b32 vcc_lo, exec_lo, s2
	s_cbranch_vccnz .LBB46_2834
; %bb.2833:
	s_wait_xcnt 0x0
	v_cvt_f32_ubyte0_e32 v1, v12
	global_store_b32 v[2:3], v1, off
.LBB46_2834:
	s_mov_b32 s2, 0
.LBB46_2835:
	s_delay_alu instid0(SALU_CYCLE_1)
	s_and_not1_b32 vcc_lo, exec_lo, s2
	s_cbranch_vccnz .LBB46_2837
; %bb.2836:
	s_wait_xcnt 0x0
	v_and_b32_e32 v1, 0xff, v12
	s_delay_alu instid0(VALU_DEP_1)
	v_cvt_f16_u16_e32 v1, v1
	global_store_b16 v[2:3], v1, off
.LBB46_2837:
	s_mov_b32 s2, 0
.LBB46_2838:
	s_delay_alu instid0(SALU_CYCLE_1)
	s_and_not1_b32 vcc_lo, exec_lo, s2
	s_cbranch_vccnz .LBB46_2854
; %bb.2839:
	s_cmp_lt_i32 s0, 2
	s_mov_b32 s2, -1
	s_cbranch_scc1 .LBB46_2849
; %bb.2840:
	s_cmp_lt_i32 s0, 3
	s_cbranch_scc1 .LBB46_2846
; %bb.2841:
	s_cmp_gt_i32 s0, 3
	s_cbranch_scc0 .LBB46_2843
; %bb.2842:
	s_wait_xcnt 0x0
	v_and_b32_e32 v8, 0xff, v12
	v_mov_b32_e32 v9, 0
	s_mov_b32 s2, 0
	global_store_b64 v[2:3], v[8:9], off
.LBB46_2843:
	s_and_not1_b32 vcc_lo, exec_lo, s2
	s_cbranch_vccnz .LBB46_2845
; %bb.2844:
	s_wait_xcnt 0x0
	v_and_b32_e32 v1, 0xff, v12
	global_store_b32 v[2:3], v1, off
.LBB46_2845:
	s_mov_b32 s2, 0
.LBB46_2846:
	s_delay_alu instid0(SALU_CYCLE_1)
	s_and_not1_b32 vcc_lo, exec_lo, s2
	s_cbranch_vccnz .LBB46_2848
; %bb.2847:
	s_wait_xcnt 0x0
	v_and_b32_e32 v1, 0xff, v12
	global_store_b16 v[2:3], v1, off
.LBB46_2848:
	s_mov_b32 s2, 0
.LBB46_2849:
	s_delay_alu instid0(SALU_CYCLE_1)
	s_and_not1_b32 vcc_lo, exec_lo, s2
	s_cbranch_vccnz .LBB46_2854
; %bb.2850:
	s_cmp_gt_i32 s0, 0
	s_mov_b32 s0, -1
	s_cbranch_scc0 .LBB46_2852
; %bb.2851:
	s_mov_b32 s0, 0
	global_store_b8 v[2:3], v12, off
.LBB46_2852:
	s_and_not1_b32 vcc_lo, exec_lo, s0
	s_cbranch_vccnz .LBB46_2854
; %bb.2853:
	global_store_b8 v[2:3], v12, off
.LBB46_2854:
	s_mov_b32 s6, -1
.LBB46_2855:
	s_delay_alu instid0(SALU_CYCLE_1)
	s_and_not1_b32 vcc_lo, exec_lo, s6
	s_cbranch_vccnz .LBB46_3051
; %bb.2856:
	v_add_nc_u32_e32 v0, s1, v0
	s_cmp_lt_i32 s16, 11
	s_wait_xcnt 0x0
	s_delay_alu instid0(VALU_DEP_1) | instskip(NEXT) | instid1(VALU_DEP_1)
	v_ashrrev_i32_e32 v1, 31, v0
	v_add_nc_u64_e32 v[2:3], s[4:5], v[0:1]
	s_cbranch_scc1 .LBB46_2934
; %bb.2857:
	s_and_b32 s2, 0xffff, s16
	s_mov_b32 s7, -1
	s_mov_b32 s3, 0
	s_cmp_gt_i32 s2, 25
	s_mov_b32 s6, 0
	s_mov_b32 s0, 0
	s_cbranch_scc0 .LBB46_2890
; %bb.2858:
	s_cmp_gt_i32 s2, 28
	s_cbranch_scc0 .LBB46_2873
; %bb.2859:
	s_cmp_gt_i32 s2, 43
	s_cbranch_scc0 .LBB46_2869
; %bb.2860:
	s_cmp_gt_i32 s2, 45
	s_cbranch_scc0 .LBB46_2863
; %bb.2861:
	s_mov_b32 s0, -1
	s_mov_b32 s7, 0
	s_cmp_eq_u32 s2, 46
	s_cbranch_scc0 .LBB46_2863
; %bb.2862:
	v_cvt_f32_ubyte0_e32 v1, v6
	s_mov_b32 s0, 0
	s_mov_b32 s6, -1
	s_delay_alu instid0(VALU_DEP_1) | instskip(NEXT) | instid1(VALU_DEP_1)
	v_bfe_u32 v4, v1, 16, 1
	v_add3_u32 v1, v1, v4, 0x7fff
	s_delay_alu instid0(VALU_DEP_1)
	v_lshrrev_b32_e32 v1, 16, v1
	global_store_b32 v[2:3], v1, off
.LBB46_2863:
	s_and_b32 vcc_lo, exec_lo, s7
	s_cbranch_vccz .LBB46_2868
; %bb.2864:
	s_cmp_eq_u32 s2, 44
	s_mov_b32 s0, -1
	s_cbranch_scc0 .LBB46_2868
; %bb.2865:
	v_cvt_f32_ubyte0_e32 v7, v6
	s_mov_b32 s6, exec_lo
	s_wait_xcnt 0x0
	s_delay_alu instid0(VALU_DEP_1) | instskip(NEXT) | instid1(VALU_DEP_1)
	v_dual_mov_b32 v4, 0xff :: v_dual_lshrrev_b32 v1, 23, v7
	v_cmpx_ne_u32_e32 0xff, v1
; %bb.2866:
	v_and_b32_e32 v4, 0x400000, v7
	v_and_or_b32 v7, 0x3fffff, v7, v1
	s_delay_alu instid0(VALU_DEP_2) | instskip(NEXT) | instid1(VALU_DEP_2)
	v_cmp_ne_u32_e32 vcc_lo, 0, v4
	v_cmp_ne_u32_e64 s0, 0, v7
	s_and_b32 s0, vcc_lo, s0
	s_delay_alu instid0(SALU_CYCLE_1) | instskip(NEXT) | instid1(VALU_DEP_1)
	v_cndmask_b32_e64 v4, 0, 1, s0
	v_add_nc_u32_e32 v4, v1, v4
; %bb.2867:
	s_or_b32 exec_lo, exec_lo, s6
	s_mov_b32 s0, 0
	s_mov_b32 s6, -1
	global_store_b8 v[2:3], v4, off
.LBB46_2868:
	s_mov_b32 s7, 0
.LBB46_2869:
	s_delay_alu instid0(SALU_CYCLE_1)
	s_and_b32 vcc_lo, exec_lo, s7
	s_cbranch_vccz .LBB46_2872
; %bb.2870:
	s_cmp_eq_u32 s2, 29
	s_mov_b32 s0, -1
	s_cbranch_scc0 .LBB46_2872
; %bb.2871:
	v_and_b32_e32 v8, 0xff, v6
	v_mov_b32_e32 v9, 0
	s_mov_b32 s0, 0
	s_mov_b32 s6, -1
	global_store_b64 v[2:3], v[8:9], off
.LBB46_2872:
	s_mov_b32 s7, 0
.LBB46_2873:
	s_delay_alu instid0(SALU_CYCLE_1)
	s_and_b32 vcc_lo, exec_lo, s7
	s_cbranch_vccz .LBB46_2889
; %bb.2874:
	s_cmp_lt_i32 s2, 27
	s_mov_b32 s6, -1
	s_cbranch_scc1 .LBB46_2880
; %bb.2875:
	s_cmp_gt_i32 s2, 27
	s_cbranch_scc0 .LBB46_2877
; %bb.2876:
	s_wait_xcnt 0x0
	v_and_b32_e32 v1, 0xff, v6
	s_mov_b32 s6, 0
	global_store_b32 v[2:3], v1, off
.LBB46_2877:
	s_and_not1_b32 vcc_lo, exec_lo, s6
	s_cbranch_vccnz .LBB46_2879
; %bb.2878:
	s_wait_xcnt 0x0
	v_and_b32_e32 v1, 0xff, v6
	global_store_b16 v[2:3], v1, off
.LBB46_2879:
	s_mov_b32 s6, 0
.LBB46_2880:
	s_delay_alu instid0(SALU_CYCLE_1)
	s_and_not1_b32 vcc_lo, exec_lo, s6
	s_cbranch_vccnz .LBB46_2888
; %bb.2881:
	s_wait_xcnt 0x0
	v_cvt_f32_ubyte0_e32 v4, v6
	v_mov_b32_e32 v7, 0x80
	s_mov_b32 s6, exec_lo
	s_delay_alu instid0(VALU_DEP_2)
	v_cmpx_gt_u32_e32 0x43800000, v4
	s_cbranch_execz .LBB46_2887
; %bb.2882:
	s_mov_b32 s7, 0
	s_mov_b32 s8, exec_lo
                                        ; implicit-def: $vgpr1
	v_cmpx_lt_u32_e32 0x3bffffff, v4
	s_xor_b32 s8, exec_lo, s8
	s_cbranch_execz .LBB46_3064
; %bb.2883:
	v_bfe_u32 v1, v4, 20, 1
	s_mov_b32 s7, exec_lo
	s_delay_alu instid0(VALU_DEP_1) | instskip(NEXT) | instid1(VALU_DEP_1)
	v_add3_u32 v1, v4, v1, 0x487ffff
                                        ; implicit-def: $vgpr4
	v_lshrrev_b32_e32 v1, 20, v1
	s_and_not1_saveexec_b32 s8, s8
	s_cbranch_execnz .LBB46_3065
.LBB46_2884:
	s_or_b32 exec_lo, exec_lo, s8
	v_mov_b32_e32 v7, 0
	s_and_saveexec_b32 s8, s7
.LBB46_2885:
	v_mov_b32_e32 v7, v1
.LBB46_2886:
	s_or_b32 exec_lo, exec_lo, s8
.LBB46_2887:
	s_delay_alu instid0(SALU_CYCLE_1)
	s_or_b32 exec_lo, exec_lo, s6
	global_store_b8 v[2:3], v7, off
.LBB46_2888:
	s_mov_b32 s6, -1
.LBB46_2889:
	s_mov_b32 s7, 0
.LBB46_2890:
	s_delay_alu instid0(SALU_CYCLE_1)
	s_and_b32 vcc_lo, exec_lo, s7
	s_cbranch_vccz .LBB46_2930
; %bb.2891:
	s_cmp_gt_i32 s2, 22
	s_mov_b32 s3, -1
	s_cbranch_scc0 .LBB46_2923
; %bb.2892:
	s_cmp_lt_i32 s2, 24
	s_cbranch_scc1 .LBB46_2912
; %bb.2893:
	s_cmp_gt_i32 s2, 24
	s_cbranch_scc0 .LBB46_2901
; %bb.2894:
	s_wait_xcnt 0x0
	v_cvt_f32_ubyte0_e32 v4, v6
	v_mov_b32_e32 v7, 0x80
	s_mov_b32 s3, exec_lo
	s_delay_alu instid0(VALU_DEP_2)
	v_cmpx_gt_u32_e32 0x47800000, v4
	s_cbranch_execz .LBB46_2900
; %bb.2895:
	s_mov_b32 s6, 0
	s_mov_b32 s7, exec_lo
                                        ; implicit-def: $vgpr1
	v_cmpx_lt_u32_e32 0x37ffffff, v4
	s_xor_b32 s7, exec_lo, s7
	s_cbranch_execz .LBB46_3067
; %bb.2896:
	v_bfe_u32 v1, v4, 21, 1
	s_mov_b32 s6, exec_lo
	s_delay_alu instid0(VALU_DEP_1) | instskip(NEXT) | instid1(VALU_DEP_1)
	v_add3_u32 v1, v4, v1, 0x88fffff
                                        ; implicit-def: $vgpr4
	v_lshrrev_b32_e32 v1, 21, v1
	s_and_not1_saveexec_b32 s7, s7
	s_cbranch_execnz .LBB46_3068
.LBB46_2897:
	s_or_b32 exec_lo, exec_lo, s7
	v_mov_b32_e32 v7, 0
	s_and_saveexec_b32 s7, s6
.LBB46_2898:
	v_mov_b32_e32 v7, v1
.LBB46_2899:
	s_or_b32 exec_lo, exec_lo, s7
.LBB46_2900:
	s_delay_alu instid0(SALU_CYCLE_1)
	s_or_b32 exec_lo, exec_lo, s3
	s_mov_b32 s3, 0
	global_store_b8 v[2:3], v7, off
.LBB46_2901:
	s_and_b32 vcc_lo, exec_lo, s3
	s_cbranch_vccz .LBB46_2911
; %bb.2902:
	s_wait_xcnt 0x0
	v_cvt_f32_ubyte0_e32 v4, v6
	s_mov_b32 s3, exec_lo
                                        ; implicit-def: $vgpr1
	s_delay_alu instid0(VALU_DEP_1)
	v_cmpx_gt_u32_e32 0x43f00000, v4
	s_xor_b32 s3, exec_lo, s3
	s_cbranch_execz .LBB46_2908
; %bb.2903:
	s_mov_b32 s6, exec_lo
                                        ; implicit-def: $vgpr1
	v_cmpx_lt_u32_e32 0x3c7fffff, v4
	s_xor_b32 s6, exec_lo, s6
; %bb.2904:
	v_bfe_u32 v1, v4, 20, 1
	s_delay_alu instid0(VALU_DEP_1) | instskip(NEXT) | instid1(VALU_DEP_1)
	v_add3_u32 v1, v4, v1, 0x407ffff
	v_and_b32_e32 v4, 0xff00000, v1
	v_lshrrev_b32_e32 v1, 20, v1
	s_delay_alu instid0(VALU_DEP_2) | instskip(NEXT) | instid1(VALU_DEP_2)
	v_cmp_ne_u32_e32 vcc_lo, 0x7f00000, v4
                                        ; implicit-def: $vgpr4
	v_cndmask_b32_e32 v1, 0x7e, v1, vcc_lo
; %bb.2905:
	s_and_not1_saveexec_b32 s6, s6
; %bb.2906:
	v_add_f32_e32 v1, 0x46800000, v4
; %bb.2907:
	s_or_b32 exec_lo, exec_lo, s6
                                        ; implicit-def: $vgpr4
.LBB46_2908:
	s_and_not1_saveexec_b32 s3, s3
; %bb.2909:
	v_mov_b32_e32 v1, 0x7f
	v_cmp_lt_u32_e32 vcc_lo, 0x7f800000, v4
	s_delay_alu instid0(VALU_DEP_2)
	v_cndmask_b32_e32 v1, 0x7e, v1, vcc_lo
; %bb.2910:
	s_or_b32 exec_lo, exec_lo, s3
	global_store_b8 v[2:3], v1, off
.LBB46_2911:
	s_mov_b32 s3, 0
.LBB46_2912:
	s_delay_alu instid0(SALU_CYCLE_1)
	s_and_not1_b32 vcc_lo, exec_lo, s3
	s_cbranch_vccnz .LBB46_2922
; %bb.2913:
	s_wait_xcnt 0x0
	v_cvt_f32_ubyte0_e32 v4, v6
	s_mov_b32 s3, exec_lo
                                        ; implicit-def: $vgpr1
	s_delay_alu instid0(VALU_DEP_1)
	v_cmpx_gt_u32_e32 0x47800000, v4
	s_xor_b32 s3, exec_lo, s3
	s_cbranch_execz .LBB46_2919
; %bb.2914:
	s_mov_b32 s6, exec_lo
                                        ; implicit-def: $vgpr1
	v_cmpx_lt_u32_e32 0x387fffff, v4
	s_xor_b32 s6, exec_lo, s6
; %bb.2915:
	v_bfe_u32 v1, v4, 21, 1
	s_delay_alu instid0(VALU_DEP_1) | instskip(NEXT) | instid1(VALU_DEP_1)
	v_add3_u32 v1, v4, v1, 0x80fffff
                                        ; implicit-def: $vgpr4
	v_lshrrev_b32_e32 v1, 21, v1
; %bb.2916:
	s_and_not1_saveexec_b32 s6, s6
; %bb.2917:
	v_add_f32_e32 v1, 0x43000000, v4
; %bb.2918:
	s_or_b32 exec_lo, exec_lo, s6
                                        ; implicit-def: $vgpr4
.LBB46_2919:
	s_and_not1_saveexec_b32 s3, s3
; %bb.2920:
	v_mov_b32_e32 v1, 0x7f
	v_cmp_lt_u32_e32 vcc_lo, 0x7f800000, v4
	s_delay_alu instid0(VALU_DEP_2)
	v_cndmask_b32_e32 v1, 0x7c, v1, vcc_lo
; %bb.2921:
	s_or_b32 exec_lo, exec_lo, s3
	global_store_b8 v[2:3], v1, off
.LBB46_2922:
	s_mov_b32 s3, 0
	s_mov_b32 s6, -1
.LBB46_2923:
	s_and_not1_b32 vcc_lo, exec_lo, s3
	s_mov_b32 s3, 0
	s_cbranch_vccnz .LBB46_2930
; %bb.2924:
	s_cmp_gt_i32 s2, 14
	s_mov_b32 s3, -1
	s_cbranch_scc0 .LBB46_2928
; %bb.2925:
	s_cmp_eq_u32 s2, 15
	s_mov_b32 s0, -1
	s_cbranch_scc0 .LBB46_2927
; %bb.2926:
	s_wait_xcnt 0x0
	v_cvt_f32_ubyte0_e32 v1, v6
	s_mov_b32 s0, 0
	s_mov_b32 s6, -1
	s_delay_alu instid0(VALU_DEP_1) | instskip(NEXT) | instid1(VALU_DEP_1)
	v_bfe_u32 v4, v1, 16, 1
	v_add3_u32 v1, v1, v4, 0x7fff
	global_store_d16_hi_b16 v[2:3], v1, off
.LBB46_2927:
	s_mov_b32 s3, 0
.LBB46_2928:
	s_delay_alu instid0(SALU_CYCLE_1)
	s_and_b32 vcc_lo, exec_lo, s3
	s_mov_b32 s3, 0
	s_cbranch_vccz .LBB46_2930
; %bb.2929:
	s_cmp_lg_u32 s2, 11
	s_mov_b32 s3, -1
	s_cselect_b32 s0, -1, 0
.LBB46_2930:
	s_delay_alu instid0(SALU_CYCLE_1)
	s_and_b32 vcc_lo, exec_lo, s0
	s_cbranch_vccnz .LBB46_3066
; %bb.2931:
	s_and_not1_b32 vcc_lo, exec_lo, s3
	s_cbranch_vccnz .LBB46_2933
.LBB46_2932:
	s_wait_xcnt 0x0
	v_and_b32_e32 v1, 0xff, v6
	s_mov_b32 s6, -1
	s_delay_alu instid0(VALU_DEP_1)
	v_cmp_ne_u16_e32 vcc_lo, 0, v1
	v_cndmask_b32_e64 v1, 0, 1, vcc_lo
	global_store_b8 v[2:3], v1, off
.LBB46_2933:
	s_mov_b32 s0, 0
	s_branch .LBB46_2935
.LBB46_2934:
	s_mov_b32 s0, -1
	s_mov_b32 s6, 0
.LBB46_2935:
	s_and_b32 vcc_lo, exec_lo, s0
	s_cbranch_vccz .LBB46_2974
; %bb.2936:
	s_and_b32 s0, 0xffff, s16
	s_mov_b32 s2, -1
	s_cmp_lt_i32 s0, 5
	s_cbranch_scc1 .LBB46_2957
; %bb.2937:
	s_cmp_lt_i32 s0, 8
	s_cbranch_scc1 .LBB46_2947
; %bb.2938:
	;; [unrolled: 3-line block ×3, first 2 shown]
	s_cmp_gt_i32 s0, 9
	s_cbranch_scc0 .LBB46_2941
; %bb.2940:
	s_wait_xcnt 0x0
	v_and_b32_e32 v1, 0xff, v6
	v_mov_b32_e32 v10, 0
	s_mov_b32 s2, 0
	s_delay_alu instid0(VALU_DEP_2) | instskip(NEXT) | instid1(VALU_DEP_2)
	v_and_b32_e32 v1, 0xffff, v1
	v_mov_b32_e32 v11, v10
	s_delay_alu instid0(VALU_DEP_2)
	v_cvt_f64_u32_e32 v[8:9], v1
	global_store_b128 v[2:3], v[8:11], off
.LBB46_2941:
	s_and_not1_b32 vcc_lo, exec_lo, s2
	s_cbranch_vccnz .LBB46_2943
; %bb.2942:
	s_wait_xcnt 0x0
	v_cvt_f32_ubyte0_e32 v8, v6
	v_mov_b32_e32 v9, 0
	global_store_b64 v[2:3], v[8:9], off
.LBB46_2943:
	s_mov_b32 s2, 0
.LBB46_2944:
	s_delay_alu instid0(SALU_CYCLE_1)
	s_and_not1_b32 vcc_lo, exec_lo, s2
	s_cbranch_vccnz .LBB46_2946
; %bb.2945:
	s_wait_xcnt 0x0
	v_and_b32_e32 v1, 0xff, v6
	s_delay_alu instid0(VALU_DEP_1) | instskip(NEXT) | instid1(VALU_DEP_1)
	v_cvt_f16_u16_e32 v1, v1
	v_and_b32_e32 v1, 0xffff, v1
	global_store_b32 v[2:3], v1, off
.LBB46_2946:
	s_mov_b32 s2, 0
.LBB46_2947:
	s_delay_alu instid0(SALU_CYCLE_1)
	s_and_not1_b32 vcc_lo, exec_lo, s2
	s_cbranch_vccnz .LBB46_2956
; %bb.2948:
	s_cmp_lt_i32 s0, 6
	s_mov_b32 s2, -1
	s_cbranch_scc1 .LBB46_2954
; %bb.2949:
	s_cmp_gt_i32 s0, 6
	s_cbranch_scc0 .LBB46_2951
; %bb.2950:
	s_wait_xcnt 0x0
	v_and_b32_e32 v1, 0xff, v6
	s_mov_b32 s2, 0
	s_delay_alu instid0(VALU_DEP_1) | instskip(NEXT) | instid1(VALU_DEP_1)
	v_and_b32_e32 v1, 0xffff, v1
	v_cvt_f64_u32_e32 v[8:9], v1
	global_store_b64 v[2:3], v[8:9], off
.LBB46_2951:
	s_and_not1_b32 vcc_lo, exec_lo, s2
	s_cbranch_vccnz .LBB46_2953
; %bb.2952:
	s_wait_xcnt 0x0
	v_cvt_f32_ubyte0_e32 v1, v6
	global_store_b32 v[2:3], v1, off
.LBB46_2953:
	s_mov_b32 s2, 0
.LBB46_2954:
	s_delay_alu instid0(SALU_CYCLE_1)
	s_and_not1_b32 vcc_lo, exec_lo, s2
	s_cbranch_vccnz .LBB46_2956
; %bb.2955:
	s_wait_xcnt 0x0
	v_and_b32_e32 v1, 0xff, v6
	s_delay_alu instid0(VALU_DEP_1)
	v_cvt_f16_u16_e32 v1, v1
	global_store_b16 v[2:3], v1, off
.LBB46_2956:
	s_mov_b32 s2, 0
.LBB46_2957:
	s_delay_alu instid0(SALU_CYCLE_1)
	s_and_not1_b32 vcc_lo, exec_lo, s2
	s_cbranch_vccnz .LBB46_2973
; %bb.2958:
	s_cmp_lt_i32 s0, 2
	s_mov_b32 s2, -1
	s_cbranch_scc1 .LBB46_2968
; %bb.2959:
	s_cmp_lt_i32 s0, 3
	s_cbranch_scc1 .LBB46_2965
; %bb.2960:
	s_cmp_gt_i32 s0, 3
	s_cbranch_scc0 .LBB46_2962
; %bb.2961:
	s_wait_xcnt 0x0
	v_and_b32_e32 v8, 0xff, v6
	v_mov_b32_e32 v9, 0
	s_mov_b32 s2, 0
	global_store_b64 v[2:3], v[8:9], off
.LBB46_2962:
	s_and_not1_b32 vcc_lo, exec_lo, s2
	s_cbranch_vccnz .LBB46_2964
; %bb.2963:
	s_wait_xcnt 0x0
	v_and_b32_e32 v1, 0xff, v6
	global_store_b32 v[2:3], v1, off
.LBB46_2964:
	s_mov_b32 s2, 0
.LBB46_2965:
	s_delay_alu instid0(SALU_CYCLE_1)
	s_and_not1_b32 vcc_lo, exec_lo, s2
	s_cbranch_vccnz .LBB46_2967
; %bb.2966:
	s_wait_xcnt 0x0
	v_and_b32_e32 v1, 0xff, v6
	global_store_b16 v[2:3], v1, off
.LBB46_2967:
	s_mov_b32 s2, 0
.LBB46_2968:
	s_delay_alu instid0(SALU_CYCLE_1)
	s_and_not1_b32 vcc_lo, exec_lo, s2
	s_cbranch_vccnz .LBB46_2973
; %bb.2969:
	s_cmp_gt_i32 s0, 0
	s_mov_b32 s0, -1
	s_cbranch_scc0 .LBB46_2971
; %bb.2970:
	s_mov_b32 s0, 0
	global_store_b8 v[2:3], v6, off
.LBB46_2971:
	s_and_not1_b32 vcc_lo, exec_lo, s0
	s_cbranch_vccnz .LBB46_2973
; %bb.2972:
	global_store_b8 v[2:3], v6, off
.LBB46_2973:
	s_mov_b32 s6, -1
.LBB46_2974:
	s_delay_alu instid0(SALU_CYCLE_1)
	s_and_not1_b32 vcc_lo, exec_lo, s6
	s_cbranch_vccnz .LBB46_3051
; %bb.2975:
	v_add_nc_u32_e32 v0, s1, v0
	s_cmp_lt_i32 s16, 11
	s_wait_xcnt 0x0
	s_delay_alu instid0(VALU_DEP_1) | instskip(NEXT) | instid1(VALU_DEP_1)
	v_ashrrev_i32_e32 v1, 31, v0
	v_add_nc_u64_e32 v[0:1], s[4:5], v[0:1]
	s_cbranch_scc1 .LBB46_3052
; %bb.2976:
	s_and_b32 s1, 0xffff, s16
	s_mov_b32 s3, -1
	s_mov_b32 s2, 0
	s_cmp_gt_i32 s1, 25
	s_mov_b32 s0, 0
	s_cbranch_scc0 .LBB46_3009
; %bb.2977:
	s_cmp_gt_i32 s1, 28
	s_cbranch_scc0 .LBB46_2993
; %bb.2978:
	s_cmp_gt_i32 s1, 43
	;; [unrolled: 3-line block ×3, first 2 shown]
	s_cbranch_scc0 .LBB46_2983
; %bb.2980:
	s_cmp_eq_u32 s1, 46
	s_mov_b32 s0, -1
	s_cbranch_scc0 .LBB46_2982
; %bb.2981:
	v_cvt_f32_ubyte0_e32 v2, v5
	s_mov_b32 s0, 0
	s_delay_alu instid0(VALU_DEP_1) | instskip(NEXT) | instid1(VALU_DEP_1)
	v_bfe_u32 v3, v2, 16, 1
	v_add3_u32 v2, v2, v3, 0x7fff
	s_delay_alu instid0(VALU_DEP_1)
	v_lshrrev_b32_e32 v2, 16, v2
	global_store_b32 v[0:1], v2, off
.LBB46_2982:
	s_mov_b32 s3, 0
.LBB46_2983:
	s_delay_alu instid0(SALU_CYCLE_1)
	s_and_b32 vcc_lo, exec_lo, s3
	s_cbranch_vccz .LBB46_2988
; %bb.2984:
	s_cmp_eq_u32 s1, 44
	s_mov_b32 s0, -1
	s_cbranch_scc0 .LBB46_2988
; %bb.2985:
	v_cvt_f32_ubyte0_e32 v4, v5
	s_mov_b32 s3, exec_lo
	s_wait_xcnt 0x0
	s_delay_alu instid0(VALU_DEP_1) | instskip(NEXT) | instid1(VALU_DEP_1)
	v_dual_mov_b32 v3, 0xff :: v_dual_lshrrev_b32 v2, 23, v4
	v_cmpx_ne_u32_e32 0xff, v2
; %bb.2986:
	v_and_b32_e32 v3, 0x400000, v4
	v_and_or_b32 v4, 0x3fffff, v4, v2
	s_delay_alu instid0(VALU_DEP_2) | instskip(NEXT) | instid1(VALU_DEP_2)
	v_cmp_ne_u32_e32 vcc_lo, 0, v3
	v_cmp_ne_u32_e64 s0, 0, v4
	s_and_b32 s0, vcc_lo, s0
	s_delay_alu instid0(SALU_CYCLE_1) | instskip(NEXT) | instid1(VALU_DEP_1)
	v_cndmask_b32_e64 v3, 0, 1, s0
	v_add_nc_u32_e32 v3, v2, v3
; %bb.2987:
	s_or_b32 exec_lo, exec_lo, s3
	s_mov_b32 s0, 0
	global_store_b8 v[0:1], v3, off
.LBB46_2988:
	s_mov_b32 s3, 0
.LBB46_2989:
	s_delay_alu instid0(SALU_CYCLE_1)
	s_and_b32 vcc_lo, exec_lo, s3
	s_cbranch_vccz .LBB46_2992
; %bb.2990:
	s_cmp_eq_u32 s1, 29
	s_mov_b32 s0, -1
	s_cbranch_scc0 .LBB46_2992
; %bb.2991:
	s_wait_xcnt 0x0
	v_and_b32_e32 v2, 0xff, v5
	v_mov_b32_e32 v3, 0
	s_mov_b32 s0, 0
	global_store_b64 v[0:1], v[2:3], off
.LBB46_2992:
	s_mov_b32 s3, 0
.LBB46_2993:
	s_delay_alu instid0(SALU_CYCLE_1)
	s_and_b32 vcc_lo, exec_lo, s3
	s_cbranch_vccz .LBB46_3008
; %bb.2994:
	s_cmp_lt_i32 s1, 27
	s_mov_b32 s3, -1
	s_cbranch_scc1 .LBB46_3000
; %bb.2995:
	s_wait_xcnt 0x0
	v_and_b32_e32 v2, 0xff, v5
	s_cmp_gt_i32 s1, 27
	s_cbranch_scc0 .LBB46_2997
; %bb.2996:
	s_mov_b32 s3, 0
	global_store_b32 v[0:1], v2, off
.LBB46_2997:
	s_and_not1_b32 vcc_lo, exec_lo, s3
	s_cbranch_vccnz .LBB46_2999
; %bb.2998:
	global_store_b16 v[0:1], v2, off
.LBB46_2999:
	s_mov_b32 s3, 0
.LBB46_3000:
	s_delay_alu instid0(SALU_CYCLE_1)
	s_and_not1_b32 vcc_lo, exec_lo, s3
	s_cbranch_vccnz .LBB46_3008
; %bb.3001:
	s_wait_xcnt 0x0
	v_cvt_f32_ubyte0_e32 v3, v5
	v_mov_b32_e32 v4, 0x80
	s_mov_b32 s3, exec_lo
	s_delay_alu instid0(VALU_DEP_2)
	v_cmpx_gt_u32_e32 0x43800000, v3
	s_cbranch_execz .LBB46_3007
; %bb.3002:
	s_mov_b32 s4, 0
	s_mov_b32 s5, exec_lo
                                        ; implicit-def: $vgpr2
	v_cmpx_lt_u32_e32 0x3bffffff, v3
	s_xor_b32 s5, exec_lo, s5
	s_cbranch_execz .LBB46_3069
; %bb.3003:
	v_bfe_u32 v2, v3, 20, 1
	s_mov_b32 s4, exec_lo
	s_delay_alu instid0(VALU_DEP_1) | instskip(NEXT) | instid1(VALU_DEP_1)
	v_add3_u32 v2, v3, v2, 0x487ffff
                                        ; implicit-def: $vgpr3
	v_lshrrev_b32_e32 v2, 20, v2
	s_and_not1_saveexec_b32 s5, s5
	s_cbranch_execnz .LBB46_3070
.LBB46_3004:
	s_or_b32 exec_lo, exec_lo, s5
	v_mov_b32_e32 v4, 0
	s_and_saveexec_b32 s5, s4
.LBB46_3005:
	v_mov_b32_e32 v4, v2
.LBB46_3006:
	s_or_b32 exec_lo, exec_lo, s5
.LBB46_3007:
	s_delay_alu instid0(SALU_CYCLE_1)
	s_or_b32 exec_lo, exec_lo, s3
	global_store_b8 v[0:1], v4, off
.LBB46_3008:
	s_mov_b32 s3, 0
.LBB46_3009:
	s_delay_alu instid0(SALU_CYCLE_1)
	s_and_b32 vcc_lo, exec_lo, s3
	s_cbranch_vccz .LBB46_3049
; %bb.3010:
	s_cmp_gt_i32 s1, 22
	s_mov_b32 s2, -1
	s_cbranch_scc0 .LBB46_3042
; %bb.3011:
	s_cmp_lt_i32 s1, 24
	s_cbranch_scc1 .LBB46_3031
; %bb.3012:
	s_cmp_gt_i32 s1, 24
	s_cbranch_scc0 .LBB46_3020
; %bb.3013:
	s_wait_xcnt 0x0
	v_cvt_f32_ubyte0_e32 v3, v5
	v_mov_b32_e32 v4, 0x80
	s_mov_b32 s2, exec_lo
	s_delay_alu instid0(VALU_DEP_2)
	v_cmpx_gt_u32_e32 0x47800000, v3
	s_cbranch_execz .LBB46_3019
; %bb.3014:
	s_mov_b32 s3, 0
	s_mov_b32 s4, exec_lo
                                        ; implicit-def: $vgpr2
	v_cmpx_lt_u32_e32 0x37ffffff, v3
	s_xor_b32 s4, exec_lo, s4
	s_cbranch_execz .LBB46_3072
; %bb.3015:
	v_bfe_u32 v2, v3, 21, 1
	s_mov_b32 s3, exec_lo
	s_delay_alu instid0(VALU_DEP_1) | instskip(NEXT) | instid1(VALU_DEP_1)
	v_add3_u32 v2, v3, v2, 0x88fffff
                                        ; implicit-def: $vgpr3
	v_lshrrev_b32_e32 v2, 21, v2
	s_and_not1_saveexec_b32 s4, s4
	s_cbranch_execnz .LBB46_3073
.LBB46_3016:
	s_or_b32 exec_lo, exec_lo, s4
	v_mov_b32_e32 v4, 0
	s_and_saveexec_b32 s4, s3
.LBB46_3017:
	v_mov_b32_e32 v4, v2
.LBB46_3018:
	s_or_b32 exec_lo, exec_lo, s4
.LBB46_3019:
	s_delay_alu instid0(SALU_CYCLE_1)
	s_or_b32 exec_lo, exec_lo, s2
	s_mov_b32 s2, 0
	global_store_b8 v[0:1], v4, off
.LBB46_3020:
	s_and_b32 vcc_lo, exec_lo, s2
	s_cbranch_vccz .LBB46_3030
; %bb.3021:
	s_wait_xcnt 0x0
	v_cvt_f32_ubyte0_e32 v3, v5
	s_mov_b32 s2, exec_lo
                                        ; implicit-def: $vgpr2
	s_delay_alu instid0(VALU_DEP_1)
	v_cmpx_gt_u32_e32 0x43f00000, v3
	s_xor_b32 s2, exec_lo, s2
	s_cbranch_execz .LBB46_3027
; %bb.3022:
	s_mov_b32 s3, exec_lo
                                        ; implicit-def: $vgpr2
	v_cmpx_lt_u32_e32 0x3c7fffff, v3
	s_xor_b32 s3, exec_lo, s3
; %bb.3023:
	v_bfe_u32 v2, v3, 20, 1
	s_delay_alu instid0(VALU_DEP_1) | instskip(NEXT) | instid1(VALU_DEP_1)
	v_add3_u32 v2, v3, v2, 0x407ffff
	v_and_b32_e32 v3, 0xff00000, v2
	v_lshrrev_b32_e32 v2, 20, v2
	s_delay_alu instid0(VALU_DEP_2) | instskip(NEXT) | instid1(VALU_DEP_2)
	v_cmp_ne_u32_e32 vcc_lo, 0x7f00000, v3
                                        ; implicit-def: $vgpr3
	v_cndmask_b32_e32 v2, 0x7e, v2, vcc_lo
; %bb.3024:
	s_and_not1_saveexec_b32 s3, s3
; %bb.3025:
	v_add_f32_e32 v2, 0x46800000, v3
; %bb.3026:
	s_or_b32 exec_lo, exec_lo, s3
                                        ; implicit-def: $vgpr3
.LBB46_3027:
	s_and_not1_saveexec_b32 s2, s2
; %bb.3028:
	v_mov_b32_e32 v2, 0x7f
	v_cmp_lt_u32_e32 vcc_lo, 0x7f800000, v3
	s_delay_alu instid0(VALU_DEP_2)
	v_cndmask_b32_e32 v2, 0x7e, v2, vcc_lo
; %bb.3029:
	s_or_b32 exec_lo, exec_lo, s2
	global_store_b8 v[0:1], v2, off
.LBB46_3030:
	s_mov_b32 s2, 0
.LBB46_3031:
	s_delay_alu instid0(SALU_CYCLE_1)
	s_and_not1_b32 vcc_lo, exec_lo, s2
	s_cbranch_vccnz .LBB46_3041
; %bb.3032:
	s_wait_xcnt 0x0
	v_cvt_f32_ubyte0_e32 v3, v5
	s_mov_b32 s2, exec_lo
                                        ; implicit-def: $vgpr2
	s_delay_alu instid0(VALU_DEP_1)
	v_cmpx_gt_u32_e32 0x47800000, v3
	s_xor_b32 s2, exec_lo, s2
	s_cbranch_execz .LBB46_3038
; %bb.3033:
	s_mov_b32 s3, exec_lo
                                        ; implicit-def: $vgpr2
	v_cmpx_lt_u32_e32 0x387fffff, v3
	s_xor_b32 s3, exec_lo, s3
; %bb.3034:
	v_bfe_u32 v2, v3, 21, 1
	s_delay_alu instid0(VALU_DEP_1) | instskip(NEXT) | instid1(VALU_DEP_1)
	v_add3_u32 v2, v3, v2, 0x80fffff
                                        ; implicit-def: $vgpr3
	v_lshrrev_b32_e32 v2, 21, v2
; %bb.3035:
	s_and_not1_saveexec_b32 s3, s3
; %bb.3036:
	v_add_f32_e32 v2, 0x43000000, v3
; %bb.3037:
	s_or_b32 exec_lo, exec_lo, s3
                                        ; implicit-def: $vgpr3
.LBB46_3038:
	s_and_not1_saveexec_b32 s2, s2
; %bb.3039:
	v_mov_b32_e32 v2, 0x7f
	v_cmp_lt_u32_e32 vcc_lo, 0x7f800000, v3
	s_delay_alu instid0(VALU_DEP_2)
	v_cndmask_b32_e32 v2, 0x7c, v2, vcc_lo
; %bb.3040:
	s_or_b32 exec_lo, exec_lo, s2
	global_store_b8 v[0:1], v2, off
.LBB46_3041:
	s_mov_b32 s2, 0
.LBB46_3042:
	s_delay_alu instid0(SALU_CYCLE_1)
	s_and_not1_b32 vcc_lo, exec_lo, s2
	s_mov_b32 s2, 0
	s_cbranch_vccnz .LBB46_3049
; %bb.3043:
	s_cmp_gt_i32 s1, 14
	s_mov_b32 s2, -1
	s_cbranch_scc0 .LBB46_3047
; %bb.3044:
	s_cmp_eq_u32 s1, 15
	s_mov_b32 s0, -1
	s_cbranch_scc0 .LBB46_3046
; %bb.3045:
	s_wait_xcnt 0x0
	v_cvt_f32_ubyte0_e32 v2, v5
	s_mov_b32 s0, 0
	s_delay_alu instid0(VALU_DEP_1) | instskip(NEXT) | instid1(VALU_DEP_1)
	v_bfe_u32 v3, v2, 16, 1
	v_add3_u32 v2, v2, v3, 0x7fff
	global_store_d16_hi_b16 v[0:1], v2, off
.LBB46_3046:
	s_mov_b32 s2, 0
.LBB46_3047:
	s_delay_alu instid0(SALU_CYCLE_1)
	s_and_b32 vcc_lo, exec_lo, s2
	s_mov_b32 s2, 0
	s_cbranch_vccz .LBB46_3049
; %bb.3048:
	s_cmp_lg_u32 s1, 11
	s_mov_b32 s2, -1
	s_cselect_b32 s0, -1, 0
.LBB46_3049:
	s_delay_alu instid0(SALU_CYCLE_1)
	s_and_b32 vcc_lo, exec_lo, s0
	s_cbranch_vccnz .LBB46_3071
.LBB46_3050:
	s_mov_b32 s0, 0
	s_branch .LBB46_2652
.LBB46_3051:
	s_mov_b32 s0, 0
	s_mov_b32 s2, 0
                                        ; implicit-def: $sgpr16
                                        ; implicit-def: $vgpr0_vgpr1
	s_branch .LBB46_2652
.LBB46_3052:
	s_mov_b32 s2, 0
	s_mov_b32 s0, -1
	s_branch .LBB46_2652
.LBB46_3053:
	s_or_b32 s12, s12, exec_lo
	s_trap 2
	s_cbranch_execz .LBB46_2515
	s_branch .LBB46_2516
.LBB46_3054:
	s_and_not1_saveexec_b32 s7, s7
	s_cbranch_execz .LBB46_2601
.LBB46_3055:
	v_add_f32_e32 v1, 0x46000000, v4
	s_and_not1_b32 s6, s6, exec_lo
	s_delay_alu instid0(VALU_DEP_1) | instskip(NEXT) | instid1(VALU_DEP_1)
	v_and_b32_e32 v1, 0xff, v1
	v_cmp_ne_u32_e32 vcc_lo, 0, v1
	s_and_b32 s9, vcc_lo, exec_lo
	s_delay_alu instid0(SALU_CYCLE_1)
	s_or_b32 s6, s6, s9
	s_or_b32 exec_lo, exec_lo, s7
	v_mov_b32_e32 v7, 0
	s_and_saveexec_b32 s7, s6
	s_cbranch_execnz .LBB46_2602
	s_branch .LBB46_2603
.LBB46_3056:
	s_or_b32 s12, s12, exec_lo
	s_trap 2
	s_cbranch_execz .LBB46_2649
	s_branch .LBB46_2650
.LBB46_3057:
	s_and_not1_saveexec_b32 s6, s6
	s_cbranch_execz .LBB46_2614
.LBB46_3058:
	v_add_f32_e32 v1, 0x42800000, v4
	s_and_not1_b32 s3, s3, exec_lo
	s_delay_alu instid0(VALU_DEP_1) | instskip(NEXT) | instid1(VALU_DEP_1)
	v_and_b32_e32 v1, 0xff, v1
	v_cmp_ne_u32_e32 vcc_lo, 0, v1
	s_and_b32 s7, vcc_lo, exec_lo
	s_delay_alu instid0(SALU_CYCLE_1)
	s_or_b32 s3, s3, s7
	s_or_b32 exec_lo, exec_lo, s6
	v_mov_b32_e32 v7, 0
	s_and_saveexec_b32 s6, s3
	s_cbranch_execnz .LBB46_2615
	s_branch .LBB46_2616
.LBB46_3059:
	s_and_not1_saveexec_b32 s8, s8
	s_cbranch_execz .LBB46_2765
.LBB46_3060:
	v_add_f32_e32 v1, 0x46000000, v4
	s_and_not1_b32 s7, s7, exec_lo
	s_delay_alu instid0(VALU_DEP_1) | instskip(NEXT) | instid1(VALU_DEP_1)
	v_and_b32_e32 v1, 0xff, v1
	v_cmp_ne_u32_e32 vcc_lo, 0, v1
	s_and_b32 s9, vcc_lo, exec_lo
	s_delay_alu instid0(SALU_CYCLE_1)
	s_or_b32 s7, s7, s9
	s_or_b32 exec_lo, exec_lo, s8
	v_mov_b32_e32 v7, 0
	s_and_saveexec_b32 s8, s7
	s_cbranch_execnz .LBB46_2766
	s_branch .LBB46_2767
.LBB46_3061:
	s_or_b32 s12, s12, exec_lo
	s_trap 2
	s_cbranch_execz .LBB46_2813
	s_branch .LBB46_2814
.LBB46_3062:
	s_and_not1_saveexec_b32 s7, s7
	s_cbranch_execz .LBB46_2778
.LBB46_3063:
	v_add_f32_e32 v1, 0x42800000, v4
	s_and_not1_b32 s6, s6, exec_lo
	s_delay_alu instid0(VALU_DEP_1) | instskip(NEXT) | instid1(VALU_DEP_1)
	v_and_b32_e32 v1, 0xff, v1
	v_cmp_ne_u32_e32 vcc_lo, 0, v1
	s_and_b32 s8, vcc_lo, exec_lo
	s_delay_alu instid0(SALU_CYCLE_1)
	s_or_b32 s6, s6, s8
	s_or_b32 exec_lo, exec_lo, s7
	v_mov_b32_e32 v7, 0
	s_and_saveexec_b32 s7, s6
	s_cbranch_execnz .LBB46_2779
	s_branch .LBB46_2780
.LBB46_3064:
	s_and_not1_saveexec_b32 s8, s8
	s_cbranch_execz .LBB46_2884
.LBB46_3065:
	v_add_f32_e32 v1, 0x46000000, v4
	s_and_not1_b32 s7, s7, exec_lo
	s_delay_alu instid0(VALU_DEP_1) | instskip(NEXT) | instid1(VALU_DEP_1)
	v_and_b32_e32 v1, 0xff, v1
	v_cmp_ne_u32_e32 vcc_lo, 0, v1
	s_and_b32 s9, vcc_lo, exec_lo
	s_delay_alu instid0(SALU_CYCLE_1)
	s_or_b32 s7, s7, s9
	s_or_b32 exec_lo, exec_lo, s8
	v_mov_b32_e32 v7, 0
	s_and_saveexec_b32 s8, s7
	s_cbranch_execnz .LBB46_2885
	s_branch .LBB46_2886
.LBB46_3066:
	s_or_b32 s12, s12, exec_lo
	s_trap 2
	s_cbranch_execz .LBB46_2932
	s_branch .LBB46_2933
.LBB46_3067:
	s_and_not1_saveexec_b32 s7, s7
	s_cbranch_execz .LBB46_2897
.LBB46_3068:
	v_add_f32_e32 v1, 0x42800000, v4
	s_and_not1_b32 s6, s6, exec_lo
	s_delay_alu instid0(VALU_DEP_1) | instskip(NEXT) | instid1(VALU_DEP_1)
	v_and_b32_e32 v1, 0xff, v1
	v_cmp_ne_u32_e32 vcc_lo, 0, v1
	s_and_b32 s8, vcc_lo, exec_lo
	s_delay_alu instid0(SALU_CYCLE_1)
	s_or_b32 s6, s6, s8
	s_or_b32 exec_lo, exec_lo, s7
	v_mov_b32_e32 v7, 0
	s_and_saveexec_b32 s7, s6
	s_cbranch_execnz .LBB46_2898
	s_branch .LBB46_2899
.LBB46_3069:
	s_and_not1_saveexec_b32 s5, s5
	s_cbranch_execz .LBB46_3004
.LBB46_3070:
	v_add_f32_e32 v2, 0x46000000, v3
	s_and_not1_b32 s4, s4, exec_lo
	s_delay_alu instid0(VALU_DEP_1) | instskip(NEXT) | instid1(VALU_DEP_1)
	v_and_b32_e32 v2, 0xff, v2
	v_cmp_ne_u32_e32 vcc_lo, 0, v2
	s_and_b32 s6, vcc_lo, exec_lo
	s_delay_alu instid0(SALU_CYCLE_1)
	s_or_b32 s4, s4, s6
	s_or_b32 exec_lo, exec_lo, s5
	v_mov_b32_e32 v4, 0
	s_and_saveexec_b32 s5, s4
	s_cbranch_execnz .LBB46_3005
	s_branch .LBB46_3006
.LBB46_3071:
	s_mov_b32 s2, 0
	s_or_b32 s12, s12, exec_lo
	s_trap 2
	s_branch .LBB46_3050
.LBB46_3072:
	s_and_not1_saveexec_b32 s4, s4
	s_cbranch_execz .LBB46_3016
.LBB46_3073:
	v_add_f32_e32 v2, 0x42800000, v3
	s_and_not1_b32 s3, s3, exec_lo
	s_delay_alu instid0(VALU_DEP_1) | instskip(NEXT) | instid1(VALU_DEP_1)
	v_and_b32_e32 v2, 0xff, v2
	v_cmp_ne_u32_e32 vcc_lo, 0, v2
	s_and_b32 s5, vcc_lo, exec_lo
	s_delay_alu instid0(SALU_CYCLE_1)
	s_or_b32 s3, s3, s5
	s_or_b32 exec_lo, exec_lo, s4
	v_mov_b32_e32 v4, 0
	s_and_saveexec_b32 s4, s3
	s_cbranch_execnz .LBB46_3017
	s_branch .LBB46_3018
	.section	.rodata,"a",@progbits
	.p2align	6, 0x0
	.amdhsa_kernel _ZN2at6native32elementwise_kernel_manual_unrollILi128ELi4EZNS0_15gpu_kernel_implIZZZNS0_15lcm_kernel_cudaERNS_18TensorIteratorBaseEENKUlvE_clEvENKUlvE_clEvEUlhhE_EEvS4_RKT_EUlibE_EEviT1_
		.amdhsa_group_segment_fixed_size 0
		.amdhsa_private_segment_fixed_size 0
		.amdhsa_kernarg_size 48
		.amdhsa_user_sgpr_count 2
		.amdhsa_user_sgpr_dispatch_ptr 0
		.amdhsa_user_sgpr_queue_ptr 0
		.amdhsa_user_sgpr_kernarg_segment_ptr 1
		.amdhsa_user_sgpr_dispatch_id 0
		.amdhsa_user_sgpr_kernarg_preload_length 0
		.amdhsa_user_sgpr_kernarg_preload_offset 0
		.amdhsa_user_sgpr_private_segment_size 0
		.amdhsa_wavefront_size32 1
		.amdhsa_uses_dynamic_stack 0
		.amdhsa_enable_private_segment 0
		.amdhsa_system_sgpr_workgroup_id_x 1
		.amdhsa_system_sgpr_workgroup_id_y 0
		.amdhsa_system_sgpr_workgroup_id_z 0
		.amdhsa_system_sgpr_workgroup_info 0
		.amdhsa_system_vgpr_workitem_id 0
		.amdhsa_next_free_vgpr 18
		.amdhsa_next_free_sgpr 35
		.amdhsa_named_barrier_count 0
		.amdhsa_reserve_vcc 1
		.amdhsa_float_round_mode_32 0
		.amdhsa_float_round_mode_16_64 0
		.amdhsa_float_denorm_mode_32 3
		.amdhsa_float_denorm_mode_16_64 3
		.amdhsa_fp16_overflow 0
		.amdhsa_memory_ordered 1
		.amdhsa_forward_progress 1
		.amdhsa_inst_pref_size 255
		.amdhsa_round_robin_scheduling 0
		.amdhsa_exception_fp_ieee_invalid_op 0
		.amdhsa_exception_fp_denorm_src 0
		.amdhsa_exception_fp_ieee_div_zero 0
		.amdhsa_exception_fp_ieee_overflow 0
		.amdhsa_exception_fp_ieee_underflow 0
		.amdhsa_exception_fp_ieee_inexact 0
		.amdhsa_exception_int_div_zero 0
	.end_amdhsa_kernel
	.section	.text._ZN2at6native32elementwise_kernel_manual_unrollILi128ELi4EZNS0_15gpu_kernel_implIZZZNS0_15lcm_kernel_cudaERNS_18TensorIteratorBaseEENKUlvE_clEvENKUlvE_clEvEUlhhE_EEvS4_RKT_EUlibE_EEviT1_,"axG",@progbits,_ZN2at6native32elementwise_kernel_manual_unrollILi128ELi4EZNS0_15gpu_kernel_implIZZZNS0_15lcm_kernel_cudaERNS_18TensorIteratorBaseEENKUlvE_clEvENKUlvE_clEvEUlhhE_EEvS4_RKT_EUlibE_EEviT1_,comdat
.Lfunc_end46:
	.size	_ZN2at6native32elementwise_kernel_manual_unrollILi128ELi4EZNS0_15gpu_kernel_implIZZZNS0_15lcm_kernel_cudaERNS_18TensorIteratorBaseEENKUlvE_clEvENKUlvE_clEvEUlhhE_EEvS4_RKT_EUlibE_EEviT1_, .Lfunc_end46-_ZN2at6native32elementwise_kernel_manual_unrollILi128ELi4EZNS0_15gpu_kernel_implIZZZNS0_15lcm_kernel_cudaERNS_18TensorIteratorBaseEENKUlvE_clEvENKUlvE_clEvEUlhhE_EEvS4_RKT_EUlibE_EEviT1_
                                        ; -- End function
	.set _ZN2at6native32elementwise_kernel_manual_unrollILi128ELi4EZNS0_15gpu_kernel_implIZZZNS0_15lcm_kernel_cudaERNS_18TensorIteratorBaseEENKUlvE_clEvENKUlvE_clEvEUlhhE_EEvS4_RKT_EUlibE_EEviT1_.num_vgpr, 18
	.set _ZN2at6native32elementwise_kernel_manual_unrollILi128ELi4EZNS0_15gpu_kernel_implIZZZNS0_15lcm_kernel_cudaERNS_18TensorIteratorBaseEENKUlvE_clEvENKUlvE_clEvEUlhhE_EEvS4_RKT_EUlibE_EEviT1_.num_agpr, 0
	.set _ZN2at6native32elementwise_kernel_manual_unrollILi128ELi4EZNS0_15gpu_kernel_implIZZZNS0_15lcm_kernel_cudaERNS_18TensorIteratorBaseEENKUlvE_clEvENKUlvE_clEvEUlhhE_EEvS4_RKT_EUlibE_EEviT1_.numbered_sgpr, 35
	.set _ZN2at6native32elementwise_kernel_manual_unrollILi128ELi4EZNS0_15gpu_kernel_implIZZZNS0_15lcm_kernel_cudaERNS_18TensorIteratorBaseEENKUlvE_clEvENKUlvE_clEvEUlhhE_EEvS4_RKT_EUlibE_EEviT1_.num_named_barrier, 0
	.set _ZN2at6native32elementwise_kernel_manual_unrollILi128ELi4EZNS0_15gpu_kernel_implIZZZNS0_15lcm_kernel_cudaERNS_18TensorIteratorBaseEENKUlvE_clEvENKUlvE_clEvEUlhhE_EEvS4_RKT_EUlibE_EEviT1_.private_seg_size, 0
	.set _ZN2at6native32elementwise_kernel_manual_unrollILi128ELi4EZNS0_15gpu_kernel_implIZZZNS0_15lcm_kernel_cudaERNS_18TensorIteratorBaseEENKUlvE_clEvENKUlvE_clEvEUlhhE_EEvS4_RKT_EUlibE_EEviT1_.uses_vcc, 1
	.set _ZN2at6native32elementwise_kernel_manual_unrollILi128ELi4EZNS0_15gpu_kernel_implIZZZNS0_15lcm_kernel_cudaERNS_18TensorIteratorBaseEENKUlvE_clEvENKUlvE_clEvEUlhhE_EEvS4_RKT_EUlibE_EEviT1_.uses_flat_scratch, 0
	.set _ZN2at6native32elementwise_kernel_manual_unrollILi128ELi4EZNS0_15gpu_kernel_implIZZZNS0_15lcm_kernel_cudaERNS_18TensorIteratorBaseEENKUlvE_clEvENKUlvE_clEvEUlhhE_EEvS4_RKT_EUlibE_EEviT1_.has_dyn_sized_stack, 0
	.set _ZN2at6native32elementwise_kernel_manual_unrollILi128ELi4EZNS0_15gpu_kernel_implIZZZNS0_15lcm_kernel_cudaERNS_18TensorIteratorBaseEENKUlvE_clEvENKUlvE_clEvEUlhhE_EEvS4_RKT_EUlibE_EEviT1_.has_recursion, 0
	.set _ZN2at6native32elementwise_kernel_manual_unrollILi128ELi4EZNS0_15gpu_kernel_implIZZZNS0_15lcm_kernel_cudaERNS_18TensorIteratorBaseEENKUlvE_clEvENKUlvE_clEvEUlhhE_EEvS4_RKT_EUlibE_EEviT1_.has_indirect_call, 0
	.section	.AMDGPU.csdata,"",@progbits
; Kernel info:
; codeLenInByte = 63244
; TotalNumSgprs: 37
; NumVgprs: 18
; ScratchSize: 0
; MemoryBound: 1
; FloatMode: 240
; IeeeMode: 1
; LDSByteSize: 0 bytes/workgroup (compile time only)
; SGPRBlocks: 0
; VGPRBlocks: 1
; NumSGPRsForWavesPerEU: 37
; NumVGPRsForWavesPerEU: 18
; NamedBarCnt: 0
; Occupancy: 16
; WaveLimiterHint : 0
; COMPUTE_PGM_RSRC2:SCRATCH_EN: 0
; COMPUTE_PGM_RSRC2:USER_SGPR: 2
; COMPUTE_PGM_RSRC2:TRAP_HANDLER: 0
; COMPUTE_PGM_RSRC2:TGID_X_EN: 1
; COMPUTE_PGM_RSRC2:TGID_Y_EN: 0
; COMPUTE_PGM_RSRC2:TGID_Z_EN: 0
; COMPUTE_PGM_RSRC2:TIDIG_COMP_CNT: 0
	.section	.text._ZN2at6native32elementwise_kernel_manual_unrollILi128ELi4EZNS0_15gpu_kernel_implIZZZNS0_15lcm_kernel_cudaERNS_18TensorIteratorBaseEENKUlvE_clEvENKUlvE_clEvEUlhhE_EEvS4_RKT_EUlibE0_EEviT1_,"axG",@progbits,_ZN2at6native32elementwise_kernel_manual_unrollILi128ELi4EZNS0_15gpu_kernel_implIZZZNS0_15lcm_kernel_cudaERNS_18TensorIteratorBaseEENKUlvE_clEvENKUlvE_clEvEUlhhE_EEvS4_RKT_EUlibE0_EEviT1_,comdat
	.globl	_ZN2at6native32elementwise_kernel_manual_unrollILi128ELi4EZNS0_15gpu_kernel_implIZZZNS0_15lcm_kernel_cudaERNS_18TensorIteratorBaseEENKUlvE_clEvENKUlvE_clEvEUlhhE_EEvS4_RKT_EUlibE0_EEviT1_ ; -- Begin function _ZN2at6native32elementwise_kernel_manual_unrollILi128ELi4EZNS0_15gpu_kernel_implIZZZNS0_15lcm_kernel_cudaERNS_18TensorIteratorBaseEENKUlvE_clEvENKUlvE_clEvEUlhhE_EEvS4_RKT_EUlibE0_EEviT1_
	.p2align	8
	.type	_ZN2at6native32elementwise_kernel_manual_unrollILi128ELi4EZNS0_15gpu_kernel_implIZZZNS0_15lcm_kernel_cudaERNS_18TensorIteratorBaseEENKUlvE_clEvENKUlvE_clEvEUlhhE_EEvS4_RKT_EUlibE0_EEviT1_,@function
_ZN2at6native32elementwise_kernel_manual_unrollILi128ELi4EZNS0_15gpu_kernel_implIZZZNS0_15lcm_kernel_cudaERNS_18TensorIteratorBaseEENKUlvE_clEvENKUlvE_clEvEUlhhE_EEvS4_RKT_EUlibE0_EEviT1_: ; @_ZN2at6native32elementwise_kernel_manual_unrollILi128ELi4EZNS0_15gpu_kernel_implIZZZNS0_15lcm_kernel_cudaERNS_18TensorIteratorBaseEENKUlvE_clEvENKUlvE_clEvEUlhhE_EEvS4_RKT_EUlibE0_EEviT1_
; %bb.0:
	s_clause 0x1
	s_load_b32 s26, s[0:1], 0x8
	s_load_b32 s36, s[0:1], 0x0
	s_bfe_u32 s2, ttmp6, 0x4000c
	s_and_b32 s3, ttmp6, 15
	s_add_co_i32 s2, s2, 1
	s_getreg_b32 s4, hwreg(HW_REG_IB_STS2, 6, 4)
	s_mul_i32 s2, ttmp9, s2
	s_mov_b32 s28, 0
	s_add_co_i32 s3, s3, s2
	s_cmp_eq_u32 s4, 0
	s_mov_b32 s25, -1
	s_cselect_b32 s2, ttmp9, s3
	s_mov_b32 s8, 0
	v_lshl_or_b32 v0, s2, 9, v0
	s_add_nc_u64 s[2:3], s[0:1], 8
	s_wait_xcnt 0x0
	s_mov_b32 s0, exec_lo
	s_delay_alu instid0(VALU_DEP_1) | instskip(SKIP_2) | instid1(SALU_CYCLE_1)
	v_or_b32_e32 v1, 0x180, v0
	s_wait_kmcnt 0x0
	s_add_co_i32 s27, s26, -1
	s_cmp_gt_u32 s27, 1
	s_cselect_b32 s29, -1, 0
	v_cmpx_le_i32_e64 s36, v1
	s_xor_b32 s30, exec_lo, s0
	s_cbranch_execz .LBB47_1585
; %bb.1:
	v_mov_b32_e32 v1, 0
	s_cmp_lg_u32 s26, 0
	s_mov_b32 s19, 0
	s_cselect_b32 s37, -1, 0
	s_min_u32 s35, s27, 15
	s_clause 0x1
	global_load_u16 v2, v1, s[2:3] offset:417
	global_load_i8 v3, v1, s[2:3] offset:419
	s_clause 0x5
	s_load_b128 s[8:11], s[2:3], 0x4
	s_load_b64 s[0:1], s[2:3], 0x14
	s_load_b128 s[12:15], s[2:3], 0xc4
	s_load_b64 s[20:21], s[2:3], 0xd4
	s_load_b64 s[16:17], s[2:3], 0x198
	s_load_b128 s[4:7], s[2:3], 0x188
	s_cmp_gt_u32 s26, 1
	s_mov_b32 s23, s19
	s_mov_b32 s40, s19
	;; [unrolled: 1-line block ×3, first 2 shown]
	s_cselect_b32 s34, -1, 0
	s_mov_b32 s38, s19
	s_mov_b32 s41, exec_lo
	s_wait_kmcnt 0x0
	s_mov_b32 s18, s9
	s_mov_b32 s22, s0
	s_wait_loadcnt 0x1
	v_readfirstlane_b32 s31, v2
	s_wait_loadcnt 0x0
	v_readfirstlane_b32 s9, v3
	s_lshr_b32 s33, s31, 8
	v_cmpx_gt_i32_e64 s36, v0
	s_cbranch_execz .LBB47_391
; %bb.2:
	s_and_not1_b32 vcc_lo, exec_lo, s29
	s_cbranch_vccnz .LBB47_8
; %bb.3:
	s_and_not1_b32 vcc_lo, exec_lo, s37
	s_cbranch_vccnz .LBB47_9
; %bb.4:
	v_dual_mov_b32 v2, 0 :: v_dual_mov_b32 v1, v0
	v_dual_mov_b32 v4, 0 :: v_dual_mov_b32 v6, 0
	s_add_co_i32 s0, s35, 1
	s_mov_b64 s[24:25], 0xffffffffffffffe8
	s_and_b32 s0, s0, 30
	s_add_nc_u64 s[24:25], s[2:3], s[24:25]
.LBB47_5:                               ; =>This Inner Loop Header: Depth=1
	s_clause 0x3
	s_load_b128 s[44:47], s[24:25], 0x1c
	s_load_b64 s[38:39], s[24:25], 0x2c
	s_load_b128 s[48:51], s[24:25], 0xdc
	s_load_b64 s[42:43], s[24:25], 0xec
	s_add_co_i32 s0, s0, -2
	s_wait_xcnt 0x0
	s_add_nc_u64 s[24:25], s[24:25], 24
	s_cmp_lg_u32 s0, 0
	s_wait_kmcnt 0x0
	v_mul_hi_u32 v3, s45, v1
	s_delay_alu instid0(VALU_DEP_1) | instskip(NEXT) | instid1(VALU_DEP_1)
	v_add_nc_u32_e32 v3, v1, v3
	v_lshrrev_b32_e32 v3, s46, v3
	s_delay_alu instid0(VALU_DEP_1) | instskip(SKIP_1) | instid1(VALU_DEP_1)
	v_mul_hi_u32 v5, s38, v3
	v_mul_lo_u32 v7, v3, s44
	v_dual_add_nc_u32 v5, v3, v5 :: v_dual_sub_nc_u32 v7, v1, v7
	s_delay_alu instid0(VALU_DEP_1) | instskip(NEXT) | instid1(VALU_DEP_2)
	v_lshrrev_b32_e32 v1, s39, v5
	v_mad_u32 v2, v7, s48, v2
	v_mad_u32 v6, v7, s50, v6
	v_mad_u32 v4, v7, s49, v4
	s_delay_alu instid0(VALU_DEP_4) | instskip(NEXT) | instid1(VALU_DEP_1)
	v_mul_lo_u32 v5, v1, s47
	v_sub_nc_u32_e32 v3, v3, v5
	s_delay_alu instid0(VALU_DEP_1)
	v_mad_u32 v2, v3, s51, v2
	v_mad_u32 v6, v3, s43, v6
	v_mad_u32 v4, v3, s42, v4
	s_cbranch_scc1 .LBB47_5
; %bb.6:
	s_bitcmp1_b32 s35, 0
	s_cselect_b32 s0, -1, 0
	s_delay_alu instid0(SALU_CYCLE_1)
	s_and_b32 vcc_lo, exec_lo, s0
	s_cbranch_vccnz .LBB47_10
; %bb.7:
	s_clause 0x1
	s_load_b96 s[44:46], s[24:25], 0x1c
	s_load_b96 s[48:50], s[24:25], 0xdc
	s_wait_kmcnt 0x0
	v_mul_hi_u32 v3, s45, v1
	s_delay_alu instid0(VALU_DEP_1) | instskip(NEXT) | instid1(VALU_DEP_1)
	v_add_nc_u32_e32 v3, v1, v3
	v_lshrrev_b32_e32 v3, s46, v3
	s_delay_alu instid0(VALU_DEP_1) | instskip(NEXT) | instid1(VALU_DEP_1)
	v_mul_lo_u32 v3, v3, s44
	v_sub_nc_u32_e32 v1, v1, v3
	s_delay_alu instid0(VALU_DEP_1)
	v_mad_u32 v2, v1, s48, v2
	v_mad_u32 v4, v1, s49, v4
	;; [unrolled: 1-line block ×3, first 2 shown]
	s_cbranch_execz .LBB47_11
	s_branch .LBB47_13
.LBB47_8:
                                        ; implicit-def: $vgpr6
                                        ; implicit-def: $vgpr4
                                        ; implicit-def: $vgpr2
	s_branch .LBB47_11
.LBB47_9:
	v_dual_mov_b32 v6, 0 :: v_dual_mov_b32 v4, 0
	v_mov_b32_e32 v2, 0
.LBB47_10:
	s_cbranch_execnz .LBB47_13
.LBB47_11:
	v_mov_b32_e32 v1, 0
	s_and_not1_b32 vcc_lo, exec_lo, s34
	s_delay_alu instid0(VALU_DEP_1) | instskip(NEXT) | instid1(VALU_DEP_1)
	v_mul_u64_e32 v[2:3], s[18:19], v[0:1]
	v_add_nc_u32_e32 v2, v0, v3
	s_delay_alu instid0(VALU_DEP_1) | instskip(NEXT) | instid1(VALU_DEP_1)
	v_lshrrev_b32_e32 v8, s10, v2
	v_mul_lo_u32 v2, v8, s8
	s_delay_alu instid0(VALU_DEP_1) | instskip(NEXT) | instid1(VALU_DEP_1)
	v_sub_nc_u32_e32 v3, v0, v2
	v_mul_lo_u32 v2, v3, s12
	v_mul_lo_u32 v6, v3, s14
	;; [unrolled: 1-line block ×3, first 2 shown]
	s_cbranch_vccnz .LBB47_13
; %bb.12:
	v_mov_b32_e32 v9, v1
	s_delay_alu instid0(VALU_DEP_1) | instskip(NEXT) | instid1(VALU_DEP_1)
	v_mul_u64_e32 v[10:11], s[22:23], v[8:9]
	v_add_nc_u32_e32 v1, v8, v11
	s_delay_alu instid0(VALU_DEP_1) | instskip(NEXT) | instid1(VALU_DEP_1)
	v_lshrrev_b32_e32 v1, s1, v1
	v_mul_lo_u32 v1, v1, s11
	s_delay_alu instid0(VALU_DEP_1) | instskip(NEXT) | instid1(VALU_DEP_1)
	v_sub_nc_u32_e32 v1, v8, v1
	v_mad_u32 v2, v1, s15, v2
	v_mad_u32 v4, v1, s20, v4
	;; [unrolled: 1-line block ×3, first 2 shown]
.LBB47_13:
	v_mov_b32_e32 v5, 0
	s_and_b32 s0, s33, 0xff
	s_delay_alu instid0(SALU_CYCLE_1) | instskip(NEXT) | instid1(VALU_DEP_1)
	s_cmp_lt_i32 s0, 11
	v_add_nc_u64_e32 v[8:9], s[6:7], v[4:5]
	s_cbranch_scc1 .LBB47_20
; %bb.14:
	s_and_b32 s25, 0xffff, s0
	s_delay_alu instid0(SALU_CYCLE_1)
	s_cmp_gt_i32 s25, 25
	s_cbranch_scc0 .LBB47_29
; %bb.15:
	s_cmp_gt_i32 s25, 28
	s_cbranch_scc0 .LBB47_45
; %bb.16:
	;; [unrolled: 3-line block ×4, first 2 shown]
	s_cmp_eq_u32 s25, 46
	s_mov_b32 s39, 0
	s_cbranch_scc0 .LBB47_54
; %bb.19:
	global_load_b32 v1, v[8:9], off
	s_mov_b32 s38, -1
	s_mov_b32 s24, 0
	s_wait_loadcnt 0x0
	v_lshlrev_b32_e32 v1, 16, v1
	s_delay_alu instid0(VALU_DEP_1) | instskip(NEXT) | instid1(VALU_DEP_1)
	v_trunc_f32_e32 v1, v1
	v_mul_f32_e64 v3, 0x2f800000, |v1|
	s_delay_alu instid0(VALU_DEP_1) | instskip(NEXT) | instid1(VALU_DEP_1)
	v_floor_f32_e32 v3, v3
	v_fma_f32 v3, 0xcf800000, v3, |v1|
	v_ashrrev_i32_e32 v1, 31, v1
	s_delay_alu instid0(VALU_DEP_2) | instskip(NEXT) | instid1(VALU_DEP_1)
	v_cvt_u32_f32_e32 v3, v3
	v_xor_b32_e32 v3, v3, v1
	s_delay_alu instid0(VALU_DEP_1)
	v_sub_nc_u32_e32 v4, v3, v1
	s_branch .LBB47_56
.LBB47_20:
	s_mov_b32 s24, 0
	s_mov_b32 s38, 0
                                        ; implicit-def: $vgpr4
	s_cbranch_execnz .LBB47_118
.LBB47_21:
	s_and_not1_b32 vcc_lo, exec_lo, s38
	s_cbranch_vccnz .LBB47_165
.LBB47_22:
	v_mov_b32_e32 v7, 0
	s_and_b32 s0, s9, 0xff
	s_delay_alu instid0(SALU_CYCLE_1) | instskip(NEXT) | instid1(VALU_DEP_1)
	s_cmp_lt_i32 s0, 11
	v_add_nc_u64_e32 v[6:7], s[16:17], v[6:7]
	s_cbranch_scc1 .LBB47_30
; %bb.23:
	s_and_b32 s38, 0xffff, s0
	s_delay_alu instid0(SALU_CYCLE_1)
	s_cmp_gt_i32 s38, 25
	s_cbranch_scc0 .LBB47_46
; %bb.24:
	s_cmp_gt_i32 s38, 28
	s_cbranch_scc0 .LBB47_49
; %bb.25:
	;; [unrolled: 3-line block ×4, first 2 shown]
	s_cmp_eq_u32 s38, 46
	s_mov_b32 s40, 0
	s_cbranch_scc0 .LBB47_166
; %bb.28:
	global_load_b32 v1, v[6:7], off
	s_mov_b32 s39, -1
	s_mov_b32 s25, 0
	s_wait_loadcnt 0x0
	v_lshlrev_b32_e32 v1, 16, v1
	s_delay_alu instid0(VALU_DEP_1) | instskip(NEXT) | instid1(VALU_DEP_1)
	v_trunc_f32_e32 v1, v1
	v_mul_f32_e64 v3, 0x2f800000, |v1|
	s_delay_alu instid0(VALU_DEP_1) | instskip(NEXT) | instid1(VALU_DEP_1)
	v_floor_f32_e32 v3, v3
	v_fma_f32 v3, 0xcf800000, v3, |v1|
	v_ashrrev_i32_e32 v1, 31, v1
	s_delay_alu instid0(VALU_DEP_2) | instskip(NEXT) | instid1(VALU_DEP_1)
	v_cvt_u32_f32_e32 v3, v3
	v_xor_b32_e32 v3, v3, v1
	s_delay_alu instid0(VALU_DEP_1)
	v_sub_nc_u32_e32 v8, v3, v1
	s_branch .LBB47_168
.LBB47_29:
	s_mov_b32 s24, 0
	s_mov_b32 s38, 0
                                        ; implicit-def: $vgpr4
	s_cbranch_execnz .LBB47_85
	s_branch .LBB47_117
.LBB47_30:
	s_mov_b32 s25, 0
	s_mov_b32 s39, 0
                                        ; implicit-def: $vgpr8
	s_cbranch_execnz .LBB47_340
.LBB47_31:
	s_and_not1_b32 vcc_lo, exec_lo, s39
	s_cbranch_vccnz .LBB47_388
.LBB47_32:
	s_wait_loadcnt 0x0
	s_delay_alu instid0(VALU_DEP_3) | instskip(NEXT) | instid1(VALU_DEP_2)
	v_and_b32_e32 v1, 0xff, v4
	v_mov_b32_e32 v3, v8
	s_mov_b32 s38, 0
	s_mov_b32 s0, exec_lo
	s_delay_alu instid0(VALU_DEP_2)
	v_cmpx_ne_u16_e32 0, v1
	s_cbranch_execz .LBB47_36
; %bb.33:
	v_dual_mov_b32 v5, v4 :: v_dual_mov_b32 v1, v8
.LBB47_34:                              ; =>This Inner Loop Header: Depth=1
	s_delay_alu instid0(VALU_DEP_1) | instskip(NEXT) | instid1(VALU_DEP_2)
	v_cvt_f32_ubyte0_e32 v7, v1
	v_mov_b32_e32 v3, v5
	s_delay_alu instid0(VALU_DEP_1) | instskip(NEXT) | instid1(VALU_DEP_1)
	v_cvt_f32_ubyte0_e32 v5, v3
	v_rcp_iflag_f32_e32 v6, v5
	v_nop
	s_delay_alu instid0(TRANS32_DEP_1) | instskip(NEXT) | instid1(VALU_DEP_1)
	v_mul_f32_e32 v6, v7, v6
	v_trunc_f32_e32 v6, v6
	s_delay_alu instid0(VALU_DEP_1) | instskip(SKIP_1) | instid1(VALU_DEP_2)
	v_fma_f32 v7, -v6, v5, v7
	v_cvt_u32_f32_e32 v6, v6
	v_cmp_ge_f32_e64 vcc_lo, |v7|, v5
	s_delay_alu instid0(VALU_DEP_1) | instskip(NEXT) | instid1(VALU_DEP_1)
	v_add_co_ci_u32_e64 v5, null, 0, v6, vcc_lo
	v_mul_lo_u32 v5, v5, v3
	s_delay_alu instid0(VALU_DEP_1) | instskip(NEXT) | instid1(VALU_DEP_1)
	v_sub_nc_u32_e32 v1, v1, v5
	v_and_b32_e32 v5, 0xff, v1
	v_mov_b32_e32 v1, v3
	s_delay_alu instid0(VALU_DEP_2) | instskip(SKIP_1) | instid1(SALU_CYCLE_1)
	v_cmp_eq_u16_e32 vcc_lo, 0, v5
	s_or_b32 s38, vcc_lo, s38
	s_and_not1_b32 exec_lo, exec_lo, s38
	s_cbranch_execnz .LBB47_34
; %bb.35:
	s_or_b32 exec_lo, exec_lo, s38
.LBB47_36:
	s_delay_alu instid0(SALU_CYCLE_1) | instskip(SKIP_3) | instid1(VALU_DEP_2)
	s_or_b32 exec_lo, exec_lo, s0
	v_and_b32_e32 v5, 0xff, v3
	v_mov_b32_e32 v1, 0
	s_mov_b32 s0, exec_lo
	v_cmpx_ne_u16_e32 0, v5
	s_cbranch_execz .LBB47_38
; %bb.37:
	v_cvt_f32_ubyte0_e32 v1, v3
	v_cvt_f32_ubyte0_e32 v4, v4
	s_delay_alu instid0(VALU_DEP_2) | instskip(SKIP_1) | instid1(TRANS32_DEP_1)
	v_rcp_iflag_f32_e32 v3, v1
	v_nop
	v_mul_f32_e32 v3, v4, v3
	s_delay_alu instid0(VALU_DEP_1) | instskip(NEXT) | instid1(VALU_DEP_1)
	v_trunc_f32_e32 v3, v3
	v_fma_f32 v4, -v3, v1, v4
	v_cvt_u32_f32_e32 v3, v3
	s_delay_alu instid0(VALU_DEP_2) | instskip(NEXT) | instid1(VALU_DEP_1)
	v_cmp_ge_f32_e64 vcc_lo, |v4|, v1
	v_add_co_ci_u32_e64 v1, null, 0, v3, vcc_lo
	s_delay_alu instid0(VALU_DEP_1)
	v_mul_lo_u16 v1, v1, v8
.LBB47_38:
	s_or_b32 exec_lo, exec_lo, s0
	v_mov_b32_e32 v3, 0
	s_and_b32 s38, s31, 0xff
	s_delay_alu instid0(SALU_CYCLE_1) | instskip(NEXT) | instid1(VALU_DEP_1)
	s_cmp_lt_i32 s38, 11
	v_add_nc_u64_e32 v[2:3], s[4:5], v[2:3]
	s_cbranch_scc1 .LBB47_47
; %bb.39:
	s_and_b32 s39, 0xffff, s38
	s_delay_alu instid0(SALU_CYCLE_1)
	s_cmp_gt_i32 s39, 25
	s_cbranch_scc0 .LBB47_50
; %bb.40:
	s_cmp_gt_i32 s39, 28
	s_cbranch_scc0 .LBB47_53
; %bb.41:
	;; [unrolled: 3-line block ×4, first 2 shown]
	s_mov_b32 s42, 0
	s_mov_b32 s0, -1
	s_cmp_eq_u32 s39, 46
	s_mov_b32 s40, 0
	s_cbranch_scc0 .LBB47_172
; %bb.44:
	v_cvt_f32_ubyte0_e32 v4, v1
	s_mov_b32 s40, -1
	s_mov_b32 s0, 0
	s_delay_alu instid0(VALU_DEP_1) | instskip(NEXT) | instid1(VALU_DEP_1)
	v_bfe_u32 v5, v4, 16, 1
	v_add3_u32 v4, v4, v5, 0x7fff
	s_delay_alu instid0(VALU_DEP_1)
	v_lshrrev_b32_e32 v4, 16, v4
	global_store_b32 v[2:3], v4, off
	s_branch .LBB47_172
.LBB47_45:
	s_mov_b32 s39, -1
	s_mov_b32 s24, 0
	s_mov_b32 s38, 0
                                        ; implicit-def: $vgpr4
	s_branch .LBB47_68
.LBB47_46:
	s_mov_b32 s40, -1
	s_mov_b32 s25, 0
	s_mov_b32 s39, 0
                                        ; implicit-def: $vgpr8
	s_branch .LBB47_306
.LBB47_47:
	s_mov_b32 s39, -1
	s_mov_b32 s0, 0
	s_mov_b32 s40, 0
	s_branch .LBB47_241
.LBB47_48:
	s_mov_b32 s39, -1
	s_mov_b32 s24, 0
	s_mov_b32 s38, 0
                                        ; implicit-def: $vgpr4
	s_branch .LBB47_63
.LBB47_49:
	s_mov_b32 s40, -1
	s_mov_b32 s25, 0
	s_mov_b32 s39, 0
                                        ; implicit-def: $vgpr8
	s_branch .LBB47_289
.LBB47_50:
	s_mov_b32 s42, -1
	s_mov_b32 s0, 0
	s_mov_b32 s40, 0
	s_branch .LBB47_199
.LBB47_51:
	s_mov_b32 s39, -1
	s_mov_b32 s24, 0
	s_branch .LBB47_55
.LBB47_52:
	s_mov_b32 s40, -1
	s_mov_b32 s25, 0
	s_mov_b32 s39, 0
                                        ; implicit-def: $vgpr8
	s_branch .LBB47_284
.LBB47_53:
	s_mov_b32 s42, -1
	s_mov_b32 s0, 0
	s_mov_b32 s40, 0
	s_branch .LBB47_182
.LBB47_54:
	s_mov_b32 s24, -1
.LBB47_55:
	s_mov_b32 s38, 0
                                        ; implicit-def: $vgpr4
.LBB47_56:
	s_and_b32 vcc_lo, exec_lo, s39
	s_cbranch_vccz .LBB47_62
; %bb.57:
	s_cmp_eq_u32 s25, 44
	s_cbranch_scc0 .LBB47_61
; %bb.58:
	global_load_u8 v1, v[8:9], off
	s_mov_b32 s24, 0
	s_mov_b32 s38, -1
	s_wait_loadcnt 0x0
	v_lshlrev_b32_e32 v3, 23, v1
	v_cmp_ne_u32_e32 vcc_lo, 0, v1
	s_delay_alu instid0(VALU_DEP_2) | instskip(NEXT) | instid1(VALU_DEP_1)
	v_trunc_f32_e32 v3, v3
	v_mul_f32_e64 v4, 0x2f800000, |v3|
	s_delay_alu instid0(VALU_DEP_1) | instskip(NEXT) | instid1(VALU_DEP_1)
	v_floor_f32_e32 v4, v4
	v_fma_f32 v4, 0xcf800000, v4, |v3|
	v_ashrrev_i32_e32 v3, 31, v3
	s_delay_alu instid0(VALU_DEP_2) | instskip(NEXT) | instid1(VALU_DEP_1)
	v_cvt_u32_f32_e32 v4, v4
	v_xor_b32_e32 v4, v4, v3
	s_delay_alu instid0(VALU_DEP_1) | instskip(NEXT) | instid1(VALU_DEP_1)
	v_sub_nc_u32_e32 v3, v4, v3
	v_cndmask_b32_e32 v4, 0, v3, vcc_lo
	s_branch .LBB47_62
.LBB47_59:
	s_mov_b32 s40, -1
	s_mov_b32 s25, 0
	s_branch .LBB47_167
.LBB47_60:
	s_mov_b32 s42, -1
	s_mov_b32 s0, 0
	s_mov_b32 s40, 0
	s_branch .LBB47_178
.LBB47_61:
	s_mov_b32 s24, -1
                                        ; implicit-def: $vgpr4
.LBB47_62:
	s_mov_b32 s39, 0
.LBB47_63:
	s_delay_alu instid0(SALU_CYCLE_1)
	s_and_b32 vcc_lo, exec_lo, s39
	s_cbranch_vccz .LBB47_67
; %bb.64:
	s_cmp_eq_u32 s25, 29
	s_cbranch_scc0 .LBB47_66
; %bb.65:
	global_load_b64 v[4:5], v[8:9], off
	s_mov_b32 s38, -1
	s_mov_b32 s24, 0
	s_branch .LBB47_67
.LBB47_66:
	s_mov_b32 s24, -1
                                        ; implicit-def: $vgpr4
.LBB47_67:
	s_mov_b32 s39, 0
.LBB47_68:
	s_delay_alu instid0(SALU_CYCLE_1)
	s_and_b32 vcc_lo, exec_lo, s39
	s_cbranch_vccz .LBB47_84
; %bb.69:
	s_cmp_lt_i32 s25, 27
	s_cbranch_scc1 .LBB47_72
; %bb.70:
	s_cmp_gt_i32 s25, 27
	s_cbranch_scc0 .LBB47_73
; %bb.71:
	s_wait_loadcnt 0x0
	global_load_b32 v4, v[8:9], off
	s_mov_b32 s38, 0
	s_branch .LBB47_74
.LBB47_72:
	s_mov_b32 s38, -1
                                        ; implicit-def: $vgpr4
	s_branch .LBB47_77
.LBB47_73:
	s_mov_b32 s38, -1
                                        ; implicit-def: $vgpr4
.LBB47_74:
	s_delay_alu instid0(SALU_CYCLE_1)
	s_and_not1_b32 vcc_lo, exec_lo, s38
	s_cbranch_vccnz .LBB47_76
; %bb.75:
	s_wait_loadcnt 0x0
	global_load_u16 v4, v[8:9], off
.LBB47_76:
	s_mov_b32 s38, 0
.LBB47_77:
	s_delay_alu instid0(SALU_CYCLE_1)
	s_and_not1_b32 vcc_lo, exec_lo, s38
	s_cbranch_vccnz .LBB47_83
; %bb.78:
	global_load_u8 v1, v[8:9], off
	s_mov_b32 s39, 0
	s_mov_b32 s38, exec_lo
	s_wait_loadcnt 0x0
	v_cmpx_lt_i16_e32 0x7f, v1
	s_xor_b32 s38, exec_lo, s38
	s_cbranch_execz .LBB47_94
; %bb.79:
	v_cmp_ne_u16_e32 vcc_lo, 0x80, v1
	s_and_b32 s39, vcc_lo, exec_lo
	s_and_not1_saveexec_b32 s38, s38
	s_cbranch_execnz .LBB47_95
.LBB47_80:
	s_or_b32 exec_lo, exec_lo, s38
	v_mov_b32_e32 v4, 0
	s_and_saveexec_b32 s38, s39
	s_cbranch_execz .LBB47_82
.LBB47_81:
	v_and_b32_e32 v3, 0xffff, v1
	s_delay_alu instid0(VALU_DEP_1) | instskip(SKIP_1) | instid1(VALU_DEP_2)
	v_and_b32_e32 v4, 7, v3
	v_bfe_u32 v10, v3, 3, 4
	v_clz_i32_u32_e32 v5, v4
	s_delay_alu instid0(VALU_DEP_2) | instskip(NEXT) | instid1(VALU_DEP_2)
	v_cmp_eq_u32_e32 vcc_lo, 0, v10
	v_min_u32_e32 v5, 32, v5
	s_delay_alu instid0(VALU_DEP_1) | instskip(NEXT) | instid1(VALU_DEP_1)
	v_subrev_nc_u32_e32 v7, 28, v5
	v_dual_lshlrev_b32 v3, v7, v3 :: v_dual_sub_nc_u32 v5, 29, v5
	s_delay_alu instid0(VALU_DEP_1) | instskip(NEXT) | instid1(VALU_DEP_1)
	v_dual_lshlrev_b32 v1, 24, v1 :: v_dual_bitop2_b32 v3, 7, v3 bitop3:0x40
	v_dual_cndmask_b32 v3, v4, v3, vcc_lo :: v_dual_cndmask_b32 v5, v10, v5, vcc_lo
	s_delay_alu instid0(VALU_DEP_2) | instskip(NEXT) | instid1(VALU_DEP_2)
	v_and_b32_e32 v1, 0x80000000, v1
	v_lshlrev_b32_e32 v3, 20, v3
	s_delay_alu instid0(VALU_DEP_3) | instskip(NEXT) | instid1(VALU_DEP_1)
	v_lshl_add_u32 v4, v5, 23, 0x3b800000
	v_or3_b32 v1, v1, v4, v3
	s_delay_alu instid0(VALU_DEP_1) | instskip(NEXT) | instid1(VALU_DEP_1)
	v_trunc_f32_e32 v1, v1
	v_mul_f32_e64 v3, 0x2f800000, |v1|
	s_delay_alu instid0(VALU_DEP_1) | instskip(NEXT) | instid1(VALU_DEP_1)
	v_floor_f32_e32 v3, v3
	v_fma_f32 v3, 0xcf800000, v3, |v1|
	v_ashrrev_i32_e32 v1, 31, v1
	s_delay_alu instid0(VALU_DEP_2) | instskip(NEXT) | instid1(VALU_DEP_1)
	v_cvt_u32_f32_e32 v3, v3
	v_xor_b32_e32 v3, v3, v1
	s_delay_alu instid0(VALU_DEP_1)
	v_sub_nc_u32_e32 v4, v3, v1
.LBB47_82:
	s_or_b32 exec_lo, exec_lo, s38
.LBB47_83:
	s_mov_b32 s38, -1
.LBB47_84:
	s_branch .LBB47_117
.LBB47_85:
	s_cmp_gt_i32 s25, 22
	s_cbranch_scc0 .LBB47_93
; %bb.86:
	s_cmp_lt_i32 s25, 24
	s_cbranch_scc1 .LBB47_96
; %bb.87:
	s_cmp_gt_i32 s25, 24
	s_cbranch_scc0 .LBB47_97
; %bb.88:
	global_load_u8 v1, v[8:9], off
	s_mov_b32 s39, 0
	s_mov_b32 s38, exec_lo
	s_wait_loadcnt 0x0
	v_cmpx_lt_i16_e32 0x7f, v1
	s_xor_b32 s38, exec_lo, s38
	s_cbranch_execz .LBB47_109
; %bb.89:
	v_cmp_ne_u16_e32 vcc_lo, 0x80, v1
	s_and_b32 s39, vcc_lo, exec_lo
	s_and_not1_saveexec_b32 s38, s38
	s_cbranch_execnz .LBB47_110
.LBB47_90:
	s_or_b32 exec_lo, exec_lo, s38
	v_mov_b32_e32 v4, 0
	s_and_saveexec_b32 s38, s39
	s_cbranch_execz .LBB47_92
.LBB47_91:
	v_and_b32_e32 v3, 0xffff, v1
	s_delay_alu instid0(VALU_DEP_1) | instskip(SKIP_1) | instid1(VALU_DEP_2)
	v_and_b32_e32 v4, 3, v3
	v_bfe_u32 v10, v3, 2, 5
	v_clz_i32_u32_e32 v5, v4
	s_delay_alu instid0(VALU_DEP_2) | instskip(NEXT) | instid1(VALU_DEP_2)
	v_cmp_eq_u32_e32 vcc_lo, 0, v10
	v_min_u32_e32 v5, 32, v5
	s_delay_alu instid0(VALU_DEP_1) | instskip(NEXT) | instid1(VALU_DEP_1)
	v_subrev_nc_u32_e32 v7, 29, v5
	v_dual_lshlrev_b32 v3, v7, v3 :: v_dual_sub_nc_u32 v5, 30, v5
	s_delay_alu instid0(VALU_DEP_1) | instskip(NEXT) | instid1(VALU_DEP_1)
	v_dual_lshlrev_b32 v1, 24, v1 :: v_dual_bitop2_b32 v3, 3, v3 bitop3:0x40
	v_dual_cndmask_b32 v3, v4, v3, vcc_lo :: v_dual_cndmask_b32 v5, v10, v5, vcc_lo
	s_delay_alu instid0(VALU_DEP_2) | instskip(NEXT) | instid1(VALU_DEP_2)
	v_and_b32_e32 v1, 0x80000000, v1
	v_lshlrev_b32_e32 v3, 21, v3
	s_delay_alu instid0(VALU_DEP_3) | instskip(NEXT) | instid1(VALU_DEP_1)
	v_lshl_add_u32 v4, v5, 23, 0x37800000
	v_or3_b32 v1, v1, v4, v3
	s_delay_alu instid0(VALU_DEP_1) | instskip(NEXT) | instid1(VALU_DEP_1)
	v_trunc_f32_e32 v1, v1
	v_mul_f32_e64 v3, 0x2f800000, |v1|
	s_delay_alu instid0(VALU_DEP_1) | instskip(NEXT) | instid1(VALU_DEP_1)
	v_floor_f32_e32 v3, v3
	v_fma_f32 v3, 0xcf800000, v3, |v1|
	v_ashrrev_i32_e32 v1, 31, v1
	s_delay_alu instid0(VALU_DEP_2) | instskip(NEXT) | instid1(VALU_DEP_1)
	v_cvt_u32_f32_e32 v3, v3
	v_xor_b32_e32 v3, v3, v1
	s_delay_alu instid0(VALU_DEP_1)
	v_sub_nc_u32_e32 v4, v3, v1
.LBB47_92:
	s_or_b32 exec_lo, exec_lo, s38
	s_mov_b32 s38, 0
	s_branch .LBB47_98
.LBB47_93:
	s_mov_b32 s39, -1
                                        ; implicit-def: $vgpr4
	s_branch .LBB47_104
.LBB47_94:
	s_and_not1_saveexec_b32 s38, s38
	s_cbranch_execz .LBB47_80
.LBB47_95:
	v_cmp_ne_u16_e32 vcc_lo, 0, v1
	s_and_not1_b32 s39, s39, exec_lo
	s_and_b32 s40, vcc_lo, exec_lo
	s_delay_alu instid0(SALU_CYCLE_1)
	s_or_b32 s39, s39, s40
	s_or_b32 exec_lo, exec_lo, s38
	v_mov_b32_e32 v4, 0
	s_and_saveexec_b32 s38, s39
	s_cbranch_execnz .LBB47_81
	s_branch .LBB47_82
.LBB47_96:
	s_mov_b32 s38, -1
                                        ; implicit-def: $vgpr4
	s_branch .LBB47_101
.LBB47_97:
	s_mov_b32 s38, -1
                                        ; implicit-def: $vgpr4
.LBB47_98:
	s_delay_alu instid0(SALU_CYCLE_1)
	s_and_b32 vcc_lo, exec_lo, s38
	s_cbranch_vccz .LBB47_100
; %bb.99:
	global_load_u8 v1, v[8:9], off
	s_wait_loadcnt 0x0
	v_lshlrev_b32_e32 v1, 24, v1
	s_delay_alu instid0(VALU_DEP_1) | instskip(NEXT) | instid1(VALU_DEP_1)
	v_and_b32_e32 v3, 0x7f000000, v1
	v_clz_i32_u32_e32 v4, v3
	v_add_nc_u32_e32 v7, 0x1000000, v3
	v_cmp_ne_u32_e32 vcc_lo, 0, v3
	s_delay_alu instid0(VALU_DEP_3) | instskip(NEXT) | instid1(VALU_DEP_1)
	v_min_u32_e32 v4, 32, v4
	v_sub_nc_u32_e64 v4, v4, 4 clamp
	s_delay_alu instid0(VALU_DEP_1) | instskip(NEXT) | instid1(VALU_DEP_1)
	v_dual_lshlrev_b32 v5, v4, v3 :: v_dual_lshlrev_b32 v4, 23, v4
	v_lshrrev_b32_e32 v5, 4, v5
	s_delay_alu instid0(VALU_DEP_1) | instskip(NEXT) | instid1(VALU_DEP_1)
	v_dual_sub_nc_u32 v4, v5, v4 :: v_dual_ashrrev_i32 v5, 8, v7
	v_add_nc_u32_e32 v4, 0x3c000000, v4
	s_delay_alu instid0(VALU_DEP_1) | instskip(NEXT) | instid1(VALU_DEP_1)
	v_and_or_b32 v4, 0x7f800000, v5, v4
	v_cndmask_b32_e32 v3, 0, v4, vcc_lo
	s_delay_alu instid0(VALU_DEP_1) | instskip(NEXT) | instid1(VALU_DEP_1)
	v_and_or_b32 v1, 0x80000000, v1, v3
	v_trunc_f32_e32 v1, v1
	s_delay_alu instid0(VALU_DEP_1) | instskip(NEXT) | instid1(VALU_DEP_1)
	v_mul_f32_e64 v3, 0x2f800000, |v1|
	v_floor_f32_e32 v3, v3
	s_delay_alu instid0(VALU_DEP_1) | instskip(SKIP_1) | instid1(VALU_DEP_2)
	v_fma_f32 v3, 0xcf800000, v3, |v1|
	v_ashrrev_i32_e32 v1, 31, v1
	v_cvt_u32_f32_e32 v3, v3
	s_delay_alu instid0(VALU_DEP_1) | instskip(NEXT) | instid1(VALU_DEP_1)
	v_xor_b32_e32 v3, v3, v1
	v_sub_nc_u32_e32 v4, v3, v1
.LBB47_100:
	s_mov_b32 s38, 0
.LBB47_101:
	s_delay_alu instid0(SALU_CYCLE_1)
	s_and_not1_b32 vcc_lo, exec_lo, s38
	s_cbranch_vccnz .LBB47_103
; %bb.102:
	global_load_u8 v1, v[8:9], off
	s_wait_loadcnt 0x0
	v_lshlrev_b32_e32 v3, 25, v1
	v_lshlrev_b16 v1, 8, v1
	s_delay_alu instid0(VALU_DEP_1) | instskip(NEXT) | instid1(VALU_DEP_3)
	v_and_or_b32 v5, 0x7f00, v1, 0.5
	v_lshrrev_b32_e32 v4, 4, v3
	v_bfe_i32 v1, v1, 0, 16
	s_delay_alu instid0(VALU_DEP_3) | instskip(NEXT) | instid1(VALU_DEP_3)
	v_add_f32_e32 v5, -0.5, v5
	v_or_b32_e32 v4, 0x70000000, v4
	s_delay_alu instid0(VALU_DEP_1) | instskip(SKIP_1) | instid1(VALU_DEP_2)
	v_mul_f32_e32 v4, 0x7800000, v4
	v_cmp_gt_u32_e32 vcc_lo, 0x8000000, v3
	v_cndmask_b32_e32 v3, v4, v5, vcc_lo
	s_delay_alu instid0(VALU_DEP_1) | instskip(NEXT) | instid1(VALU_DEP_1)
	v_and_or_b32 v1, 0x80000000, v1, v3
	v_trunc_f32_e32 v1, v1
	s_delay_alu instid0(VALU_DEP_1) | instskip(NEXT) | instid1(VALU_DEP_1)
	v_mul_f32_e64 v3, 0x2f800000, |v1|
	v_floor_f32_e32 v3, v3
	s_delay_alu instid0(VALU_DEP_1) | instskip(SKIP_1) | instid1(VALU_DEP_2)
	v_fma_f32 v3, 0xcf800000, v3, |v1|
	v_ashrrev_i32_e32 v1, 31, v1
	v_cvt_u32_f32_e32 v3, v3
	s_delay_alu instid0(VALU_DEP_1) | instskip(NEXT) | instid1(VALU_DEP_1)
	v_xor_b32_e32 v3, v3, v1
	v_sub_nc_u32_e32 v4, v3, v1
.LBB47_103:
	s_mov_b32 s39, 0
	s_mov_b32 s38, -1
.LBB47_104:
	s_and_not1_b32 vcc_lo, exec_lo, s39
	s_cbranch_vccnz .LBB47_117
; %bb.105:
	s_cmp_gt_i32 s25, 14
	s_cbranch_scc0 .LBB47_108
; %bb.106:
	s_cmp_eq_u32 s25, 15
	s_cbranch_scc0 .LBB47_111
; %bb.107:
	global_load_u16 v1, v[8:9], off
	s_mov_b32 s38, -1
	s_mov_b32 s24, 0
	s_wait_loadcnt 0x0
	v_lshlrev_b32_e32 v1, 16, v1
	s_delay_alu instid0(VALU_DEP_1) | instskip(NEXT) | instid1(VALU_DEP_1)
	v_trunc_f32_e32 v1, v1
	v_mul_f32_e64 v3, 0x2f800000, |v1|
	s_delay_alu instid0(VALU_DEP_1) | instskip(NEXT) | instid1(VALU_DEP_1)
	v_floor_f32_e32 v3, v3
	v_fma_f32 v3, 0xcf800000, v3, |v1|
	v_ashrrev_i32_e32 v1, 31, v1
	s_delay_alu instid0(VALU_DEP_2) | instskip(NEXT) | instid1(VALU_DEP_1)
	v_cvt_u32_f32_e32 v3, v3
	v_xor_b32_e32 v3, v3, v1
	s_delay_alu instid0(VALU_DEP_1)
	v_sub_nc_u32_e32 v4, v3, v1
	s_branch .LBB47_112
.LBB47_108:
	s_mov_b32 s39, -1
                                        ; implicit-def: $vgpr4
	s_branch .LBB47_113
.LBB47_109:
	s_and_not1_saveexec_b32 s38, s38
	s_cbranch_execz .LBB47_90
.LBB47_110:
	v_cmp_ne_u16_e32 vcc_lo, 0, v1
	s_and_not1_b32 s39, s39, exec_lo
	s_and_b32 s40, vcc_lo, exec_lo
	s_delay_alu instid0(SALU_CYCLE_1)
	s_or_b32 s39, s39, s40
	s_or_b32 exec_lo, exec_lo, s38
	v_mov_b32_e32 v4, 0
	s_and_saveexec_b32 s38, s39
	s_cbranch_execnz .LBB47_91
	s_branch .LBB47_92
.LBB47_111:
	s_mov_b32 s24, -1
                                        ; implicit-def: $vgpr4
.LBB47_112:
	s_mov_b32 s39, 0
.LBB47_113:
	s_delay_alu instid0(SALU_CYCLE_1)
	s_and_b32 vcc_lo, exec_lo, s39
	s_cbranch_vccz .LBB47_117
; %bb.114:
	s_cmp_eq_u32 s25, 11
	s_cbranch_scc0 .LBB47_116
; %bb.115:
	global_load_u8 v1, v[8:9], off
	s_mov_b32 s24, 0
	s_mov_b32 s38, -1
	s_wait_loadcnt 0x0
	v_cmp_ne_u16_e32 vcc_lo, 0, v1
	v_cndmask_b32_e64 v4, 0, 1, vcc_lo
	s_branch .LBB47_117
.LBB47_116:
	s_mov_b32 s24, -1
                                        ; implicit-def: $vgpr4
.LBB47_117:
	s_branch .LBB47_21
.LBB47_118:
	s_and_b32 s0, 0xffff, s0
	s_delay_alu instid0(SALU_CYCLE_1)
	s_cmp_lt_i32 s0, 5
	s_cbranch_scc1 .LBB47_123
; %bb.119:
	s_cmp_lt_i32 s0, 8
	s_cbranch_scc1 .LBB47_124
; %bb.120:
	s_cmp_lt_i32 s0, 9
	s_cbranch_scc1 .LBB47_125
; %bb.121:
	s_cmp_gt_i32 s0, 9
	s_cbranch_scc0 .LBB47_126
; %bb.122:
	s_wait_loadcnt 0x0
	global_load_b64 v[4:5], v[8:9], off
	s_mov_b32 s25, 0
	s_wait_loadcnt 0x0
	v_trunc_f64_e32 v[4:5], v[4:5]
	s_delay_alu instid0(VALU_DEP_1) | instskip(NEXT) | instid1(VALU_DEP_1)
	v_ldexp_f64 v[10:11], v[4:5], 0xffffffe0
	v_floor_f64_e32 v[10:11], v[10:11]
	s_delay_alu instid0(VALU_DEP_1) | instskip(NEXT) | instid1(VALU_DEP_1)
	v_fmamk_f64 v[4:5], v[10:11], 0xc1f00000, v[4:5]
	v_cvt_u32_f64_e32 v4, v[4:5]
	s_branch .LBB47_127
.LBB47_123:
                                        ; implicit-def: $vgpr4
	s_branch .LBB47_145
.LBB47_124:
	s_mov_b32 s25, -1
                                        ; implicit-def: $vgpr4
	s_branch .LBB47_133
.LBB47_125:
	s_mov_b32 s25, -1
                                        ; implicit-def: $vgpr4
	s_branch .LBB47_130
.LBB47_126:
	s_mov_b32 s25, -1
                                        ; implicit-def: $vgpr4
.LBB47_127:
	s_delay_alu instid0(SALU_CYCLE_1)
	s_and_not1_b32 vcc_lo, exec_lo, s25
	s_cbranch_vccnz .LBB47_129
; %bb.128:
	global_load_b32 v1, v[8:9], off
	s_wait_loadcnt 0x0
	v_trunc_f32_e32 v1, v1
	s_delay_alu instid0(VALU_DEP_1) | instskip(NEXT) | instid1(VALU_DEP_1)
	v_mul_f32_e64 v3, 0x2f800000, |v1|
	v_floor_f32_e32 v3, v3
	s_delay_alu instid0(VALU_DEP_1) | instskip(SKIP_1) | instid1(VALU_DEP_2)
	v_fma_f32 v3, 0xcf800000, v3, |v1|
	v_ashrrev_i32_e32 v1, 31, v1
	v_cvt_u32_f32_e32 v3, v3
	s_delay_alu instid0(VALU_DEP_1) | instskip(NEXT) | instid1(VALU_DEP_1)
	v_xor_b32_e32 v3, v3, v1
	v_sub_nc_u32_e32 v4, v3, v1
.LBB47_129:
	s_mov_b32 s25, 0
.LBB47_130:
	s_delay_alu instid0(SALU_CYCLE_1)
	s_and_not1_b32 vcc_lo, exec_lo, s25
	s_cbranch_vccnz .LBB47_132
; %bb.131:
	global_load_b32 v1, v[8:9], off
	s_wait_loadcnt 0x0
	v_cvt_f32_f16_e32 v1, v1
	s_delay_alu instid0(VALU_DEP_1)
	v_cvt_i32_f32_e32 v4, v1
.LBB47_132:
	s_mov_b32 s25, 0
.LBB47_133:
	s_delay_alu instid0(SALU_CYCLE_1)
	s_and_not1_b32 vcc_lo, exec_lo, s25
	s_cbranch_vccnz .LBB47_144
; %bb.134:
	s_cmp_lt_i32 s0, 6
	s_cbranch_scc1 .LBB47_137
; %bb.135:
	s_cmp_gt_i32 s0, 6
	s_cbranch_scc0 .LBB47_138
; %bb.136:
	s_wait_loadcnt 0x0
	global_load_b64 v[4:5], v[8:9], off
	s_mov_b32 s25, 0
	s_wait_loadcnt 0x0
	v_trunc_f64_e32 v[4:5], v[4:5]
	s_delay_alu instid0(VALU_DEP_1) | instskip(NEXT) | instid1(VALU_DEP_1)
	v_ldexp_f64 v[10:11], v[4:5], 0xffffffe0
	v_floor_f64_e32 v[10:11], v[10:11]
	s_delay_alu instid0(VALU_DEP_1) | instskip(NEXT) | instid1(VALU_DEP_1)
	v_fmamk_f64 v[4:5], v[10:11], 0xc1f00000, v[4:5]
	v_cvt_u32_f64_e32 v4, v[4:5]
	s_branch .LBB47_139
.LBB47_137:
	s_mov_b32 s25, -1
                                        ; implicit-def: $vgpr4
	s_branch .LBB47_142
.LBB47_138:
	s_mov_b32 s25, -1
                                        ; implicit-def: $vgpr4
.LBB47_139:
	s_delay_alu instid0(SALU_CYCLE_1)
	s_and_not1_b32 vcc_lo, exec_lo, s25
	s_cbranch_vccnz .LBB47_141
; %bb.140:
	global_load_b32 v1, v[8:9], off
	s_wait_loadcnt 0x0
	v_trunc_f32_e32 v1, v1
	s_delay_alu instid0(VALU_DEP_1) | instskip(NEXT) | instid1(VALU_DEP_1)
	v_mul_f32_e64 v3, 0x2f800000, |v1|
	v_floor_f32_e32 v3, v3
	s_delay_alu instid0(VALU_DEP_1) | instskip(SKIP_1) | instid1(VALU_DEP_2)
	v_fma_f32 v3, 0xcf800000, v3, |v1|
	v_ashrrev_i32_e32 v1, 31, v1
	v_cvt_u32_f32_e32 v3, v3
	s_delay_alu instid0(VALU_DEP_1) | instskip(NEXT) | instid1(VALU_DEP_1)
	v_xor_b32_e32 v3, v3, v1
	v_sub_nc_u32_e32 v4, v3, v1
.LBB47_141:
	s_mov_b32 s25, 0
.LBB47_142:
	s_delay_alu instid0(SALU_CYCLE_1)
	s_and_not1_b32 vcc_lo, exec_lo, s25
	s_cbranch_vccnz .LBB47_144
; %bb.143:
	global_load_u16 v1, v[8:9], off
	s_wait_loadcnt 0x0
	v_cvt_f32_f16_e32 v1, v1
	s_delay_alu instid0(VALU_DEP_1)
	v_cvt_i32_f32_e32 v4, v1
.LBB47_144:
	s_cbranch_execnz .LBB47_164
.LBB47_145:
	s_cmp_lt_i32 s0, 2
	s_cbranch_scc1 .LBB47_149
; %bb.146:
	s_cmp_lt_i32 s0, 3
	s_cbranch_scc1 .LBB47_150
; %bb.147:
	s_cmp_gt_i32 s0, 3
	s_cbranch_scc0 .LBB47_151
; %bb.148:
	s_wait_loadcnt 0x0
	global_load_b64 v[4:5], v[8:9], off
	s_mov_b32 s25, 0
	s_branch .LBB47_152
.LBB47_149:
	s_mov_b32 s25, -1
                                        ; implicit-def: $vgpr4
	s_branch .LBB47_158
.LBB47_150:
	s_mov_b32 s25, -1
                                        ; implicit-def: $vgpr4
	s_branch .LBB47_155
.LBB47_151:
	s_mov_b32 s25, -1
                                        ; implicit-def: $vgpr4
.LBB47_152:
	s_delay_alu instid0(SALU_CYCLE_1)
	s_and_not1_b32 vcc_lo, exec_lo, s25
	s_cbranch_vccnz .LBB47_154
; %bb.153:
	s_wait_loadcnt 0x0
	global_load_b32 v4, v[8:9], off
.LBB47_154:
	s_mov_b32 s25, 0
.LBB47_155:
	s_delay_alu instid0(SALU_CYCLE_1)
	s_and_not1_b32 vcc_lo, exec_lo, s25
	s_cbranch_vccnz .LBB47_157
; %bb.156:
	s_wait_loadcnt 0x0
	global_load_u16 v4, v[8:9], off
.LBB47_157:
	s_mov_b32 s25, 0
.LBB47_158:
	s_delay_alu instid0(SALU_CYCLE_1)
	s_and_not1_b32 vcc_lo, exec_lo, s25
	s_cbranch_vccnz .LBB47_164
; %bb.159:
	s_cmp_gt_i32 s0, 0
	s_mov_b32 s0, 0
	s_cbranch_scc0 .LBB47_161
; %bb.160:
	s_wait_loadcnt 0x0
	global_load_u8 v4, v[8:9], off
	s_branch .LBB47_162
.LBB47_161:
	s_mov_b32 s0, -1
                                        ; implicit-def: $vgpr4
.LBB47_162:
	s_delay_alu instid0(SALU_CYCLE_1)
	s_and_not1_b32 vcc_lo, exec_lo, s0
	s_cbranch_vccnz .LBB47_164
; %bb.163:
	s_wait_loadcnt 0x0
	global_load_u8 v4, v[8:9], off
.LBB47_164:
	s_branch .LBB47_22
.LBB47_165:
	s_mov_b32 s0, 0
	s_mov_b32 s25, 0
	s_branch .LBB47_389
.LBB47_166:
	s_mov_b32 s25, -1
.LBB47_167:
	s_mov_b32 s39, 0
                                        ; implicit-def: $vgpr8
.LBB47_168:
	s_and_b32 vcc_lo, exec_lo, s40
	s_cbranch_vccz .LBB47_283
; %bb.169:
	s_cmp_eq_u32 s38, 44
	s_cbranch_scc0 .LBB47_282
; %bb.170:
	global_load_u8 v1, v[6:7], off
	s_mov_b32 s25, 0
	s_mov_b32 s39, -1
	s_wait_loadcnt 0x0
	v_lshlrev_b32_e32 v3, 23, v1
	v_cmp_ne_u32_e32 vcc_lo, 0, v1
	s_delay_alu instid0(VALU_DEP_2) | instskip(NEXT) | instid1(VALU_DEP_1)
	v_trunc_f32_e32 v3, v3
	v_mul_f32_e64 v5, 0x2f800000, |v3|
	s_delay_alu instid0(VALU_DEP_1) | instskip(NEXT) | instid1(VALU_DEP_1)
	v_floor_f32_e32 v5, v5
	v_fma_f32 v5, 0xcf800000, v5, |v3|
	v_ashrrev_i32_e32 v3, 31, v3
	s_delay_alu instid0(VALU_DEP_2) | instskip(NEXT) | instid1(VALU_DEP_1)
	v_cvt_u32_f32_e32 v5, v5
	v_xor_b32_e32 v5, v5, v3
	s_delay_alu instid0(VALU_DEP_1) | instskip(NEXT) | instid1(VALU_DEP_1)
	v_sub_nc_u32_e32 v3, v5, v3
	v_cndmask_b32_e32 v8, 0, v3, vcc_lo
	s_branch .LBB47_283
.LBB47_171:
	s_mov_b32 s42, -1
	s_mov_b32 s0, 0
	s_mov_b32 s40, 0
.LBB47_172:
	s_and_b32 vcc_lo, exec_lo, s42
	s_cbranch_vccz .LBB47_177
; %bb.173:
	s_cmp_eq_u32 s39, 44
	s_mov_b32 s0, -1
	s_cbranch_scc0 .LBB47_177
; %bb.174:
	v_cvt_f32_ubyte0_e32 v6, v1
	s_mov_b32 s40, exec_lo
	s_wait_xcnt 0x0
	s_delay_alu instid0(VALU_DEP_1) | instskip(NEXT) | instid1(VALU_DEP_1)
	v_dual_mov_b32 v5, 0xff :: v_dual_lshrrev_b32 v4, 23, v6
	v_cmpx_ne_u32_e32 0xff, v4
; %bb.175:
	v_and_b32_e32 v5, 0x400000, v6
	v_and_or_b32 v6, 0x3fffff, v6, v4
	s_delay_alu instid0(VALU_DEP_2) | instskip(NEXT) | instid1(VALU_DEP_2)
	v_cmp_ne_u32_e32 vcc_lo, 0, v5
	v_cmp_ne_u32_e64 s0, 0, v6
	s_and_b32 s0, vcc_lo, s0
	s_delay_alu instid0(SALU_CYCLE_1) | instskip(NEXT) | instid1(VALU_DEP_1)
	v_cndmask_b32_e64 v5, 0, 1, s0
	v_add_nc_u32_e32 v5, v4, v5
; %bb.176:
	s_or_b32 exec_lo, exec_lo, s40
	s_mov_b32 s40, -1
	s_mov_b32 s0, 0
	global_store_b8 v[2:3], v5, off
.LBB47_177:
	s_mov_b32 s42, 0
.LBB47_178:
	s_delay_alu instid0(SALU_CYCLE_1)
	s_and_b32 vcc_lo, exec_lo, s42
	s_cbranch_vccz .LBB47_181
; %bb.179:
	s_cmp_eq_u32 s39, 29
	s_mov_b32 s0, -1
	s_cbranch_scc0 .LBB47_181
; %bb.180:
	s_wait_xcnt 0x0
	v_and_b32_e32 v4, 0xff, v1
	v_mov_b32_e32 v5, 0
	s_mov_b32 s40, -1
	s_mov_b32 s0, 0
	s_mov_b32 s42, 0
	global_store_b64 v[2:3], v[4:5], off
	s_branch .LBB47_182
.LBB47_181:
	s_mov_b32 s42, 0
.LBB47_182:
	s_delay_alu instid0(SALU_CYCLE_1)
	s_and_b32 vcc_lo, exec_lo, s42
	s_cbranch_vccz .LBB47_198
; %bb.183:
	s_cmp_lt_i32 s39, 27
	s_mov_b32 s40, -1
	s_cbranch_scc1 .LBB47_189
; %bb.184:
	s_cmp_gt_i32 s39, 27
	s_cbranch_scc0 .LBB47_186
; %bb.185:
	s_wait_xcnt 0x0
	v_and_b32_e32 v4, 0xff, v1
	s_mov_b32 s40, 0
	global_store_b32 v[2:3], v4, off
.LBB47_186:
	s_and_not1_b32 vcc_lo, exec_lo, s40
	s_cbranch_vccnz .LBB47_188
; %bb.187:
	s_wait_xcnt 0x0
	v_and_b32_e32 v4, 0xff, v1
	global_store_b16 v[2:3], v4, off
.LBB47_188:
	s_mov_b32 s40, 0
.LBB47_189:
	s_delay_alu instid0(SALU_CYCLE_1)
	s_and_not1_b32 vcc_lo, exec_lo, s40
	s_cbranch_vccnz .LBB47_197
; %bb.190:
	s_wait_xcnt 0x0
	v_cvt_f32_ubyte0_e32 v5, v1
	v_mov_b32_e32 v6, 0x80
	s_mov_b32 s40, exec_lo
	s_delay_alu instid0(VALU_DEP_2)
	v_cmpx_gt_u32_e32 0x43800000, v5
	s_cbranch_execz .LBB47_196
; %bb.191:
	s_mov_b32 s42, 0
	s_mov_b32 s43, exec_lo
                                        ; implicit-def: $vgpr4
	v_cmpx_lt_u32_e32 0x3bffffff, v5
	s_xor_b32 s43, exec_lo, s43
	s_cbranch_execz .LBB47_431
; %bb.192:
	v_bfe_u32 v4, v5, 20, 1
	s_mov_b32 s42, exec_lo
	s_delay_alu instid0(VALU_DEP_1) | instskip(NEXT) | instid1(VALU_DEP_1)
	v_add3_u32 v4, v5, v4, 0x487ffff
                                        ; implicit-def: $vgpr5
	v_lshrrev_b32_e32 v4, 20, v4
	s_and_not1_saveexec_b32 s43, s43
	s_cbranch_execnz .LBB47_432
.LBB47_193:
	s_or_b32 exec_lo, exec_lo, s43
	v_mov_b32_e32 v6, 0
	s_and_saveexec_b32 s43, s42
.LBB47_194:
	v_mov_b32_e32 v6, v4
.LBB47_195:
	s_or_b32 exec_lo, exec_lo, s43
.LBB47_196:
	s_delay_alu instid0(SALU_CYCLE_1)
	s_or_b32 exec_lo, exec_lo, s40
	global_store_b8 v[2:3], v6, off
.LBB47_197:
	s_mov_b32 s40, -1
.LBB47_198:
	s_mov_b32 s42, 0
.LBB47_199:
	s_delay_alu instid0(SALU_CYCLE_1)
	s_and_b32 vcc_lo, exec_lo, s42
	s_cbranch_vccz .LBB47_240
; %bb.200:
	s_cmp_gt_i32 s39, 22
	s_mov_b32 s42, -1
	s_cbranch_scc0 .LBB47_232
; %bb.201:
	s_cmp_lt_i32 s39, 24
	s_mov_b32 s40, -1
	s_cbranch_scc1 .LBB47_221
; %bb.202:
	s_cmp_gt_i32 s39, 24
	s_cbranch_scc0 .LBB47_210
; %bb.203:
	s_wait_xcnt 0x0
	v_cvt_f32_ubyte0_e32 v5, v1
	v_mov_b32_e32 v6, 0x80
	s_mov_b32 s40, exec_lo
	s_delay_alu instid0(VALU_DEP_2)
	v_cmpx_gt_u32_e32 0x47800000, v5
	s_cbranch_execz .LBB47_209
; %bb.204:
	s_mov_b32 s42, 0
	s_mov_b32 s43, exec_lo
                                        ; implicit-def: $vgpr4
	v_cmpx_lt_u32_e32 0x37ffffff, v5
	s_xor_b32 s43, exec_lo, s43
	s_cbranch_execz .LBB47_546
; %bb.205:
	v_bfe_u32 v4, v5, 21, 1
	s_mov_b32 s42, exec_lo
	s_delay_alu instid0(VALU_DEP_1) | instskip(NEXT) | instid1(VALU_DEP_1)
	v_add3_u32 v4, v5, v4, 0x88fffff
                                        ; implicit-def: $vgpr5
	v_lshrrev_b32_e32 v4, 21, v4
	s_and_not1_saveexec_b32 s43, s43
	s_cbranch_execnz .LBB47_547
.LBB47_206:
	s_or_b32 exec_lo, exec_lo, s43
	v_mov_b32_e32 v6, 0
	s_and_saveexec_b32 s43, s42
.LBB47_207:
	v_mov_b32_e32 v6, v4
.LBB47_208:
	s_or_b32 exec_lo, exec_lo, s43
.LBB47_209:
	s_delay_alu instid0(SALU_CYCLE_1)
	s_or_b32 exec_lo, exec_lo, s40
	s_mov_b32 s40, 0
	global_store_b8 v[2:3], v6, off
.LBB47_210:
	s_and_b32 vcc_lo, exec_lo, s40
	s_cbranch_vccz .LBB47_220
; %bb.211:
	s_wait_xcnt 0x0
	v_cvt_f32_ubyte0_e32 v5, v1
	s_mov_b32 s40, exec_lo
                                        ; implicit-def: $vgpr4
	s_delay_alu instid0(VALU_DEP_1)
	v_cmpx_gt_u32_e32 0x43f00000, v5
	s_xor_b32 s40, exec_lo, s40
	s_cbranch_execz .LBB47_217
; %bb.212:
	s_mov_b32 s42, exec_lo
                                        ; implicit-def: $vgpr4
	v_cmpx_lt_u32_e32 0x3c7fffff, v5
	s_xor_b32 s42, exec_lo, s42
; %bb.213:
	v_bfe_u32 v4, v5, 20, 1
	s_delay_alu instid0(VALU_DEP_1) | instskip(NEXT) | instid1(VALU_DEP_1)
	v_add3_u32 v4, v5, v4, 0x407ffff
	v_and_b32_e32 v5, 0xff00000, v4
	v_lshrrev_b32_e32 v4, 20, v4
	s_delay_alu instid0(VALU_DEP_2) | instskip(NEXT) | instid1(VALU_DEP_2)
	v_cmp_ne_u32_e32 vcc_lo, 0x7f00000, v5
                                        ; implicit-def: $vgpr5
	v_cndmask_b32_e32 v4, 0x7e, v4, vcc_lo
; %bb.214:
	s_and_not1_saveexec_b32 s42, s42
; %bb.215:
	v_add_f32_e32 v4, 0x46800000, v5
; %bb.216:
	s_or_b32 exec_lo, exec_lo, s42
                                        ; implicit-def: $vgpr5
.LBB47_217:
	s_and_not1_saveexec_b32 s40, s40
; %bb.218:
	v_mov_b32_e32 v4, 0x7f
	v_cmp_lt_u32_e32 vcc_lo, 0x7f800000, v5
	s_delay_alu instid0(VALU_DEP_2)
	v_cndmask_b32_e32 v4, 0x7e, v4, vcc_lo
; %bb.219:
	s_or_b32 exec_lo, exec_lo, s40
	global_store_b8 v[2:3], v4, off
.LBB47_220:
	s_mov_b32 s40, 0
.LBB47_221:
	s_delay_alu instid0(SALU_CYCLE_1)
	s_and_not1_b32 vcc_lo, exec_lo, s40
	s_cbranch_vccnz .LBB47_231
; %bb.222:
	s_wait_xcnt 0x0
	v_cvt_f32_ubyte0_e32 v5, v1
	s_mov_b32 s40, exec_lo
                                        ; implicit-def: $vgpr4
	s_delay_alu instid0(VALU_DEP_1)
	v_cmpx_gt_u32_e32 0x47800000, v5
	s_xor_b32 s40, exec_lo, s40
	s_cbranch_execz .LBB47_228
; %bb.223:
	s_mov_b32 s42, exec_lo
                                        ; implicit-def: $vgpr4
	v_cmpx_lt_u32_e32 0x387fffff, v5
	s_xor_b32 s42, exec_lo, s42
; %bb.224:
	v_bfe_u32 v4, v5, 21, 1
	s_delay_alu instid0(VALU_DEP_1) | instskip(NEXT) | instid1(VALU_DEP_1)
	v_add3_u32 v4, v5, v4, 0x80fffff
                                        ; implicit-def: $vgpr5
	v_lshrrev_b32_e32 v4, 21, v4
; %bb.225:
	s_and_not1_saveexec_b32 s42, s42
; %bb.226:
	v_add_f32_e32 v4, 0x43000000, v5
; %bb.227:
	s_or_b32 exec_lo, exec_lo, s42
                                        ; implicit-def: $vgpr5
.LBB47_228:
	s_and_not1_saveexec_b32 s40, s40
; %bb.229:
	v_mov_b32_e32 v4, 0x7f
	v_cmp_lt_u32_e32 vcc_lo, 0x7f800000, v5
	s_delay_alu instid0(VALU_DEP_2)
	v_cndmask_b32_e32 v4, 0x7c, v4, vcc_lo
; %bb.230:
	s_or_b32 exec_lo, exec_lo, s40
	global_store_b8 v[2:3], v4, off
.LBB47_231:
	s_mov_b32 s42, 0
	s_mov_b32 s40, -1
.LBB47_232:
	s_and_not1_b32 vcc_lo, exec_lo, s42
	s_cbranch_vccnz .LBB47_240
; %bb.233:
	s_cmp_gt_i32 s39, 14
	s_mov_b32 s42, -1
	s_cbranch_scc0 .LBB47_237
; %bb.234:
	s_cmp_eq_u32 s39, 15
	s_mov_b32 s0, -1
	s_cbranch_scc0 .LBB47_236
; %bb.235:
	s_wait_xcnt 0x0
	v_cvt_f32_ubyte0_e32 v4, v1
	s_mov_b32 s40, -1
	s_mov_b32 s0, 0
	s_delay_alu instid0(VALU_DEP_1) | instskip(NEXT) | instid1(VALU_DEP_1)
	v_bfe_u32 v5, v4, 16, 1
	v_add3_u32 v4, v4, v5, 0x7fff
	global_store_d16_hi_b16 v[2:3], v4, off
.LBB47_236:
	s_mov_b32 s42, 0
.LBB47_237:
	s_delay_alu instid0(SALU_CYCLE_1)
	s_and_b32 vcc_lo, exec_lo, s42
	s_cbranch_vccz .LBB47_240
; %bb.238:
	s_cmp_eq_u32 s39, 11
	s_mov_b32 s0, -1
	s_cbranch_scc0 .LBB47_240
; %bb.239:
	s_wait_xcnt 0x0
	v_and_b32_e32 v4, 0xff, v1
	s_mov_b32 s0, 0
	s_mov_b32 s40, -1
	s_delay_alu instid0(VALU_DEP_1)
	v_cmp_ne_u16_e32 vcc_lo, 0, v4
	v_cndmask_b32_e64 v4, 0, 1, vcc_lo
	global_store_b8 v[2:3], v4, off
.LBB47_240:
	s_mov_b32 s39, 0
.LBB47_241:
	s_delay_alu instid0(SALU_CYCLE_1)
	s_and_b32 vcc_lo, exec_lo, s39
	s_cbranch_vccz .LBB47_280
; %bb.242:
	s_and_b32 s38, 0xffff, s38
	s_mov_b32 s39, -1
	s_cmp_lt_i32 s38, 5
	s_cbranch_scc1 .LBB47_263
; %bb.243:
	s_cmp_lt_i32 s38, 8
	s_cbranch_scc1 .LBB47_253
; %bb.244:
	;; [unrolled: 3-line block ×3, first 2 shown]
	s_cmp_gt_i32 s38, 9
	s_cbranch_scc0 .LBB47_247
; %bb.246:
	s_wait_xcnt 0x0
	v_and_b32_e32 v4, 0xff, v1
	v_mov_b32_e32 v6, 0
	s_mov_b32 s39, 0
	s_delay_alu instid0(VALU_DEP_2) | instskip(NEXT) | instid1(VALU_DEP_2)
	v_and_b32_e32 v4, 0xffff, v4
	v_mov_b32_e32 v7, v6
	s_delay_alu instid0(VALU_DEP_2)
	v_cvt_f64_u32_e32 v[4:5], v4
	global_store_b128 v[2:3], v[4:7], off
.LBB47_247:
	s_and_not1_b32 vcc_lo, exec_lo, s39
	s_cbranch_vccnz .LBB47_249
; %bb.248:
	s_wait_xcnt 0x0
	v_cvt_f32_ubyte0_e32 v4, v1
	v_mov_b32_e32 v5, 0
	global_store_b64 v[2:3], v[4:5], off
.LBB47_249:
	s_mov_b32 s39, 0
.LBB47_250:
	s_delay_alu instid0(SALU_CYCLE_1)
	s_and_not1_b32 vcc_lo, exec_lo, s39
	s_cbranch_vccnz .LBB47_252
; %bb.251:
	s_wait_xcnt 0x0
	v_and_b32_e32 v4, 0xff, v1
	s_delay_alu instid0(VALU_DEP_1) | instskip(NEXT) | instid1(VALU_DEP_1)
	v_cvt_f16_u16_e32 v4, v4
	v_and_b32_e32 v4, 0xffff, v4
	global_store_b32 v[2:3], v4, off
.LBB47_252:
	s_mov_b32 s39, 0
.LBB47_253:
	s_delay_alu instid0(SALU_CYCLE_1)
	s_and_not1_b32 vcc_lo, exec_lo, s39
	s_cbranch_vccnz .LBB47_262
; %bb.254:
	s_cmp_lt_i32 s38, 6
	s_mov_b32 s39, -1
	s_cbranch_scc1 .LBB47_260
; %bb.255:
	s_cmp_gt_i32 s38, 6
	s_cbranch_scc0 .LBB47_257
; %bb.256:
	s_wait_xcnt 0x0
	v_and_b32_e32 v4, 0xff, v1
	s_mov_b32 s39, 0
	s_delay_alu instid0(VALU_DEP_1) | instskip(NEXT) | instid1(VALU_DEP_1)
	v_and_b32_e32 v4, 0xffff, v4
	v_cvt_f64_u32_e32 v[4:5], v4
	global_store_b64 v[2:3], v[4:5], off
.LBB47_257:
	s_and_not1_b32 vcc_lo, exec_lo, s39
	s_cbranch_vccnz .LBB47_259
; %bb.258:
	s_wait_xcnt 0x0
	v_cvt_f32_ubyte0_e32 v4, v1
	global_store_b32 v[2:3], v4, off
.LBB47_259:
	s_mov_b32 s39, 0
.LBB47_260:
	s_delay_alu instid0(SALU_CYCLE_1)
	s_and_not1_b32 vcc_lo, exec_lo, s39
	s_cbranch_vccnz .LBB47_262
; %bb.261:
	s_wait_xcnt 0x0
	v_and_b32_e32 v4, 0xff, v1
	s_delay_alu instid0(VALU_DEP_1)
	v_cvt_f16_u16_e32 v4, v4
	global_store_b16 v[2:3], v4, off
.LBB47_262:
	s_mov_b32 s39, 0
.LBB47_263:
	s_delay_alu instid0(SALU_CYCLE_1)
	s_and_not1_b32 vcc_lo, exec_lo, s39
	s_cbranch_vccnz .LBB47_279
; %bb.264:
	s_cmp_lt_i32 s38, 2
	s_mov_b32 s39, -1
	s_cbranch_scc1 .LBB47_274
; %bb.265:
	s_cmp_lt_i32 s38, 3
	s_cbranch_scc1 .LBB47_271
; %bb.266:
	s_cmp_gt_i32 s38, 3
	s_cbranch_scc0 .LBB47_268
; %bb.267:
	s_wait_xcnt 0x0
	v_and_b32_e32 v4, 0xff, v1
	v_mov_b32_e32 v5, 0
	s_mov_b32 s39, 0
	global_store_b64 v[2:3], v[4:5], off
.LBB47_268:
	s_and_not1_b32 vcc_lo, exec_lo, s39
	s_cbranch_vccnz .LBB47_270
; %bb.269:
	s_wait_xcnt 0x0
	v_and_b32_e32 v4, 0xff, v1
	global_store_b32 v[2:3], v4, off
.LBB47_270:
	s_mov_b32 s39, 0
.LBB47_271:
	s_delay_alu instid0(SALU_CYCLE_1)
	s_and_not1_b32 vcc_lo, exec_lo, s39
	s_cbranch_vccnz .LBB47_273
; %bb.272:
	s_wait_xcnt 0x0
	v_and_b32_e32 v4, 0xff, v1
	global_store_b16 v[2:3], v4, off
.LBB47_273:
	s_mov_b32 s39, 0
.LBB47_274:
	s_delay_alu instid0(SALU_CYCLE_1)
	s_and_not1_b32 vcc_lo, exec_lo, s39
	s_cbranch_vccnz .LBB47_279
; %bb.275:
	s_cmp_gt_i32 s38, 0
	s_mov_b32 s38, -1
	s_cbranch_scc0 .LBB47_277
; %bb.276:
	s_mov_b32 s38, 0
	global_store_b8 v[2:3], v1, off
.LBB47_277:
	s_and_not1_b32 vcc_lo, exec_lo, s38
	s_cbranch_vccnz .LBB47_279
; %bb.278:
	global_store_b8 v[2:3], v1, off
.LBB47_279:
	s_mov_b32 s40, -1
.LBB47_280:
	s_delay_alu instid0(SALU_CYCLE_1)
	s_and_not1_b32 vcc_lo, exec_lo, s40
	s_cbranch_vccnz .LBB47_389
; %bb.281:
	v_add_nc_u32_e32 v0, 0x80, v0
	s_mov_b32 s42, -1
	s_branch .LBB47_390
.LBB47_282:
	s_mov_b32 s25, -1
                                        ; implicit-def: $vgpr8
.LBB47_283:
	s_mov_b32 s40, 0
.LBB47_284:
	s_delay_alu instid0(SALU_CYCLE_1)
	s_and_b32 vcc_lo, exec_lo, s40
	s_cbranch_vccz .LBB47_288
; %bb.285:
	s_cmp_eq_u32 s38, 29
	s_cbranch_scc0 .LBB47_287
; %bb.286:
	global_load_b64 v[8:9], v[6:7], off
	s_mov_b32 s39, -1
	s_mov_b32 s25, 0
	s_branch .LBB47_288
.LBB47_287:
	s_mov_b32 s25, -1
                                        ; implicit-def: $vgpr8
.LBB47_288:
	s_mov_b32 s40, 0
.LBB47_289:
	s_delay_alu instid0(SALU_CYCLE_1)
	s_and_b32 vcc_lo, exec_lo, s40
	s_cbranch_vccz .LBB47_305
; %bb.290:
	s_cmp_lt_i32 s38, 27
	s_cbranch_scc1 .LBB47_293
; %bb.291:
	s_cmp_gt_i32 s38, 27
	s_cbranch_scc0 .LBB47_294
; %bb.292:
	s_wait_loadcnt 0x0
	global_load_b32 v8, v[6:7], off
	s_mov_b32 s39, 0
	s_branch .LBB47_295
.LBB47_293:
	s_mov_b32 s39, -1
                                        ; implicit-def: $vgpr8
	s_branch .LBB47_298
.LBB47_294:
	s_mov_b32 s39, -1
                                        ; implicit-def: $vgpr8
.LBB47_295:
	s_delay_alu instid0(SALU_CYCLE_1)
	s_and_not1_b32 vcc_lo, exec_lo, s39
	s_cbranch_vccnz .LBB47_297
; %bb.296:
	s_wait_loadcnt 0x0
	global_load_u16 v8, v[6:7], off
.LBB47_297:
	s_mov_b32 s39, 0
.LBB47_298:
	s_delay_alu instid0(SALU_CYCLE_1)
	s_and_not1_b32 vcc_lo, exec_lo, s39
	s_cbranch_vccnz .LBB47_304
; %bb.299:
	global_load_u8 v1, v[6:7], off
	s_mov_b32 s40, 0
	s_mov_b32 s39, exec_lo
	s_wait_loadcnt 0x0
	v_cmpx_lt_i16_e32 0x7f, v1
	s_xor_b32 s39, exec_lo, s39
	s_cbranch_execz .LBB47_316
; %bb.300:
	v_cmp_ne_u16_e32 vcc_lo, 0x80, v1
	s_and_b32 s40, vcc_lo, exec_lo
	s_and_not1_saveexec_b32 s39, s39
	s_cbranch_execnz .LBB47_317
.LBB47_301:
	s_or_b32 exec_lo, exec_lo, s39
	v_mov_b32_e32 v8, 0
	s_and_saveexec_b32 s39, s40
	s_cbranch_execz .LBB47_303
.LBB47_302:
	v_and_b32_e32 v3, 0xffff, v1
	s_delay_alu instid0(VALU_DEP_1) | instskip(SKIP_1) | instid1(VALU_DEP_2)
	v_and_b32_e32 v5, 7, v3
	v_bfe_u32 v10, v3, 3, 4
	v_clz_i32_u32_e32 v8, v5
	s_delay_alu instid0(VALU_DEP_2) | instskip(NEXT) | instid1(VALU_DEP_2)
	v_cmp_eq_u32_e32 vcc_lo, 0, v10
	v_min_u32_e32 v8, 32, v8
	s_delay_alu instid0(VALU_DEP_1) | instskip(NEXT) | instid1(VALU_DEP_1)
	v_subrev_nc_u32_e32 v9, 28, v8
	v_dual_lshlrev_b32 v3, v9, v3 :: v_dual_sub_nc_u32 v8, 29, v8
	s_delay_alu instid0(VALU_DEP_1) | instskip(NEXT) | instid1(VALU_DEP_1)
	v_dual_lshlrev_b32 v1, 24, v1 :: v_dual_bitop2_b32 v3, 7, v3 bitop3:0x40
	v_dual_cndmask_b32 v8, v10, v8 :: v_dual_cndmask_b32 v3, v5, v3
	s_delay_alu instid0(VALU_DEP_2) | instskip(NEXT) | instid1(VALU_DEP_2)
	v_and_b32_e32 v1, 0x80000000, v1
	v_lshl_add_u32 v5, v8, 23, 0x3b800000
	s_delay_alu instid0(VALU_DEP_3) | instskip(NEXT) | instid1(VALU_DEP_1)
	v_lshlrev_b32_e32 v3, 20, v3
	v_or3_b32 v1, v1, v5, v3
	s_delay_alu instid0(VALU_DEP_1) | instskip(NEXT) | instid1(VALU_DEP_1)
	v_trunc_f32_e32 v1, v1
	v_mul_f32_e64 v3, 0x2f800000, |v1|
	s_delay_alu instid0(VALU_DEP_1) | instskip(NEXT) | instid1(VALU_DEP_1)
	v_floor_f32_e32 v3, v3
	v_fma_f32 v3, 0xcf800000, v3, |v1|
	v_ashrrev_i32_e32 v1, 31, v1
	s_delay_alu instid0(VALU_DEP_2) | instskip(NEXT) | instid1(VALU_DEP_1)
	v_cvt_u32_f32_e32 v3, v3
	v_xor_b32_e32 v3, v3, v1
	s_delay_alu instid0(VALU_DEP_1)
	v_sub_nc_u32_e32 v8, v3, v1
.LBB47_303:
	s_or_b32 exec_lo, exec_lo, s39
.LBB47_304:
	s_mov_b32 s39, -1
.LBB47_305:
	s_mov_b32 s40, 0
.LBB47_306:
	s_delay_alu instid0(SALU_CYCLE_1)
	s_and_b32 vcc_lo, exec_lo, s40
	s_cbranch_vccz .LBB47_339
; %bb.307:
	s_cmp_gt_i32 s38, 22
	s_cbranch_scc0 .LBB47_315
; %bb.308:
	s_cmp_lt_i32 s38, 24
	s_cbranch_scc1 .LBB47_318
; %bb.309:
	s_cmp_gt_i32 s38, 24
	s_cbranch_scc0 .LBB47_319
; %bb.310:
	global_load_u8 v1, v[6:7], off
	s_mov_b32 s40, 0
	s_mov_b32 s39, exec_lo
	s_wait_loadcnt 0x0
	v_cmpx_lt_i16_e32 0x7f, v1
	s_xor_b32 s39, exec_lo, s39
	s_cbranch_execz .LBB47_331
; %bb.311:
	v_cmp_ne_u16_e32 vcc_lo, 0x80, v1
	s_and_b32 s40, vcc_lo, exec_lo
	s_and_not1_saveexec_b32 s39, s39
	s_cbranch_execnz .LBB47_332
.LBB47_312:
	s_or_b32 exec_lo, exec_lo, s39
	v_mov_b32_e32 v8, 0
	s_and_saveexec_b32 s39, s40
	s_cbranch_execz .LBB47_314
.LBB47_313:
	v_and_b32_e32 v3, 0xffff, v1
	s_delay_alu instid0(VALU_DEP_1) | instskip(SKIP_1) | instid1(VALU_DEP_2)
	v_and_b32_e32 v5, 3, v3
	v_bfe_u32 v10, v3, 2, 5
	v_clz_i32_u32_e32 v8, v5
	s_delay_alu instid0(VALU_DEP_2) | instskip(NEXT) | instid1(VALU_DEP_2)
	v_cmp_eq_u32_e32 vcc_lo, 0, v10
	v_min_u32_e32 v8, 32, v8
	s_delay_alu instid0(VALU_DEP_1) | instskip(NEXT) | instid1(VALU_DEP_1)
	v_subrev_nc_u32_e32 v9, 29, v8
	v_dual_lshlrev_b32 v3, v9, v3 :: v_dual_sub_nc_u32 v8, 30, v8
	s_delay_alu instid0(VALU_DEP_1) | instskip(NEXT) | instid1(VALU_DEP_1)
	v_dual_lshlrev_b32 v1, 24, v1 :: v_dual_bitop2_b32 v3, 3, v3 bitop3:0x40
	v_dual_cndmask_b32 v8, v10, v8 :: v_dual_cndmask_b32 v3, v5, v3
	s_delay_alu instid0(VALU_DEP_2) | instskip(NEXT) | instid1(VALU_DEP_2)
	v_and_b32_e32 v1, 0x80000000, v1
	v_lshl_add_u32 v5, v8, 23, 0x37800000
	s_delay_alu instid0(VALU_DEP_3) | instskip(NEXT) | instid1(VALU_DEP_1)
	v_lshlrev_b32_e32 v3, 21, v3
	v_or3_b32 v1, v1, v5, v3
	s_delay_alu instid0(VALU_DEP_1) | instskip(NEXT) | instid1(VALU_DEP_1)
	v_trunc_f32_e32 v1, v1
	v_mul_f32_e64 v3, 0x2f800000, |v1|
	s_delay_alu instid0(VALU_DEP_1) | instskip(NEXT) | instid1(VALU_DEP_1)
	v_floor_f32_e32 v3, v3
	v_fma_f32 v3, 0xcf800000, v3, |v1|
	v_ashrrev_i32_e32 v1, 31, v1
	s_delay_alu instid0(VALU_DEP_2) | instskip(NEXT) | instid1(VALU_DEP_1)
	v_cvt_u32_f32_e32 v3, v3
	v_xor_b32_e32 v3, v3, v1
	s_delay_alu instid0(VALU_DEP_1)
	v_sub_nc_u32_e32 v8, v3, v1
.LBB47_314:
	s_or_b32 exec_lo, exec_lo, s39
	s_mov_b32 s39, 0
	s_branch .LBB47_320
.LBB47_315:
	s_mov_b32 s40, -1
                                        ; implicit-def: $vgpr8
	s_branch .LBB47_326
.LBB47_316:
	s_and_not1_saveexec_b32 s39, s39
	s_cbranch_execz .LBB47_301
.LBB47_317:
	v_cmp_ne_u16_e32 vcc_lo, 0, v1
	s_and_not1_b32 s40, s40, exec_lo
	s_and_b32 s42, vcc_lo, exec_lo
	s_delay_alu instid0(SALU_CYCLE_1)
	s_or_b32 s40, s40, s42
	s_or_b32 exec_lo, exec_lo, s39
	v_mov_b32_e32 v8, 0
	s_and_saveexec_b32 s39, s40
	s_cbranch_execnz .LBB47_302
	s_branch .LBB47_303
.LBB47_318:
	s_mov_b32 s39, -1
                                        ; implicit-def: $vgpr8
	s_branch .LBB47_323
.LBB47_319:
	s_mov_b32 s39, -1
                                        ; implicit-def: $vgpr8
.LBB47_320:
	s_delay_alu instid0(SALU_CYCLE_1)
	s_and_b32 vcc_lo, exec_lo, s39
	s_cbranch_vccz .LBB47_322
; %bb.321:
	global_load_u8 v1, v[6:7], off
	s_wait_loadcnt 0x0
	v_lshlrev_b32_e32 v1, 24, v1
	s_delay_alu instid0(VALU_DEP_1) | instskip(NEXT) | instid1(VALU_DEP_1)
	v_and_b32_e32 v3, 0x7f000000, v1
	v_clz_i32_u32_e32 v5, v3
	v_add_nc_u32_e32 v9, 0x1000000, v3
	v_cmp_ne_u32_e32 vcc_lo, 0, v3
	s_delay_alu instid0(VALU_DEP_3) | instskip(NEXT) | instid1(VALU_DEP_1)
	v_min_u32_e32 v5, 32, v5
	v_sub_nc_u32_e64 v5, v5, 4 clamp
	s_delay_alu instid0(VALU_DEP_1) | instskip(NEXT) | instid1(VALU_DEP_1)
	v_dual_lshlrev_b32 v8, v5, v3 :: v_dual_lshlrev_b32 v5, 23, v5
	v_lshrrev_b32_e32 v8, 4, v8
	s_delay_alu instid0(VALU_DEP_1) | instskip(SKIP_1) | instid1(VALU_DEP_2)
	v_sub_nc_u32_e32 v5, v8, v5
	v_ashrrev_i32_e32 v8, 8, v9
	v_add_nc_u32_e32 v5, 0x3c000000, v5
	s_delay_alu instid0(VALU_DEP_1) | instskip(NEXT) | instid1(VALU_DEP_1)
	v_and_or_b32 v5, 0x7f800000, v8, v5
	v_cndmask_b32_e32 v3, 0, v5, vcc_lo
	s_delay_alu instid0(VALU_DEP_1) | instskip(NEXT) | instid1(VALU_DEP_1)
	v_and_or_b32 v1, 0x80000000, v1, v3
	v_trunc_f32_e32 v1, v1
	s_delay_alu instid0(VALU_DEP_1) | instskip(NEXT) | instid1(VALU_DEP_1)
	v_mul_f32_e64 v3, 0x2f800000, |v1|
	v_floor_f32_e32 v3, v3
	s_delay_alu instid0(VALU_DEP_1) | instskip(SKIP_1) | instid1(VALU_DEP_2)
	v_fma_f32 v3, 0xcf800000, v3, |v1|
	v_ashrrev_i32_e32 v1, 31, v1
	v_cvt_u32_f32_e32 v3, v3
	s_delay_alu instid0(VALU_DEP_1) | instskip(NEXT) | instid1(VALU_DEP_1)
	v_xor_b32_e32 v3, v3, v1
	v_sub_nc_u32_e32 v8, v3, v1
.LBB47_322:
	s_mov_b32 s39, 0
.LBB47_323:
	s_delay_alu instid0(SALU_CYCLE_1)
	s_and_not1_b32 vcc_lo, exec_lo, s39
	s_cbranch_vccnz .LBB47_325
; %bb.324:
	global_load_u8 v1, v[6:7], off
	s_wait_loadcnt 0x0
	v_lshlrev_b32_e32 v3, 25, v1
	v_lshlrev_b16 v1, 8, v1
	s_delay_alu instid0(VALU_DEP_1) | instskip(SKIP_1) | instid1(VALU_DEP_2)
	v_and_or_b32 v8, 0x7f00, v1, 0.5
	v_bfe_i32 v1, v1, 0, 16
	v_dual_add_f32 v8, -0.5, v8 :: v_dual_lshrrev_b32 v5, 4, v3
	v_cmp_gt_u32_e32 vcc_lo, 0x8000000, v3
	s_delay_alu instid0(VALU_DEP_2) | instskip(NEXT) | instid1(VALU_DEP_1)
	v_or_b32_e32 v5, 0x70000000, v5
	v_mul_f32_e32 v5, 0x7800000, v5
	s_delay_alu instid0(VALU_DEP_1) | instskip(NEXT) | instid1(VALU_DEP_1)
	v_cndmask_b32_e32 v3, v5, v8, vcc_lo
	v_and_or_b32 v1, 0x80000000, v1, v3
	s_delay_alu instid0(VALU_DEP_1) | instskip(NEXT) | instid1(VALU_DEP_1)
	v_trunc_f32_e32 v1, v1
	v_mul_f32_e64 v3, 0x2f800000, |v1|
	s_delay_alu instid0(VALU_DEP_1) | instskip(NEXT) | instid1(VALU_DEP_1)
	v_floor_f32_e32 v3, v3
	v_fma_f32 v3, 0xcf800000, v3, |v1|
	v_ashrrev_i32_e32 v1, 31, v1
	s_delay_alu instid0(VALU_DEP_2) | instskip(NEXT) | instid1(VALU_DEP_1)
	v_cvt_u32_f32_e32 v3, v3
	v_xor_b32_e32 v3, v3, v1
	s_delay_alu instid0(VALU_DEP_1)
	v_sub_nc_u32_e32 v8, v3, v1
.LBB47_325:
	s_mov_b32 s40, 0
	s_mov_b32 s39, -1
.LBB47_326:
	s_and_not1_b32 vcc_lo, exec_lo, s40
	s_cbranch_vccnz .LBB47_339
; %bb.327:
	s_cmp_gt_i32 s38, 14
	s_cbranch_scc0 .LBB47_330
; %bb.328:
	s_cmp_eq_u32 s38, 15
	s_cbranch_scc0 .LBB47_333
; %bb.329:
	global_load_u16 v1, v[6:7], off
	s_mov_b32 s39, -1
	s_mov_b32 s25, 0
	s_wait_loadcnt 0x0
	v_lshlrev_b32_e32 v1, 16, v1
	s_delay_alu instid0(VALU_DEP_1) | instskip(NEXT) | instid1(VALU_DEP_1)
	v_trunc_f32_e32 v1, v1
	v_mul_f32_e64 v3, 0x2f800000, |v1|
	s_delay_alu instid0(VALU_DEP_1) | instskip(NEXT) | instid1(VALU_DEP_1)
	v_floor_f32_e32 v3, v3
	v_fma_f32 v3, 0xcf800000, v3, |v1|
	v_ashrrev_i32_e32 v1, 31, v1
	s_delay_alu instid0(VALU_DEP_2) | instskip(NEXT) | instid1(VALU_DEP_1)
	v_cvt_u32_f32_e32 v3, v3
	v_xor_b32_e32 v3, v3, v1
	s_delay_alu instid0(VALU_DEP_1)
	v_sub_nc_u32_e32 v8, v3, v1
	s_branch .LBB47_334
.LBB47_330:
	s_mov_b32 s40, -1
                                        ; implicit-def: $vgpr8
	s_branch .LBB47_335
.LBB47_331:
	s_and_not1_saveexec_b32 s39, s39
	s_cbranch_execz .LBB47_312
.LBB47_332:
	v_cmp_ne_u16_e32 vcc_lo, 0, v1
	s_and_not1_b32 s40, s40, exec_lo
	s_and_b32 s42, vcc_lo, exec_lo
	s_delay_alu instid0(SALU_CYCLE_1)
	s_or_b32 s40, s40, s42
	s_or_b32 exec_lo, exec_lo, s39
	v_mov_b32_e32 v8, 0
	s_and_saveexec_b32 s39, s40
	s_cbranch_execnz .LBB47_313
	s_branch .LBB47_314
.LBB47_333:
	s_mov_b32 s25, -1
                                        ; implicit-def: $vgpr8
.LBB47_334:
	s_mov_b32 s40, 0
.LBB47_335:
	s_delay_alu instid0(SALU_CYCLE_1)
	s_and_b32 vcc_lo, exec_lo, s40
	s_cbranch_vccz .LBB47_339
; %bb.336:
	s_cmp_eq_u32 s38, 11
	s_cbranch_scc0 .LBB47_338
; %bb.337:
	global_load_u8 v1, v[6:7], off
	s_mov_b32 s25, 0
	s_mov_b32 s39, -1
	s_wait_loadcnt 0x0
	v_cmp_ne_u16_e32 vcc_lo, 0, v1
	v_cndmask_b32_e64 v8, 0, 1, vcc_lo
	s_branch .LBB47_339
.LBB47_338:
	s_mov_b32 s25, -1
                                        ; implicit-def: $vgpr8
.LBB47_339:
	s_branch .LBB47_31
.LBB47_340:
	s_and_b32 s0, 0xffff, s0
	s_delay_alu instid0(SALU_CYCLE_1)
	s_cmp_lt_i32 s0, 5
	s_cbranch_scc1 .LBB47_345
; %bb.341:
	s_cmp_lt_i32 s0, 8
	s_cbranch_scc1 .LBB47_346
; %bb.342:
	;; [unrolled: 3-line block ×3, first 2 shown]
	s_cmp_gt_i32 s0, 9
	s_cbranch_scc0 .LBB47_348
; %bb.344:
	s_wait_loadcnt 0x0
	global_load_b64 v[8:9], v[6:7], off
	s_mov_b32 s38, 0
	s_wait_loadcnt 0x0
	v_trunc_f64_e32 v[8:9], v[8:9]
	s_delay_alu instid0(VALU_DEP_1) | instskip(NEXT) | instid1(VALU_DEP_1)
	v_ldexp_f64 v[10:11], v[8:9], 0xffffffe0
	v_floor_f64_e32 v[10:11], v[10:11]
	s_delay_alu instid0(VALU_DEP_1) | instskip(NEXT) | instid1(VALU_DEP_1)
	v_fmamk_f64 v[8:9], v[10:11], 0xc1f00000, v[8:9]
	v_cvt_u32_f64_e32 v8, v[8:9]
	s_branch .LBB47_349
.LBB47_345:
	s_mov_b32 s38, -1
                                        ; implicit-def: $vgpr8
	s_branch .LBB47_367
.LBB47_346:
	s_mov_b32 s38, -1
                                        ; implicit-def: $vgpr8
	s_branch .LBB47_355
.LBB47_347:
	s_mov_b32 s38, -1
                                        ; implicit-def: $vgpr8
	s_branch .LBB47_352
.LBB47_348:
	s_mov_b32 s38, -1
                                        ; implicit-def: $vgpr8
.LBB47_349:
	s_delay_alu instid0(SALU_CYCLE_1)
	s_and_not1_b32 vcc_lo, exec_lo, s38
	s_cbranch_vccnz .LBB47_351
; %bb.350:
	global_load_b32 v1, v[6:7], off
	s_wait_loadcnt 0x0
	v_trunc_f32_e32 v1, v1
	s_delay_alu instid0(VALU_DEP_1) | instskip(NEXT) | instid1(VALU_DEP_1)
	v_mul_f32_e64 v3, 0x2f800000, |v1|
	v_floor_f32_e32 v3, v3
	s_delay_alu instid0(VALU_DEP_1) | instskip(SKIP_1) | instid1(VALU_DEP_2)
	v_fma_f32 v3, 0xcf800000, v3, |v1|
	v_ashrrev_i32_e32 v1, 31, v1
	v_cvt_u32_f32_e32 v3, v3
	s_delay_alu instid0(VALU_DEP_1) | instskip(NEXT) | instid1(VALU_DEP_1)
	v_xor_b32_e32 v3, v3, v1
	v_sub_nc_u32_e32 v8, v3, v1
.LBB47_351:
	s_mov_b32 s38, 0
.LBB47_352:
	s_delay_alu instid0(SALU_CYCLE_1)
	s_and_not1_b32 vcc_lo, exec_lo, s38
	s_cbranch_vccnz .LBB47_354
; %bb.353:
	global_load_b32 v1, v[6:7], off
	s_wait_loadcnt 0x0
	v_cvt_f32_f16_e32 v1, v1
	s_delay_alu instid0(VALU_DEP_1)
	v_cvt_i32_f32_e32 v8, v1
.LBB47_354:
	s_mov_b32 s38, 0
.LBB47_355:
	s_delay_alu instid0(SALU_CYCLE_1)
	s_and_not1_b32 vcc_lo, exec_lo, s38
	s_cbranch_vccnz .LBB47_366
; %bb.356:
	s_cmp_lt_i32 s0, 6
	s_cbranch_scc1 .LBB47_359
; %bb.357:
	s_cmp_gt_i32 s0, 6
	s_cbranch_scc0 .LBB47_360
; %bb.358:
	s_wait_loadcnt 0x0
	global_load_b64 v[8:9], v[6:7], off
	s_mov_b32 s38, 0
	s_wait_loadcnt 0x0
	v_trunc_f64_e32 v[8:9], v[8:9]
	s_delay_alu instid0(VALU_DEP_1) | instskip(NEXT) | instid1(VALU_DEP_1)
	v_ldexp_f64 v[10:11], v[8:9], 0xffffffe0
	v_floor_f64_e32 v[10:11], v[10:11]
	s_delay_alu instid0(VALU_DEP_1) | instskip(NEXT) | instid1(VALU_DEP_1)
	v_fmamk_f64 v[8:9], v[10:11], 0xc1f00000, v[8:9]
	v_cvt_u32_f64_e32 v8, v[8:9]
	s_branch .LBB47_361
.LBB47_359:
	s_mov_b32 s38, -1
                                        ; implicit-def: $vgpr8
	s_branch .LBB47_364
.LBB47_360:
	s_mov_b32 s38, -1
                                        ; implicit-def: $vgpr8
.LBB47_361:
	s_delay_alu instid0(SALU_CYCLE_1)
	s_and_not1_b32 vcc_lo, exec_lo, s38
	s_cbranch_vccnz .LBB47_363
; %bb.362:
	global_load_b32 v1, v[6:7], off
	s_wait_loadcnt 0x0
	v_trunc_f32_e32 v1, v1
	s_delay_alu instid0(VALU_DEP_1) | instskip(NEXT) | instid1(VALU_DEP_1)
	v_mul_f32_e64 v3, 0x2f800000, |v1|
	v_floor_f32_e32 v3, v3
	s_delay_alu instid0(VALU_DEP_1) | instskip(SKIP_1) | instid1(VALU_DEP_2)
	v_fma_f32 v3, 0xcf800000, v3, |v1|
	v_ashrrev_i32_e32 v1, 31, v1
	v_cvt_u32_f32_e32 v3, v3
	s_delay_alu instid0(VALU_DEP_1) | instskip(NEXT) | instid1(VALU_DEP_1)
	v_xor_b32_e32 v3, v3, v1
	v_sub_nc_u32_e32 v8, v3, v1
.LBB47_363:
	s_mov_b32 s38, 0
.LBB47_364:
	s_delay_alu instid0(SALU_CYCLE_1)
	s_and_not1_b32 vcc_lo, exec_lo, s38
	s_cbranch_vccnz .LBB47_366
; %bb.365:
	global_load_u16 v1, v[6:7], off
	s_wait_loadcnt 0x0
	v_cvt_f32_f16_e32 v1, v1
	s_delay_alu instid0(VALU_DEP_1)
	v_cvt_i32_f32_e32 v8, v1
.LBB47_366:
	s_mov_b32 s38, 0
.LBB47_367:
	s_delay_alu instid0(SALU_CYCLE_1)
	s_and_not1_b32 vcc_lo, exec_lo, s38
	s_cbranch_vccnz .LBB47_387
; %bb.368:
	s_cmp_lt_i32 s0, 2
	s_cbranch_scc1 .LBB47_372
; %bb.369:
	s_cmp_lt_i32 s0, 3
	s_cbranch_scc1 .LBB47_373
; %bb.370:
	s_cmp_gt_i32 s0, 3
	s_cbranch_scc0 .LBB47_374
; %bb.371:
	s_wait_loadcnt 0x0
	global_load_b64 v[8:9], v[6:7], off
	s_mov_b32 s38, 0
	s_branch .LBB47_375
.LBB47_372:
	s_mov_b32 s38, -1
                                        ; implicit-def: $vgpr8
	s_branch .LBB47_381
.LBB47_373:
	s_mov_b32 s38, -1
                                        ; implicit-def: $vgpr8
	s_branch .LBB47_378
.LBB47_374:
	s_mov_b32 s38, -1
                                        ; implicit-def: $vgpr8
.LBB47_375:
	s_delay_alu instid0(SALU_CYCLE_1)
	s_and_not1_b32 vcc_lo, exec_lo, s38
	s_cbranch_vccnz .LBB47_377
; %bb.376:
	s_wait_loadcnt 0x0
	global_load_b32 v8, v[6:7], off
.LBB47_377:
	s_mov_b32 s38, 0
.LBB47_378:
	s_delay_alu instid0(SALU_CYCLE_1)
	s_and_not1_b32 vcc_lo, exec_lo, s38
	s_cbranch_vccnz .LBB47_380
; %bb.379:
	s_wait_loadcnt 0x0
	global_load_u16 v8, v[6:7], off
.LBB47_380:
	s_mov_b32 s38, 0
.LBB47_381:
	s_delay_alu instid0(SALU_CYCLE_1)
	s_and_not1_b32 vcc_lo, exec_lo, s38
	s_cbranch_vccnz .LBB47_387
; %bb.382:
	s_cmp_gt_i32 s0, 0
	s_mov_b32 s0, 0
	s_cbranch_scc0 .LBB47_384
; %bb.383:
	s_wait_loadcnt 0x0
	global_load_u8 v8, v[6:7], off
	s_branch .LBB47_385
.LBB47_384:
	s_mov_b32 s0, -1
                                        ; implicit-def: $vgpr8
.LBB47_385:
	s_delay_alu instid0(SALU_CYCLE_1)
	s_and_not1_b32 vcc_lo, exec_lo, s0
	s_cbranch_vccnz .LBB47_387
; %bb.386:
	s_wait_loadcnt 0x0
	global_load_u8 v8, v[6:7], off
.LBB47_387:
	s_branch .LBB47_32
.LBB47_388:
	s_mov_b32 s0, 0
.LBB47_389:
	s_mov_b32 s42, 0
                                        ; implicit-def: $vgpr0
.LBB47_390:
	s_and_b32 s38, s0, exec_lo
	s_and_b32 s39, s25, exec_lo
	;; [unrolled: 1-line block ×3, first 2 shown]
	s_or_not1_b32 s25, s42, exec_lo
.LBB47_391:
	s_wait_xcnt 0x0
	s_or_b32 exec_lo, exec_lo, s41
	s_mov_b32 s43, 0
	s_mov_b32 s24, 0
                                        ; implicit-def: $sgpr0
                                        ; implicit-def: $vgpr8_vgpr9
                                        ; implicit-def: $vgpr6
                                        ; implicit-def: $vgpr2
                                        ; implicit-def: $vgpr4
	s_and_saveexec_b32 s41, s25
	s_cbranch_execz .LBB47_399
; %bb.392:
	s_mov_b32 s47, -1
	s_mov_b32 s42, s40
	s_mov_b32 s44, s39
	;; [unrolled: 1-line block ×3, first 2 shown]
	s_mov_b32 s45, exec_lo
	v_cmpx_gt_i32_e64 s36, v0
	s_cbranch_execz .LBB47_793
; %bb.393:
	s_and_not1_b32 vcc_lo, exec_lo, s29
	s_cbranch_vccnz .LBB47_402
; %bb.394:
	s_and_not1_b32 vcc_lo, exec_lo, s37
	s_cbranch_vccnz .LBB47_403
; %bb.395:
	v_dual_mov_b32 v2, 0 :: v_dual_mov_b32 v1, v0
	s_wait_loadcnt 0x0
	v_dual_mov_b32 v4, 0 :: v_dual_mov_b32 v6, 0
	s_add_co_i32 s0, s35, 1
	s_mov_b64 s[24:25], 0xffffffffffffffe8
	s_and_b32 s0, s0, 30
	s_add_nc_u64 s[24:25], s[2:3], s[24:25]
.LBB47_396:                             ; =>This Inner Loop Header: Depth=1
	s_clause 0x3
	s_load_b128 s[48:51], s[24:25], 0x1c
	s_load_b64 s[42:43], s[24:25], 0x2c
	s_load_b128 s[52:55], s[24:25], 0xdc
	s_load_b64 s[46:47], s[24:25], 0xec
	s_add_co_i32 s0, s0, -2
	s_wait_xcnt 0x0
	s_add_nc_u64 s[24:25], s[24:25], 24
	s_cmp_eq_u32 s0, 0
	s_wait_kmcnt 0x0
	v_mul_hi_u32 v3, s49, v1
	s_delay_alu instid0(VALU_DEP_1) | instskip(NEXT) | instid1(VALU_DEP_1)
	v_add_nc_u32_e32 v3, v1, v3
	v_lshrrev_b32_e32 v3, s50, v3
	s_delay_alu instid0(VALU_DEP_1) | instskip(SKIP_1) | instid1(VALU_DEP_1)
	v_mul_hi_u32 v5, s42, v3
	v_mul_lo_u32 v7, v3, s48
	v_dual_add_nc_u32 v5, v3, v5 :: v_dual_sub_nc_u32 v7, v1, v7
	s_delay_alu instid0(VALU_DEP_1) | instskip(NEXT) | instid1(VALU_DEP_2)
	v_lshrrev_b32_e32 v1, s43, v5
	v_mad_u32 v2, v7, s52, v2
	v_mad_u32 v6, v7, s54, v6
	;; [unrolled: 1-line block ×3, first 2 shown]
	s_delay_alu instid0(VALU_DEP_4) | instskip(NEXT) | instid1(VALU_DEP_1)
	v_mul_lo_u32 v5, v1, s51
	v_sub_nc_u32_e32 v3, v3, v5
	s_delay_alu instid0(VALU_DEP_1)
	v_mad_u32 v2, v3, s55, v2
	v_mad_u32 v6, v3, s47, v6
	;; [unrolled: 1-line block ×3, first 2 shown]
	s_cbranch_scc0 .LBB47_396
; %bb.397:
	s_bitcmp1_b32 s35, 0
	s_cselect_b32 s0, -1, 0
	s_delay_alu instid0(SALU_CYCLE_1)
	s_and_b32 vcc_lo, exec_lo, s0
	s_cbranch_vccnz .LBB47_404
; %bb.398:
	s_clause 0x1
	s_load_b96 s[48:50], s[24:25], 0x1c
	s_load_b96 s[52:54], s[24:25], 0xdc
	s_wait_kmcnt 0x0
	v_mul_hi_u32 v3, s49, v1
	s_delay_alu instid0(VALU_DEP_1) | instskip(NEXT) | instid1(VALU_DEP_1)
	v_add_nc_u32_e32 v3, v1, v3
	v_lshrrev_b32_e32 v3, s50, v3
	s_delay_alu instid0(VALU_DEP_1) | instskip(NEXT) | instid1(VALU_DEP_1)
	v_mul_lo_u32 v3, v3, s48
	v_sub_nc_u32_e32 v1, v1, v3
	s_delay_alu instid0(VALU_DEP_1)
	v_mad_u32 v2, v1, s52, v2
	v_mad_u32 v4, v1, s53, v4
	;; [unrolled: 1-line block ×3, first 2 shown]
	s_branch .LBB47_404
.LBB47_399:
	s_or_b32 exec_lo, exec_lo, s41
	s_mov_b32 s1, 0
	s_and_saveexec_b32 s6, s40
	s_cbranch_execnz .LBB47_1287
.LBB47_400:
	s_or_b32 exec_lo, exec_lo, s6
	s_and_saveexec_b32 s6, s19
	s_delay_alu instid0(SALU_CYCLE_1)
	s_xor_b32 s6, exec_lo, s6
	s_cbranch_execz .LBB47_1288
.LBB47_401:
	s_wait_loadcnt 0x0
	global_load_u8 v0, v[8:9], off
	s_or_b32 s24, s24, exec_lo
	s_wait_loadcnt 0x0
	v_cmp_ne_u16_e32 vcc_lo, 0, v0
	v_cndmask_b32_e64 v4, 0, 1, vcc_lo
	s_wait_xcnt 0x0
	s_or_b32 exec_lo, exec_lo, s6
	s_and_saveexec_b32 s6, s43
	s_cbranch_execz .LBB47_1334
	s_branch .LBB47_1289
.LBB47_402:
                                        ; implicit-def: $vgpr6
                                        ; implicit-def: $vgpr4
                                        ; implicit-def: $vgpr2
	s_branch .LBB47_405
.LBB47_403:
	s_wait_loadcnt 0x0
	v_dual_mov_b32 v6, 0 :: v_dual_mov_b32 v4, 0
	v_mov_b32_e32 v2, 0
.LBB47_404:
	s_cbranch_execnz .LBB47_407
.LBB47_405:
	v_mov_b32_e32 v1, 0
	s_and_not1_b32 vcc_lo, exec_lo, s34
	s_delay_alu instid0(VALU_DEP_1) | instskip(NEXT) | instid1(VALU_DEP_1)
	v_mul_u64_e32 v[2:3], s[18:19], v[0:1]
	v_add_nc_u32_e32 v2, v0, v3
	s_wait_loadcnt 0x0
	s_delay_alu instid0(VALU_DEP_1) | instskip(NEXT) | instid1(VALU_DEP_1)
	v_lshrrev_b32_e32 v8, s10, v2
	v_mul_lo_u32 v2, v8, s8
	s_delay_alu instid0(VALU_DEP_1) | instskip(NEXT) | instid1(VALU_DEP_1)
	v_sub_nc_u32_e32 v3, v0, v2
	v_mul_lo_u32 v2, v3, s12
	v_mul_lo_u32 v6, v3, s14
	;; [unrolled: 1-line block ×3, first 2 shown]
	s_cbranch_vccnz .LBB47_407
; %bb.406:
	v_mov_b32_e32 v9, v1
	s_delay_alu instid0(VALU_DEP_1) | instskip(NEXT) | instid1(VALU_DEP_1)
	v_mul_u64_e32 v[10:11], s[22:23], v[8:9]
	v_add_nc_u32_e32 v1, v8, v11
	s_delay_alu instid0(VALU_DEP_1) | instskip(NEXT) | instid1(VALU_DEP_1)
	v_lshrrev_b32_e32 v1, s1, v1
	v_mul_lo_u32 v1, v1, s11
	s_delay_alu instid0(VALU_DEP_1) | instskip(NEXT) | instid1(VALU_DEP_1)
	v_sub_nc_u32_e32 v1, v8, v1
	v_mad_u32 v2, v1, s15, v2
	v_mad_u32 v4, v1, s20, v4
	v_mad_u32 v6, v1, s21, v6
.LBB47_407:
	s_wait_loadcnt 0x0
	v_mov_b32_e32 v5, 0
	s_and_b32 s0, s33, 0xff
	s_delay_alu instid0(SALU_CYCLE_1) | instskip(NEXT) | instid1(VALU_DEP_1)
	s_cmp_lt_i32 s0, 11
	v_add_nc_u64_e32 v[8:9], s[6:7], v[4:5]
	s_cbranch_scc1 .LBB47_414
; %bb.408:
	s_and_b32 s25, 0xffff, s0
	s_delay_alu instid0(SALU_CYCLE_1)
	s_cmp_gt_i32 s25, 25
	s_cbranch_scc0 .LBB47_423
; %bb.409:
	s_cmp_gt_i32 s25, 28
	s_cbranch_scc0 .LBB47_425
; %bb.410:
	;; [unrolled: 3-line block ×4, first 2 shown]
	s_cmp_eq_u32 s25, 46
	s_mov_b32 s43, 0
	s_cbranch_scc0 .LBB47_433
; %bb.413:
	global_load_b32 v1, v[8:9], off
	s_mov_b32 s42, -1
	s_mov_b32 s24, 0
	s_wait_loadcnt 0x0
	v_lshlrev_b32_e32 v1, 16, v1
	s_delay_alu instid0(VALU_DEP_1) | instskip(NEXT) | instid1(VALU_DEP_1)
	v_trunc_f32_e32 v1, v1
	v_mul_f32_e64 v3, 0x2f800000, |v1|
	s_delay_alu instid0(VALU_DEP_1) | instskip(NEXT) | instid1(VALU_DEP_1)
	v_floor_f32_e32 v3, v3
	v_fma_f32 v3, 0xcf800000, v3, |v1|
	v_ashrrev_i32_e32 v1, 31, v1
	s_delay_alu instid0(VALU_DEP_2) | instskip(NEXT) | instid1(VALU_DEP_1)
	v_cvt_u32_f32_e32 v3, v3
	v_xor_b32_e32 v3, v3, v1
	s_delay_alu instid0(VALU_DEP_1)
	v_sub_nc_u32_e32 v4, v3, v1
	s_branch .LBB47_435
.LBB47_414:
	s_mov_b32 s42, 0
	s_mov_b32 s24, s40
                                        ; implicit-def: $vgpr4
	s_cbranch_execnz .LBB47_497
.LBB47_415:
	s_and_not1_b32 vcc_lo, exec_lo, s42
	s_cbranch_vccnz .LBB47_545
.LBB47_416:
	v_mov_b32_e32 v7, 0
	s_and_b32 s0, s9, 0xff
	s_delay_alu instid0(SALU_CYCLE_1) | instskip(NEXT) | instid1(VALU_DEP_1)
	s_cmp_lt_i32 s0, 11
	v_add_nc_u64_e32 v[6:7], s[16:17], v[6:7]
	s_cbranch_scc1 .LBB47_424
; %bb.417:
	s_and_b32 s42, 0xffff, s0
	s_delay_alu instid0(SALU_CYCLE_1)
	s_cmp_gt_i32 s42, 25
	s_cbranch_scc0 .LBB47_426
; %bb.418:
	s_cmp_gt_i32 s42, 28
	s_cbranch_scc0 .LBB47_428
; %bb.419:
	;; [unrolled: 3-line block ×4, first 2 shown]
	s_cmp_eq_u32 s42, 46
	s_mov_b32 s44, 0
	s_cbranch_scc0 .LBB47_548
; %bb.422:
	global_load_b32 v1, v[6:7], off
	s_mov_b32 s43, -1
	s_mov_b32 s25, 0
	s_wait_loadcnt 0x0
	v_lshlrev_b32_e32 v1, 16, v1
	s_delay_alu instid0(VALU_DEP_1) | instskip(NEXT) | instid1(VALU_DEP_1)
	v_trunc_f32_e32 v1, v1
	v_mul_f32_e64 v3, 0x2f800000, |v1|
	s_delay_alu instid0(VALU_DEP_1) | instskip(NEXT) | instid1(VALU_DEP_1)
	v_floor_f32_e32 v3, v3
	v_fma_f32 v3, 0xcf800000, v3, |v1|
	v_ashrrev_i32_e32 v1, 31, v1
	s_delay_alu instid0(VALU_DEP_2) | instskip(NEXT) | instid1(VALU_DEP_1)
	v_cvt_u32_f32_e32 v3, v3
	v_xor_b32_e32 v3, v3, v1
	s_wait_xcnt 0x1
	s_delay_alu instid0(VALU_DEP_1)
	v_sub_nc_u32_e32 v8, v3, v1
	s_branch .LBB47_550
.LBB47_423:
	s_mov_b32 s43, -1
	s_mov_b32 s42, 0
	s_mov_b32 s24, s40
                                        ; implicit-def: $vgpr4
	s_branch .LBB47_463
.LBB47_424:
	s_mov_b32 s42, -1
	s_mov_b32 s43, 0
	s_mov_b32 s25, s39
                                        ; implicit-def: $vgpr8
	s_branch .LBB47_611
.LBB47_425:
	s_mov_b32 s43, -1
	s_mov_b32 s42, 0
	s_mov_b32 s24, s40
                                        ; implicit-def: $vgpr4
	s_branch .LBB47_446
.LBB47_426:
	s_mov_b32 s44, -1
	s_mov_b32 s43, 0
	s_mov_b32 s25, s39
                                        ; implicit-def: $vgpr8
	s_branch .LBB47_577
.LBB47_427:
	s_mov_b32 s43, -1
	s_mov_b32 s42, 0
	s_mov_b32 s24, s40
                                        ; implicit-def: $vgpr4
	s_branch .LBB47_441
.LBB47_428:
	s_mov_b32 s44, -1
	s_mov_b32 s43, 0
	s_mov_b32 s25, s39
                                        ; implicit-def: $vgpr8
	s_branch .LBB47_560
.LBB47_429:
	s_mov_b32 s43, -1
	s_mov_b32 s42, 0
	s_mov_b32 s24, s40
	s_branch .LBB47_434
.LBB47_430:
	s_mov_b32 s44, -1
	s_mov_b32 s43, 0
	s_mov_b32 s25, s39
                                        ; implicit-def: $vgpr8
	s_branch .LBB47_555
.LBB47_431:
	s_and_not1_saveexec_b32 s43, s43
	s_cbranch_execz .LBB47_193
.LBB47_432:
	v_add_f32_e32 v4, 0x46000000, v5
	s_and_not1_b32 s42, s42, exec_lo
	s_delay_alu instid0(VALU_DEP_1) | instskip(NEXT) | instid1(VALU_DEP_1)
	v_and_b32_e32 v4, 0xff, v4
	v_cmp_ne_u32_e32 vcc_lo, 0, v4
	s_and_b32 s44, vcc_lo, exec_lo
	s_delay_alu instid0(SALU_CYCLE_1)
	s_or_b32 s42, s42, s44
	s_or_b32 exec_lo, exec_lo, s43
	v_mov_b32_e32 v6, 0
	s_and_saveexec_b32 s43, s42
	s_cbranch_execnz .LBB47_194
	s_branch .LBB47_195
.LBB47_433:
	s_mov_b32 s24, -1
	s_mov_b32 s42, 0
.LBB47_434:
                                        ; implicit-def: $vgpr4
.LBB47_435:
	s_and_b32 vcc_lo, exec_lo, s43
	s_cbranch_vccz .LBB47_440
; %bb.436:
	s_cmp_eq_u32 s25, 44
	s_cbranch_scc0 .LBB47_439
; %bb.437:
	global_load_u8 v1, v[8:9], off
	s_mov_b32 s24, 0
	s_mov_b32 s42, -1
	s_wait_loadcnt 0x0
	v_lshlrev_b32_e32 v3, 23, v1
	v_cmp_ne_u32_e32 vcc_lo, 0, v1
	s_delay_alu instid0(VALU_DEP_2) | instskip(NEXT) | instid1(VALU_DEP_1)
	v_trunc_f32_e32 v3, v3
	v_mul_f32_e64 v4, 0x2f800000, |v3|
	s_delay_alu instid0(VALU_DEP_1) | instskip(NEXT) | instid1(VALU_DEP_1)
	v_floor_f32_e32 v4, v4
	v_fma_f32 v4, 0xcf800000, v4, |v3|
	v_ashrrev_i32_e32 v3, 31, v3
	s_delay_alu instid0(VALU_DEP_2) | instskip(NEXT) | instid1(VALU_DEP_1)
	v_cvt_u32_f32_e32 v4, v4
	v_xor_b32_e32 v4, v4, v3
	s_delay_alu instid0(VALU_DEP_1) | instskip(NEXT) | instid1(VALU_DEP_1)
	v_sub_nc_u32_e32 v3, v4, v3
	v_cndmask_b32_e32 v4, 0, v3, vcc_lo
	s_branch .LBB47_440
.LBB47_438:
	s_mov_b32 s44, -1
	s_mov_b32 s43, 0
	s_mov_b32 s25, s39
	s_branch .LBB47_549
.LBB47_439:
	s_mov_b32 s24, -1
                                        ; implicit-def: $vgpr4
.LBB47_440:
	s_mov_b32 s43, 0
.LBB47_441:
	s_delay_alu instid0(SALU_CYCLE_1)
	s_and_b32 vcc_lo, exec_lo, s43
	s_cbranch_vccz .LBB47_445
; %bb.442:
	s_cmp_eq_u32 s25, 29
	s_cbranch_scc0 .LBB47_444
; %bb.443:
	global_load_b64 v[4:5], v[8:9], off
	s_mov_b32 s42, -1
	s_mov_b32 s24, 0
	s_branch .LBB47_445
.LBB47_444:
	s_mov_b32 s24, -1
                                        ; implicit-def: $vgpr4
.LBB47_445:
	s_mov_b32 s43, 0
.LBB47_446:
	s_delay_alu instid0(SALU_CYCLE_1)
	s_and_b32 vcc_lo, exec_lo, s43
	s_cbranch_vccz .LBB47_462
; %bb.447:
	s_cmp_lt_i32 s25, 27
	s_cbranch_scc1 .LBB47_450
; %bb.448:
	s_cmp_gt_i32 s25, 27
	s_cbranch_scc0 .LBB47_451
; %bb.449:
	s_wait_loadcnt 0x0
	global_load_b32 v4, v[8:9], off
	s_mov_b32 s42, 0
	s_branch .LBB47_452
.LBB47_450:
	s_mov_b32 s42, -1
                                        ; implicit-def: $vgpr4
	s_branch .LBB47_455
.LBB47_451:
	s_mov_b32 s42, -1
                                        ; implicit-def: $vgpr4
.LBB47_452:
	s_delay_alu instid0(SALU_CYCLE_1)
	s_and_not1_b32 vcc_lo, exec_lo, s42
	s_cbranch_vccnz .LBB47_454
; %bb.453:
	s_wait_loadcnt 0x0
	global_load_u16 v4, v[8:9], off
.LBB47_454:
	s_mov_b32 s42, 0
.LBB47_455:
	s_delay_alu instid0(SALU_CYCLE_1)
	s_and_not1_b32 vcc_lo, exec_lo, s42
	s_cbranch_vccnz .LBB47_461
; %bb.456:
	global_load_u8 v1, v[8:9], off
	s_mov_b32 s43, 0
	s_mov_b32 s42, exec_lo
	s_wait_loadcnt 0x0
	v_cmpx_lt_i16_e32 0x7f, v1
	s_xor_b32 s42, exec_lo, s42
	s_cbranch_execz .LBB47_473
; %bb.457:
	v_cmp_ne_u16_e32 vcc_lo, 0x80, v1
	s_and_b32 s43, vcc_lo, exec_lo
	s_and_not1_saveexec_b32 s42, s42
	s_cbranch_execnz .LBB47_474
.LBB47_458:
	s_or_b32 exec_lo, exec_lo, s42
	v_mov_b32_e32 v4, 0
	s_and_saveexec_b32 s42, s43
	s_cbranch_execz .LBB47_460
.LBB47_459:
	v_and_b32_e32 v3, 0xffff, v1
	s_delay_alu instid0(VALU_DEP_1) | instskip(SKIP_1) | instid1(VALU_DEP_2)
	v_and_b32_e32 v4, 7, v3
	v_bfe_u32 v10, v3, 3, 4
	v_clz_i32_u32_e32 v5, v4
	s_delay_alu instid0(VALU_DEP_2) | instskip(NEXT) | instid1(VALU_DEP_2)
	v_cmp_eq_u32_e32 vcc_lo, 0, v10
	v_min_u32_e32 v5, 32, v5
	s_delay_alu instid0(VALU_DEP_1) | instskip(NEXT) | instid1(VALU_DEP_1)
	v_subrev_nc_u32_e32 v7, 28, v5
	v_dual_lshlrev_b32 v3, v7, v3 :: v_dual_sub_nc_u32 v5, 29, v5
	s_delay_alu instid0(VALU_DEP_1) | instskip(NEXT) | instid1(VALU_DEP_1)
	v_dual_lshlrev_b32 v1, 24, v1 :: v_dual_bitop2_b32 v3, 7, v3 bitop3:0x40
	v_dual_cndmask_b32 v3, v4, v3, vcc_lo :: v_dual_cndmask_b32 v5, v10, v5, vcc_lo
	s_delay_alu instid0(VALU_DEP_2) | instskip(NEXT) | instid1(VALU_DEP_2)
	v_and_b32_e32 v1, 0x80000000, v1
	v_lshlrev_b32_e32 v3, 20, v3
	s_delay_alu instid0(VALU_DEP_3) | instskip(NEXT) | instid1(VALU_DEP_1)
	v_lshl_add_u32 v4, v5, 23, 0x3b800000
	v_or3_b32 v1, v1, v4, v3
	s_delay_alu instid0(VALU_DEP_1) | instskip(NEXT) | instid1(VALU_DEP_1)
	v_trunc_f32_e32 v1, v1
	v_mul_f32_e64 v3, 0x2f800000, |v1|
	s_delay_alu instid0(VALU_DEP_1) | instskip(NEXT) | instid1(VALU_DEP_1)
	v_floor_f32_e32 v3, v3
	v_fma_f32 v3, 0xcf800000, v3, |v1|
	v_ashrrev_i32_e32 v1, 31, v1
	s_delay_alu instid0(VALU_DEP_2) | instskip(NEXT) | instid1(VALU_DEP_1)
	v_cvt_u32_f32_e32 v3, v3
	v_xor_b32_e32 v3, v3, v1
	s_delay_alu instid0(VALU_DEP_1)
	v_sub_nc_u32_e32 v4, v3, v1
.LBB47_460:
	s_or_b32 exec_lo, exec_lo, s42
.LBB47_461:
	s_mov_b32 s42, -1
.LBB47_462:
	s_mov_b32 s43, 0
.LBB47_463:
	s_delay_alu instid0(SALU_CYCLE_1)
	s_and_b32 vcc_lo, exec_lo, s43
	s_cbranch_vccz .LBB47_496
; %bb.464:
	s_cmp_gt_i32 s25, 22
	s_cbranch_scc0 .LBB47_472
; %bb.465:
	s_cmp_lt_i32 s25, 24
	s_cbranch_scc1 .LBB47_475
; %bb.466:
	s_cmp_gt_i32 s25, 24
	s_cbranch_scc0 .LBB47_476
; %bb.467:
	global_load_u8 v1, v[8:9], off
	s_mov_b32 s43, 0
	s_mov_b32 s42, exec_lo
	s_wait_loadcnt 0x0
	v_cmpx_lt_i16_e32 0x7f, v1
	s_xor_b32 s42, exec_lo, s42
	s_cbranch_execz .LBB47_488
; %bb.468:
	v_cmp_ne_u16_e32 vcc_lo, 0x80, v1
	s_and_b32 s43, vcc_lo, exec_lo
	s_and_not1_saveexec_b32 s42, s42
	s_cbranch_execnz .LBB47_489
.LBB47_469:
	s_or_b32 exec_lo, exec_lo, s42
	v_mov_b32_e32 v4, 0
	s_and_saveexec_b32 s42, s43
	s_cbranch_execz .LBB47_471
.LBB47_470:
	v_and_b32_e32 v3, 0xffff, v1
	s_delay_alu instid0(VALU_DEP_1) | instskip(SKIP_1) | instid1(VALU_DEP_2)
	v_and_b32_e32 v4, 3, v3
	v_bfe_u32 v10, v3, 2, 5
	v_clz_i32_u32_e32 v5, v4
	s_delay_alu instid0(VALU_DEP_2) | instskip(NEXT) | instid1(VALU_DEP_2)
	v_cmp_eq_u32_e32 vcc_lo, 0, v10
	v_min_u32_e32 v5, 32, v5
	s_delay_alu instid0(VALU_DEP_1) | instskip(NEXT) | instid1(VALU_DEP_1)
	v_subrev_nc_u32_e32 v7, 29, v5
	v_dual_lshlrev_b32 v3, v7, v3 :: v_dual_sub_nc_u32 v5, 30, v5
	s_delay_alu instid0(VALU_DEP_1) | instskip(NEXT) | instid1(VALU_DEP_1)
	v_dual_lshlrev_b32 v1, 24, v1 :: v_dual_bitop2_b32 v3, 3, v3 bitop3:0x40
	v_dual_cndmask_b32 v3, v4, v3, vcc_lo :: v_dual_cndmask_b32 v5, v10, v5, vcc_lo
	s_delay_alu instid0(VALU_DEP_2) | instskip(NEXT) | instid1(VALU_DEP_2)
	v_and_b32_e32 v1, 0x80000000, v1
	v_lshlrev_b32_e32 v3, 21, v3
	s_delay_alu instid0(VALU_DEP_3) | instskip(NEXT) | instid1(VALU_DEP_1)
	v_lshl_add_u32 v4, v5, 23, 0x37800000
	v_or3_b32 v1, v1, v4, v3
	s_delay_alu instid0(VALU_DEP_1) | instskip(NEXT) | instid1(VALU_DEP_1)
	v_trunc_f32_e32 v1, v1
	v_mul_f32_e64 v3, 0x2f800000, |v1|
	s_delay_alu instid0(VALU_DEP_1) | instskip(NEXT) | instid1(VALU_DEP_1)
	v_floor_f32_e32 v3, v3
	v_fma_f32 v3, 0xcf800000, v3, |v1|
	v_ashrrev_i32_e32 v1, 31, v1
	s_delay_alu instid0(VALU_DEP_2) | instskip(NEXT) | instid1(VALU_DEP_1)
	v_cvt_u32_f32_e32 v3, v3
	v_xor_b32_e32 v3, v3, v1
	s_delay_alu instid0(VALU_DEP_1)
	v_sub_nc_u32_e32 v4, v3, v1
.LBB47_471:
	s_or_b32 exec_lo, exec_lo, s42
	s_mov_b32 s42, 0
	s_branch .LBB47_477
.LBB47_472:
	s_mov_b32 s43, -1
                                        ; implicit-def: $vgpr4
	s_branch .LBB47_483
.LBB47_473:
	s_and_not1_saveexec_b32 s42, s42
	s_cbranch_execz .LBB47_458
.LBB47_474:
	v_cmp_ne_u16_e32 vcc_lo, 0, v1
	s_and_not1_b32 s43, s43, exec_lo
	s_and_b32 s44, vcc_lo, exec_lo
	s_delay_alu instid0(SALU_CYCLE_1)
	s_or_b32 s43, s43, s44
	s_or_b32 exec_lo, exec_lo, s42
	v_mov_b32_e32 v4, 0
	s_and_saveexec_b32 s42, s43
	s_cbranch_execnz .LBB47_459
	s_branch .LBB47_460
.LBB47_475:
	s_mov_b32 s42, -1
                                        ; implicit-def: $vgpr4
	s_branch .LBB47_480
.LBB47_476:
	s_mov_b32 s42, -1
                                        ; implicit-def: $vgpr4
.LBB47_477:
	s_delay_alu instid0(SALU_CYCLE_1)
	s_and_b32 vcc_lo, exec_lo, s42
	s_cbranch_vccz .LBB47_479
; %bb.478:
	global_load_u8 v1, v[8:9], off
	s_wait_loadcnt 0x0
	v_lshlrev_b32_e32 v1, 24, v1
	s_delay_alu instid0(VALU_DEP_1) | instskip(NEXT) | instid1(VALU_DEP_1)
	v_and_b32_e32 v3, 0x7f000000, v1
	v_clz_i32_u32_e32 v4, v3
	v_add_nc_u32_e32 v7, 0x1000000, v3
	v_cmp_ne_u32_e32 vcc_lo, 0, v3
	s_delay_alu instid0(VALU_DEP_3) | instskip(NEXT) | instid1(VALU_DEP_1)
	v_min_u32_e32 v4, 32, v4
	v_sub_nc_u32_e64 v4, v4, 4 clamp
	s_delay_alu instid0(VALU_DEP_1) | instskip(NEXT) | instid1(VALU_DEP_1)
	v_dual_lshlrev_b32 v5, v4, v3 :: v_dual_lshlrev_b32 v4, 23, v4
	v_lshrrev_b32_e32 v5, 4, v5
	s_delay_alu instid0(VALU_DEP_1) | instskip(NEXT) | instid1(VALU_DEP_1)
	v_dual_sub_nc_u32 v4, v5, v4 :: v_dual_ashrrev_i32 v5, 8, v7
	v_add_nc_u32_e32 v4, 0x3c000000, v4
	s_delay_alu instid0(VALU_DEP_1) | instskip(NEXT) | instid1(VALU_DEP_1)
	v_and_or_b32 v4, 0x7f800000, v5, v4
	v_cndmask_b32_e32 v3, 0, v4, vcc_lo
	s_delay_alu instid0(VALU_DEP_1) | instskip(NEXT) | instid1(VALU_DEP_1)
	v_and_or_b32 v1, 0x80000000, v1, v3
	v_trunc_f32_e32 v1, v1
	s_delay_alu instid0(VALU_DEP_1) | instskip(NEXT) | instid1(VALU_DEP_1)
	v_mul_f32_e64 v3, 0x2f800000, |v1|
	v_floor_f32_e32 v3, v3
	s_delay_alu instid0(VALU_DEP_1) | instskip(SKIP_1) | instid1(VALU_DEP_2)
	v_fma_f32 v3, 0xcf800000, v3, |v1|
	v_ashrrev_i32_e32 v1, 31, v1
	v_cvt_u32_f32_e32 v3, v3
	s_delay_alu instid0(VALU_DEP_1) | instskip(NEXT) | instid1(VALU_DEP_1)
	v_xor_b32_e32 v3, v3, v1
	v_sub_nc_u32_e32 v4, v3, v1
.LBB47_479:
	s_mov_b32 s42, 0
.LBB47_480:
	s_delay_alu instid0(SALU_CYCLE_1)
	s_and_not1_b32 vcc_lo, exec_lo, s42
	s_cbranch_vccnz .LBB47_482
; %bb.481:
	global_load_u8 v1, v[8:9], off
	s_wait_loadcnt 0x0
	v_lshlrev_b32_e32 v3, 25, v1
	v_lshlrev_b16 v1, 8, v1
	s_delay_alu instid0(VALU_DEP_1) | instskip(NEXT) | instid1(VALU_DEP_3)
	v_and_or_b32 v5, 0x7f00, v1, 0.5
	v_lshrrev_b32_e32 v4, 4, v3
	v_bfe_i32 v1, v1, 0, 16
	s_delay_alu instid0(VALU_DEP_3) | instskip(NEXT) | instid1(VALU_DEP_3)
	v_add_f32_e32 v5, -0.5, v5
	v_or_b32_e32 v4, 0x70000000, v4
	s_delay_alu instid0(VALU_DEP_1) | instskip(SKIP_1) | instid1(VALU_DEP_2)
	v_mul_f32_e32 v4, 0x7800000, v4
	v_cmp_gt_u32_e32 vcc_lo, 0x8000000, v3
	v_cndmask_b32_e32 v3, v4, v5, vcc_lo
	s_delay_alu instid0(VALU_DEP_1) | instskip(NEXT) | instid1(VALU_DEP_1)
	v_and_or_b32 v1, 0x80000000, v1, v3
	v_trunc_f32_e32 v1, v1
	s_delay_alu instid0(VALU_DEP_1) | instskip(NEXT) | instid1(VALU_DEP_1)
	v_mul_f32_e64 v3, 0x2f800000, |v1|
	v_floor_f32_e32 v3, v3
	s_delay_alu instid0(VALU_DEP_1) | instskip(SKIP_1) | instid1(VALU_DEP_2)
	v_fma_f32 v3, 0xcf800000, v3, |v1|
	v_ashrrev_i32_e32 v1, 31, v1
	v_cvt_u32_f32_e32 v3, v3
	s_delay_alu instid0(VALU_DEP_1) | instskip(NEXT) | instid1(VALU_DEP_1)
	v_xor_b32_e32 v3, v3, v1
	v_sub_nc_u32_e32 v4, v3, v1
.LBB47_482:
	s_mov_b32 s43, 0
	s_mov_b32 s42, -1
.LBB47_483:
	s_and_not1_b32 vcc_lo, exec_lo, s43
	s_cbranch_vccnz .LBB47_496
; %bb.484:
	s_cmp_gt_i32 s25, 14
	s_cbranch_scc0 .LBB47_487
; %bb.485:
	s_cmp_eq_u32 s25, 15
	s_cbranch_scc0 .LBB47_490
; %bb.486:
	global_load_u16 v1, v[8:9], off
	s_mov_b32 s42, -1
	s_mov_b32 s24, 0
	s_wait_loadcnt 0x0
	v_lshlrev_b32_e32 v1, 16, v1
	s_delay_alu instid0(VALU_DEP_1) | instskip(NEXT) | instid1(VALU_DEP_1)
	v_trunc_f32_e32 v1, v1
	v_mul_f32_e64 v3, 0x2f800000, |v1|
	s_delay_alu instid0(VALU_DEP_1) | instskip(NEXT) | instid1(VALU_DEP_1)
	v_floor_f32_e32 v3, v3
	v_fma_f32 v3, 0xcf800000, v3, |v1|
	v_ashrrev_i32_e32 v1, 31, v1
	s_delay_alu instid0(VALU_DEP_2) | instskip(NEXT) | instid1(VALU_DEP_1)
	v_cvt_u32_f32_e32 v3, v3
	v_xor_b32_e32 v3, v3, v1
	s_delay_alu instid0(VALU_DEP_1)
	v_sub_nc_u32_e32 v4, v3, v1
	s_branch .LBB47_491
.LBB47_487:
	s_mov_b32 s43, -1
                                        ; implicit-def: $vgpr4
	s_branch .LBB47_492
.LBB47_488:
	s_and_not1_saveexec_b32 s42, s42
	s_cbranch_execz .LBB47_469
.LBB47_489:
	v_cmp_ne_u16_e32 vcc_lo, 0, v1
	s_and_not1_b32 s43, s43, exec_lo
	s_and_b32 s44, vcc_lo, exec_lo
	s_delay_alu instid0(SALU_CYCLE_1)
	s_or_b32 s43, s43, s44
	s_or_b32 exec_lo, exec_lo, s42
	v_mov_b32_e32 v4, 0
	s_and_saveexec_b32 s42, s43
	s_cbranch_execnz .LBB47_470
	s_branch .LBB47_471
.LBB47_490:
	s_mov_b32 s24, -1
                                        ; implicit-def: $vgpr4
.LBB47_491:
	s_mov_b32 s43, 0
.LBB47_492:
	s_delay_alu instid0(SALU_CYCLE_1)
	s_and_b32 vcc_lo, exec_lo, s43
	s_cbranch_vccz .LBB47_496
; %bb.493:
	s_cmp_eq_u32 s25, 11
	s_cbranch_scc0 .LBB47_495
; %bb.494:
	global_load_u8 v1, v[8:9], off
	s_mov_b32 s24, 0
	s_mov_b32 s42, -1
	s_wait_loadcnt 0x0
	v_cmp_ne_u16_e32 vcc_lo, 0, v1
	v_cndmask_b32_e64 v4, 0, 1, vcc_lo
	s_branch .LBB47_496
.LBB47_495:
	s_mov_b32 s24, -1
                                        ; implicit-def: $vgpr4
.LBB47_496:
	s_branch .LBB47_415
.LBB47_497:
	s_and_b32 s0, 0xffff, s0
	s_delay_alu instid0(SALU_CYCLE_1)
	s_cmp_lt_i32 s0, 5
	s_cbranch_scc1 .LBB47_502
; %bb.498:
	s_cmp_lt_i32 s0, 8
	s_cbranch_scc1 .LBB47_503
; %bb.499:
	;; [unrolled: 3-line block ×3, first 2 shown]
	s_cmp_gt_i32 s0, 9
	s_cbranch_scc0 .LBB47_505
; %bb.501:
	s_wait_loadcnt 0x0
	global_load_b64 v[4:5], v[8:9], off
	s_mov_b32 s25, 0
	s_wait_loadcnt 0x0
	v_trunc_f64_e32 v[4:5], v[4:5]
	s_delay_alu instid0(VALU_DEP_1) | instskip(NEXT) | instid1(VALU_DEP_1)
	v_ldexp_f64 v[10:11], v[4:5], 0xffffffe0
	v_floor_f64_e32 v[10:11], v[10:11]
	s_delay_alu instid0(VALU_DEP_1) | instskip(NEXT) | instid1(VALU_DEP_1)
	v_fmamk_f64 v[4:5], v[10:11], 0xc1f00000, v[4:5]
	v_cvt_u32_f64_e32 v4, v[4:5]
	s_branch .LBB47_506
.LBB47_502:
	s_mov_b32 s25, -1
                                        ; implicit-def: $vgpr4
	s_branch .LBB47_524
.LBB47_503:
	s_mov_b32 s25, -1
                                        ; implicit-def: $vgpr4
	s_branch .LBB47_512
.LBB47_504:
	s_mov_b32 s25, -1
                                        ; implicit-def: $vgpr4
	s_branch .LBB47_509
.LBB47_505:
	s_mov_b32 s25, -1
                                        ; implicit-def: $vgpr4
.LBB47_506:
	s_delay_alu instid0(SALU_CYCLE_1)
	s_and_not1_b32 vcc_lo, exec_lo, s25
	s_cbranch_vccnz .LBB47_508
; %bb.507:
	global_load_b32 v1, v[8:9], off
	s_wait_loadcnt 0x0
	v_trunc_f32_e32 v1, v1
	s_delay_alu instid0(VALU_DEP_1) | instskip(NEXT) | instid1(VALU_DEP_1)
	v_mul_f32_e64 v3, 0x2f800000, |v1|
	v_floor_f32_e32 v3, v3
	s_delay_alu instid0(VALU_DEP_1) | instskip(SKIP_1) | instid1(VALU_DEP_2)
	v_fma_f32 v3, 0xcf800000, v3, |v1|
	v_ashrrev_i32_e32 v1, 31, v1
	v_cvt_u32_f32_e32 v3, v3
	s_delay_alu instid0(VALU_DEP_1) | instskip(NEXT) | instid1(VALU_DEP_1)
	v_xor_b32_e32 v3, v3, v1
	v_sub_nc_u32_e32 v4, v3, v1
.LBB47_508:
	s_mov_b32 s25, 0
.LBB47_509:
	s_delay_alu instid0(SALU_CYCLE_1)
	s_and_not1_b32 vcc_lo, exec_lo, s25
	s_cbranch_vccnz .LBB47_511
; %bb.510:
	global_load_b32 v1, v[8:9], off
	s_wait_loadcnt 0x0
	v_cvt_f32_f16_e32 v1, v1
	s_delay_alu instid0(VALU_DEP_1)
	v_cvt_i32_f32_e32 v4, v1
.LBB47_511:
	s_mov_b32 s25, 0
.LBB47_512:
	s_delay_alu instid0(SALU_CYCLE_1)
	s_and_not1_b32 vcc_lo, exec_lo, s25
	s_cbranch_vccnz .LBB47_523
; %bb.513:
	s_cmp_lt_i32 s0, 6
	s_cbranch_scc1 .LBB47_516
; %bb.514:
	s_cmp_gt_i32 s0, 6
	s_cbranch_scc0 .LBB47_517
; %bb.515:
	s_wait_loadcnt 0x0
	global_load_b64 v[4:5], v[8:9], off
	s_mov_b32 s25, 0
	s_wait_loadcnt 0x0
	v_trunc_f64_e32 v[4:5], v[4:5]
	s_delay_alu instid0(VALU_DEP_1) | instskip(NEXT) | instid1(VALU_DEP_1)
	v_ldexp_f64 v[10:11], v[4:5], 0xffffffe0
	v_floor_f64_e32 v[10:11], v[10:11]
	s_delay_alu instid0(VALU_DEP_1) | instskip(NEXT) | instid1(VALU_DEP_1)
	v_fmamk_f64 v[4:5], v[10:11], 0xc1f00000, v[4:5]
	v_cvt_u32_f64_e32 v4, v[4:5]
	s_branch .LBB47_518
.LBB47_516:
	s_mov_b32 s25, -1
                                        ; implicit-def: $vgpr4
	s_branch .LBB47_521
.LBB47_517:
	s_mov_b32 s25, -1
                                        ; implicit-def: $vgpr4
.LBB47_518:
	s_delay_alu instid0(SALU_CYCLE_1)
	s_and_not1_b32 vcc_lo, exec_lo, s25
	s_cbranch_vccnz .LBB47_520
; %bb.519:
	global_load_b32 v1, v[8:9], off
	s_wait_loadcnt 0x0
	v_trunc_f32_e32 v1, v1
	s_delay_alu instid0(VALU_DEP_1) | instskip(NEXT) | instid1(VALU_DEP_1)
	v_mul_f32_e64 v3, 0x2f800000, |v1|
	v_floor_f32_e32 v3, v3
	s_delay_alu instid0(VALU_DEP_1) | instskip(SKIP_1) | instid1(VALU_DEP_2)
	v_fma_f32 v3, 0xcf800000, v3, |v1|
	v_ashrrev_i32_e32 v1, 31, v1
	v_cvt_u32_f32_e32 v3, v3
	s_delay_alu instid0(VALU_DEP_1) | instskip(NEXT) | instid1(VALU_DEP_1)
	v_xor_b32_e32 v3, v3, v1
	v_sub_nc_u32_e32 v4, v3, v1
.LBB47_520:
	s_mov_b32 s25, 0
.LBB47_521:
	s_delay_alu instid0(SALU_CYCLE_1)
	s_and_not1_b32 vcc_lo, exec_lo, s25
	s_cbranch_vccnz .LBB47_523
; %bb.522:
	global_load_u16 v1, v[8:9], off
	s_wait_loadcnt 0x0
	v_cvt_f32_f16_e32 v1, v1
	s_delay_alu instid0(VALU_DEP_1)
	v_cvt_i32_f32_e32 v4, v1
.LBB47_523:
	s_mov_b32 s25, 0
.LBB47_524:
	s_delay_alu instid0(SALU_CYCLE_1)
	s_and_not1_b32 vcc_lo, exec_lo, s25
	s_cbranch_vccnz .LBB47_544
; %bb.525:
	s_cmp_lt_i32 s0, 2
	s_cbranch_scc1 .LBB47_529
; %bb.526:
	s_cmp_lt_i32 s0, 3
	s_cbranch_scc1 .LBB47_530
; %bb.527:
	s_cmp_gt_i32 s0, 3
	s_cbranch_scc0 .LBB47_531
; %bb.528:
	s_wait_loadcnt 0x0
	global_load_b64 v[4:5], v[8:9], off
	s_mov_b32 s25, 0
	s_branch .LBB47_532
.LBB47_529:
	s_mov_b32 s25, -1
                                        ; implicit-def: $vgpr4
	s_branch .LBB47_538
.LBB47_530:
	s_mov_b32 s25, -1
                                        ; implicit-def: $vgpr4
	s_branch .LBB47_535
.LBB47_531:
	s_mov_b32 s25, -1
                                        ; implicit-def: $vgpr4
.LBB47_532:
	s_delay_alu instid0(SALU_CYCLE_1)
	s_and_not1_b32 vcc_lo, exec_lo, s25
	s_cbranch_vccnz .LBB47_534
; %bb.533:
	s_wait_loadcnt 0x0
	global_load_b32 v4, v[8:9], off
.LBB47_534:
	s_mov_b32 s25, 0
.LBB47_535:
	s_delay_alu instid0(SALU_CYCLE_1)
	s_and_not1_b32 vcc_lo, exec_lo, s25
	s_cbranch_vccnz .LBB47_537
; %bb.536:
	s_wait_loadcnt 0x0
	global_load_u16 v4, v[8:9], off
.LBB47_537:
	s_mov_b32 s25, 0
.LBB47_538:
	s_delay_alu instid0(SALU_CYCLE_1)
	s_and_not1_b32 vcc_lo, exec_lo, s25
	s_cbranch_vccnz .LBB47_544
; %bb.539:
	s_cmp_gt_i32 s0, 0
	s_mov_b32 s0, 0
	s_cbranch_scc0 .LBB47_541
; %bb.540:
	s_wait_loadcnt 0x0
	global_load_u8 v4, v[8:9], off
	s_branch .LBB47_542
.LBB47_541:
	s_mov_b32 s0, -1
                                        ; implicit-def: $vgpr4
.LBB47_542:
	s_delay_alu instid0(SALU_CYCLE_1)
	s_and_not1_b32 vcc_lo, exec_lo, s0
	s_cbranch_vccnz .LBB47_544
; %bb.543:
	s_wait_loadcnt 0x0
	global_load_u8 v4, v[8:9], off
.LBB47_544:
	s_branch .LBB47_416
.LBB47_545:
	s_mov_b32 s46, 0
	s_mov_b32 s0, s38
	;; [unrolled: 1-line block ×3, first 2 shown]
	s_branch .LBB47_791
.LBB47_546:
	s_and_not1_saveexec_b32 s43, s43
	s_cbranch_execz .LBB47_206
.LBB47_547:
	v_add_f32_e32 v4, 0x42800000, v5
	s_and_not1_b32 s42, s42, exec_lo
	s_delay_alu instid0(VALU_DEP_1) | instskip(NEXT) | instid1(VALU_DEP_1)
	v_and_b32_e32 v4, 0xff, v4
	v_cmp_ne_u32_e32 vcc_lo, 0, v4
	s_and_b32 s44, vcc_lo, exec_lo
	s_delay_alu instid0(SALU_CYCLE_1)
	s_or_b32 s42, s42, s44
	s_or_b32 exec_lo, exec_lo, s43
	v_mov_b32_e32 v6, 0
	s_and_saveexec_b32 s43, s42
	s_cbranch_execnz .LBB47_207
	s_branch .LBB47_208
.LBB47_548:
	s_mov_b32 s25, -1
	s_mov_b32 s43, 0
.LBB47_549:
                                        ; implicit-def: $vgpr8
.LBB47_550:
	s_and_b32 vcc_lo, exec_lo, s44
	s_cbranch_vccz .LBB47_554
; %bb.551:
	s_cmp_eq_u32 s42, 44
	s_cbranch_scc0 .LBB47_553
; %bb.552:
	global_load_u8 v1, v[6:7], off
	s_mov_b32 s25, 0
	s_mov_b32 s43, -1
	s_wait_loadcnt 0x0
	v_lshlrev_b32_e32 v3, 23, v1
	v_cmp_ne_u32_e32 vcc_lo, 0, v1
	s_delay_alu instid0(VALU_DEP_2) | instskip(NEXT) | instid1(VALU_DEP_1)
	v_trunc_f32_e32 v3, v3
	v_mul_f32_e64 v5, 0x2f800000, |v3|
	s_delay_alu instid0(VALU_DEP_1) | instskip(NEXT) | instid1(VALU_DEP_1)
	v_floor_f32_e32 v5, v5
	v_fma_f32 v5, 0xcf800000, v5, |v3|
	v_ashrrev_i32_e32 v3, 31, v3
	s_delay_alu instid0(VALU_DEP_2) | instskip(NEXT) | instid1(VALU_DEP_1)
	v_cvt_u32_f32_e32 v5, v5
	v_xor_b32_e32 v5, v5, v3
	s_delay_alu instid0(VALU_DEP_1) | instskip(SKIP_1) | instid1(VALU_DEP_1)
	v_sub_nc_u32_e32 v3, v5, v3
	s_wait_xcnt 0x1
	v_cndmask_b32_e32 v8, 0, v3, vcc_lo
	s_branch .LBB47_554
.LBB47_553:
	s_mov_b32 s25, -1
                                        ; implicit-def: $vgpr8
.LBB47_554:
	s_mov_b32 s44, 0
.LBB47_555:
	s_delay_alu instid0(SALU_CYCLE_1)
	s_and_b32 vcc_lo, exec_lo, s44
	s_cbranch_vccz .LBB47_559
; %bb.556:
	s_cmp_eq_u32 s42, 29
	s_cbranch_scc0 .LBB47_558
; %bb.557:
	global_load_b64 v[8:9], v[6:7], off
	s_mov_b32 s43, -1
	s_mov_b32 s25, 0
	s_branch .LBB47_559
.LBB47_558:
	s_mov_b32 s25, -1
                                        ; implicit-def: $vgpr8
.LBB47_559:
	s_mov_b32 s44, 0
.LBB47_560:
	s_delay_alu instid0(SALU_CYCLE_1)
	s_and_b32 vcc_lo, exec_lo, s44
	s_cbranch_vccz .LBB47_576
; %bb.561:
	s_cmp_lt_i32 s42, 27
	s_cbranch_scc1 .LBB47_564
; %bb.562:
	s_cmp_gt_i32 s42, 27
	s_cbranch_scc0 .LBB47_565
; %bb.563:
	s_wait_loadcnt 0x0
	global_load_b32 v8, v[6:7], off
	s_mov_b32 s43, 0
	s_branch .LBB47_566
.LBB47_564:
	s_mov_b32 s43, -1
                                        ; implicit-def: $vgpr8
	s_branch .LBB47_569
.LBB47_565:
	s_mov_b32 s43, -1
                                        ; implicit-def: $vgpr8
.LBB47_566:
	s_delay_alu instid0(SALU_CYCLE_1)
	s_and_not1_b32 vcc_lo, exec_lo, s43
	s_cbranch_vccnz .LBB47_568
; %bb.567:
	s_wait_loadcnt 0x0
	global_load_u16 v8, v[6:7], off
.LBB47_568:
	s_mov_b32 s43, 0
.LBB47_569:
	s_delay_alu instid0(SALU_CYCLE_1)
	s_and_not1_b32 vcc_lo, exec_lo, s43
	s_cbranch_vccnz .LBB47_575
; %bb.570:
	global_load_u8 v1, v[6:7], off
	s_mov_b32 s44, 0
	s_mov_b32 s43, exec_lo
	s_wait_loadcnt 0x0
	v_cmpx_lt_i16_e32 0x7f, v1
	s_xor_b32 s43, exec_lo, s43
	s_cbranch_execz .LBB47_587
; %bb.571:
	v_cmp_ne_u16_e32 vcc_lo, 0x80, v1
	s_and_b32 s44, vcc_lo, exec_lo
	s_and_not1_saveexec_b32 s43, s43
	s_cbranch_execnz .LBB47_588
.LBB47_572:
	s_or_b32 exec_lo, exec_lo, s43
	v_mov_b32_e32 v8, 0
	s_and_saveexec_b32 s43, s44
	s_cbranch_execz .LBB47_574
.LBB47_573:
	v_and_b32_e32 v3, 0xffff, v1
	s_delay_alu instid0(VALU_DEP_1) | instskip(SKIP_1) | instid1(VALU_DEP_2)
	v_and_b32_e32 v5, 7, v3
	v_bfe_u32 v10, v3, 3, 4
	v_clz_i32_u32_e32 v8, v5
	s_delay_alu instid0(VALU_DEP_2) | instskip(NEXT) | instid1(VALU_DEP_2)
	v_cmp_eq_u32_e32 vcc_lo, 0, v10
	v_min_u32_e32 v8, 32, v8
	s_delay_alu instid0(VALU_DEP_1) | instskip(NEXT) | instid1(VALU_DEP_1)
	v_subrev_nc_u32_e32 v9, 28, v8
	v_dual_lshlrev_b32 v3, v9, v3 :: v_dual_sub_nc_u32 v8, 29, v8
	s_delay_alu instid0(VALU_DEP_1) | instskip(NEXT) | instid1(VALU_DEP_1)
	v_dual_lshlrev_b32 v1, 24, v1 :: v_dual_bitop2_b32 v3, 7, v3 bitop3:0x40
	v_dual_cndmask_b32 v8, v10, v8 :: v_dual_cndmask_b32 v3, v5, v3
	s_delay_alu instid0(VALU_DEP_2) | instskip(NEXT) | instid1(VALU_DEP_2)
	v_and_b32_e32 v1, 0x80000000, v1
	v_lshl_add_u32 v5, v8, 23, 0x3b800000
	s_delay_alu instid0(VALU_DEP_3) | instskip(NEXT) | instid1(VALU_DEP_1)
	v_lshlrev_b32_e32 v3, 20, v3
	v_or3_b32 v1, v1, v5, v3
	s_delay_alu instid0(VALU_DEP_1) | instskip(NEXT) | instid1(VALU_DEP_1)
	v_trunc_f32_e32 v1, v1
	v_mul_f32_e64 v3, 0x2f800000, |v1|
	s_delay_alu instid0(VALU_DEP_1) | instskip(NEXT) | instid1(VALU_DEP_1)
	v_floor_f32_e32 v3, v3
	v_fma_f32 v3, 0xcf800000, v3, |v1|
	v_ashrrev_i32_e32 v1, 31, v1
	s_delay_alu instid0(VALU_DEP_2) | instskip(NEXT) | instid1(VALU_DEP_1)
	v_cvt_u32_f32_e32 v3, v3
	v_xor_b32_e32 v3, v3, v1
	s_delay_alu instid0(VALU_DEP_1)
	v_sub_nc_u32_e32 v8, v3, v1
.LBB47_574:
	s_or_b32 exec_lo, exec_lo, s43
.LBB47_575:
	s_mov_b32 s43, -1
.LBB47_576:
	s_mov_b32 s44, 0
.LBB47_577:
	s_delay_alu instid0(SALU_CYCLE_1)
	s_and_b32 vcc_lo, exec_lo, s44
	s_cbranch_vccz .LBB47_610
; %bb.578:
	s_cmp_gt_i32 s42, 22
	s_cbranch_scc0 .LBB47_586
; %bb.579:
	s_cmp_lt_i32 s42, 24
	s_cbranch_scc1 .LBB47_589
; %bb.580:
	s_cmp_gt_i32 s42, 24
	s_cbranch_scc0 .LBB47_590
; %bb.581:
	global_load_u8 v1, v[6:7], off
	s_mov_b32 s44, 0
	s_mov_b32 s43, exec_lo
	s_wait_loadcnt 0x0
	v_cmpx_lt_i16_e32 0x7f, v1
	s_xor_b32 s43, exec_lo, s43
	s_cbranch_execz .LBB47_602
; %bb.582:
	v_cmp_ne_u16_e32 vcc_lo, 0x80, v1
	s_and_b32 s44, vcc_lo, exec_lo
	s_and_not1_saveexec_b32 s43, s43
	s_cbranch_execnz .LBB47_603
.LBB47_583:
	s_or_b32 exec_lo, exec_lo, s43
	v_mov_b32_e32 v8, 0
	s_and_saveexec_b32 s43, s44
	s_cbranch_execz .LBB47_585
.LBB47_584:
	v_and_b32_e32 v3, 0xffff, v1
	s_delay_alu instid0(VALU_DEP_1) | instskip(SKIP_1) | instid1(VALU_DEP_2)
	v_and_b32_e32 v5, 3, v3
	v_bfe_u32 v10, v3, 2, 5
	v_clz_i32_u32_e32 v8, v5
	s_delay_alu instid0(VALU_DEP_2) | instskip(NEXT) | instid1(VALU_DEP_2)
	v_cmp_eq_u32_e32 vcc_lo, 0, v10
	v_min_u32_e32 v8, 32, v8
	s_delay_alu instid0(VALU_DEP_1) | instskip(NEXT) | instid1(VALU_DEP_1)
	v_subrev_nc_u32_e32 v9, 29, v8
	v_dual_lshlrev_b32 v3, v9, v3 :: v_dual_sub_nc_u32 v8, 30, v8
	s_delay_alu instid0(VALU_DEP_1) | instskip(NEXT) | instid1(VALU_DEP_1)
	v_dual_lshlrev_b32 v1, 24, v1 :: v_dual_bitop2_b32 v3, 3, v3 bitop3:0x40
	v_dual_cndmask_b32 v8, v10, v8 :: v_dual_cndmask_b32 v3, v5, v3
	s_delay_alu instid0(VALU_DEP_2) | instskip(NEXT) | instid1(VALU_DEP_2)
	v_and_b32_e32 v1, 0x80000000, v1
	v_lshl_add_u32 v5, v8, 23, 0x37800000
	s_delay_alu instid0(VALU_DEP_3) | instskip(NEXT) | instid1(VALU_DEP_1)
	v_lshlrev_b32_e32 v3, 21, v3
	v_or3_b32 v1, v1, v5, v3
	s_delay_alu instid0(VALU_DEP_1) | instskip(NEXT) | instid1(VALU_DEP_1)
	v_trunc_f32_e32 v1, v1
	v_mul_f32_e64 v3, 0x2f800000, |v1|
	s_delay_alu instid0(VALU_DEP_1) | instskip(NEXT) | instid1(VALU_DEP_1)
	v_floor_f32_e32 v3, v3
	v_fma_f32 v3, 0xcf800000, v3, |v1|
	v_ashrrev_i32_e32 v1, 31, v1
	s_delay_alu instid0(VALU_DEP_2) | instskip(NEXT) | instid1(VALU_DEP_1)
	v_cvt_u32_f32_e32 v3, v3
	v_xor_b32_e32 v3, v3, v1
	s_delay_alu instid0(VALU_DEP_1)
	v_sub_nc_u32_e32 v8, v3, v1
.LBB47_585:
	s_or_b32 exec_lo, exec_lo, s43
	s_mov_b32 s43, 0
	s_branch .LBB47_591
.LBB47_586:
	s_mov_b32 s44, -1
                                        ; implicit-def: $vgpr8
	s_branch .LBB47_597
.LBB47_587:
	s_and_not1_saveexec_b32 s43, s43
	s_cbranch_execz .LBB47_572
.LBB47_588:
	v_cmp_ne_u16_e32 vcc_lo, 0, v1
	s_and_not1_b32 s44, s44, exec_lo
	s_and_b32 s46, vcc_lo, exec_lo
	s_delay_alu instid0(SALU_CYCLE_1)
	s_or_b32 s44, s44, s46
	s_or_b32 exec_lo, exec_lo, s43
	v_mov_b32_e32 v8, 0
	s_and_saveexec_b32 s43, s44
	s_cbranch_execnz .LBB47_573
	s_branch .LBB47_574
.LBB47_589:
	s_mov_b32 s43, -1
                                        ; implicit-def: $vgpr8
	s_branch .LBB47_594
.LBB47_590:
	s_mov_b32 s43, -1
                                        ; implicit-def: $vgpr8
.LBB47_591:
	s_delay_alu instid0(SALU_CYCLE_1)
	s_and_b32 vcc_lo, exec_lo, s43
	s_cbranch_vccz .LBB47_593
; %bb.592:
	global_load_u8 v1, v[6:7], off
	s_wait_loadcnt 0x0
	v_lshlrev_b32_e32 v1, 24, v1
	s_delay_alu instid0(VALU_DEP_1) | instskip(NEXT) | instid1(VALU_DEP_1)
	v_and_b32_e32 v3, 0x7f000000, v1
	v_clz_i32_u32_e32 v5, v3
	s_wait_xcnt 0x1
	v_add_nc_u32_e32 v9, 0x1000000, v3
	v_cmp_ne_u32_e32 vcc_lo, 0, v3
	s_delay_alu instid0(VALU_DEP_3) | instskip(NEXT) | instid1(VALU_DEP_1)
	v_min_u32_e32 v5, 32, v5
	v_sub_nc_u32_e64 v5, v5, 4 clamp
	s_delay_alu instid0(VALU_DEP_1) | instskip(NEXT) | instid1(VALU_DEP_1)
	v_dual_lshlrev_b32 v8, v5, v3 :: v_dual_lshlrev_b32 v5, 23, v5
	v_lshrrev_b32_e32 v8, 4, v8
	s_delay_alu instid0(VALU_DEP_1) | instskip(SKIP_1) | instid1(VALU_DEP_2)
	v_sub_nc_u32_e32 v5, v8, v5
	v_ashrrev_i32_e32 v8, 8, v9
	v_add_nc_u32_e32 v5, 0x3c000000, v5
	s_delay_alu instid0(VALU_DEP_1) | instskip(NEXT) | instid1(VALU_DEP_1)
	v_and_or_b32 v5, 0x7f800000, v8, v5
	v_cndmask_b32_e32 v3, 0, v5, vcc_lo
	s_delay_alu instid0(VALU_DEP_1) | instskip(NEXT) | instid1(VALU_DEP_1)
	v_and_or_b32 v1, 0x80000000, v1, v3
	v_trunc_f32_e32 v1, v1
	s_delay_alu instid0(VALU_DEP_1) | instskip(NEXT) | instid1(VALU_DEP_1)
	v_mul_f32_e64 v3, 0x2f800000, |v1|
	v_floor_f32_e32 v3, v3
	s_delay_alu instid0(VALU_DEP_1) | instskip(SKIP_1) | instid1(VALU_DEP_2)
	v_fma_f32 v3, 0xcf800000, v3, |v1|
	v_ashrrev_i32_e32 v1, 31, v1
	v_cvt_u32_f32_e32 v3, v3
	s_delay_alu instid0(VALU_DEP_1) | instskip(NEXT) | instid1(VALU_DEP_1)
	v_xor_b32_e32 v3, v3, v1
	v_sub_nc_u32_e32 v8, v3, v1
.LBB47_593:
	s_mov_b32 s43, 0
.LBB47_594:
	s_delay_alu instid0(SALU_CYCLE_1)
	s_and_not1_b32 vcc_lo, exec_lo, s43
	s_cbranch_vccnz .LBB47_596
; %bb.595:
	global_load_u8 v1, v[6:7], off
	s_wait_loadcnt 0x0
	v_lshlrev_b32_e32 v3, 25, v1
	v_lshlrev_b16 v1, 8, v1
	s_wait_xcnt 0x1
	s_delay_alu instid0(VALU_DEP_1) | instskip(SKIP_1) | instid1(VALU_DEP_2)
	v_and_or_b32 v8, 0x7f00, v1, 0.5
	v_bfe_i32 v1, v1, 0, 16
	v_dual_add_f32 v8, -0.5, v8 :: v_dual_lshrrev_b32 v5, 4, v3
	v_cmp_gt_u32_e32 vcc_lo, 0x8000000, v3
	s_delay_alu instid0(VALU_DEP_2) | instskip(NEXT) | instid1(VALU_DEP_1)
	v_or_b32_e32 v5, 0x70000000, v5
	v_mul_f32_e32 v5, 0x7800000, v5
	s_delay_alu instid0(VALU_DEP_1) | instskip(NEXT) | instid1(VALU_DEP_1)
	v_cndmask_b32_e32 v3, v5, v8, vcc_lo
	v_and_or_b32 v1, 0x80000000, v1, v3
	s_delay_alu instid0(VALU_DEP_1) | instskip(NEXT) | instid1(VALU_DEP_1)
	v_trunc_f32_e32 v1, v1
	v_mul_f32_e64 v3, 0x2f800000, |v1|
	s_delay_alu instid0(VALU_DEP_1) | instskip(NEXT) | instid1(VALU_DEP_1)
	v_floor_f32_e32 v3, v3
	v_fma_f32 v3, 0xcf800000, v3, |v1|
	v_ashrrev_i32_e32 v1, 31, v1
	s_delay_alu instid0(VALU_DEP_2) | instskip(NEXT) | instid1(VALU_DEP_1)
	v_cvt_u32_f32_e32 v3, v3
	v_xor_b32_e32 v3, v3, v1
	s_delay_alu instid0(VALU_DEP_1)
	v_sub_nc_u32_e32 v8, v3, v1
.LBB47_596:
	s_mov_b32 s44, 0
	s_mov_b32 s43, -1
.LBB47_597:
	s_and_not1_b32 vcc_lo, exec_lo, s44
	s_cbranch_vccnz .LBB47_610
; %bb.598:
	s_cmp_gt_i32 s42, 14
	s_cbranch_scc0 .LBB47_601
; %bb.599:
	s_cmp_eq_u32 s42, 15
	s_cbranch_scc0 .LBB47_604
; %bb.600:
	global_load_u16 v1, v[6:7], off
	s_mov_b32 s43, -1
	s_mov_b32 s25, 0
	s_wait_loadcnt 0x0
	v_lshlrev_b32_e32 v1, 16, v1
	s_delay_alu instid0(VALU_DEP_1) | instskip(NEXT) | instid1(VALU_DEP_1)
	v_trunc_f32_e32 v1, v1
	v_mul_f32_e64 v3, 0x2f800000, |v1|
	s_delay_alu instid0(VALU_DEP_1) | instskip(NEXT) | instid1(VALU_DEP_1)
	v_floor_f32_e32 v3, v3
	v_fma_f32 v3, 0xcf800000, v3, |v1|
	v_ashrrev_i32_e32 v1, 31, v1
	s_delay_alu instid0(VALU_DEP_2) | instskip(NEXT) | instid1(VALU_DEP_1)
	v_cvt_u32_f32_e32 v3, v3
	v_xor_b32_e32 v3, v3, v1
	s_wait_xcnt 0x1
	s_delay_alu instid0(VALU_DEP_1)
	v_sub_nc_u32_e32 v8, v3, v1
	s_branch .LBB47_605
.LBB47_601:
	s_mov_b32 s44, -1
                                        ; implicit-def: $vgpr8
	s_branch .LBB47_606
.LBB47_602:
	s_and_not1_saveexec_b32 s43, s43
	s_cbranch_execz .LBB47_583
.LBB47_603:
	v_cmp_ne_u16_e32 vcc_lo, 0, v1
	s_and_not1_b32 s44, s44, exec_lo
	s_and_b32 s46, vcc_lo, exec_lo
	s_delay_alu instid0(SALU_CYCLE_1)
	s_or_b32 s44, s44, s46
	s_or_b32 exec_lo, exec_lo, s43
	v_mov_b32_e32 v8, 0
	s_and_saveexec_b32 s43, s44
	s_cbranch_execnz .LBB47_584
	s_branch .LBB47_585
.LBB47_604:
	s_mov_b32 s25, -1
                                        ; implicit-def: $vgpr8
.LBB47_605:
	s_mov_b32 s44, 0
.LBB47_606:
	s_delay_alu instid0(SALU_CYCLE_1)
	s_and_b32 vcc_lo, exec_lo, s44
	s_cbranch_vccz .LBB47_610
; %bb.607:
	s_cmp_eq_u32 s42, 11
	s_cbranch_scc0 .LBB47_609
; %bb.608:
	global_load_u8 v1, v[6:7], off
	s_mov_b32 s25, 0
	s_mov_b32 s43, -1
	s_wait_loadcnt 0x0
	v_cmp_ne_u16_e32 vcc_lo, 0, v1
	s_wait_xcnt 0x1
	v_cndmask_b32_e64 v8, 0, 1, vcc_lo
	s_branch .LBB47_610
.LBB47_609:
	s_mov_b32 s25, -1
                                        ; implicit-def: $vgpr8
.LBB47_610:
	s_mov_b32 s42, 0
.LBB47_611:
	s_delay_alu instid0(SALU_CYCLE_1)
	s_and_b32 vcc_lo, exec_lo, s42
	s_cbranch_vccz .LBB47_660
; %bb.612:
	s_and_b32 s0, 0xffff, s0
	s_delay_alu instid0(SALU_CYCLE_1)
	s_cmp_lt_i32 s0, 5
	s_cbranch_scc1 .LBB47_617
; %bb.613:
	s_cmp_lt_i32 s0, 8
	s_cbranch_scc1 .LBB47_618
; %bb.614:
	s_cmp_lt_i32 s0, 9
	s_cbranch_scc1 .LBB47_619
; %bb.615:
	s_cmp_gt_i32 s0, 9
	s_cbranch_scc0 .LBB47_620
; %bb.616:
	s_wait_loadcnt 0x0
	global_load_b64 v[8:9], v[6:7], off
	s_mov_b32 s42, 0
	s_wait_loadcnt 0x0
	v_trunc_f64_e32 v[8:9], v[8:9]
	s_delay_alu instid0(VALU_DEP_1) | instskip(NEXT) | instid1(VALU_DEP_1)
	v_ldexp_f64 v[10:11], v[8:9], 0xffffffe0
	v_floor_f64_e32 v[10:11], v[10:11]
	s_delay_alu instid0(VALU_DEP_1) | instskip(NEXT) | instid1(VALU_DEP_1)
	v_fmamk_f64 v[8:9], v[10:11], 0xc1f00000, v[8:9]
	v_cvt_u32_f64_e32 v8, v[8:9]
	s_branch .LBB47_621
.LBB47_617:
	s_mov_b32 s42, -1
                                        ; implicit-def: $vgpr8
	s_branch .LBB47_639
.LBB47_618:
	s_mov_b32 s42, -1
                                        ; implicit-def: $vgpr8
	s_branch .LBB47_627
.LBB47_619:
	s_mov_b32 s42, -1
                                        ; implicit-def: $vgpr8
	s_branch .LBB47_624
.LBB47_620:
	s_mov_b32 s42, -1
                                        ; implicit-def: $vgpr8
.LBB47_621:
	s_delay_alu instid0(SALU_CYCLE_1)
	s_and_not1_b32 vcc_lo, exec_lo, s42
	s_cbranch_vccnz .LBB47_623
; %bb.622:
	global_load_b32 v1, v[6:7], off
	s_wait_loadcnt 0x0
	v_trunc_f32_e32 v1, v1
	s_delay_alu instid0(VALU_DEP_1) | instskip(NEXT) | instid1(VALU_DEP_1)
	v_mul_f32_e64 v3, 0x2f800000, |v1|
	v_floor_f32_e32 v3, v3
	s_delay_alu instid0(VALU_DEP_1) | instskip(SKIP_1) | instid1(VALU_DEP_2)
	v_fma_f32 v3, 0xcf800000, v3, |v1|
	v_ashrrev_i32_e32 v1, 31, v1
	v_cvt_u32_f32_e32 v3, v3
	s_delay_alu instid0(VALU_DEP_1) | instskip(SKIP_1) | instid1(VALU_DEP_1)
	v_xor_b32_e32 v3, v3, v1
	s_wait_xcnt 0x1
	v_sub_nc_u32_e32 v8, v3, v1
.LBB47_623:
	s_mov_b32 s42, 0
.LBB47_624:
	s_delay_alu instid0(SALU_CYCLE_1)
	s_and_not1_b32 vcc_lo, exec_lo, s42
	s_cbranch_vccnz .LBB47_626
; %bb.625:
	global_load_b32 v1, v[6:7], off
	s_wait_loadcnt 0x0
	v_cvt_f32_f16_e32 v1, v1
	s_wait_xcnt 0x1
	s_delay_alu instid0(VALU_DEP_1)
	v_cvt_i32_f32_e32 v8, v1
.LBB47_626:
	s_mov_b32 s42, 0
.LBB47_627:
	s_delay_alu instid0(SALU_CYCLE_1)
	s_and_not1_b32 vcc_lo, exec_lo, s42
	s_cbranch_vccnz .LBB47_638
; %bb.628:
	s_cmp_lt_i32 s0, 6
	s_cbranch_scc1 .LBB47_631
; %bb.629:
	s_cmp_gt_i32 s0, 6
	s_cbranch_scc0 .LBB47_632
; %bb.630:
	s_wait_loadcnt 0x0
	global_load_b64 v[8:9], v[6:7], off
	s_mov_b32 s42, 0
	s_wait_loadcnt 0x0
	v_trunc_f64_e32 v[8:9], v[8:9]
	s_delay_alu instid0(VALU_DEP_1) | instskip(NEXT) | instid1(VALU_DEP_1)
	v_ldexp_f64 v[10:11], v[8:9], 0xffffffe0
	v_floor_f64_e32 v[10:11], v[10:11]
	s_delay_alu instid0(VALU_DEP_1) | instskip(NEXT) | instid1(VALU_DEP_1)
	v_fmamk_f64 v[8:9], v[10:11], 0xc1f00000, v[8:9]
	v_cvt_u32_f64_e32 v8, v[8:9]
	s_branch .LBB47_633
.LBB47_631:
	s_mov_b32 s42, -1
                                        ; implicit-def: $vgpr8
	s_branch .LBB47_636
.LBB47_632:
	s_mov_b32 s42, -1
                                        ; implicit-def: $vgpr8
.LBB47_633:
	s_delay_alu instid0(SALU_CYCLE_1)
	s_and_not1_b32 vcc_lo, exec_lo, s42
	s_cbranch_vccnz .LBB47_635
; %bb.634:
	global_load_b32 v1, v[6:7], off
	s_wait_loadcnt 0x0
	v_trunc_f32_e32 v1, v1
	s_delay_alu instid0(VALU_DEP_1) | instskip(NEXT) | instid1(VALU_DEP_1)
	v_mul_f32_e64 v3, 0x2f800000, |v1|
	v_floor_f32_e32 v3, v3
	s_delay_alu instid0(VALU_DEP_1) | instskip(SKIP_1) | instid1(VALU_DEP_2)
	v_fma_f32 v3, 0xcf800000, v3, |v1|
	v_ashrrev_i32_e32 v1, 31, v1
	v_cvt_u32_f32_e32 v3, v3
	s_delay_alu instid0(VALU_DEP_1) | instskip(SKIP_1) | instid1(VALU_DEP_1)
	v_xor_b32_e32 v3, v3, v1
	s_wait_xcnt 0x1
	v_sub_nc_u32_e32 v8, v3, v1
.LBB47_635:
	s_mov_b32 s42, 0
.LBB47_636:
	s_delay_alu instid0(SALU_CYCLE_1)
	s_and_not1_b32 vcc_lo, exec_lo, s42
	s_cbranch_vccnz .LBB47_638
; %bb.637:
	global_load_u16 v1, v[6:7], off
	s_wait_loadcnt 0x0
	v_cvt_f32_f16_e32 v1, v1
	s_wait_xcnt 0x1
	s_delay_alu instid0(VALU_DEP_1)
	v_cvt_i32_f32_e32 v8, v1
.LBB47_638:
	s_mov_b32 s42, 0
.LBB47_639:
	s_delay_alu instid0(SALU_CYCLE_1)
	s_and_not1_b32 vcc_lo, exec_lo, s42
	s_cbranch_vccnz .LBB47_659
; %bb.640:
	s_cmp_lt_i32 s0, 2
	s_cbranch_scc1 .LBB47_644
; %bb.641:
	s_cmp_lt_i32 s0, 3
	s_cbranch_scc1 .LBB47_645
; %bb.642:
	s_cmp_gt_i32 s0, 3
	s_cbranch_scc0 .LBB47_646
; %bb.643:
	s_wait_loadcnt 0x0
	global_load_b64 v[8:9], v[6:7], off
	s_mov_b32 s42, 0
	s_branch .LBB47_647
.LBB47_644:
	s_mov_b32 s42, -1
                                        ; implicit-def: $vgpr8
	s_branch .LBB47_653
.LBB47_645:
	s_mov_b32 s42, -1
                                        ; implicit-def: $vgpr8
	s_branch .LBB47_650
.LBB47_646:
	s_mov_b32 s42, -1
                                        ; implicit-def: $vgpr8
.LBB47_647:
	s_delay_alu instid0(SALU_CYCLE_1)
	s_and_not1_b32 vcc_lo, exec_lo, s42
	s_cbranch_vccnz .LBB47_649
; %bb.648:
	s_wait_loadcnt 0x0
	global_load_b32 v8, v[6:7], off
.LBB47_649:
	s_mov_b32 s42, 0
.LBB47_650:
	s_delay_alu instid0(SALU_CYCLE_1)
	s_and_not1_b32 vcc_lo, exec_lo, s42
	s_cbranch_vccnz .LBB47_652
; %bb.651:
	s_wait_loadcnt 0x0
	global_load_u16 v8, v[6:7], off
.LBB47_652:
	s_mov_b32 s42, 0
.LBB47_653:
	s_delay_alu instid0(SALU_CYCLE_1)
	s_and_not1_b32 vcc_lo, exec_lo, s42
	s_cbranch_vccnz .LBB47_659
; %bb.654:
	s_cmp_gt_i32 s0, 0
	s_mov_b32 s0, 0
	s_cbranch_scc0 .LBB47_656
; %bb.655:
	s_wait_loadcnt 0x0
	global_load_u8 v8, v[6:7], off
	s_branch .LBB47_657
.LBB47_656:
	s_mov_b32 s0, -1
                                        ; implicit-def: $vgpr8
.LBB47_657:
	s_delay_alu instid0(SALU_CYCLE_1)
	s_and_not1_b32 vcc_lo, exec_lo, s0
	s_cbranch_vccnz .LBB47_659
; %bb.658:
	s_wait_loadcnt 0x0
	global_load_u8 v8, v[6:7], off
.LBB47_659:
	s_mov_b32 s43, -1
.LBB47_660:
	s_delay_alu instid0(SALU_CYCLE_1)
	s_and_not1_b32 vcc_lo, exec_lo, s43
	s_cbranch_vccnz .LBB47_674
; %bb.661:
	s_wait_loadcnt 0x0
	s_delay_alu instid0(VALU_DEP_3) | instskip(NEXT) | instid1(VALU_DEP_2)
	v_and_b32_e32 v1, 0xff, v4
	v_mov_b32_e32 v3, v8
	s_mov_b32 s42, 0
	s_mov_b32 s0, exec_lo
	s_wait_xcnt 0x0
	v_cmpx_ne_u16_e32 0, v1
	s_cbranch_execz .LBB47_665
; %bb.662:
	v_dual_mov_b32 v5, v4 :: v_dual_mov_b32 v1, v8
.LBB47_663:                             ; =>This Inner Loop Header: Depth=1
	s_delay_alu instid0(VALU_DEP_1) | instskip(NEXT) | instid1(VALU_DEP_2)
	v_cvt_f32_ubyte0_e32 v7, v1
	v_mov_b32_e32 v3, v5
	s_delay_alu instid0(VALU_DEP_1) | instskip(NEXT) | instid1(VALU_DEP_1)
	v_cvt_f32_ubyte0_e32 v5, v3
	v_rcp_iflag_f32_e32 v6, v5
	v_nop
	s_delay_alu instid0(TRANS32_DEP_1) | instskip(NEXT) | instid1(VALU_DEP_1)
	v_mul_f32_e32 v6, v7, v6
	v_trunc_f32_e32 v6, v6
	s_delay_alu instid0(VALU_DEP_1) | instskip(SKIP_1) | instid1(VALU_DEP_2)
	v_fma_f32 v7, -v6, v5, v7
	v_cvt_u32_f32_e32 v6, v6
	v_cmp_ge_f32_e64 vcc_lo, |v7|, v5
	s_delay_alu instid0(VALU_DEP_1) | instskip(NEXT) | instid1(VALU_DEP_1)
	v_add_co_ci_u32_e64 v5, null, 0, v6, vcc_lo
	v_mul_lo_u32 v5, v5, v3
	s_delay_alu instid0(VALU_DEP_1) | instskip(NEXT) | instid1(VALU_DEP_1)
	v_sub_nc_u32_e32 v1, v1, v5
	v_and_b32_e32 v5, 0xff, v1
	v_mov_b32_e32 v1, v3
	s_delay_alu instid0(VALU_DEP_2) | instskip(SKIP_1) | instid1(SALU_CYCLE_1)
	v_cmp_eq_u16_e32 vcc_lo, 0, v5
	s_or_b32 s42, vcc_lo, s42
	s_and_not1_b32 exec_lo, exec_lo, s42
	s_cbranch_execnz .LBB47_663
; %bb.664:
	s_or_b32 exec_lo, exec_lo, s42
.LBB47_665:
	s_delay_alu instid0(SALU_CYCLE_1) | instskip(SKIP_3) | instid1(VALU_DEP_2)
	s_or_b32 exec_lo, exec_lo, s0
	v_and_b32_e32 v5, 0xff, v3
	v_mov_b32_e32 v1, 0
	s_mov_b32 s0, exec_lo
	v_cmpx_ne_u16_e32 0, v5
	s_cbranch_execz .LBB47_667
; %bb.666:
	v_cvt_f32_ubyte0_e32 v1, v3
	v_cvt_f32_ubyte0_e32 v4, v4
	s_delay_alu instid0(VALU_DEP_2) | instskip(SKIP_1) | instid1(TRANS32_DEP_1)
	v_rcp_iflag_f32_e32 v3, v1
	v_nop
	v_mul_f32_e32 v3, v4, v3
	s_delay_alu instid0(VALU_DEP_1) | instskip(NEXT) | instid1(VALU_DEP_1)
	v_trunc_f32_e32 v3, v3
	v_fma_f32 v4, -v3, v1, v4
	v_cvt_u32_f32_e32 v3, v3
	s_delay_alu instid0(VALU_DEP_2) | instskip(NEXT) | instid1(VALU_DEP_1)
	v_cmp_ge_f32_e64 vcc_lo, |v4|, v1
	v_add_co_ci_u32_e64 v1, null, 0, v3, vcc_lo
	s_delay_alu instid0(VALU_DEP_1)
	v_mul_lo_u16 v1, v1, v8
.LBB47_667:
	s_or_b32 exec_lo, exec_lo, s0
	v_mov_b32_e32 v3, 0
	s_and_b32 s42, s31, 0xff
	s_delay_alu instid0(SALU_CYCLE_1) | instskip(NEXT) | instid1(VALU_DEP_1)
	s_cmp_lt_i32 s42, 11
	v_add_nc_u64_e32 v[2:3], s[4:5], v[2:3]
	s_cbranch_scc1 .LBB47_675
; %bb.668:
	s_and_b32 s43, 0xffff, s42
	s_delay_alu instid0(SALU_CYCLE_1)
	s_cmp_gt_i32 s43, 25
	s_cbranch_scc0 .LBB47_676
; %bb.669:
	s_cmp_gt_i32 s43, 28
	s_cbranch_scc0 .LBB47_677
; %bb.670:
	;; [unrolled: 3-line block ×4, first 2 shown]
	s_mov_b32 s46, 0
	s_mov_b32 s0, -1
	s_cmp_eq_u32 s43, 46
	s_mov_b32 s44, 0
	s_cbranch_scc0 .LBB47_680
; %bb.673:
	v_cvt_f32_ubyte0_e32 v4, v1
	s_mov_b32 s44, -1
	s_mov_b32 s0, 0
	s_delay_alu instid0(VALU_DEP_1) | instskip(NEXT) | instid1(VALU_DEP_1)
	v_bfe_u32 v5, v4, 16, 1
	v_add3_u32 v4, v4, v5, 0x7fff
	s_delay_alu instid0(VALU_DEP_1)
	v_lshrrev_b32_e32 v4, 16, v4
	global_store_b32 v[2:3], v4, off
	s_branch .LBB47_680
.LBB47_674:
	s_mov_b32 s46, 0
	s_mov_b32 s0, s38
	s_branch .LBB47_791
.LBB47_675:
	s_mov_b32 s43, -1
	s_mov_b32 s44, 0
	s_mov_b32 s0, s38
	s_branch .LBB47_749
.LBB47_676:
	s_mov_b32 s46, -1
	s_mov_b32 s44, 0
	s_mov_b32 s0, s38
	s_branch .LBB47_707
.LBB47_677:
	s_mov_b32 s46, -1
	s_mov_b32 s44, 0
	s_mov_b32 s0, s38
	s_branch .LBB47_690
.LBB47_678:
	s_mov_b32 s46, -1
	s_mov_b32 s44, 0
	s_mov_b32 s0, s38
	s_branch .LBB47_686
.LBB47_679:
	s_mov_b32 s46, -1
	s_mov_b32 s44, 0
	s_mov_b32 s0, s38
.LBB47_680:
	s_and_b32 vcc_lo, exec_lo, s46
	s_cbranch_vccz .LBB47_685
; %bb.681:
	s_cmp_eq_u32 s43, 44
	s_mov_b32 s0, -1
	s_cbranch_scc0 .LBB47_685
; %bb.682:
	v_cvt_f32_ubyte0_e32 v6, v1
	s_mov_b32 s44, exec_lo
	s_wait_xcnt 0x0
	s_delay_alu instid0(VALU_DEP_1) | instskip(NEXT) | instid1(VALU_DEP_1)
	v_dual_mov_b32 v5, 0xff :: v_dual_lshrrev_b32 v4, 23, v6
	v_cmpx_ne_u32_e32 0xff, v4
; %bb.683:
	v_and_b32_e32 v5, 0x400000, v6
	v_and_or_b32 v6, 0x3fffff, v6, v4
	s_delay_alu instid0(VALU_DEP_2) | instskip(NEXT) | instid1(VALU_DEP_2)
	v_cmp_ne_u32_e32 vcc_lo, 0, v5
	v_cmp_ne_u32_e64 s0, 0, v6
	s_and_b32 s0, vcc_lo, s0
	s_delay_alu instid0(SALU_CYCLE_1) | instskip(NEXT) | instid1(VALU_DEP_1)
	v_cndmask_b32_e64 v5, 0, 1, s0
	v_add_nc_u32_e32 v5, v4, v5
; %bb.684:
	s_or_b32 exec_lo, exec_lo, s44
	s_mov_b32 s44, -1
	s_mov_b32 s0, 0
	global_store_b8 v[2:3], v5, off
.LBB47_685:
	s_mov_b32 s46, 0
.LBB47_686:
	s_delay_alu instid0(SALU_CYCLE_1)
	s_and_b32 vcc_lo, exec_lo, s46
	s_cbranch_vccz .LBB47_689
; %bb.687:
	s_cmp_eq_u32 s43, 29
	s_mov_b32 s0, -1
	s_cbranch_scc0 .LBB47_689
; %bb.688:
	s_wait_xcnt 0x0
	v_and_b32_e32 v4, 0xff, v1
	v_mov_b32_e32 v5, 0
	s_mov_b32 s44, -1
	s_mov_b32 s0, 0
	s_mov_b32 s46, 0
	global_store_b64 v[2:3], v[4:5], off
	s_branch .LBB47_690
.LBB47_689:
	s_mov_b32 s46, 0
.LBB47_690:
	s_delay_alu instid0(SALU_CYCLE_1)
	s_and_b32 vcc_lo, exec_lo, s46
	s_cbranch_vccz .LBB47_706
; %bb.691:
	s_cmp_lt_i32 s43, 27
	s_mov_b32 s44, -1
	s_cbranch_scc1 .LBB47_697
; %bb.692:
	s_cmp_gt_i32 s43, 27
	s_cbranch_scc0 .LBB47_694
; %bb.693:
	s_wait_xcnt 0x0
	v_and_b32_e32 v4, 0xff, v1
	s_mov_b32 s44, 0
	global_store_b32 v[2:3], v4, off
.LBB47_694:
	s_and_not1_b32 vcc_lo, exec_lo, s44
	s_cbranch_vccnz .LBB47_696
; %bb.695:
	s_wait_xcnt 0x0
	v_and_b32_e32 v4, 0xff, v1
	global_store_b16 v[2:3], v4, off
.LBB47_696:
	s_mov_b32 s44, 0
.LBB47_697:
	s_delay_alu instid0(SALU_CYCLE_1)
	s_and_not1_b32 vcc_lo, exec_lo, s44
	s_cbranch_vccnz .LBB47_705
; %bb.698:
	s_wait_xcnt 0x0
	v_cvt_f32_ubyte0_e32 v5, v1
	v_mov_b32_e32 v6, 0x80
	s_mov_b32 s44, exec_lo
	s_delay_alu instid0(VALU_DEP_2)
	v_cmpx_gt_u32_e32 0x43800000, v5
	s_cbranch_execz .LBB47_704
; %bb.699:
	s_mov_b32 s46, 0
	s_mov_b32 s47, exec_lo
                                        ; implicit-def: $vgpr4
	v_cmpx_lt_u32_e32 0x3bffffff, v5
	s_xor_b32 s47, exec_lo, s47
	s_cbranch_execz .LBB47_819
; %bb.700:
	v_bfe_u32 v4, v5, 20, 1
	s_mov_b32 s46, exec_lo
	s_delay_alu instid0(VALU_DEP_1) | instskip(NEXT) | instid1(VALU_DEP_1)
	v_add3_u32 v4, v5, v4, 0x487ffff
                                        ; implicit-def: $vgpr5
	v_lshrrev_b32_e32 v4, 20, v4
	s_and_not1_saveexec_b32 s47, s47
	s_cbranch_execnz .LBB47_820
.LBB47_701:
	s_or_b32 exec_lo, exec_lo, s47
	v_mov_b32_e32 v6, 0
	s_and_saveexec_b32 s47, s46
.LBB47_702:
	v_mov_b32_e32 v6, v4
.LBB47_703:
	s_or_b32 exec_lo, exec_lo, s47
.LBB47_704:
	s_delay_alu instid0(SALU_CYCLE_1)
	s_or_b32 exec_lo, exec_lo, s44
	global_store_b8 v[2:3], v6, off
.LBB47_705:
	s_mov_b32 s44, -1
.LBB47_706:
	s_mov_b32 s46, 0
.LBB47_707:
	s_delay_alu instid0(SALU_CYCLE_1)
	s_and_b32 vcc_lo, exec_lo, s46
	s_cbranch_vccz .LBB47_748
; %bb.708:
	s_cmp_gt_i32 s43, 22
	s_mov_b32 s46, -1
	s_cbranch_scc0 .LBB47_740
; %bb.709:
	s_cmp_lt_i32 s43, 24
	s_mov_b32 s44, -1
	s_cbranch_scc1 .LBB47_729
; %bb.710:
	s_cmp_gt_i32 s43, 24
	s_cbranch_scc0 .LBB47_718
; %bb.711:
	s_wait_xcnt 0x0
	v_cvt_f32_ubyte0_e32 v5, v1
	v_mov_b32_e32 v6, 0x80
	s_mov_b32 s44, exec_lo
	s_delay_alu instid0(VALU_DEP_2)
	v_cmpx_gt_u32_e32 0x47800000, v5
	s_cbranch_execz .LBB47_717
; %bb.712:
	s_mov_b32 s46, 0
	s_mov_b32 s47, exec_lo
                                        ; implicit-def: $vgpr4
	v_cmpx_lt_u32_e32 0x37ffffff, v5
	s_xor_b32 s47, exec_lo, s47
	s_cbranch_execz .LBB47_947
; %bb.713:
	v_bfe_u32 v4, v5, 21, 1
	s_mov_b32 s46, exec_lo
	s_delay_alu instid0(VALU_DEP_1) | instskip(NEXT) | instid1(VALU_DEP_1)
	v_add3_u32 v4, v5, v4, 0x88fffff
                                        ; implicit-def: $vgpr5
	v_lshrrev_b32_e32 v4, 21, v4
	s_and_not1_saveexec_b32 s47, s47
	s_cbranch_execnz .LBB47_948
.LBB47_714:
	s_or_b32 exec_lo, exec_lo, s47
	v_mov_b32_e32 v6, 0
	s_and_saveexec_b32 s47, s46
.LBB47_715:
	v_mov_b32_e32 v6, v4
.LBB47_716:
	s_or_b32 exec_lo, exec_lo, s47
.LBB47_717:
	s_delay_alu instid0(SALU_CYCLE_1)
	s_or_b32 exec_lo, exec_lo, s44
	s_mov_b32 s44, 0
	global_store_b8 v[2:3], v6, off
.LBB47_718:
	s_and_b32 vcc_lo, exec_lo, s44
	s_cbranch_vccz .LBB47_728
; %bb.719:
	s_wait_xcnt 0x0
	v_cvt_f32_ubyte0_e32 v5, v1
	s_mov_b32 s44, exec_lo
                                        ; implicit-def: $vgpr4
	s_delay_alu instid0(VALU_DEP_1)
	v_cmpx_gt_u32_e32 0x43f00000, v5
	s_xor_b32 s44, exec_lo, s44
	s_cbranch_execz .LBB47_725
; %bb.720:
	s_mov_b32 s46, exec_lo
                                        ; implicit-def: $vgpr4
	v_cmpx_lt_u32_e32 0x3c7fffff, v5
	s_xor_b32 s46, exec_lo, s46
; %bb.721:
	v_bfe_u32 v4, v5, 20, 1
	s_delay_alu instid0(VALU_DEP_1) | instskip(NEXT) | instid1(VALU_DEP_1)
	v_add3_u32 v4, v5, v4, 0x407ffff
	v_and_b32_e32 v5, 0xff00000, v4
	v_lshrrev_b32_e32 v4, 20, v4
	s_delay_alu instid0(VALU_DEP_2) | instskip(NEXT) | instid1(VALU_DEP_2)
	v_cmp_ne_u32_e32 vcc_lo, 0x7f00000, v5
                                        ; implicit-def: $vgpr5
	v_cndmask_b32_e32 v4, 0x7e, v4, vcc_lo
; %bb.722:
	s_and_not1_saveexec_b32 s46, s46
; %bb.723:
	v_add_f32_e32 v4, 0x46800000, v5
; %bb.724:
	s_or_b32 exec_lo, exec_lo, s46
                                        ; implicit-def: $vgpr5
.LBB47_725:
	s_and_not1_saveexec_b32 s44, s44
; %bb.726:
	v_mov_b32_e32 v4, 0x7f
	v_cmp_lt_u32_e32 vcc_lo, 0x7f800000, v5
	s_delay_alu instid0(VALU_DEP_2)
	v_cndmask_b32_e32 v4, 0x7e, v4, vcc_lo
; %bb.727:
	s_or_b32 exec_lo, exec_lo, s44
	global_store_b8 v[2:3], v4, off
.LBB47_728:
	s_mov_b32 s44, 0
.LBB47_729:
	s_delay_alu instid0(SALU_CYCLE_1)
	s_and_not1_b32 vcc_lo, exec_lo, s44
	s_cbranch_vccnz .LBB47_739
; %bb.730:
	s_wait_xcnt 0x0
	v_cvt_f32_ubyte0_e32 v5, v1
	s_mov_b32 s44, exec_lo
                                        ; implicit-def: $vgpr4
	s_delay_alu instid0(VALU_DEP_1)
	v_cmpx_gt_u32_e32 0x47800000, v5
	s_xor_b32 s44, exec_lo, s44
	s_cbranch_execz .LBB47_736
; %bb.731:
	s_mov_b32 s46, exec_lo
                                        ; implicit-def: $vgpr4
	v_cmpx_lt_u32_e32 0x387fffff, v5
	s_xor_b32 s46, exec_lo, s46
; %bb.732:
	v_bfe_u32 v4, v5, 21, 1
	s_delay_alu instid0(VALU_DEP_1) | instskip(NEXT) | instid1(VALU_DEP_1)
	v_add3_u32 v4, v5, v4, 0x80fffff
                                        ; implicit-def: $vgpr5
	v_lshrrev_b32_e32 v4, 21, v4
; %bb.733:
	s_and_not1_saveexec_b32 s46, s46
; %bb.734:
	v_add_f32_e32 v4, 0x43000000, v5
; %bb.735:
	s_or_b32 exec_lo, exec_lo, s46
                                        ; implicit-def: $vgpr5
.LBB47_736:
	s_and_not1_saveexec_b32 s44, s44
; %bb.737:
	v_mov_b32_e32 v4, 0x7f
	v_cmp_lt_u32_e32 vcc_lo, 0x7f800000, v5
	s_delay_alu instid0(VALU_DEP_2)
	v_cndmask_b32_e32 v4, 0x7c, v4, vcc_lo
; %bb.738:
	s_or_b32 exec_lo, exec_lo, s44
	global_store_b8 v[2:3], v4, off
.LBB47_739:
	s_mov_b32 s46, 0
	s_mov_b32 s44, -1
.LBB47_740:
	s_and_not1_b32 vcc_lo, exec_lo, s46
	s_cbranch_vccnz .LBB47_748
; %bb.741:
	s_cmp_gt_i32 s43, 14
	s_mov_b32 s46, -1
	s_cbranch_scc0 .LBB47_745
; %bb.742:
	s_cmp_eq_u32 s43, 15
	s_mov_b32 s0, -1
	s_cbranch_scc0 .LBB47_744
; %bb.743:
	s_wait_xcnt 0x0
	v_cvt_f32_ubyte0_e32 v4, v1
	s_mov_b32 s44, -1
	s_mov_b32 s0, 0
	s_delay_alu instid0(VALU_DEP_1) | instskip(NEXT) | instid1(VALU_DEP_1)
	v_bfe_u32 v5, v4, 16, 1
	v_add3_u32 v4, v4, v5, 0x7fff
	global_store_d16_hi_b16 v[2:3], v4, off
.LBB47_744:
	s_mov_b32 s46, 0
.LBB47_745:
	s_delay_alu instid0(SALU_CYCLE_1)
	s_and_b32 vcc_lo, exec_lo, s46
	s_cbranch_vccz .LBB47_748
; %bb.746:
	s_cmp_eq_u32 s43, 11
	s_mov_b32 s0, -1
	s_cbranch_scc0 .LBB47_748
; %bb.747:
	s_wait_xcnt 0x0
	v_and_b32_e32 v4, 0xff, v1
	s_mov_b32 s0, 0
	s_mov_b32 s44, -1
	s_delay_alu instid0(VALU_DEP_1)
	v_cmp_ne_u16_e32 vcc_lo, 0, v4
	v_cndmask_b32_e64 v4, 0, 1, vcc_lo
	global_store_b8 v[2:3], v4, off
.LBB47_748:
	s_mov_b32 s43, 0
.LBB47_749:
	s_delay_alu instid0(SALU_CYCLE_1)
	s_and_b32 vcc_lo, exec_lo, s43
	s_cbranch_vccz .LBB47_788
; %bb.750:
	s_and_b32 s42, 0xffff, s42
	s_mov_b32 s43, -1
	s_cmp_lt_i32 s42, 5
	s_cbranch_scc1 .LBB47_771
; %bb.751:
	s_cmp_lt_i32 s42, 8
	s_cbranch_scc1 .LBB47_761
; %bb.752:
	;; [unrolled: 3-line block ×3, first 2 shown]
	s_cmp_gt_i32 s42, 9
	s_cbranch_scc0 .LBB47_755
; %bb.754:
	s_wait_xcnt 0x0
	v_and_b32_e32 v4, 0xff, v1
	v_mov_b32_e32 v6, 0
	s_mov_b32 s43, 0
	s_delay_alu instid0(VALU_DEP_2) | instskip(NEXT) | instid1(VALU_DEP_2)
	v_and_b32_e32 v4, 0xffff, v4
	v_mov_b32_e32 v7, v6
	s_delay_alu instid0(VALU_DEP_2)
	v_cvt_f64_u32_e32 v[4:5], v4
	global_store_b128 v[2:3], v[4:7], off
.LBB47_755:
	s_and_not1_b32 vcc_lo, exec_lo, s43
	s_cbranch_vccnz .LBB47_757
; %bb.756:
	s_wait_xcnt 0x0
	v_cvt_f32_ubyte0_e32 v4, v1
	v_mov_b32_e32 v5, 0
	global_store_b64 v[2:3], v[4:5], off
.LBB47_757:
	s_mov_b32 s43, 0
.LBB47_758:
	s_delay_alu instid0(SALU_CYCLE_1)
	s_and_not1_b32 vcc_lo, exec_lo, s43
	s_cbranch_vccnz .LBB47_760
; %bb.759:
	s_wait_xcnt 0x0
	v_and_b32_e32 v4, 0xff, v1
	s_delay_alu instid0(VALU_DEP_1) | instskip(NEXT) | instid1(VALU_DEP_1)
	v_cvt_f16_u16_e32 v4, v4
	v_and_b32_e32 v4, 0xffff, v4
	global_store_b32 v[2:3], v4, off
.LBB47_760:
	s_mov_b32 s43, 0
.LBB47_761:
	s_delay_alu instid0(SALU_CYCLE_1)
	s_and_not1_b32 vcc_lo, exec_lo, s43
	s_cbranch_vccnz .LBB47_770
; %bb.762:
	s_cmp_lt_i32 s42, 6
	s_mov_b32 s43, -1
	s_cbranch_scc1 .LBB47_768
; %bb.763:
	s_cmp_gt_i32 s42, 6
	s_cbranch_scc0 .LBB47_765
; %bb.764:
	s_wait_xcnt 0x0
	v_and_b32_e32 v4, 0xff, v1
	s_mov_b32 s43, 0
	s_delay_alu instid0(VALU_DEP_1) | instskip(NEXT) | instid1(VALU_DEP_1)
	v_and_b32_e32 v4, 0xffff, v4
	v_cvt_f64_u32_e32 v[4:5], v4
	global_store_b64 v[2:3], v[4:5], off
.LBB47_765:
	s_and_not1_b32 vcc_lo, exec_lo, s43
	s_cbranch_vccnz .LBB47_767
; %bb.766:
	s_wait_xcnt 0x0
	v_cvt_f32_ubyte0_e32 v4, v1
	global_store_b32 v[2:3], v4, off
.LBB47_767:
	s_mov_b32 s43, 0
.LBB47_768:
	s_delay_alu instid0(SALU_CYCLE_1)
	s_and_not1_b32 vcc_lo, exec_lo, s43
	s_cbranch_vccnz .LBB47_770
; %bb.769:
	s_wait_xcnt 0x0
	v_and_b32_e32 v4, 0xff, v1
	s_delay_alu instid0(VALU_DEP_1)
	v_cvt_f16_u16_e32 v4, v4
	global_store_b16 v[2:3], v4, off
.LBB47_770:
	s_mov_b32 s43, 0
.LBB47_771:
	s_delay_alu instid0(SALU_CYCLE_1)
	s_and_not1_b32 vcc_lo, exec_lo, s43
	s_cbranch_vccnz .LBB47_787
; %bb.772:
	s_cmp_lt_i32 s42, 2
	s_mov_b32 s43, -1
	s_cbranch_scc1 .LBB47_782
; %bb.773:
	s_cmp_lt_i32 s42, 3
	s_cbranch_scc1 .LBB47_779
; %bb.774:
	s_cmp_gt_i32 s42, 3
	s_cbranch_scc0 .LBB47_776
; %bb.775:
	s_wait_xcnt 0x0
	v_and_b32_e32 v4, 0xff, v1
	v_mov_b32_e32 v5, 0
	s_mov_b32 s43, 0
	global_store_b64 v[2:3], v[4:5], off
.LBB47_776:
	s_and_not1_b32 vcc_lo, exec_lo, s43
	s_cbranch_vccnz .LBB47_778
; %bb.777:
	s_wait_xcnt 0x0
	v_and_b32_e32 v4, 0xff, v1
	global_store_b32 v[2:3], v4, off
.LBB47_778:
	s_mov_b32 s43, 0
.LBB47_779:
	s_delay_alu instid0(SALU_CYCLE_1)
	s_and_not1_b32 vcc_lo, exec_lo, s43
	s_cbranch_vccnz .LBB47_781
; %bb.780:
	s_wait_xcnt 0x0
	v_and_b32_e32 v4, 0xff, v1
	global_store_b16 v[2:3], v4, off
.LBB47_781:
	s_mov_b32 s43, 0
.LBB47_782:
	s_delay_alu instid0(SALU_CYCLE_1)
	s_and_not1_b32 vcc_lo, exec_lo, s43
	s_cbranch_vccnz .LBB47_787
; %bb.783:
	s_cmp_gt_i32 s42, 0
	s_mov_b32 s42, -1
	s_cbranch_scc0 .LBB47_785
; %bb.784:
	s_mov_b32 s42, 0
	global_store_b8 v[2:3], v1, off
.LBB47_785:
	s_and_not1_b32 vcc_lo, exec_lo, s42
	s_cbranch_vccnz .LBB47_787
; %bb.786:
	global_store_b8 v[2:3], v1, off
.LBB47_787:
	s_mov_b32 s44, -1
.LBB47_788:
	s_delay_alu instid0(SALU_CYCLE_1)
	s_and_not1_b32 vcc_lo, exec_lo, s44
	s_cbranch_vccnz .LBB47_790
; %bb.789:
	v_add_nc_u32_e32 v0, 0x80, v0
	s_mov_b32 s46, -1
	s_branch .LBB47_792
.LBB47_790:
	s_mov_b32 s46, 0
.LBB47_791:
                                        ; implicit-def: $vgpr0
.LBB47_792:
	s_and_not1_b32 s42, s38, exec_lo
	s_and_b32 s0, s0, exec_lo
	s_and_b32 s25, s25, exec_lo
	s_or_b32 s43, s42, s0
	s_and_not1_b32 s0, s39, exec_lo
	s_and_not1_b32 s42, s40, exec_lo
	s_and_b32 s24, s24, exec_lo
	s_or_b32 s44, s0, s25
	s_or_b32 s42, s42, s24
	s_or_not1_b32 s47, s46, exec_lo
.LBB47_793:
	s_wait_xcnt 0x0
	s_or_b32 exec_lo, exec_lo, s45
	s_mov_b32 s25, 0
	s_mov_b32 s46, 0
	;; [unrolled: 1-line block ×3, first 2 shown]
                                        ; implicit-def: $sgpr0
                                        ; implicit-def: $vgpr8_vgpr9
                                        ; implicit-def: $vgpr6
                                        ; implicit-def: $vgpr2
                                        ; implicit-def: $vgpr4
	s_and_saveexec_b32 s45, s47
	s_cbranch_execz .LBB47_1286
; %bb.794:
	s_mov_b32 s51, -1
	s_mov_b32 s47, s42
	s_mov_b32 s49, s44
	;; [unrolled: 1-line block ×3, first 2 shown]
	s_mov_b32 s46, exec_lo
	v_cmpx_gt_i32_e64 s36, v0
	s_cbranch_execz .LBB47_1194
; %bb.795:
	s_and_not1_b32 vcc_lo, exec_lo, s29
	s_cbranch_vccnz .LBB47_801
; %bb.796:
	s_and_not1_b32 vcc_lo, exec_lo, s37
	s_cbranch_vccnz .LBB47_802
; %bb.797:
	v_dual_mov_b32 v2, 0 :: v_dual_mov_b32 v1, v0
	s_wait_loadcnt 0x0
	v_dual_mov_b32 v4, 0 :: v_dual_mov_b32 v6, 0
	s_add_co_i32 s0, s35, 1
	s_mov_b64 s[24:25], 0xffffffffffffffe8
	s_and_b32 s0, s0, 30
	s_add_nc_u64 s[24:25], s[2:3], s[24:25]
.LBB47_798:                             ; =>This Inner Loop Header: Depth=1
	s_clause 0x1
	s_load_b128 s[48:51], s[24:25], 0x1c
	s_load_b64 s[56:57], s[24:25], 0x2c
	s_add_co_i32 s0, s0, -2
	s_delay_alu instid0(SALU_CYCLE_1) | instskip(SKIP_2) | instid1(VALU_DEP_1)
	s_cmp_eq_u32 s0, 0
	s_wait_kmcnt 0x0
	v_mul_hi_u32 v3, s49, v1
	v_add_nc_u32_e32 v3, v1, v3
	s_delay_alu instid0(VALU_DEP_1) | instskip(NEXT) | instid1(VALU_DEP_1)
	v_lshrrev_b32_e32 v3, s50, v3
	v_mul_hi_u32 v5, s56, v3
	v_mul_lo_u32 v7, v3, s48
	s_clause 0x1
	s_load_b128 s[52:55], s[24:25], 0xdc
	s_load_b64 s[48:49], s[24:25], 0xec
	s_wait_xcnt 0x0
	s_add_nc_u64 s[24:25], s[24:25], 24
	s_delay_alu instid0(VALU_DEP_1) | instskip(NEXT) | instid1(VALU_DEP_1)
	v_dual_add_nc_u32 v5, v3, v5 :: v_dual_sub_nc_u32 v7, v1, v7
	v_lshrrev_b32_e32 v1, s57, v5
	s_wait_kmcnt 0x0
	s_delay_alu instid0(VALU_DEP_2) | instskip(NEXT) | instid1(VALU_DEP_2)
	v_mad_u32 v2, v7, s52, v2
	v_mul_lo_u32 v5, v1, s51
	v_mad_u32 v6, v7, s54, v6
	v_mad_u32 v4, v7, s53, v4
	s_delay_alu instid0(VALU_DEP_3) | instskip(NEXT) | instid1(VALU_DEP_1)
	v_sub_nc_u32_e32 v3, v3, v5
	v_mad_u32 v2, v3, s55, v2
	s_delay_alu instid0(VALU_DEP_4) | instskip(NEXT) | instid1(VALU_DEP_4)
	v_mad_u32 v6, v3, s49, v6
	v_mad_u32 v4, v3, s48, v4
	s_cbranch_scc0 .LBB47_798
; %bb.799:
	s_bitcmp1_b32 s35, 0
	s_cselect_b32 s0, -1, 0
	s_delay_alu instid0(SALU_CYCLE_1)
	s_and_b32 vcc_lo, exec_lo, s0
	s_cbranch_vccnz .LBB47_803
; %bb.800:
	s_clause 0x1
	s_load_b96 s[48:50], s[24:25], 0x1c
	s_load_b96 s[52:54], s[24:25], 0xdc
	s_wait_kmcnt 0x0
	v_mul_hi_u32 v3, s49, v1
	s_delay_alu instid0(VALU_DEP_1) | instskip(NEXT) | instid1(VALU_DEP_1)
	v_add_nc_u32_e32 v3, v1, v3
	v_lshrrev_b32_e32 v3, s50, v3
	s_delay_alu instid0(VALU_DEP_1) | instskip(NEXT) | instid1(VALU_DEP_1)
	v_mul_lo_u32 v3, v3, s48
	v_sub_nc_u32_e32 v1, v1, v3
	s_delay_alu instid0(VALU_DEP_1)
	v_mad_u32 v2, v1, s52, v2
	v_mad_u32 v4, v1, s53, v4
	;; [unrolled: 1-line block ×3, first 2 shown]
	s_branch .LBB47_803
.LBB47_801:
	s_mov_b32 s0, -1
                                        ; implicit-def: $vgpr6
                                        ; implicit-def: $vgpr4
                                        ; implicit-def: $vgpr2
	s_branch .LBB47_804
.LBB47_802:
	s_wait_loadcnt 0x0
	v_dual_mov_b32 v6, 0 :: v_dual_mov_b32 v4, 0
	v_mov_b32_e32 v2, 0
.LBB47_803:
	s_mov_b32 s0, 0
.LBB47_804:
	s_delay_alu instid0(SALU_CYCLE_1)
	s_and_not1_b32 vcc_lo, exec_lo, s0
	s_cbranch_vccnz .LBB47_807
; %bb.805:
	v_mov_b32_e32 v1, 0
	s_and_not1_b32 vcc_lo, exec_lo, s34
	s_delay_alu instid0(VALU_DEP_1) | instskip(NEXT) | instid1(VALU_DEP_1)
	v_mul_u64_e32 v[2:3], s[18:19], v[0:1]
	v_add_nc_u32_e32 v2, v0, v3
	s_wait_loadcnt 0x0
	s_delay_alu instid0(VALU_DEP_1) | instskip(NEXT) | instid1(VALU_DEP_1)
	v_lshrrev_b32_e32 v8, s10, v2
	v_mul_lo_u32 v2, v8, s8
	s_delay_alu instid0(VALU_DEP_1) | instskip(NEXT) | instid1(VALU_DEP_1)
	v_sub_nc_u32_e32 v3, v0, v2
	v_mul_lo_u32 v2, v3, s12
	v_mul_lo_u32 v6, v3, s14
	;; [unrolled: 1-line block ×3, first 2 shown]
	s_cbranch_vccnz .LBB47_807
; %bb.806:
	v_mov_b32_e32 v9, v1
	s_delay_alu instid0(VALU_DEP_1) | instskip(NEXT) | instid1(VALU_DEP_1)
	v_mul_u64_e32 v[10:11], s[22:23], v[8:9]
	v_add_nc_u32_e32 v1, v8, v11
	s_delay_alu instid0(VALU_DEP_1) | instskip(NEXT) | instid1(VALU_DEP_1)
	v_lshrrev_b32_e32 v1, s1, v1
	v_mul_lo_u32 v1, v1, s11
	s_delay_alu instid0(VALU_DEP_1) | instskip(NEXT) | instid1(VALU_DEP_1)
	v_sub_nc_u32_e32 v1, v8, v1
	v_mad_u32 v2, v1, s15, v2
	v_mad_u32 v4, v1, s20, v4
	;; [unrolled: 1-line block ×3, first 2 shown]
.LBB47_807:
	s_wait_loadcnt 0x0
	v_mov_b32_e32 v5, 0
	s_and_b32 s0, s33, 0xff
	s_delay_alu instid0(SALU_CYCLE_1) | instskip(NEXT) | instid1(VALU_DEP_1)
	s_cmp_lt_i32 s0, 11
	v_add_nc_u64_e32 v[8:9], s[6:7], v[4:5]
	s_cbranch_scc1 .LBB47_814
; %bb.808:
	s_and_b32 s25, 0xffff, s0
	s_delay_alu instid0(SALU_CYCLE_1)
	s_cmp_gt_i32 s25, 25
	s_cbranch_scc0 .LBB47_815
; %bb.809:
	s_cmp_gt_i32 s25, 28
	s_cbranch_scc0 .LBB47_816
; %bb.810:
	;; [unrolled: 3-line block ×4, first 2 shown]
	s_cmp_eq_u32 s25, 46
	s_mov_b32 s48, 0
	s_cbranch_scc0 .LBB47_821
; %bb.813:
	global_load_b32 v1, v[8:9], off
	s_mov_b32 s47, -1
	s_mov_b32 s24, 0
	s_wait_loadcnt 0x0
	v_lshlrev_b32_e32 v1, 16, v1
	s_delay_alu instid0(VALU_DEP_1) | instskip(NEXT) | instid1(VALU_DEP_1)
	v_trunc_f32_e32 v1, v1
	v_mul_f32_e64 v3, 0x2f800000, |v1|
	s_delay_alu instid0(VALU_DEP_1) | instskip(NEXT) | instid1(VALU_DEP_1)
	v_floor_f32_e32 v3, v3
	v_fma_f32 v3, 0xcf800000, v3, |v1|
	v_ashrrev_i32_e32 v1, 31, v1
	s_delay_alu instid0(VALU_DEP_2) | instskip(NEXT) | instid1(VALU_DEP_1)
	v_cvt_u32_f32_e32 v3, v3
	v_xor_b32_e32 v3, v3, v1
	s_delay_alu instid0(VALU_DEP_1)
	v_sub_nc_u32_e32 v4, v3, v1
	s_branch .LBB47_823
.LBB47_814:
	s_mov_b32 s25, -1
	s_mov_b32 s47, 0
	s_mov_b32 s24, s42
                                        ; implicit-def: $vgpr4
	s_branch .LBB47_884
.LBB47_815:
	s_mov_b32 s48, -1
	s_mov_b32 s47, 0
	s_mov_b32 s24, s42
                                        ; implicit-def: $vgpr4
	s_branch .LBB47_850
.LBB47_816:
	s_mov_b32 s48, -1
	s_mov_b32 s47, 0
	s_mov_b32 s24, s42
                                        ; implicit-def: $vgpr4
	s_branch .LBB47_833
.LBB47_817:
	s_mov_b32 s48, -1
	s_mov_b32 s47, 0
	s_mov_b32 s24, s42
                                        ; implicit-def: $vgpr4
	s_branch .LBB47_828
.LBB47_818:
	s_mov_b32 s48, -1
	s_mov_b32 s47, 0
	s_mov_b32 s24, s42
	s_branch .LBB47_822
.LBB47_819:
	s_and_not1_saveexec_b32 s47, s47
	s_cbranch_execz .LBB47_701
.LBB47_820:
	v_add_f32_e32 v4, 0x46000000, v5
	s_and_not1_b32 s46, s46, exec_lo
	s_delay_alu instid0(VALU_DEP_1) | instskip(NEXT) | instid1(VALU_DEP_1)
	v_and_b32_e32 v4, 0xff, v4
	v_cmp_ne_u32_e32 vcc_lo, 0, v4
	s_and_b32 s48, vcc_lo, exec_lo
	s_delay_alu instid0(SALU_CYCLE_1)
	s_or_b32 s46, s46, s48
	s_or_b32 exec_lo, exec_lo, s47
	v_mov_b32_e32 v6, 0
	s_and_saveexec_b32 s47, s46
	s_cbranch_execnz .LBB47_702
	s_branch .LBB47_703
.LBB47_821:
	s_mov_b32 s24, -1
	s_mov_b32 s47, 0
.LBB47_822:
                                        ; implicit-def: $vgpr4
.LBB47_823:
	s_and_b32 vcc_lo, exec_lo, s48
	s_cbranch_vccz .LBB47_827
; %bb.824:
	s_cmp_eq_u32 s25, 44
	s_cbranch_scc0 .LBB47_826
; %bb.825:
	global_load_u8 v1, v[8:9], off
	s_mov_b32 s24, 0
	s_mov_b32 s47, -1
	s_wait_loadcnt 0x0
	v_lshlrev_b32_e32 v3, 23, v1
	v_cmp_ne_u32_e32 vcc_lo, 0, v1
	s_delay_alu instid0(VALU_DEP_2) | instskip(NEXT) | instid1(VALU_DEP_1)
	v_trunc_f32_e32 v3, v3
	v_mul_f32_e64 v4, 0x2f800000, |v3|
	s_delay_alu instid0(VALU_DEP_1) | instskip(NEXT) | instid1(VALU_DEP_1)
	v_floor_f32_e32 v4, v4
	v_fma_f32 v4, 0xcf800000, v4, |v3|
	v_ashrrev_i32_e32 v3, 31, v3
	s_delay_alu instid0(VALU_DEP_2) | instskip(NEXT) | instid1(VALU_DEP_1)
	v_cvt_u32_f32_e32 v4, v4
	v_xor_b32_e32 v4, v4, v3
	s_delay_alu instid0(VALU_DEP_1) | instskip(NEXT) | instid1(VALU_DEP_1)
	v_sub_nc_u32_e32 v3, v4, v3
	v_cndmask_b32_e32 v4, 0, v3, vcc_lo
	s_branch .LBB47_827
.LBB47_826:
	s_mov_b32 s24, -1
                                        ; implicit-def: $vgpr4
.LBB47_827:
	s_mov_b32 s48, 0
.LBB47_828:
	s_delay_alu instid0(SALU_CYCLE_1)
	s_and_b32 vcc_lo, exec_lo, s48
	s_cbranch_vccz .LBB47_832
; %bb.829:
	s_cmp_eq_u32 s25, 29
	s_cbranch_scc0 .LBB47_831
; %bb.830:
	global_load_b64 v[4:5], v[8:9], off
	s_mov_b32 s47, -1
	s_mov_b32 s24, 0
	s_branch .LBB47_832
.LBB47_831:
	s_mov_b32 s24, -1
                                        ; implicit-def: $vgpr4
.LBB47_832:
	s_mov_b32 s48, 0
.LBB47_833:
	s_delay_alu instid0(SALU_CYCLE_1)
	s_and_b32 vcc_lo, exec_lo, s48
	s_cbranch_vccz .LBB47_849
; %bb.834:
	s_cmp_lt_i32 s25, 27
	s_cbranch_scc1 .LBB47_837
; %bb.835:
	s_cmp_gt_i32 s25, 27
	s_cbranch_scc0 .LBB47_838
; %bb.836:
	s_wait_loadcnt 0x0
	global_load_b32 v4, v[8:9], off
	s_mov_b32 s47, 0
	s_branch .LBB47_839
.LBB47_837:
	s_mov_b32 s47, -1
                                        ; implicit-def: $vgpr4
	s_branch .LBB47_842
.LBB47_838:
	s_mov_b32 s47, -1
                                        ; implicit-def: $vgpr4
.LBB47_839:
	s_delay_alu instid0(SALU_CYCLE_1)
	s_and_not1_b32 vcc_lo, exec_lo, s47
	s_cbranch_vccnz .LBB47_841
; %bb.840:
	s_wait_loadcnt 0x0
	global_load_u16 v4, v[8:9], off
.LBB47_841:
	s_mov_b32 s47, 0
.LBB47_842:
	s_delay_alu instid0(SALU_CYCLE_1)
	s_and_not1_b32 vcc_lo, exec_lo, s47
	s_cbranch_vccnz .LBB47_848
; %bb.843:
	global_load_u8 v1, v[8:9], off
	s_mov_b32 s48, 0
	s_mov_b32 s47, exec_lo
	s_wait_loadcnt 0x0
	v_cmpx_lt_i16_e32 0x7f, v1
	s_xor_b32 s47, exec_lo, s47
	s_cbranch_execz .LBB47_860
; %bb.844:
	v_cmp_ne_u16_e32 vcc_lo, 0x80, v1
	s_and_b32 s48, vcc_lo, exec_lo
	s_and_not1_saveexec_b32 s47, s47
	s_cbranch_execnz .LBB47_861
.LBB47_845:
	s_or_b32 exec_lo, exec_lo, s47
	v_mov_b32_e32 v4, 0
	s_and_saveexec_b32 s47, s48
	s_cbranch_execz .LBB47_847
.LBB47_846:
	v_and_b32_e32 v3, 0xffff, v1
	s_delay_alu instid0(VALU_DEP_1) | instskip(SKIP_1) | instid1(VALU_DEP_2)
	v_and_b32_e32 v4, 7, v3
	v_bfe_u32 v10, v3, 3, 4
	v_clz_i32_u32_e32 v5, v4
	s_delay_alu instid0(VALU_DEP_2) | instskip(NEXT) | instid1(VALU_DEP_2)
	v_cmp_eq_u32_e32 vcc_lo, 0, v10
	v_min_u32_e32 v5, 32, v5
	s_delay_alu instid0(VALU_DEP_1) | instskip(NEXT) | instid1(VALU_DEP_1)
	v_subrev_nc_u32_e32 v7, 28, v5
	v_dual_lshlrev_b32 v3, v7, v3 :: v_dual_sub_nc_u32 v5, 29, v5
	s_delay_alu instid0(VALU_DEP_1) | instskip(NEXT) | instid1(VALU_DEP_1)
	v_dual_lshlrev_b32 v1, 24, v1 :: v_dual_bitop2_b32 v3, 7, v3 bitop3:0x40
	v_dual_cndmask_b32 v3, v4, v3, vcc_lo :: v_dual_cndmask_b32 v5, v10, v5, vcc_lo
	s_delay_alu instid0(VALU_DEP_2) | instskip(NEXT) | instid1(VALU_DEP_2)
	v_and_b32_e32 v1, 0x80000000, v1
	v_lshlrev_b32_e32 v3, 20, v3
	s_delay_alu instid0(VALU_DEP_3) | instskip(NEXT) | instid1(VALU_DEP_1)
	v_lshl_add_u32 v4, v5, 23, 0x3b800000
	v_or3_b32 v1, v1, v4, v3
	s_delay_alu instid0(VALU_DEP_1) | instskip(NEXT) | instid1(VALU_DEP_1)
	v_trunc_f32_e32 v1, v1
	v_mul_f32_e64 v3, 0x2f800000, |v1|
	s_delay_alu instid0(VALU_DEP_1) | instskip(NEXT) | instid1(VALU_DEP_1)
	v_floor_f32_e32 v3, v3
	v_fma_f32 v3, 0xcf800000, v3, |v1|
	v_ashrrev_i32_e32 v1, 31, v1
	s_delay_alu instid0(VALU_DEP_2) | instskip(NEXT) | instid1(VALU_DEP_1)
	v_cvt_u32_f32_e32 v3, v3
	v_xor_b32_e32 v3, v3, v1
	s_delay_alu instid0(VALU_DEP_1)
	v_sub_nc_u32_e32 v4, v3, v1
.LBB47_847:
	s_or_b32 exec_lo, exec_lo, s47
.LBB47_848:
	s_mov_b32 s47, -1
.LBB47_849:
	s_mov_b32 s48, 0
.LBB47_850:
	s_delay_alu instid0(SALU_CYCLE_1)
	s_and_b32 vcc_lo, exec_lo, s48
	s_cbranch_vccz .LBB47_883
; %bb.851:
	s_cmp_gt_i32 s25, 22
	s_cbranch_scc0 .LBB47_859
; %bb.852:
	s_cmp_lt_i32 s25, 24
	s_cbranch_scc1 .LBB47_862
; %bb.853:
	s_cmp_gt_i32 s25, 24
	s_cbranch_scc0 .LBB47_863
; %bb.854:
	global_load_u8 v1, v[8:9], off
	s_mov_b32 s48, 0
	s_mov_b32 s47, exec_lo
	s_wait_loadcnt 0x0
	v_cmpx_lt_i16_e32 0x7f, v1
	s_xor_b32 s47, exec_lo, s47
	s_cbranch_execz .LBB47_875
; %bb.855:
	v_cmp_ne_u16_e32 vcc_lo, 0x80, v1
	s_and_b32 s48, vcc_lo, exec_lo
	s_and_not1_saveexec_b32 s47, s47
	s_cbranch_execnz .LBB47_876
.LBB47_856:
	s_or_b32 exec_lo, exec_lo, s47
	v_mov_b32_e32 v4, 0
	s_and_saveexec_b32 s47, s48
	s_cbranch_execz .LBB47_858
.LBB47_857:
	v_and_b32_e32 v3, 0xffff, v1
	s_delay_alu instid0(VALU_DEP_1) | instskip(SKIP_1) | instid1(VALU_DEP_2)
	v_and_b32_e32 v4, 3, v3
	v_bfe_u32 v10, v3, 2, 5
	v_clz_i32_u32_e32 v5, v4
	s_delay_alu instid0(VALU_DEP_2) | instskip(NEXT) | instid1(VALU_DEP_2)
	v_cmp_eq_u32_e32 vcc_lo, 0, v10
	v_min_u32_e32 v5, 32, v5
	s_delay_alu instid0(VALU_DEP_1) | instskip(NEXT) | instid1(VALU_DEP_1)
	v_subrev_nc_u32_e32 v7, 29, v5
	v_dual_lshlrev_b32 v3, v7, v3 :: v_dual_sub_nc_u32 v5, 30, v5
	s_delay_alu instid0(VALU_DEP_1) | instskip(NEXT) | instid1(VALU_DEP_1)
	v_dual_lshlrev_b32 v1, 24, v1 :: v_dual_bitop2_b32 v3, 3, v3 bitop3:0x40
	v_dual_cndmask_b32 v3, v4, v3, vcc_lo :: v_dual_cndmask_b32 v5, v10, v5, vcc_lo
	s_delay_alu instid0(VALU_DEP_2) | instskip(NEXT) | instid1(VALU_DEP_2)
	v_and_b32_e32 v1, 0x80000000, v1
	v_lshlrev_b32_e32 v3, 21, v3
	s_delay_alu instid0(VALU_DEP_3) | instskip(NEXT) | instid1(VALU_DEP_1)
	v_lshl_add_u32 v4, v5, 23, 0x37800000
	v_or3_b32 v1, v1, v4, v3
	s_delay_alu instid0(VALU_DEP_1) | instskip(NEXT) | instid1(VALU_DEP_1)
	v_trunc_f32_e32 v1, v1
	v_mul_f32_e64 v3, 0x2f800000, |v1|
	s_delay_alu instid0(VALU_DEP_1) | instskip(NEXT) | instid1(VALU_DEP_1)
	v_floor_f32_e32 v3, v3
	v_fma_f32 v3, 0xcf800000, v3, |v1|
	v_ashrrev_i32_e32 v1, 31, v1
	s_delay_alu instid0(VALU_DEP_2) | instskip(NEXT) | instid1(VALU_DEP_1)
	v_cvt_u32_f32_e32 v3, v3
	v_xor_b32_e32 v3, v3, v1
	s_delay_alu instid0(VALU_DEP_1)
	v_sub_nc_u32_e32 v4, v3, v1
.LBB47_858:
	s_or_b32 exec_lo, exec_lo, s47
	s_mov_b32 s47, 0
	s_branch .LBB47_864
.LBB47_859:
	s_mov_b32 s48, -1
                                        ; implicit-def: $vgpr4
	s_branch .LBB47_870
.LBB47_860:
	s_and_not1_saveexec_b32 s47, s47
	s_cbranch_execz .LBB47_845
.LBB47_861:
	v_cmp_ne_u16_e32 vcc_lo, 0, v1
	s_and_not1_b32 s48, s48, exec_lo
	s_and_b32 s49, vcc_lo, exec_lo
	s_delay_alu instid0(SALU_CYCLE_1)
	s_or_b32 s48, s48, s49
	s_or_b32 exec_lo, exec_lo, s47
	v_mov_b32_e32 v4, 0
	s_and_saveexec_b32 s47, s48
	s_cbranch_execnz .LBB47_846
	s_branch .LBB47_847
.LBB47_862:
	s_mov_b32 s47, -1
                                        ; implicit-def: $vgpr4
	s_branch .LBB47_867
.LBB47_863:
	s_mov_b32 s47, -1
                                        ; implicit-def: $vgpr4
.LBB47_864:
	s_delay_alu instid0(SALU_CYCLE_1)
	s_and_b32 vcc_lo, exec_lo, s47
	s_cbranch_vccz .LBB47_866
; %bb.865:
	global_load_u8 v1, v[8:9], off
	s_wait_loadcnt 0x0
	v_lshlrev_b32_e32 v1, 24, v1
	s_delay_alu instid0(VALU_DEP_1) | instskip(NEXT) | instid1(VALU_DEP_1)
	v_and_b32_e32 v3, 0x7f000000, v1
	v_clz_i32_u32_e32 v4, v3
	v_add_nc_u32_e32 v7, 0x1000000, v3
	v_cmp_ne_u32_e32 vcc_lo, 0, v3
	s_delay_alu instid0(VALU_DEP_3) | instskip(NEXT) | instid1(VALU_DEP_1)
	v_min_u32_e32 v4, 32, v4
	v_sub_nc_u32_e64 v4, v4, 4 clamp
	s_delay_alu instid0(VALU_DEP_1) | instskip(NEXT) | instid1(VALU_DEP_1)
	v_dual_lshlrev_b32 v5, v4, v3 :: v_dual_lshlrev_b32 v4, 23, v4
	v_lshrrev_b32_e32 v5, 4, v5
	s_delay_alu instid0(VALU_DEP_1) | instskip(NEXT) | instid1(VALU_DEP_1)
	v_dual_sub_nc_u32 v4, v5, v4 :: v_dual_ashrrev_i32 v5, 8, v7
	v_add_nc_u32_e32 v4, 0x3c000000, v4
	s_delay_alu instid0(VALU_DEP_1) | instskip(NEXT) | instid1(VALU_DEP_1)
	v_and_or_b32 v4, 0x7f800000, v5, v4
	v_cndmask_b32_e32 v3, 0, v4, vcc_lo
	s_delay_alu instid0(VALU_DEP_1) | instskip(NEXT) | instid1(VALU_DEP_1)
	v_and_or_b32 v1, 0x80000000, v1, v3
	v_trunc_f32_e32 v1, v1
	s_delay_alu instid0(VALU_DEP_1) | instskip(NEXT) | instid1(VALU_DEP_1)
	v_mul_f32_e64 v3, 0x2f800000, |v1|
	v_floor_f32_e32 v3, v3
	s_delay_alu instid0(VALU_DEP_1) | instskip(SKIP_1) | instid1(VALU_DEP_2)
	v_fma_f32 v3, 0xcf800000, v3, |v1|
	v_ashrrev_i32_e32 v1, 31, v1
	v_cvt_u32_f32_e32 v3, v3
	s_delay_alu instid0(VALU_DEP_1) | instskip(NEXT) | instid1(VALU_DEP_1)
	v_xor_b32_e32 v3, v3, v1
	v_sub_nc_u32_e32 v4, v3, v1
.LBB47_866:
	s_mov_b32 s47, 0
.LBB47_867:
	s_delay_alu instid0(SALU_CYCLE_1)
	s_and_not1_b32 vcc_lo, exec_lo, s47
	s_cbranch_vccnz .LBB47_869
; %bb.868:
	global_load_u8 v1, v[8:9], off
	s_wait_loadcnt 0x0
	v_lshlrev_b32_e32 v3, 25, v1
	v_lshlrev_b16 v1, 8, v1
	s_delay_alu instid0(VALU_DEP_1) | instskip(NEXT) | instid1(VALU_DEP_3)
	v_and_or_b32 v5, 0x7f00, v1, 0.5
	v_lshrrev_b32_e32 v4, 4, v3
	v_bfe_i32 v1, v1, 0, 16
	s_delay_alu instid0(VALU_DEP_3) | instskip(NEXT) | instid1(VALU_DEP_3)
	v_add_f32_e32 v5, -0.5, v5
	v_or_b32_e32 v4, 0x70000000, v4
	s_delay_alu instid0(VALU_DEP_1) | instskip(SKIP_1) | instid1(VALU_DEP_2)
	v_mul_f32_e32 v4, 0x7800000, v4
	v_cmp_gt_u32_e32 vcc_lo, 0x8000000, v3
	v_cndmask_b32_e32 v3, v4, v5, vcc_lo
	s_delay_alu instid0(VALU_DEP_1) | instskip(NEXT) | instid1(VALU_DEP_1)
	v_and_or_b32 v1, 0x80000000, v1, v3
	v_trunc_f32_e32 v1, v1
	s_delay_alu instid0(VALU_DEP_1) | instskip(NEXT) | instid1(VALU_DEP_1)
	v_mul_f32_e64 v3, 0x2f800000, |v1|
	v_floor_f32_e32 v3, v3
	s_delay_alu instid0(VALU_DEP_1) | instskip(SKIP_1) | instid1(VALU_DEP_2)
	v_fma_f32 v3, 0xcf800000, v3, |v1|
	v_ashrrev_i32_e32 v1, 31, v1
	v_cvt_u32_f32_e32 v3, v3
	s_delay_alu instid0(VALU_DEP_1) | instskip(NEXT) | instid1(VALU_DEP_1)
	v_xor_b32_e32 v3, v3, v1
	v_sub_nc_u32_e32 v4, v3, v1
.LBB47_869:
	s_mov_b32 s48, 0
	s_mov_b32 s47, -1
.LBB47_870:
	s_and_not1_b32 vcc_lo, exec_lo, s48
	s_cbranch_vccnz .LBB47_883
; %bb.871:
	s_cmp_gt_i32 s25, 14
	s_cbranch_scc0 .LBB47_874
; %bb.872:
	s_cmp_eq_u32 s25, 15
	s_cbranch_scc0 .LBB47_877
; %bb.873:
	global_load_u16 v1, v[8:9], off
	s_mov_b32 s47, -1
	s_mov_b32 s24, 0
	s_wait_loadcnt 0x0
	v_lshlrev_b32_e32 v1, 16, v1
	s_delay_alu instid0(VALU_DEP_1) | instskip(NEXT) | instid1(VALU_DEP_1)
	v_trunc_f32_e32 v1, v1
	v_mul_f32_e64 v3, 0x2f800000, |v1|
	s_delay_alu instid0(VALU_DEP_1) | instskip(NEXT) | instid1(VALU_DEP_1)
	v_floor_f32_e32 v3, v3
	v_fma_f32 v3, 0xcf800000, v3, |v1|
	v_ashrrev_i32_e32 v1, 31, v1
	s_delay_alu instid0(VALU_DEP_2) | instskip(NEXT) | instid1(VALU_DEP_1)
	v_cvt_u32_f32_e32 v3, v3
	v_xor_b32_e32 v3, v3, v1
	s_delay_alu instid0(VALU_DEP_1)
	v_sub_nc_u32_e32 v4, v3, v1
	s_branch .LBB47_878
.LBB47_874:
	s_mov_b32 s48, -1
                                        ; implicit-def: $vgpr4
	s_branch .LBB47_879
.LBB47_875:
	s_and_not1_saveexec_b32 s47, s47
	s_cbranch_execz .LBB47_856
.LBB47_876:
	v_cmp_ne_u16_e32 vcc_lo, 0, v1
	s_and_not1_b32 s48, s48, exec_lo
	s_and_b32 s49, vcc_lo, exec_lo
	s_delay_alu instid0(SALU_CYCLE_1)
	s_or_b32 s48, s48, s49
	s_or_b32 exec_lo, exec_lo, s47
	v_mov_b32_e32 v4, 0
	s_and_saveexec_b32 s47, s48
	s_cbranch_execnz .LBB47_857
	s_branch .LBB47_858
.LBB47_877:
	s_mov_b32 s24, -1
                                        ; implicit-def: $vgpr4
.LBB47_878:
	s_mov_b32 s48, 0
.LBB47_879:
	s_delay_alu instid0(SALU_CYCLE_1)
	s_and_b32 vcc_lo, exec_lo, s48
	s_cbranch_vccz .LBB47_883
; %bb.880:
	s_cmp_eq_u32 s25, 11
	s_cbranch_scc0 .LBB47_882
; %bb.881:
	global_load_u8 v1, v[8:9], off
	s_mov_b32 s24, 0
	s_mov_b32 s47, -1
	s_wait_loadcnt 0x0
	v_cmp_ne_u16_e32 vcc_lo, 0, v1
	v_cndmask_b32_e64 v4, 0, 1, vcc_lo
	s_branch .LBB47_883
.LBB47_882:
	s_mov_b32 s24, -1
                                        ; implicit-def: $vgpr4
.LBB47_883:
	s_mov_b32 s25, 0
.LBB47_884:
	s_delay_alu instid0(SALU_CYCLE_1)
	s_and_b32 vcc_lo, exec_lo, s25
	s_cbranch_vccz .LBB47_933
; %bb.885:
	s_and_b32 s0, 0xffff, s0
	s_delay_alu instid0(SALU_CYCLE_1)
	s_cmp_lt_i32 s0, 5
	s_cbranch_scc1 .LBB47_890
; %bb.886:
	s_cmp_lt_i32 s0, 8
	s_cbranch_scc1 .LBB47_891
; %bb.887:
	;; [unrolled: 3-line block ×3, first 2 shown]
	s_cmp_gt_i32 s0, 9
	s_cbranch_scc0 .LBB47_893
; %bb.889:
	s_wait_loadcnt 0x0
	global_load_b64 v[4:5], v[8:9], off
	s_mov_b32 s25, 0
	s_wait_loadcnt 0x0
	v_trunc_f64_e32 v[4:5], v[4:5]
	s_delay_alu instid0(VALU_DEP_1) | instskip(NEXT) | instid1(VALU_DEP_1)
	v_ldexp_f64 v[10:11], v[4:5], 0xffffffe0
	v_floor_f64_e32 v[10:11], v[10:11]
	s_delay_alu instid0(VALU_DEP_1) | instskip(NEXT) | instid1(VALU_DEP_1)
	v_fmamk_f64 v[4:5], v[10:11], 0xc1f00000, v[4:5]
	v_cvt_u32_f64_e32 v4, v[4:5]
	s_branch .LBB47_894
.LBB47_890:
	s_mov_b32 s25, -1
                                        ; implicit-def: $vgpr4
	s_branch .LBB47_912
.LBB47_891:
	s_mov_b32 s25, -1
                                        ; implicit-def: $vgpr4
	s_branch .LBB47_900
.LBB47_892:
	s_mov_b32 s25, -1
                                        ; implicit-def: $vgpr4
	s_branch .LBB47_897
.LBB47_893:
	s_mov_b32 s25, -1
                                        ; implicit-def: $vgpr4
.LBB47_894:
	s_delay_alu instid0(SALU_CYCLE_1)
	s_and_not1_b32 vcc_lo, exec_lo, s25
	s_cbranch_vccnz .LBB47_896
; %bb.895:
	global_load_b32 v1, v[8:9], off
	s_wait_loadcnt 0x0
	v_trunc_f32_e32 v1, v1
	s_delay_alu instid0(VALU_DEP_1) | instskip(NEXT) | instid1(VALU_DEP_1)
	v_mul_f32_e64 v3, 0x2f800000, |v1|
	v_floor_f32_e32 v3, v3
	s_delay_alu instid0(VALU_DEP_1) | instskip(SKIP_1) | instid1(VALU_DEP_2)
	v_fma_f32 v3, 0xcf800000, v3, |v1|
	v_ashrrev_i32_e32 v1, 31, v1
	v_cvt_u32_f32_e32 v3, v3
	s_delay_alu instid0(VALU_DEP_1) | instskip(NEXT) | instid1(VALU_DEP_1)
	v_xor_b32_e32 v3, v3, v1
	v_sub_nc_u32_e32 v4, v3, v1
.LBB47_896:
	s_mov_b32 s25, 0
.LBB47_897:
	s_delay_alu instid0(SALU_CYCLE_1)
	s_and_not1_b32 vcc_lo, exec_lo, s25
	s_cbranch_vccnz .LBB47_899
; %bb.898:
	global_load_b32 v1, v[8:9], off
	s_wait_loadcnt 0x0
	v_cvt_f32_f16_e32 v1, v1
	s_delay_alu instid0(VALU_DEP_1)
	v_cvt_i32_f32_e32 v4, v1
.LBB47_899:
	s_mov_b32 s25, 0
.LBB47_900:
	s_delay_alu instid0(SALU_CYCLE_1)
	s_and_not1_b32 vcc_lo, exec_lo, s25
	s_cbranch_vccnz .LBB47_911
; %bb.901:
	s_cmp_lt_i32 s0, 6
	s_cbranch_scc1 .LBB47_904
; %bb.902:
	s_cmp_gt_i32 s0, 6
	s_cbranch_scc0 .LBB47_905
; %bb.903:
	s_wait_loadcnt 0x0
	global_load_b64 v[4:5], v[8:9], off
	s_mov_b32 s25, 0
	s_wait_loadcnt 0x0
	v_trunc_f64_e32 v[4:5], v[4:5]
	s_delay_alu instid0(VALU_DEP_1) | instskip(NEXT) | instid1(VALU_DEP_1)
	v_ldexp_f64 v[10:11], v[4:5], 0xffffffe0
	v_floor_f64_e32 v[10:11], v[10:11]
	s_delay_alu instid0(VALU_DEP_1) | instskip(NEXT) | instid1(VALU_DEP_1)
	v_fmamk_f64 v[4:5], v[10:11], 0xc1f00000, v[4:5]
	v_cvt_u32_f64_e32 v4, v[4:5]
	s_branch .LBB47_906
.LBB47_904:
	s_mov_b32 s25, -1
                                        ; implicit-def: $vgpr4
	s_branch .LBB47_909
.LBB47_905:
	s_mov_b32 s25, -1
                                        ; implicit-def: $vgpr4
.LBB47_906:
	s_delay_alu instid0(SALU_CYCLE_1)
	s_and_not1_b32 vcc_lo, exec_lo, s25
	s_cbranch_vccnz .LBB47_908
; %bb.907:
	global_load_b32 v1, v[8:9], off
	s_wait_loadcnt 0x0
	v_trunc_f32_e32 v1, v1
	s_delay_alu instid0(VALU_DEP_1) | instskip(NEXT) | instid1(VALU_DEP_1)
	v_mul_f32_e64 v3, 0x2f800000, |v1|
	v_floor_f32_e32 v3, v3
	s_delay_alu instid0(VALU_DEP_1) | instskip(SKIP_1) | instid1(VALU_DEP_2)
	v_fma_f32 v3, 0xcf800000, v3, |v1|
	v_ashrrev_i32_e32 v1, 31, v1
	v_cvt_u32_f32_e32 v3, v3
	s_delay_alu instid0(VALU_DEP_1) | instskip(NEXT) | instid1(VALU_DEP_1)
	v_xor_b32_e32 v3, v3, v1
	v_sub_nc_u32_e32 v4, v3, v1
.LBB47_908:
	s_mov_b32 s25, 0
.LBB47_909:
	s_delay_alu instid0(SALU_CYCLE_1)
	s_and_not1_b32 vcc_lo, exec_lo, s25
	s_cbranch_vccnz .LBB47_911
; %bb.910:
	global_load_u16 v1, v[8:9], off
	s_wait_loadcnt 0x0
	v_cvt_f32_f16_e32 v1, v1
	s_delay_alu instid0(VALU_DEP_1)
	v_cvt_i32_f32_e32 v4, v1
.LBB47_911:
	s_mov_b32 s25, 0
.LBB47_912:
	s_delay_alu instid0(SALU_CYCLE_1)
	s_and_not1_b32 vcc_lo, exec_lo, s25
	s_cbranch_vccnz .LBB47_932
; %bb.913:
	s_cmp_lt_i32 s0, 2
	s_cbranch_scc1 .LBB47_917
; %bb.914:
	s_cmp_lt_i32 s0, 3
	s_cbranch_scc1 .LBB47_918
; %bb.915:
	s_cmp_gt_i32 s0, 3
	s_cbranch_scc0 .LBB47_919
; %bb.916:
	s_wait_loadcnt 0x0
	global_load_b64 v[4:5], v[8:9], off
	s_mov_b32 s25, 0
	s_branch .LBB47_920
.LBB47_917:
	s_mov_b32 s25, -1
                                        ; implicit-def: $vgpr4
	s_branch .LBB47_926
.LBB47_918:
	s_mov_b32 s25, -1
                                        ; implicit-def: $vgpr4
	s_branch .LBB47_923
.LBB47_919:
	s_mov_b32 s25, -1
                                        ; implicit-def: $vgpr4
.LBB47_920:
	s_delay_alu instid0(SALU_CYCLE_1)
	s_and_not1_b32 vcc_lo, exec_lo, s25
	s_cbranch_vccnz .LBB47_922
; %bb.921:
	s_wait_loadcnt 0x0
	global_load_b32 v4, v[8:9], off
.LBB47_922:
	s_mov_b32 s25, 0
.LBB47_923:
	s_delay_alu instid0(SALU_CYCLE_1)
	s_and_not1_b32 vcc_lo, exec_lo, s25
	s_cbranch_vccnz .LBB47_925
; %bb.924:
	s_wait_loadcnt 0x0
	global_load_u16 v4, v[8:9], off
.LBB47_925:
	s_mov_b32 s25, 0
.LBB47_926:
	s_delay_alu instid0(SALU_CYCLE_1)
	s_and_not1_b32 vcc_lo, exec_lo, s25
	s_cbranch_vccnz .LBB47_932
; %bb.927:
	s_cmp_gt_i32 s0, 0
	s_mov_b32 s0, 0
	s_cbranch_scc0 .LBB47_929
; %bb.928:
	s_wait_loadcnt 0x0
	global_load_u8 v4, v[8:9], off
	s_branch .LBB47_930
.LBB47_929:
	s_mov_b32 s0, -1
                                        ; implicit-def: $vgpr4
.LBB47_930:
	s_delay_alu instid0(SALU_CYCLE_1)
	s_and_not1_b32 vcc_lo, exec_lo, s0
	s_cbranch_vccnz .LBB47_932
; %bb.931:
	s_wait_loadcnt 0x0
	global_load_u8 v4, v[8:9], off
.LBB47_932:
	s_mov_b32 s47, -1
.LBB47_933:
	s_delay_alu instid0(SALU_CYCLE_1)
	s_and_not1_b32 vcc_lo, exec_lo, s47
	s_cbranch_vccnz .LBB47_941
; %bb.934:
	v_mov_b32_e32 v7, 0
	s_and_b32 s0, s9, 0xff
	s_delay_alu instid0(SALU_CYCLE_1) | instskip(NEXT) | instid1(VALU_DEP_1)
	s_cmp_lt_i32 s0, 11
	v_add_nc_u64_e32 v[6:7], s[16:17], v[6:7]
	s_cbranch_scc1 .LBB47_942
; %bb.935:
	s_and_b32 s47, 0xffff, s0
	s_delay_alu instid0(SALU_CYCLE_1)
	s_cmp_gt_i32 s47, 25
	s_cbranch_scc0 .LBB47_943
; %bb.936:
	s_cmp_gt_i32 s47, 28
	s_cbranch_scc0 .LBB47_944
; %bb.937:
	;; [unrolled: 3-line block ×4, first 2 shown]
	s_cmp_eq_u32 s47, 46
	s_mov_b32 s49, 0
	s_cbranch_scc0 .LBB47_949
; %bb.940:
	global_load_b32 v1, v[6:7], off
	s_mov_b32 s48, -1
	s_mov_b32 s25, 0
	s_wait_loadcnt 0x0
	v_lshlrev_b32_e32 v1, 16, v1
	s_delay_alu instid0(VALU_DEP_1) | instskip(NEXT) | instid1(VALU_DEP_1)
	v_trunc_f32_e32 v1, v1
	v_mul_f32_e64 v3, 0x2f800000, |v1|
	s_delay_alu instid0(VALU_DEP_1) | instskip(NEXT) | instid1(VALU_DEP_1)
	v_floor_f32_e32 v3, v3
	v_fma_f32 v3, 0xcf800000, v3, |v1|
	v_ashrrev_i32_e32 v1, 31, v1
	s_delay_alu instid0(VALU_DEP_2) | instskip(NEXT) | instid1(VALU_DEP_1)
	v_cvt_u32_f32_e32 v3, v3
	v_xor_b32_e32 v3, v3, v1
	s_wait_xcnt 0x1
	s_delay_alu instid0(VALU_DEP_1)
	v_sub_nc_u32_e32 v8, v3, v1
	s_branch .LBB47_951
.LBB47_941:
	s_mov_b32 s50, 0
	s_mov_b32 s0, s43
	;; [unrolled: 1-line block ×3, first 2 shown]
	s_branch .LBB47_1192
.LBB47_942:
	s_mov_b32 s47, -1
	s_mov_b32 s48, 0
	s_mov_b32 s25, s44
                                        ; implicit-def: $vgpr8
	s_branch .LBB47_1012
.LBB47_943:
	s_mov_b32 s49, -1
	s_mov_b32 s48, 0
	s_mov_b32 s25, s44
                                        ; implicit-def: $vgpr8
	s_branch .LBB47_978
.LBB47_944:
	s_mov_b32 s49, -1
	s_mov_b32 s48, 0
	s_mov_b32 s25, s44
                                        ; implicit-def: $vgpr8
	s_branch .LBB47_961
.LBB47_945:
	s_mov_b32 s49, -1
	s_mov_b32 s48, 0
	s_mov_b32 s25, s44
                                        ; implicit-def: $vgpr8
	s_branch .LBB47_956
.LBB47_946:
	s_mov_b32 s49, -1
	s_mov_b32 s48, 0
	s_mov_b32 s25, s44
	s_branch .LBB47_950
.LBB47_947:
	s_and_not1_saveexec_b32 s47, s47
	s_cbranch_execz .LBB47_714
.LBB47_948:
	v_add_f32_e32 v4, 0x42800000, v5
	s_and_not1_b32 s46, s46, exec_lo
	s_delay_alu instid0(VALU_DEP_1) | instskip(NEXT) | instid1(VALU_DEP_1)
	v_and_b32_e32 v4, 0xff, v4
	v_cmp_ne_u32_e32 vcc_lo, 0, v4
	s_and_b32 s48, vcc_lo, exec_lo
	s_delay_alu instid0(SALU_CYCLE_1)
	s_or_b32 s46, s46, s48
	s_or_b32 exec_lo, exec_lo, s47
	v_mov_b32_e32 v6, 0
	s_and_saveexec_b32 s47, s46
	s_cbranch_execnz .LBB47_715
	s_branch .LBB47_716
.LBB47_949:
	s_mov_b32 s25, -1
	s_mov_b32 s48, 0
.LBB47_950:
                                        ; implicit-def: $vgpr8
.LBB47_951:
	s_and_b32 vcc_lo, exec_lo, s49
	s_cbranch_vccz .LBB47_955
; %bb.952:
	s_cmp_eq_u32 s47, 44
	s_cbranch_scc0 .LBB47_954
; %bb.953:
	global_load_u8 v1, v[6:7], off
	s_mov_b32 s25, 0
	s_mov_b32 s48, -1
	s_wait_loadcnt 0x0
	v_lshlrev_b32_e32 v3, 23, v1
	v_cmp_ne_u32_e32 vcc_lo, 0, v1
	s_delay_alu instid0(VALU_DEP_2) | instskip(NEXT) | instid1(VALU_DEP_1)
	v_trunc_f32_e32 v3, v3
	v_mul_f32_e64 v5, 0x2f800000, |v3|
	s_delay_alu instid0(VALU_DEP_1) | instskip(NEXT) | instid1(VALU_DEP_1)
	v_floor_f32_e32 v5, v5
	v_fma_f32 v5, 0xcf800000, v5, |v3|
	v_ashrrev_i32_e32 v3, 31, v3
	s_delay_alu instid0(VALU_DEP_2) | instskip(NEXT) | instid1(VALU_DEP_1)
	v_cvt_u32_f32_e32 v5, v5
	v_xor_b32_e32 v5, v5, v3
	s_delay_alu instid0(VALU_DEP_1) | instskip(SKIP_1) | instid1(VALU_DEP_1)
	v_sub_nc_u32_e32 v3, v5, v3
	s_wait_xcnt 0x1
	v_cndmask_b32_e32 v8, 0, v3, vcc_lo
	s_branch .LBB47_955
.LBB47_954:
	s_mov_b32 s25, -1
                                        ; implicit-def: $vgpr8
.LBB47_955:
	s_mov_b32 s49, 0
.LBB47_956:
	s_delay_alu instid0(SALU_CYCLE_1)
	s_and_b32 vcc_lo, exec_lo, s49
	s_cbranch_vccz .LBB47_960
; %bb.957:
	s_cmp_eq_u32 s47, 29
	s_cbranch_scc0 .LBB47_959
; %bb.958:
	global_load_b64 v[8:9], v[6:7], off
	s_mov_b32 s48, -1
	s_mov_b32 s25, 0
	s_branch .LBB47_960
.LBB47_959:
	s_mov_b32 s25, -1
                                        ; implicit-def: $vgpr8
.LBB47_960:
	s_mov_b32 s49, 0
.LBB47_961:
	s_delay_alu instid0(SALU_CYCLE_1)
	s_and_b32 vcc_lo, exec_lo, s49
	s_cbranch_vccz .LBB47_977
; %bb.962:
	s_cmp_lt_i32 s47, 27
	s_cbranch_scc1 .LBB47_965
; %bb.963:
	s_cmp_gt_i32 s47, 27
	s_cbranch_scc0 .LBB47_966
; %bb.964:
	s_wait_loadcnt 0x0
	global_load_b32 v8, v[6:7], off
	s_mov_b32 s48, 0
	s_branch .LBB47_967
.LBB47_965:
	s_mov_b32 s48, -1
                                        ; implicit-def: $vgpr8
	s_branch .LBB47_970
.LBB47_966:
	s_mov_b32 s48, -1
                                        ; implicit-def: $vgpr8
.LBB47_967:
	s_delay_alu instid0(SALU_CYCLE_1)
	s_and_not1_b32 vcc_lo, exec_lo, s48
	s_cbranch_vccnz .LBB47_969
; %bb.968:
	s_wait_loadcnt 0x0
	global_load_u16 v8, v[6:7], off
.LBB47_969:
	s_mov_b32 s48, 0
.LBB47_970:
	s_delay_alu instid0(SALU_CYCLE_1)
	s_and_not1_b32 vcc_lo, exec_lo, s48
	s_cbranch_vccnz .LBB47_976
; %bb.971:
	global_load_u8 v1, v[6:7], off
	s_mov_b32 s49, 0
	s_mov_b32 s48, exec_lo
	s_wait_loadcnt 0x0
	v_cmpx_lt_i16_e32 0x7f, v1
	s_xor_b32 s48, exec_lo, s48
	s_cbranch_execz .LBB47_988
; %bb.972:
	v_cmp_ne_u16_e32 vcc_lo, 0x80, v1
	s_and_b32 s49, vcc_lo, exec_lo
	s_and_not1_saveexec_b32 s48, s48
	s_cbranch_execnz .LBB47_989
.LBB47_973:
	s_or_b32 exec_lo, exec_lo, s48
	v_mov_b32_e32 v8, 0
	s_and_saveexec_b32 s48, s49
	s_cbranch_execz .LBB47_975
.LBB47_974:
	v_and_b32_e32 v3, 0xffff, v1
	s_delay_alu instid0(VALU_DEP_1) | instskip(SKIP_1) | instid1(VALU_DEP_2)
	v_and_b32_e32 v5, 7, v3
	v_bfe_u32 v10, v3, 3, 4
	v_clz_i32_u32_e32 v8, v5
	s_delay_alu instid0(VALU_DEP_2) | instskip(NEXT) | instid1(VALU_DEP_2)
	v_cmp_eq_u32_e32 vcc_lo, 0, v10
	v_min_u32_e32 v8, 32, v8
	s_delay_alu instid0(VALU_DEP_1) | instskip(NEXT) | instid1(VALU_DEP_1)
	v_subrev_nc_u32_e32 v9, 28, v8
	v_dual_lshlrev_b32 v3, v9, v3 :: v_dual_sub_nc_u32 v8, 29, v8
	s_delay_alu instid0(VALU_DEP_1) | instskip(NEXT) | instid1(VALU_DEP_1)
	v_dual_lshlrev_b32 v1, 24, v1 :: v_dual_bitop2_b32 v3, 7, v3 bitop3:0x40
	v_dual_cndmask_b32 v8, v10, v8 :: v_dual_cndmask_b32 v3, v5, v3
	s_delay_alu instid0(VALU_DEP_2) | instskip(NEXT) | instid1(VALU_DEP_2)
	v_and_b32_e32 v1, 0x80000000, v1
	v_lshl_add_u32 v5, v8, 23, 0x3b800000
	s_delay_alu instid0(VALU_DEP_3) | instskip(NEXT) | instid1(VALU_DEP_1)
	v_lshlrev_b32_e32 v3, 20, v3
	v_or3_b32 v1, v1, v5, v3
	s_delay_alu instid0(VALU_DEP_1) | instskip(NEXT) | instid1(VALU_DEP_1)
	v_trunc_f32_e32 v1, v1
	v_mul_f32_e64 v3, 0x2f800000, |v1|
	s_delay_alu instid0(VALU_DEP_1) | instskip(NEXT) | instid1(VALU_DEP_1)
	v_floor_f32_e32 v3, v3
	v_fma_f32 v3, 0xcf800000, v3, |v1|
	v_ashrrev_i32_e32 v1, 31, v1
	s_delay_alu instid0(VALU_DEP_2) | instskip(NEXT) | instid1(VALU_DEP_1)
	v_cvt_u32_f32_e32 v3, v3
	v_xor_b32_e32 v3, v3, v1
	s_delay_alu instid0(VALU_DEP_1)
	v_sub_nc_u32_e32 v8, v3, v1
.LBB47_975:
	s_or_b32 exec_lo, exec_lo, s48
.LBB47_976:
	s_mov_b32 s48, -1
.LBB47_977:
	s_mov_b32 s49, 0
.LBB47_978:
	s_delay_alu instid0(SALU_CYCLE_1)
	s_and_b32 vcc_lo, exec_lo, s49
	s_cbranch_vccz .LBB47_1011
; %bb.979:
	s_cmp_gt_i32 s47, 22
	s_cbranch_scc0 .LBB47_987
; %bb.980:
	s_cmp_lt_i32 s47, 24
	s_cbranch_scc1 .LBB47_990
; %bb.981:
	s_cmp_gt_i32 s47, 24
	s_cbranch_scc0 .LBB47_991
; %bb.982:
	global_load_u8 v1, v[6:7], off
	s_mov_b32 s49, 0
	s_mov_b32 s48, exec_lo
	s_wait_loadcnt 0x0
	v_cmpx_lt_i16_e32 0x7f, v1
	s_xor_b32 s48, exec_lo, s48
	s_cbranch_execz .LBB47_1003
; %bb.983:
	v_cmp_ne_u16_e32 vcc_lo, 0x80, v1
	s_and_b32 s49, vcc_lo, exec_lo
	s_and_not1_saveexec_b32 s48, s48
	s_cbranch_execnz .LBB47_1004
.LBB47_984:
	s_or_b32 exec_lo, exec_lo, s48
	v_mov_b32_e32 v8, 0
	s_and_saveexec_b32 s48, s49
	s_cbranch_execz .LBB47_986
.LBB47_985:
	v_and_b32_e32 v3, 0xffff, v1
	s_delay_alu instid0(VALU_DEP_1) | instskip(SKIP_1) | instid1(VALU_DEP_2)
	v_and_b32_e32 v5, 3, v3
	v_bfe_u32 v10, v3, 2, 5
	v_clz_i32_u32_e32 v8, v5
	s_delay_alu instid0(VALU_DEP_2) | instskip(NEXT) | instid1(VALU_DEP_2)
	v_cmp_eq_u32_e32 vcc_lo, 0, v10
	v_min_u32_e32 v8, 32, v8
	s_delay_alu instid0(VALU_DEP_1) | instskip(NEXT) | instid1(VALU_DEP_1)
	v_subrev_nc_u32_e32 v9, 29, v8
	v_dual_lshlrev_b32 v3, v9, v3 :: v_dual_sub_nc_u32 v8, 30, v8
	s_delay_alu instid0(VALU_DEP_1) | instskip(NEXT) | instid1(VALU_DEP_1)
	v_dual_lshlrev_b32 v1, 24, v1 :: v_dual_bitop2_b32 v3, 3, v3 bitop3:0x40
	v_dual_cndmask_b32 v8, v10, v8 :: v_dual_cndmask_b32 v3, v5, v3
	s_delay_alu instid0(VALU_DEP_2) | instskip(NEXT) | instid1(VALU_DEP_2)
	v_and_b32_e32 v1, 0x80000000, v1
	v_lshl_add_u32 v5, v8, 23, 0x37800000
	s_delay_alu instid0(VALU_DEP_3) | instskip(NEXT) | instid1(VALU_DEP_1)
	v_lshlrev_b32_e32 v3, 21, v3
	v_or3_b32 v1, v1, v5, v3
	s_delay_alu instid0(VALU_DEP_1) | instskip(NEXT) | instid1(VALU_DEP_1)
	v_trunc_f32_e32 v1, v1
	v_mul_f32_e64 v3, 0x2f800000, |v1|
	s_delay_alu instid0(VALU_DEP_1) | instskip(NEXT) | instid1(VALU_DEP_1)
	v_floor_f32_e32 v3, v3
	v_fma_f32 v3, 0xcf800000, v3, |v1|
	v_ashrrev_i32_e32 v1, 31, v1
	s_delay_alu instid0(VALU_DEP_2) | instskip(NEXT) | instid1(VALU_DEP_1)
	v_cvt_u32_f32_e32 v3, v3
	v_xor_b32_e32 v3, v3, v1
	s_delay_alu instid0(VALU_DEP_1)
	v_sub_nc_u32_e32 v8, v3, v1
.LBB47_986:
	s_or_b32 exec_lo, exec_lo, s48
	s_mov_b32 s48, 0
	s_branch .LBB47_992
.LBB47_987:
	s_mov_b32 s49, -1
                                        ; implicit-def: $vgpr8
	s_branch .LBB47_998
.LBB47_988:
	s_and_not1_saveexec_b32 s48, s48
	s_cbranch_execz .LBB47_973
.LBB47_989:
	v_cmp_ne_u16_e32 vcc_lo, 0, v1
	s_and_not1_b32 s49, s49, exec_lo
	s_and_b32 s50, vcc_lo, exec_lo
	s_delay_alu instid0(SALU_CYCLE_1)
	s_or_b32 s49, s49, s50
	s_or_b32 exec_lo, exec_lo, s48
	v_mov_b32_e32 v8, 0
	s_and_saveexec_b32 s48, s49
	s_cbranch_execnz .LBB47_974
	s_branch .LBB47_975
.LBB47_990:
	s_mov_b32 s48, -1
                                        ; implicit-def: $vgpr8
	s_branch .LBB47_995
.LBB47_991:
	s_mov_b32 s48, -1
                                        ; implicit-def: $vgpr8
.LBB47_992:
	s_delay_alu instid0(SALU_CYCLE_1)
	s_and_b32 vcc_lo, exec_lo, s48
	s_cbranch_vccz .LBB47_994
; %bb.993:
	global_load_u8 v1, v[6:7], off
	s_wait_loadcnt 0x0
	v_lshlrev_b32_e32 v1, 24, v1
	s_delay_alu instid0(VALU_DEP_1) | instskip(NEXT) | instid1(VALU_DEP_1)
	v_and_b32_e32 v3, 0x7f000000, v1
	v_clz_i32_u32_e32 v5, v3
	s_wait_xcnt 0x1
	v_add_nc_u32_e32 v9, 0x1000000, v3
	v_cmp_ne_u32_e32 vcc_lo, 0, v3
	s_delay_alu instid0(VALU_DEP_3) | instskip(NEXT) | instid1(VALU_DEP_1)
	v_min_u32_e32 v5, 32, v5
	v_sub_nc_u32_e64 v5, v5, 4 clamp
	s_delay_alu instid0(VALU_DEP_1) | instskip(NEXT) | instid1(VALU_DEP_1)
	v_dual_lshlrev_b32 v8, v5, v3 :: v_dual_lshlrev_b32 v5, 23, v5
	v_lshrrev_b32_e32 v8, 4, v8
	s_delay_alu instid0(VALU_DEP_1) | instskip(SKIP_1) | instid1(VALU_DEP_2)
	v_sub_nc_u32_e32 v5, v8, v5
	v_ashrrev_i32_e32 v8, 8, v9
	v_add_nc_u32_e32 v5, 0x3c000000, v5
	s_delay_alu instid0(VALU_DEP_1) | instskip(NEXT) | instid1(VALU_DEP_1)
	v_and_or_b32 v5, 0x7f800000, v8, v5
	v_cndmask_b32_e32 v3, 0, v5, vcc_lo
	s_delay_alu instid0(VALU_DEP_1) | instskip(NEXT) | instid1(VALU_DEP_1)
	v_and_or_b32 v1, 0x80000000, v1, v3
	v_trunc_f32_e32 v1, v1
	s_delay_alu instid0(VALU_DEP_1) | instskip(NEXT) | instid1(VALU_DEP_1)
	v_mul_f32_e64 v3, 0x2f800000, |v1|
	v_floor_f32_e32 v3, v3
	s_delay_alu instid0(VALU_DEP_1) | instskip(SKIP_1) | instid1(VALU_DEP_2)
	v_fma_f32 v3, 0xcf800000, v3, |v1|
	v_ashrrev_i32_e32 v1, 31, v1
	v_cvt_u32_f32_e32 v3, v3
	s_delay_alu instid0(VALU_DEP_1) | instskip(NEXT) | instid1(VALU_DEP_1)
	v_xor_b32_e32 v3, v3, v1
	v_sub_nc_u32_e32 v8, v3, v1
.LBB47_994:
	s_mov_b32 s48, 0
.LBB47_995:
	s_delay_alu instid0(SALU_CYCLE_1)
	s_and_not1_b32 vcc_lo, exec_lo, s48
	s_cbranch_vccnz .LBB47_997
; %bb.996:
	global_load_u8 v1, v[6:7], off
	s_wait_loadcnt 0x0
	v_lshlrev_b32_e32 v3, 25, v1
	v_lshlrev_b16 v1, 8, v1
	s_wait_xcnt 0x1
	s_delay_alu instid0(VALU_DEP_1) | instskip(SKIP_1) | instid1(VALU_DEP_2)
	v_and_or_b32 v8, 0x7f00, v1, 0.5
	v_bfe_i32 v1, v1, 0, 16
	v_dual_add_f32 v8, -0.5, v8 :: v_dual_lshrrev_b32 v5, 4, v3
	v_cmp_gt_u32_e32 vcc_lo, 0x8000000, v3
	s_delay_alu instid0(VALU_DEP_2) | instskip(NEXT) | instid1(VALU_DEP_1)
	v_or_b32_e32 v5, 0x70000000, v5
	v_mul_f32_e32 v5, 0x7800000, v5
	s_delay_alu instid0(VALU_DEP_1) | instskip(NEXT) | instid1(VALU_DEP_1)
	v_cndmask_b32_e32 v3, v5, v8, vcc_lo
	v_and_or_b32 v1, 0x80000000, v1, v3
	s_delay_alu instid0(VALU_DEP_1) | instskip(NEXT) | instid1(VALU_DEP_1)
	v_trunc_f32_e32 v1, v1
	v_mul_f32_e64 v3, 0x2f800000, |v1|
	s_delay_alu instid0(VALU_DEP_1) | instskip(NEXT) | instid1(VALU_DEP_1)
	v_floor_f32_e32 v3, v3
	v_fma_f32 v3, 0xcf800000, v3, |v1|
	v_ashrrev_i32_e32 v1, 31, v1
	s_delay_alu instid0(VALU_DEP_2) | instskip(NEXT) | instid1(VALU_DEP_1)
	v_cvt_u32_f32_e32 v3, v3
	v_xor_b32_e32 v3, v3, v1
	s_delay_alu instid0(VALU_DEP_1)
	v_sub_nc_u32_e32 v8, v3, v1
.LBB47_997:
	s_mov_b32 s49, 0
	s_mov_b32 s48, -1
.LBB47_998:
	s_and_not1_b32 vcc_lo, exec_lo, s49
	s_cbranch_vccnz .LBB47_1011
; %bb.999:
	s_cmp_gt_i32 s47, 14
	s_cbranch_scc0 .LBB47_1002
; %bb.1000:
	s_cmp_eq_u32 s47, 15
	s_cbranch_scc0 .LBB47_1005
; %bb.1001:
	global_load_u16 v1, v[6:7], off
	s_mov_b32 s48, -1
	s_mov_b32 s25, 0
	s_wait_loadcnt 0x0
	v_lshlrev_b32_e32 v1, 16, v1
	s_delay_alu instid0(VALU_DEP_1) | instskip(NEXT) | instid1(VALU_DEP_1)
	v_trunc_f32_e32 v1, v1
	v_mul_f32_e64 v3, 0x2f800000, |v1|
	s_delay_alu instid0(VALU_DEP_1) | instskip(NEXT) | instid1(VALU_DEP_1)
	v_floor_f32_e32 v3, v3
	v_fma_f32 v3, 0xcf800000, v3, |v1|
	v_ashrrev_i32_e32 v1, 31, v1
	s_delay_alu instid0(VALU_DEP_2) | instskip(NEXT) | instid1(VALU_DEP_1)
	v_cvt_u32_f32_e32 v3, v3
	v_xor_b32_e32 v3, v3, v1
	s_wait_xcnt 0x1
	s_delay_alu instid0(VALU_DEP_1)
	v_sub_nc_u32_e32 v8, v3, v1
	s_branch .LBB47_1006
.LBB47_1002:
	s_mov_b32 s49, -1
                                        ; implicit-def: $vgpr8
	s_branch .LBB47_1007
.LBB47_1003:
	s_and_not1_saveexec_b32 s48, s48
	s_cbranch_execz .LBB47_984
.LBB47_1004:
	v_cmp_ne_u16_e32 vcc_lo, 0, v1
	s_and_not1_b32 s49, s49, exec_lo
	s_and_b32 s50, vcc_lo, exec_lo
	s_delay_alu instid0(SALU_CYCLE_1)
	s_or_b32 s49, s49, s50
	s_or_b32 exec_lo, exec_lo, s48
	v_mov_b32_e32 v8, 0
	s_and_saveexec_b32 s48, s49
	s_cbranch_execnz .LBB47_985
	s_branch .LBB47_986
.LBB47_1005:
	s_mov_b32 s25, -1
                                        ; implicit-def: $vgpr8
.LBB47_1006:
	s_mov_b32 s49, 0
.LBB47_1007:
	s_delay_alu instid0(SALU_CYCLE_1)
	s_and_b32 vcc_lo, exec_lo, s49
	s_cbranch_vccz .LBB47_1011
; %bb.1008:
	s_cmp_eq_u32 s47, 11
	s_cbranch_scc0 .LBB47_1010
; %bb.1009:
	global_load_u8 v1, v[6:7], off
	s_mov_b32 s25, 0
	s_mov_b32 s48, -1
	s_wait_loadcnt 0x0
	v_cmp_ne_u16_e32 vcc_lo, 0, v1
	s_wait_xcnt 0x1
	v_cndmask_b32_e64 v8, 0, 1, vcc_lo
	s_branch .LBB47_1011
.LBB47_1010:
	s_mov_b32 s25, -1
                                        ; implicit-def: $vgpr8
.LBB47_1011:
	s_mov_b32 s47, 0
.LBB47_1012:
	s_delay_alu instid0(SALU_CYCLE_1)
	s_and_b32 vcc_lo, exec_lo, s47
	s_cbranch_vccz .LBB47_1061
; %bb.1013:
	s_and_b32 s0, 0xffff, s0
	s_delay_alu instid0(SALU_CYCLE_1)
	s_cmp_lt_i32 s0, 5
	s_cbranch_scc1 .LBB47_1018
; %bb.1014:
	s_cmp_lt_i32 s0, 8
	s_cbranch_scc1 .LBB47_1019
; %bb.1015:
	;; [unrolled: 3-line block ×3, first 2 shown]
	s_cmp_gt_i32 s0, 9
	s_cbranch_scc0 .LBB47_1021
; %bb.1017:
	s_wait_loadcnt 0x0
	global_load_b64 v[8:9], v[6:7], off
	s_mov_b32 s47, 0
	s_wait_loadcnt 0x0
	v_trunc_f64_e32 v[8:9], v[8:9]
	s_delay_alu instid0(VALU_DEP_1) | instskip(NEXT) | instid1(VALU_DEP_1)
	v_ldexp_f64 v[10:11], v[8:9], 0xffffffe0
	v_floor_f64_e32 v[10:11], v[10:11]
	s_delay_alu instid0(VALU_DEP_1) | instskip(NEXT) | instid1(VALU_DEP_1)
	v_fmamk_f64 v[8:9], v[10:11], 0xc1f00000, v[8:9]
	v_cvt_u32_f64_e32 v8, v[8:9]
	s_branch .LBB47_1022
.LBB47_1018:
	s_mov_b32 s47, -1
                                        ; implicit-def: $vgpr8
	s_branch .LBB47_1040
.LBB47_1019:
	s_mov_b32 s47, -1
                                        ; implicit-def: $vgpr8
	s_branch .LBB47_1028
.LBB47_1020:
	s_mov_b32 s47, -1
                                        ; implicit-def: $vgpr8
	s_branch .LBB47_1025
.LBB47_1021:
	s_mov_b32 s47, -1
                                        ; implicit-def: $vgpr8
.LBB47_1022:
	s_delay_alu instid0(SALU_CYCLE_1)
	s_and_not1_b32 vcc_lo, exec_lo, s47
	s_cbranch_vccnz .LBB47_1024
; %bb.1023:
	global_load_b32 v1, v[6:7], off
	s_wait_loadcnt 0x0
	v_trunc_f32_e32 v1, v1
	s_delay_alu instid0(VALU_DEP_1) | instskip(NEXT) | instid1(VALU_DEP_1)
	v_mul_f32_e64 v3, 0x2f800000, |v1|
	v_floor_f32_e32 v3, v3
	s_delay_alu instid0(VALU_DEP_1) | instskip(SKIP_1) | instid1(VALU_DEP_2)
	v_fma_f32 v3, 0xcf800000, v3, |v1|
	v_ashrrev_i32_e32 v1, 31, v1
	v_cvt_u32_f32_e32 v3, v3
	s_delay_alu instid0(VALU_DEP_1) | instskip(SKIP_1) | instid1(VALU_DEP_1)
	v_xor_b32_e32 v3, v3, v1
	s_wait_xcnt 0x1
	v_sub_nc_u32_e32 v8, v3, v1
.LBB47_1024:
	s_mov_b32 s47, 0
.LBB47_1025:
	s_delay_alu instid0(SALU_CYCLE_1)
	s_and_not1_b32 vcc_lo, exec_lo, s47
	s_cbranch_vccnz .LBB47_1027
; %bb.1026:
	global_load_b32 v1, v[6:7], off
	s_wait_loadcnt 0x0
	v_cvt_f32_f16_e32 v1, v1
	s_wait_xcnt 0x1
	s_delay_alu instid0(VALU_DEP_1)
	v_cvt_i32_f32_e32 v8, v1
.LBB47_1027:
	s_mov_b32 s47, 0
.LBB47_1028:
	s_delay_alu instid0(SALU_CYCLE_1)
	s_and_not1_b32 vcc_lo, exec_lo, s47
	s_cbranch_vccnz .LBB47_1039
; %bb.1029:
	s_cmp_lt_i32 s0, 6
	s_cbranch_scc1 .LBB47_1032
; %bb.1030:
	s_cmp_gt_i32 s0, 6
	s_cbranch_scc0 .LBB47_1033
; %bb.1031:
	s_wait_loadcnt 0x0
	global_load_b64 v[8:9], v[6:7], off
	s_mov_b32 s47, 0
	s_wait_loadcnt 0x0
	v_trunc_f64_e32 v[8:9], v[8:9]
	s_delay_alu instid0(VALU_DEP_1) | instskip(NEXT) | instid1(VALU_DEP_1)
	v_ldexp_f64 v[10:11], v[8:9], 0xffffffe0
	v_floor_f64_e32 v[10:11], v[10:11]
	s_delay_alu instid0(VALU_DEP_1) | instskip(NEXT) | instid1(VALU_DEP_1)
	v_fmamk_f64 v[8:9], v[10:11], 0xc1f00000, v[8:9]
	v_cvt_u32_f64_e32 v8, v[8:9]
	s_branch .LBB47_1034
.LBB47_1032:
	s_mov_b32 s47, -1
                                        ; implicit-def: $vgpr8
	s_branch .LBB47_1037
.LBB47_1033:
	s_mov_b32 s47, -1
                                        ; implicit-def: $vgpr8
.LBB47_1034:
	s_delay_alu instid0(SALU_CYCLE_1)
	s_and_not1_b32 vcc_lo, exec_lo, s47
	s_cbranch_vccnz .LBB47_1036
; %bb.1035:
	global_load_b32 v1, v[6:7], off
	s_wait_loadcnt 0x0
	v_trunc_f32_e32 v1, v1
	s_delay_alu instid0(VALU_DEP_1) | instskip(NEXT) | instid1(VALU_DEP_1)
	v_mul_f32_e64 v3, 0x2f800000, |v1|
	v_floor_f32_e32 v3, v3
	s_delay_alu instid0(VALU_DEP_1) | instskip(SKIP_1) | instid1(VALU_DEP_2)
	v_fma_f32 v3, 0xcf800000, v3, |v1|
	v_ashrrev_i32_e32 v1, 31, v1
	v_cvt_u32_f32_e32 v3, v3
	s_delay_alu instid0(VALU_DEP_1) | instskip(SKIP_1) | instid1(VALU_DEP_1)
	v_xor_b32_e32 v3, v3, v1
	s_wait_xcnt 0x1
	v_sub_nc_u32_e32 v8, v3, v1
.LBB47_1036:
	s_mov_b32 s47, 0
.LBB47_1037:
	s_delay_alu instid0(SALU_CYCLE_1)
	s_and_not1_b32 vcc_lo, exec_lo, s47
	s_cbranch_vccnz .LBB47_1039
; %bb.1038:
	global_load_u16 v1, v[6:7], off
	s_wait_loadcnt 0x0
	v_cvt_f32_f16_e32 v1, v1
	s_wait_xcnt 0x1
	s_delay_alu instid0(VALU_DEP_1)
	v_cvt_i32_f32_e32 v8, v1
.LBB47_1039:
	s_mov_b32 s47, 0
.LBB47_1040:
	s_delay_alu instid0(SALU_CYCLE_1)
	s_and_not1_b32 vcc_lo, exec_lo, s47
	s_cbranch_vccnz .LBB47_1060
; %bb.1041:
	s_cmp_lt_i32 s0, 2
	s_cbranch_scc1 .LBB47_1045
; %bb.1042:
	s_cmp_lt_i32 s0, 3
	s_cbranch_scc1 .LBB47_1046
; %bb.1043:
	s_cmp_gt_i32 s0, 3
	s_cbranch_scc0 .LBB47_1047
; %bb.1044:
	s_wait_loadcnt 0x0
	global_load_b64 v[8:9], v[6:7], off
	s_mov_b32 s47, 0
	s_branch .LBB47_1048
.LBB47_1045:
	s_mov_b32 s47, -1
                                        ; implicit-def: $vgpr8
	s_branch .LBB47_1054
.LBB47_1046:
	s_mov_b32 s47, -1
                                        ; implicit-def: $vgpr8
	s_branch .LBB47_1051
.LBB47_1047:
	s_mov_b32 s47, -1
                                        ; implicit-def: $vgpr8
.LBB47_1048:
	s_delay_alu instid0(SALU_CYCLE_1)
	s_and_not1_b32 vcc_lo, exec_lo, s47
	s_cbranch_vccnz .LBB47_1050
; %bb.1049:
	s_wait_loadcnt 0x0
	global_load_b32 v8, v[6:7], off
.LBB47_1050:
	s_mov_b32 s47, 0
.LBB47_1051:
	s_delay_alu instid0(SALU_CYCLE_1)
	s_and_not1_b32 vcc_lo, exec_lo, s47
	s_cbranch_vccnz .LBB47_1053
; %bb.1052:
	s_wait_loadcnt 0x0
	global_load_u16 v8, v[6:7], off
.LBB47_1053:
	s_mov_b32 s47, 0
.LBB47_1054:
	s_delay_alu instid0(SALU_CYCLE_1)
	s_and_not1_b32 vcc_lo, exec_lo, s47
	s_cbranch_vccnz .LBB47_1060
; %bb.1055:
	s_cmp_gt_i32 s0, 0
	s_mov_b32 s0, 0
	s_cbranch_scc0 .LBB47_1057
; %bb.1056:
	s_wait_loadcnt 0x0
	global_load_u8 v8, v[6:7], off
	s_branch .LBB47_1058
.LBB47_1057:
	s_mov_b32 s0, -1
                                        ; implicit-def: $vgpr8
.LBB47_1058:
	s_delay_alu instid0(SALU_CYCLE_1)
	s_and_not1_b32 vcc_lo, exec_lo, s0
	s_cbranch_vccnz .LBB47_1060
; %bb.1059:
	s_wait_loadcnt 0x0
	global_load_u8 v8, v[6:7], off
.LBB47_1060:
	s_mov_b32 s48, -1
.LBB47_1061:
	s_delay_alu instid0(SALU_CYCLE_1)
	s_and_not1_b32 vcc_lo, exec_lo, s48
	s_cbranch_vccnz .LBB47_1075
; %bb.1062:
	s_wait_loadcnt 0x0
	s_delay_alu instid0(VALU_DEP_3) | instskip(NEXT) | instid1(VALU_DEP_2)
	v_and_b32_e32 v1, 0xff, v4
	v_mov_b32_e32 v3, v8
	s_mov_b32 s47, 0
	s_mov_b32 s0, exec_lo
	s_wait_xcnt 0x0
	v_cmpx_ne_u16_e32 0, v1
	s_cbranch_execz .LBB47_1066
; %bb.1063:
	v_dual_mov_b32 v5, v4 :: v_dual_mov_b32 v1, v8
.LBB47_1064:                            ; =>This Inner Loop Header: Depth=1
	s_delay_alu instid0(VALU_DEP_1) | instskip(NEXT) | instid1(VALU_DEP_2)
	v_cvt_f32_ubyte0_e32 v7, v1
	v_mov_b32_e32 v3, v5
	s_delay_alu instid0(VALU_DEP_1) | instskip(NEXT) | instid1(VALU_DEP_1)
	v_cvt_f32_ubyte0_e32 v5, v3
	v_rcp_iflag_f32_e32 v6, v5
	v_nop
	s_delay_alu instid0(TRANS32_DEP_1) | instskip(NEXT) | instid1(VALU_DEP_1)
	v_mul_f32_e32 v6, v7, v6
	v_trunc_f32_e32 v6, v6
	s_delay_alu instid0(VALU_DEP_1) | instskip(SKIP_1) | instid1(VALU_DEP_2)
	v_fma_f32 v7, -v6, v5, v7
	v_cvt_u32_f32_e32 v6, v6
	v_cmp_ge_f32_e64 vcc_lo, |v7|, v5
	s_delay_alu instid0(VALU_DEP_1) | instskip(NEXT) | instid1(VALU_DEP_1)
	v_add_co_ci_u32_e64 v5, null, 0, v6, vcc_lo
	v_mul_lo_u32 v5, v5, v3
	s_delay_alu instid0(VALU_DEP_1) | instskip(NEXT) | instid1(VALU_DEP_1)
	v_sub_nc_u32_e32 v1, v1, v5
	v_and_b32_e32 v5, 0xff, v1
	v_mov_b32_e32 v1, v3
	s_delay_alu instid0(VALU_DEP_2) | instskip(SKIP_1) | instid1(SALU_CYCLE_1)
	v_cmp_eq_u16_e32 vcc_lo, 0, v5
	s_or_b32 s47, vcc_lo, s47
	s_and_not1_b32 exec_lo, exec_lo, s47
	s_cbranch_execnz .LBB47_1064
; %bb.1065:
	s_or_b32 exec_lo, exec_lo, s47
.LBB47_1066:
	s_delay_alu instid0(SALU_CYCLE_1) | instskip(SKIP_3) | instid1(VALU_DEP_2)
	s_or_b32 exec_lo, exec_lo, s0
	v_and_b32_e32 v5, 0xff, v3
	v_mov_b32_e32 v1, 0
	s_mov_b32 s0, exec_lo
	v_cmpx_ne_u16_e32 0, v5
	s_cbranch_execz .LBB47_1068
; %bb.1067:
	v_cvt_f32_ubyte0_e32 v1, v3
	v_cvt_f32_ubyte0_e32 v4, v4
	s_delay_alu instid0(VALU_DEP_2) | instskip(SKIP_1) | instid1(TRANS32_DEP_1)
	v_rcp_iflag_f32_e32 v3, v1
	v_nop
	v_mul_f32_e32 v3, v4, v3
	s_delay_alu instid0(VALU_DEP_1) | instskip(NEXT) | instid1(VALU_DEP_1)
	v_trunc_f32_e32 v3, v3
	v_fma_f32 v4, -v3, v1, v4
	v_cvt_u32_f32_e32 v3, v3
	s_delay_alu instid0(VALU_DEP_2) | instskip(NEXT) | instid1(VALU_DEP_1)
	v_cmp_ge_f32_e64 vcc_lo, |v4|, v1
	v_add_co_ci_u32_e64 v1, null, 0, v3, vcc_lo
	s_delay_alu instid0(VALU_DEP_1)
	v_mul_lo_u16 v1, v1, v8
.LBB47_1068:
	s_or_b32 exec_lo, exec_lo, s0
	v_mov_b32_e32 v3, 0
	s_and_b32 s47, s31, 0xff
	s_delay_alu instid0(SALU_CYCLE_1) | instskip(NEXT) | instid1(VALU_DEP_1)
	s_cmp_lt_i32 s47, 11
	v_add_nc_u64_e32 v[2:3], s[4:5], v[2:3]
	s_cbranch_scc1 .LBB47_1076
; %bb.1069:
	s_and_b32 s48, 0xffff, s47
	s_delay_alu instid0(SALU_CYCLE_1)
	s_cmp_gt_i32 s48, 25
	s_cbranch_scc0 .LBB47_1077
; %bb.1070:
	s_cmp_gt_i32 s48, 28
	s_cbranch_scc0 .LBB47_1078
; %bb.1071:
	;; [unrolled: 3-line block ×4, first 2 shown]
	s_mov_b32 s50, 0
	s_mov_b32 s0, -1
	s_cmp_eq_u32 s48, 46
	s_mov_b32 s49, 0
	s_cbranch_scc0 .LBB47_1081
; %bb.1074:
	v_cvt_f32_ubyte0_e32 v4, v1
	s_mov_b32 s49, -1
	s_mov_b32 s0, 0
	s_delay_alu instid0(VALU_DEP_1) | instskip(NEXT) | instid1(VALU_DEP_1)
	v_bfe_u32 v5, v4, 16, 1
	v_add3_u32 v4, v4, v5, 0x7fff
	s_delay_alu instid0(VALU_DEP_1)
	v_lshrrev_b32_e32 v4, 16, v4
	global_store_b32 v[2:3], v4, off
	s_branch .LBB47_1081
.LBB47_1075:
	s_mov_b32 s50, 0
	s_mov_b32 s0, s43
	s_branch .LBB47_1192
.LBB47_1076:
	s_mov_b32 s48, -1
	s_mov_b32 s49, 0
	s_mov_b32 s0, s43
	s_branch .LBB47_1150
.LBB47_1077:
	s_mov_b32 s50, -1
	s_mov_b32 s49, 0
	s_mov_b32 s0, s43
	s_branch .LBB47_1108
.LBB47_1078:
	s_mov_b32 s50, -1
	s_mov_b32 s49, 0
	s_mov_b32 s0, s43
	s_branch .LBB47_1091
.LBB47_1079:
	s_mov_b32 s50, -1
	s_mov_b32 s49, 0
	s_mov_b32 s0, s43
	s_branch .LBB47_1087
.LBB47_1080:
	s_mov_b32 s50, -1
	s_mov_b32 s49, 0
	s_mov_b32 s0, s43
.LBB47_1081:
	s_and_b32 vcc_lo, exec_lo, s50
	s_cbranch_vccz .LBB47_1086
; %bb.1082:
	s_cmp_eq_u32 s48, 44
	s_mov_b32 s0, -1
	s_cbranch_scc0 .LBB47_1086
; %bb.1083:
	v_cvt_f32_ubyte0_e32 v6, v1
	s_mov_b32 s49, exec_lo
	s_wait_xcnt 0x0
	s_delay_alu instid0(VALU_DEP_1) | instskip(NEXT) | instid1(VALU_DEP_1)
	v_dual_mov_b32 v5, 0xff :: v_dual_lshrrev_b32 v4, 23, v6
	v_cmpx_ne_u32_e32 0xff, v4
; %bb.1084:
	v_and_b32_e32 v5, 0x400000, v6
	v_and_or_b32 v6, 0x3fffff, v6, v4
	s_delay_alu instid0(VALU_DEP_2) | instskip(NEXT) | instid1(VALU_DEP_2)
	v_cmp_ne_u32_e32 vcc_lo, 0, v5
	v_cmp_ne_u32_e64 s0, 0, v6
	s_and_b32 s0, vcc_lo, s0
	s_delay_alu instid0(SALU_CYCLE_1) | instskip(NEXT) | instid1(VALU_DEP_1)
	v_cndmask_b32_e64 v5, 0, 1, s0
	v_add_nc_u32_e32 v5, v4, v5
; %bb.1085:
	s_or_b32 exec_lo, exec_lo, s49
	s_mov_b32 s49, -1
	s_mov_b32 s0, 0
	global_store_b8 v[2:3], v5, off
.LBB47_1086:
	s_mov_b32 s50, 0
.LBB47_1087:
	s_delay_alu instid0(SALU_CYCLE_1)
	s_and_b32 vcc_lo, exec_lo, s50
	s_cbranch_vccz .LBB47_1090
; %bb.1088:
	s_cmp_eq_u32 s48, 29
	s_mov_b32 s0, -1
	s_cbranch_scc0 .LBB47_1090
; %bb.1089:
	s_wait_xcnt 0x0
	v_and_b32_e32 v4, 0xff, v1
	v_mov_b32_e32 v5, 0
	s_mov_b32 s49, -1
	s_mov_b32 s0, 0
	s_mov_b32 s50, 0
	global_store_b64 v[2:3], v[4:5], off
	s_branch .LBB47_1091
.LBB47_1090:
	s_mov_b32 s50, 0
.LBB47_1091:
	s_delay_alu instid0(SALU_CYCLE_1)
	s_and_b32 vcc_lo, exec_lo, s50
	s_cbranch_vccz .LBB47_1107
; %bb.1092:
	s_cmp_lt_i32 s48, 27
	s_mov_b32 s49, -1
	s_cbranch_scc1 .LBB47_1098
; %bb.1093:
	s_cmp_gt_i32 s48, 27
	s_cbranch_scc0 .LBB47_1095
; %bb.1094:
	s_wait_xcnt 0x0
	v_and_b32_e32 v4, 0xff, v1
	s_mov_b32 s49, 0
	global_store_b32 v[2:3], v4, off
.LBB47_1095:
	s_and_not1_b32 vcc_lo, exec_lo, s49
	s_cbranch_vccnz .LBB47_1097
; %bb.1096:
	s_wait_xcnt 0x0
	v_and_b32_e32 v4, 0xff, v1
	global_store_b16 v[2:3], v4, off
.LBB47_1097:
	s_mov_b32 s49, 0
.LBB47_1098:
	s_delay_alu instid0(SALU_CYCLE_1)
	s_and_not1_b32 vcc_lo, exec_lo, s49
	s_cbranch_vccnz .LBB47_1106
; %bb.1099:
	s_wait_xcnt 0x0
	v_cvt_f32_ubyte0_e32 v5, v1
	v_mov_b32_e32 v6, 0x80
	s_mov_b32 s49, exec_lo
	s_delay_alu instid0(VALU_DEP_2)
	v_cmpx_gt_u32_e32 0x43800000, v5
	s_cbranch_execz .LBB47_1105
; %bb.1100:
	s_mov_b32 s50, 0
	s_mov_b32 s51, exec_lo
                                        ; implicit-def: $vgpr4
	v_cmpx_lt_u32_e32 0x3bffffff, v5
	s_xor_b32 s51, exec_lo, s51
	s_cbranch_execz .LBB47_1220
; %bb.1101:
	v_bfe_u32 v4, v5, 20, 1
	s_mov_b32 s50, exec_lo
	s_delay_alu instid0(VALU_DEP_1) | instskip(NEXT) | instid1(VALU_DEP_1)
	v_add3_u32 v4, v5, v4, 0x487ffff
                                        ; implicit-def: $vgpr5
	v_lshrrev_b32_e32 v4, 20, v4
	s_and_not1_saveexec_b32 s51, s51
	s_cbranch_execnz .LBB47_1221
.LBB47_1102:
	s_or_b32 exec_lo, exec_lo, s51
	v_mov_b32_e32 v6, 0
	s_and_saveexec_b32 s51, s50
.LBB47_1103:
	v_mov_b32_e32 v6, v4
.LBB47_1104:
	s_or_b32 exec_lo, exec_lo, s51
.LBB47_1105:
	s_delay_alu instid0(SALU_CYCLE_1)
	s_or_b32 exec_lo, exec_lo, s49
	global_store_b8 v[2:3], v6, off
.LBB47_1106:
	s_mov_b32 s49, -1
.LBB47_1107:
	s_mov_b32 s50, 0
.LBB47_1108:
	s_delay_alu instid0(SALU_CYCLE_1)
	s_and_b32 vcc_lo, exec_lo, s50
	s_cbranch_vccz .LBB47_1149
; %bb.1109:
	s_cmp_gt_i32 s48, 22
	s_mov_b32 s50, -1
	s_cbranch_scc0 .LBB47_1141
; %bb.1110:
	s_cmp_lt_i32 s48, 24
	s_mov_b32 s49, -1
	s_cbranch_scc1 .LBB47_1130
; %bb.1111:
	s_cmp_gt_i32 s48, 24
	s_cbranch_scc0 .LBB47_1119
; %bb.1112:
	s_wait_xcnt 0x0
	v_cvt_f32_ubyte0_e32 v5, v1
	v_mov_b32_e32 v6, 0x80
	s_mov_b32 s49, exec_lo
	s_delay_alu instid0(VALU_DEP_2)
	v_cmpx_gt_u32_e32 0x47800000, v5
	s_cbranch_execz .LBB47_1118
; %bb.1113:
	s_mov_b32 s50, 0
	s_mov_b32 s51, exec_lo
                                        ; implicit-def: $vgpr4
	v_cmpx_lt_u32_e32 0x37ffffff, v5
	s_xor_b32 s51, exec_lo, s51
	s_cbranch_execz .LBB47_2281
; %bb.1114:
	v_bfe_u32 v4, v5, 21, 1
	s_mov_b32 s50, exec_lo
	s_delay_alu instid0(VALU_DEP_1) | instskip(NEXT) | instid1(VALU_DEP_1)
	v_add3_u32 v4, v5, v4, 0x88fffff
                                        ; implicit-def: $vgpr5
	v_lshrrev_b32_e32 v4, 21, v4
	s_and_not1_saveexec_b32 s51, s51
	s_cbranch_execnz .LBB47_2282
.LBB47_1115:
	s_or_b32 exec_lo, exec_lo, s51
	v_mov_b32_e32 v6, 0
	s_and_saveexec_b32 s51, s50
.LBB47_1116:
	v_mov_b32_e32 v6, v4
.LBB47_1117:
	s_or_b32 exec_lo, exec_lo, s51
.LBB47_1118:
	s_delay_alu instid0(SALU_CYCLE_1)
	s_or_b32 exec_lo, exec_lo, s49
	s_mov_b32 s49, 0
	global_store_b8 v[2:3], v6, off
.LBB47_1119:
	s_and_b32 vcc_lo, exec_lo, s49
	s_cbranch_vccz .LBB47_1129
; %bb.1120:
	s_wait_xcnt 0x0
	v_cvt_f32_ubyte0_e32 v5, v1
	s_mov_b32 s49, exec_lo
                                        ; implicit-def: $vgpr4
	s_delay_alu instid0(VALU_DEP_1)
	v_cmpx_gt_u32_e32 0x43f00000, v5
	s_xor_b32 s49, exec_lo, s49
	s_cbranch_execz .LBB47_1126
; %bb.1121:
	s_mov_b32 s50, exec_lo
                                        ; implicit-def: $vgpr4
	v_cmpx_lt_u32_e32 0x3c7fffff, v5
	s_xor_b32 s50, exec_lo, s50
; %bb.1122:
	v_bfe_u32 v4, v5, 20, 1
	s_delay_alu instid0(VALU_DEP_1) | instskip(NEXT) | instid1(VALU_DEP_1)
	v_add3_u32 v4, v5, v4, 0x407ffff
	v_and_b32_e32 v5, 0xff00000, v4
	v_lshrrev_b32_e32 v4, 20, v4
	s_delay_alu instid0(VALU_DEP_2) | instskip(NEXT) | instid1(VALU_DEP_2)
	v_cmp_ne_u32_e32 vcc_lo, 0x7f00000, v5
                                        ; implicit-def: $vgpr5
	v_cndmask_b32_e32 v4, 0x7e, v4, vcc_lo
; %bb.1123:
	s_and_not1_saveexec_b32 s50, s50
; %bb.1124:
	v_add_f32_e32 v4, 0x46800000, v5
; %bb.1125:
	s_or_b32 exec_lo, exec_lo, s50
                                        ; implicit-def: $vgpr5
.LBB47_1126:
	s_and_not1_saveexec_b32 s49, s49
; %bb.1127:
	v_mov_b32_e32 v4, 0x7f
	v_cmp_lt_u32_e32 vcc_lo, 0x7f800000, v5
	s_delay_alu instid0(VALU_DEP_2)
	v_cndmask_b32_e32 v4, 0x7e, v4, vcc_lo
; %bb.1128:
	s_or_b32 exec_lo, exec_lo, s49
	global_store_b8 v[2:3], v4, off
.LBB47_1129:
	s_mov_b32 s49, 0
.LBB47_1130:
	s_delay_alu instid0(SALU_CYCLE_1)
	s_and_not1_b32 vcc_lo, exec_lo, s49
	s_cbranch_vccnz .LBB47_1140
; %bb.1131:
	s_wait_xcnt 0x0
	v_cvt_f32_ubyte0_e32 v5, v1
	s_mov_b32 s49, exec_lo
                                        ; implicit-def: $vgpr4
	s_delay_alu instid0(VALU_DEP_1)
	v_cmpx_gt_u32_e32 0x47800000, v5
	s_xor_b32 s49, exec_lo, s49
	s_cbranch_execz .LBB47_1137
; %bb.1132:
	s_mov_b32 s50, exec_lo
                                        ; implicit-def: $vgpr4
	v_cmpx_lt_u32_e32 0x387fffff, v5
	s_xor_b32 s50, exec_lo, s50
; %bb.1133:
	v_bfe_u32 v4, v5, 21, 1
	s_delay_alu instid0(VALU_DEP_1) | instskip(NEXT) | instid1(VALU_DEP_1)
	v_add3_u32 v4, v5, v4, 0x80fffff
                                        ; implicit-def: $vgpr5
	v_lshrrev_b32_e32 v4, 21, v4
; %bb.1134:
	s_and_not1_saveexec_b32 s50, s50
; %bb.1135:
	v_add_f32_e32 v4, 0x43000000, v5
; %bb.1136:
	s_or_b32 exec_lo, exec_lo, s50
                                        ; implicit-def: $vgpr5
.LBB47_1137:
	s_and_not1_saveexec_b32 s49, s49
; %bb.1138:
	v_mov_b32_e32 v4, 0x7f
	v_cmp_lt_u32_e32 vcc_lo, 0x7f800000, v5
	s_delay_alu instid0(VALU_DEP_2)
	v_cndmask_b32_e32 v4, 0x7c, v4, vcc_lo
; %bb.1139:
	s_or_b32 exec_lo, exec_lo, s49
	global_store_b8 v[2:3], v4, off
.LBB47_1140:
	s_mov_b32 s50, 0
	s_mov_b32 s49, -1
.LBB47_1141:
	s_and_not1_b32 vcc_lo, exec_lo, s50
	s_cbranch_vccnz .LBB47_1149
; %bb.1142:
	s_cmp_gt_i32 s48, 14
	s_mov_b32 s50, -1
	s_cbranch_scc0 .LBB47_1146
; %bb.1143:
	s_cmp_eq_u32 s48, 15
	s_mov_b32 s0, -1
	s_cbranch_scc0 .LBB47_1145
; %bb.1144:
	s_wait_xcnt 0x0
	v_cvt_f32_ubyte0_e32 v4, v1
	s_mov_b32 s49, -1
	s_mov_b32 s0, 0
	s_delay_alu instid0(VALU_DEP_1) | instskip(NEXT) | instid1(VALU_DEP_1)
	v_bfe_u32 v5, v4, 16, 1
	v_add3_u32 v4, v4, v5, 0x7fff
	global_store_d16_hi_b16 v[2:3], v4, off
.LBB47_1145:
	s_mov_b32 s50, 0
.LBB47_1146:
	s_delay_alu instid0(SALU_CYCLE_1)
	s_and_b32 vcc_lo, exec_lo, s50
	s_cbranch_vccz .LBB47_1149
; %bb.1147:
	s_cmp_eq_u32 s48, 11
	s_mov_b32 s0, -1
	s_cbranch_scc0 .LBB47_1149
; %bb.1148:
	s_wait_xcnt 0x0
	v_and_b32_e32 v4, 0xff, v1
	s_mov_b32 s0, 0
	s_mov_b32 s49, -1
	s_delay_alu instid0(VALU_DEP_1)
	v_cmp_ne_u16_e32 vcc_lo, 0, v4
	v_cndmask_b32_e64 v4, 0, 1, vcc_lo
	global_store_b8 v[2:3], v4, off
.LBB47_1149:
	s_mov_b32 s48, 0
.LBB47_1150:
	s_delay_alu instid0(SALU_CYCLE_1)
	s_and_b32 vcc_lo, exec_lo, s48
	s_cbranch_vccz .LBB47_1189
; %bb.1151:
	s_and_b32 s47, 0xffff, s47
	s_mov_b32 s48, -1
	s_cmp_lt_i32 s47, 5
	s_cbranch_scc1 .LBB47_1172
; %bb.1152:
	s_cmp_lt_i32 s47, 8
	s_cbranch_scc1 .LBB47_1162
; %bb.1153:
	;; [unrolled: 3-line block ×3, first 2 shown]
	s_cmp_gt_i32 s47, 9
	s_cbranch_scc0 .LBB47_1156
; %bb.1155:
	s_wait_xcnt 0x0
	v_and_b32_e32 v4, 0xff, v1
	v_mov_b32_e32 v6, 0
	s_mov_b32 s48, 0
	s_delay_alu instid0(VALU_DEP_2) | instskip(NEXT) | instid1(VALU_DEP_2)
	v_and_b32_e32 v4, 0xffff, v4
	v_mov_b32_e32 v7, v6
	s_delay_alu instid0(VALU_DEP_2)
	v_cvt_f64_u32_e32 v[4:5], v4
	global_store_b128 v[2:3], v[4:7], off
.LBB47_1156:
	s_and_not1_b32 vcc_lo, exec_lo, s48
	s_cbranch_vccnz .LBB47_1158
; %bb.1157:
	s_wait_xcnt 0x0
	v_cvt_f32_ubyte0_e32 v4, v1
	v_mov_b32_e32 v5, 0
	global_store_b64 v[2:3], v[4:5], off
.LBB47_1158:
	s_mov_b32 s48, 0
.LBB47_1159:
	s_delay_alu instid0(SALU_CYCLE_1)
	s_and_not1_b32 vcc_lo, exec_lo, s48
	s_cbranch_vccnz .LBB47_1161
; %bb.1160:
	s_wait_xcnt 0x0
	v_and_b32_e32 v4, 0xff, v1
	s_delay_alu instid0(VALU_DEP_1) | instskip(NEXT) | instid1(VALU_DEP_1)
	v_cvt_f16_u16_e32 v4, v4
	v_and_b32_e32 v4, 0xffff, v4
	global_store_b32 v[2:3], v4, off
.LBB47_1161:
	s_mov_b32 s48, 0
.LBB47_1162:
	s_delay_alu instid0(SALU_CYCLE_1)
	s_and_not1_b32 vcc_lo, exec_lo, s48
	s_cbranch_vccnz .LBB47_1171
; %bb.1163:
	s_cmp_lt_i32 s47, 6
	s_mov_b32 s48, -1
	s_cbranch_scc1 .LBB47_1169
; %bb.1164:
	s_cmp_gt_i32 s47, 6
	s_cbranch_scc0 .LBB47_1166
; %bb.1165:
	s_wait_xcnt 0x0
	v_and_b32_e32 v4, 0xff, v1
	s_mov_b32 s48, 0
	s_delay_alu instid0(VALU_DEP_1) | instskip(NEXT) | instid1(VALU_DEP_1)
	v_and_b32_e32 v4, 0xffff, v4
	v_cvt_f64_u32_e32 v[4:5], v4
	global_store_b64 v[2:3], v[4:5], off
.LBB47_1166:
	s_and_not1_b32 vcc_lo, exec_lo, s48
	s_cbranch_vccnz .LBB47_1168
; %bb.1167:
	s_wait_xcnt 0x0
	v_cvt_f32_ubyte0_e32 v4, v1
	global_store_b32 v[2:3], v4, off
.LBB47_1168:
	s_mov_b32 s48, 0
.LBB47_1169:
	s_delay_alu instid0(SALU_CYCLE_1)
	s_and_not1_b32 vcc_lo, exec_lo, s48
	s_cbranch_vccnz .LBB47_1171
; %bb.1170:
	s_wait_xcnt 0x0
	v_and_b32_e32 v4, 0xff, v1
	s_delay_alu instid0(VALU_DEP_1)
	v_cvt_f16_u16_e32 v4, v4
	global_store_b16 v[2:3], v4, off
.LBB47_1171:
	s_mov_b32 s48, 0
.LBB47_1172:
	s_delay_alu instid0(SALU_CYCLE_1)
	s_and_not1_b32 vcc_lo, exec_lo, s48
	s_cbranch_vccnz .LBB47_1188
; %bb.1173:
	s_cmp_lt_i32 s47, 2
	s_mov_b32 s48, -1
	s_cbranch_scc1 .LBB47_1183
; %bb.1174:
	s_cmp_lt_i32 s47, 3
	s_cbranch_scc1 .LBB47_1180
; %bb.1175:
	s_cmp_gt_i32 s47, 3
	s_cbranch_scc0 .LBB47_1177
; %bb.1176:
	s_wait_xcnt 0x0
	v_and_b32_e32 v4, 0xff, v1
	v_mov_b32_e32 v5, 0
	s_mov_b32 s48, 0
	global_store_b64 v[2:3], v[4:5], off
.LBB47_1177:
	s_and_not1_b32 vcc_lo, exec_lo, s48
	s_cbranch_vccnz .LBB47_1179
; %bb.1178:
	s_wait_xcnt 0x0
	v_and_b32_e32 v4, 0xff, v1
	global_store_b32 v[2:3], v4, off
.LBB47_1179:
	s_mov_b32 s48, 0
.LBB47_1180:
	s_delay_alu instid0(SALU_CYCLE_1)
	s_and_not1_b32 vcc_lo, exec_lo, s48
	s_cbranch_vccnz .LBB47_1182
; %bb.1181:
	s_wait_xcnt 0x0
	v_and_b32_e32 v4, 0xff, v1
	global_store_b16 v[2:3], v4, off
.LBB47_1182:
	s_mov_b32 s48, 0
.LBB47_1183:
	s_delay_alu instid0(SALU_CYCLE_1)
	s_and_not1_b32 vcc_lo, exec_lo, s48
	s_cbranch_vccnz .LBB47_1188
; %bb.1184:
	s_cmp_gt_i32 s47, 0
	s_mov_b32 s47, -1
	s_cbranch_scc0 .LBB47_1186
; %bb.1185:
	s_mov_b32 s47, 0
	global_store_b8 v[2:3], v1, off
.LBB47_1186:
	s_and_not1_b32 vcc_lo, exec_lo, s47
	s_cbranch_vccnz .LBB47_1188
; %bb.1187:
	global_store_b8 v[2:3], v1, off
.LBB47_1188:
	s_mov_b32 s49, -1
.LBB47_1189:
	s_delay_alu instid0(SALU_CYCLE_1)
	s_and_not1_b32 vcc_lo, exec_lo, s49
	s_cbranch_vccnz .LBB47_1191
; %bb.1190:
	v_add_nc_u32_e32 v0, 0x80, v0
	s_mov_b32 s50, -1
	s_branch .LBB47_1193
.LBB47_1191:
	s_mov_b32 s50, 0
.LBB47_1192:
                                        ; implicit-def: $vgpr0
.LBB47_1193:
	s_and_not1_b32 s47, s43, exec_lo
	s_and_b32 s0, s0, exec_lo
	s_and_b32 s25, s25, exec_lo
	s_or_b32 s48, s47, s0
	s_and_not1_b32 s0, s44, exec_lo
	s_and_not1_b32 s47, s42, exec_lo
	s_and_b32 s24, s24, exec_lo
	s_or_b32 s49, s0, s25
	s_or_b32 s47, s47, s24
	s_or_not1_b32 s51, s50, exec_lo
.LBB47_1194:
	s_wait_xcnt 0x0
	s_or_b32 exec_lo, exec_lo, s46
	s_mov_b32 s25, 0
	s_mov_b32 s50, 0
	;; [unrolled: 1-line block ×3, first 2 shown]
                                        ; implicit-def: $sgpr0
                                        ; implicit-def: $vgpr8_vgpr9
                                        ; implicit-def: $vgpr6
                                        ; implicit-def: $vgpr2
                                        ; implicit-def: $vgpr4
	s_and_saveexec_b32 s46, s51
	s_cbranch_execz .LBB47_1285
; %bb.1195:
	v_cmp_gt_i32_e32 vcc_lo, s36, v0
	s_mov_b32 s51, s47
                                        ; implicit-def: $sgpr0
                                        ; implicit-def: $vgpr8_vgpr9
                                        ; implicit-def: $vgpr6
                                        ; implicit-def: $vgpr2
                                        ; implicit-def: $vgpr4
	s_and_saveexec_b32 s36, vcc_lo
	s_cbranch_execz .LBB47_1284
; %bb.1196:
	s_and_not1_b32 vcc_lo, exec_lo, s29
	s_cbranch_vccnz .LBB47_1202
; %bb.1197:
	s_and_not1_b32 vcc_lo, exec_lo, s37
	s_cbranch_vccnz .LBB47_1203
; %bb.1198:
	v_dual_mov_b32 v2, 0 :: v_dual_mov_b32 v1, v0
	s_wait_loadcnt 0x0
	v_dual_mov_b32 v4, 0 :: v_dual_mov_b32 v6, 0
	s_add_co_i32 s0, s35, 1
	s_mov_b64 s[24:25], 0xffffffffffffffe8
	s_and_b32 s0, s0, 30
	s_add_nc_u64 s[24:25], s[2:3], s[24:25]
.LBB47_1199:                            ; =>This Inner Loop Header: Depth=1
	s_clause 0x1
	s_load_b128 s[52:55], s[24:25], 0x1c
	s_load_b64 s[50:51], s[24:25], 0x2c
	s_add_co_i32 s0, s0, -2
	s_delay_alu instid0(SALU_CYCLE_1) | instskip(SKIP_2) | instid1(VALU_DEP_1)
	s_cmp_eq_u32 s0, 0
	s_wait_kmcnt 0x0
	v_mul_hi_u32 v3, s53, v1
	v_add_nc_u32_e32 v3, v1, v3
	s_delay_alu instid0(VALU_DEP_1) | instskip(NEXT) | instid1(VALU_DEP_1)
	v_lshrrev_b32_e32 v3, s54, v3
	v_mul_hi_u32 v5, s50, v3
	v_mul_lo_u32 v7, v3, s52
	s_clause 0x1
	s_load_b128 s[56:59], s[24:25], 0xdc
	s_load_b64 s[52:53], s[24:25], 0xec
	s_wait_xcnt 0x0
	s_add_nc_u64 s[24:25], s[24:25], 24
	s_delay_alu instid0(VALU_DEP_1) | instskip(NEXT) | instid1(VALU_DEP_1)
	v_dual_add_nc_u32 v5, v3, v5 :: v_dual_sub_nc_u32 v7, v1, v7
	v_lshrrev_b32_e32 v1, s51, v5
	s_wait_kmcnt 0x0
	s_delay_alu instid0(VALU_DEP_2) | instskip(NEXT) | instid1(VALU_DEP_2)
	v_mad_u32 v2, v7, s56, v2
	v_mul_lo_u32 v5, v1, s55
	v_mad_u32 v6, v7, s58, v6
	v_mad_u32 v4, v7, s57, v4
	s_delay_alu instid0(VALU_DEP_3) | instskip(NEXT) | instid1(VALU_DEP_1)
	v_sub_nc_u32_e32 v3, v3, v5
	v_mad_u32 v2, v3, s59, v2
	s_delay_alu instid0(VALU_DEP_4) | instskip(NEXT) | instid1(VALU_DEP_4)
	v_mad_u32 v6, v3, s53, v6
	v_mad_u32 v4, v3, s52, v4
	s_cbranch_scc0 .LBB47_1199
; %bb.1200:
	s_bitcmp1_b32 s35, 0
	s_cselect_b32 s0, -1, 0
	s_delay_alu instid0(SALU_CYCLE_1)
	s_and_b32 vcc_lo, exec_lo, s0
	s_cbranch_vccnz .LBB47_1204
; %bb.1201:
	s_clause 0x1
	s_load_b96 s[52:54], s[24:25], 0x1c
	s_load_b96 s[56:58], s[24:25], 0xdc
	s_wait_kmcnt 0x0
	v_mul_hi_u32 v3, s53, v1
	s_delay_alu instid0(VALU_DEP_1) | instskip(NEXT) | instid1(VALU_DEP_1)
	v_add_nc_u32_e32 v3, v1, v3
	v_lshrrev_b32_e32 v3, s54, v3
	s_delay_alu instid0(VALU_DEP_1) | instskip(NEXT) | instid1(VALU_DEP_1)
	v_mul_lo_u32 v3, v3, s52
	v_sub_nc_u32_e32 v1, v1, v3
	s_delay_alu instid0(VALU_DEP_1)
	v_mad_u32 v2, v1, s56, v2
	v_mad_u32 v4, v1, s57, v4
	;; [unrolled: 1-line block ×3, first 2 shown]
	s_branch .LBB47_1204
.LBB47_1202:
	s_mov_b32 s0, -1
                                        ; implicit-def: $vgpr6
                                        ; implicit-def: $vgpr4
                                        ; implicit-def: $vgpr2
	s_branch .LBB47_1205
.LBB47_1203:
	s_wait_loadcnt 0x0
	v_dual_mov_b32 v6, 0 :: v_dual_mov_b32 v4, 0
	v_mov_b32_e32 v2, 0
.LBB47_1204:
	s_mov_b32 s0, 0
.LBB47_1205:
	s_delay_alu instid0(SALU_CYCLE_1)
	s_and_not1_b32 vcc_lo, exec_lo, s0
	s_cbranch_vccnz .LBB47_1208
; %bb.1206:
	v_mov_b32_e32 v1, 0
	s_and_not1_b32 vcc_lo, exec_lo, s34
	s_delay_alu instid0(VALU_DEP_1) | instskip(NEXT) | instid1(VALU_DEP_1)
	v_mul_u64_e32 v[2:3], s[18:19], v[0:1]
	v_add_nc_u32_e32 v2, v0, v3
	s_wait_loadcnt 0x0
	s_delay_alu instid0(VALU_DEP_1) | instskip(NEXT) | instid1(VALU_DEP_1)
	v_lshrrev_b32_e32 v8, s10, v2
	v_mul_lo_u32 v2, v8, s8
	s_delay_alu instid0(VALU_DEP_1) | instskip(NEXT) | instid1(VALU_DEP_1)
	v_sub_nc_u32_e32 v0, v0, v2
	v_mul_lo_u32 v2, v0, s12
	v_mul_lo_u32 v6, v0, s14
	;; [unrolled: 1-line block ×3, first 2 shown]
	s_cbranch_vccnz .LBB47_1208
; %bb.1207:
	v_mov_b32_e32 v9, v1
	s_delay_alu instid0(VALU_DEP_1) | instskip(NEXT) | instid1(VALU_DEP_1)
	v_mul_u64_e32 v[0:1], s[22:23], v[8:9]
	v_add_nc_u32_e32 v0, v8, v1
	s_delay_alu instid0(VALU_DEP_1) | instskip(NEXT) | instid1(VALU_DEP_1)
	v_lshrrev_b32_e32 v0, s1, v0
	v_mul_lo_u32 v0, v0, s11
	s_delay_alu instid0(VALU_DEP_1) | instskip(NEXT) | instid1(VALU_DEP_1)
	v_sub_nc_u32_e32 v0, v8, v0
	v_mad_u32 v2, v0, s15, v2
	v_mad_u32 v4, v0, s20, v4
	;; [unrolled: 1-line block ×3, first 2 shown]
.LBB47_1208:
	s_wait_loadcnt 0x0
	v_mov_b32_e32 v5, 0
	s_and_b32 s0, s33, 0xff
	s_delay_alu instid0(SALU_CYCLE_1) | instskip(NEXT) | instid1(VALU_DEP_1)
	s_cmp_lt_i32 s0, 11
	v_add_nc_u64_e32 v[8:9], s[6:7], v[4:5]
	s_cbranch_scc1 .LBB47_1215
; %bb.1209:
	s_and_b32 s1, 0xffff, s0
	s_mov_b32 s7, 0
	s_cmp_gt_i32 s1, 25
	s_cbranch_scc0 .LBB47_1216
; %bb.1210:
	s_cmp_gt_i32 s1, 28
	s_cbranch_scc0 .LBB47_1217
; %bb.1211:
	;; [unrolled: 3-line block ×4, first 2 shown]
	s_cmp_eq_u32 s1, 46
	s_mov_b32 s10, 0
	s_cbranch_scc0 .LBB47_1222
; %bb.1214:
	global_load_b32 v0, v[8:9], off
	s_mov_b32 s6, 0
	s_mov_b32 s8, -1
	s_wait_loadcnt 0x0
	v_lshlrev_b32_e32 v0, 16, v0
	s_delay_alu instid0(VALU_DEP_1) | instskip(NEXT) | instid1(VALU_DEP_1)
	v_trunc_f32_e32 v0, v0
	v_mul_f32_e64 v1, 0x2f800000, |v0|
	s_delay_alu instid0(VALU_DEP_1) | instskip(NEXT) | instid1(VALU_DEP_1)
	v_floor_f32_e32 v1, v1
	v_fma_f32 v1, 0xcf800000, v1, |v0|
	v_ashrrev_i32_e32 v0, 31, v0
	s_delay_alu instid0(VALU_DEP_2) | instskip(NEXT) | instid1(VALU_DEP_1)
	v_cvt_u32_f32_e32 v1, v1
	v_xor_b32_e32 v1, v1, v0
	s_delay_alu instid0(VALU_DEP_1)
	v_sub_nc_u32_e32 v4, v1, v0
	s_branch .LBB47_1224
.LBB47_1215:
	s_mov_b32 s1, -1
	s_mov_b32 s8, 0
	s_mov_b32 s7, 0
	;; [unrolled: 1-line block ×3, first 2 shown]
                                        ; implicit-def: $vgpr4
	s_branch .LBB47_1283
.LBB47_1216:
	s_mov_b32 s10, -1
	s_mov_b32 s8, 0
	s_mov_b32 s6, s47
                                        ; implicit-def: $vgpr4
	s_branch .LBB47_1251
.LBB47_1217:
	s_mov_b32 s10, -1
	s_mov_b32 s8, 0
	s_mov_b32 s6, s47
                                        ; implicit-def: $vgpr4
	s_branch .LBB47_1234
.LBB47_1218:
	s_mov_b32 s10, -1
	s_mov_b32 s8, 0
	s_mov_b32 s6, s47
                                        ; implicit-def: $vgpr4
	s_branch .LBB47_1229
.LBB47_1219:
	s_mov_b32 s10, -1
	s_mov_b32 s8, 0
	s_mov_b32 s6, s47
	s_branch .LBB47_1223
.LBB47_1220:
	s_and_not1_saveexec_b32 s51, s51
	s_cbranch_execz .LBB47_1102
.LBB47_1221:
	v_add_f32_e32 v4, 0x46000000, v5
	s_and_not1_b32 s50, s50, exec_lo
	s_delay_alu instid0(VALU_DEP_1) | instskip(NEXT) | instid1(VALU_DEP_1)
	v_and_b32_e32 v4, 0xff, v4
	v_cmp_ne_u32_e32 vcc_lo, 0, v4
	s_and_b32 s52, vcc_lo, exec_lo
	s_delay_alu instid0(SALU_CYCLE_1)
	s_or_b32 s50, s50, s52
	s_or_b32 exec_lo, exec_lo, s51
	v_mov_b32_e32 v6, 0
	s_and_saveexec_b32 s51, s50
	s_cbranch_execnz .LBB47_1103
	s_branch .LBB47_1104
.LBB47_1222:
	s_mov_b32 s6, -1
	s_mov_b32 s8, 0
.LBB47_1223:
                                        ; implicit-def: $vgpr4
.LBB47_1224:
	s_and_b32 vcc_lo, exec_lo, s10
	s_cbranch_vccz .LBB47_1228
; %bb.1225:
	s_cmp_eq_u32 s1, 44
	s_cbranch_scc0 .LBB47_1227
; %bb.1226:
	global_load_u8 v0, v[8:9], off
	s_mov_b32 s6, 0
	s_mov_b32 s8, -1
	s_wait_loadcnt 0x0
	v_lshlrev_b32_e32 v1, 23, v0
	v_cmp_ne_u32_e32 vcc_lo, 0, v0
	s_delay_alu instid0(VALU_DEP_2) | instskip(NEXT) | instid1(VALU_DEP_1)
	v_trunc_f32_e32 v1, v1
	v_mul_f32_e64 v3, 0x2f800000, |v1|
	s_delay_alu instid0(VALU_DEP_1) | instskip(NEXT) | instid1(VALU_DEP_1)
	v_floor_f32_e32 v3, v3
	v_fma_f32 v3, 0xcf800000, v3, |v1|
	v_ashrrev_i32_e32 v1, 31, v1
	s_delay_alu instid0(VALU_DEP_2) | instskip(NEXT) | instid1(VALU_DEP_1)
	v_cvt_u32_f32_e32 v3, v3
	v_xor_b32_e32 v3, v3, v1
	s_delay_alu instid0(VALU_DEP_1) | instskip(NEXT) | instid1(VALU_DEP_1)
	v_sub_nc_u32_e32 v1, v3, v1
	v_cndmask_b32_e32 v4, 0, v1, vcc_lo
	s_branch .LBB47_1228
.LBB47_1227:
	s_mov_b32 s6, -1
                                        ; implicit-def: $vgpr4
.LBB47_1228:
	s_mov_b32 s10, 0
.LBB47_1229:
	s_delay_alu instid0(SALU_CYCLE_1)
	s_and_b32 vcc_lo, exec_lo, s10
	s_cbranch_vccz .LBB47_1233
; %bb.1230:
	s_cmp_eq_u32 s1, 29
	s_cbranch_scc0 .LBB47_1232
; %bb.1231:
	global_load_b64 v[4:5], v[8:9], off
	s_mov_b32 s6, 0
	s_mov_b32 s8, -1
	s_branch .LBB47_1233
.LBB47_1232:
	s_mov_b32 s6, -1
                                        ; implicit-def: $vgpr4
.LBB47_1233:
	s_mov_b32 s10, 0
.LBB47_1234:
	s_delay_alu instid0(SALU_CYCLE_1)
	s_and_b32 vcc_lo, exec_lo, s10
	s_cbranch_vccz .LBB47_1250
; %bb.1235:
	s_cmp_lt_i32 s1, 27
	s_cbranch_scc1 .LBB47_1238
; %bb.1236:
	s_cmp_gt_i32 s1, 27
	s_cbranch_scc0 .LBB47_1239
; %bb.1237:
	s_wait_loadcnt 0x0
	global_load_b32 v4, v[8:9], off
	s_mov_b32 s8, 0
	s_branch .LBB47_1240
.LBB47_1238:
	s_mov_b32 s8, -1
                                        ; implicit-def: $vgpr4
	s_branch .LBB47_1243
.LBB47_1239:
	s_mov_b32 s8, -1
                                        ; implicit-def: $vgpr4
.LBB47_1240:
	s_delay_alu instid0(SALU_CYCLE_1)
	s_and_not1_b32 vcc_lo, exec_lo, s8
	s_cbranch_vccnz .LBB47_1242
; %bb.1241:
	s_wait_loadcnt 0x0
	global_load_u16 v4, v[8:9], off
.LBB47_1242:
	s_mov_b32 s8, 0
.LBB47_1243:
	s_delay_alu instid0(SALU_CYCLE_1)
	s_and_not1_b32 vcc_lo, exec_lo, s8
	s_cbranch_vccnz .LBB47_1249
; %bb.1244:
	global_load_u8 v0, v[8:9], off
	s_mov_b32 s10, 0
	s_mov_b32 s8, exec_lo
	s_wait_loadcnt 0x0
	v_cmpx_lt_i16_e32 0x7f, v0
	s_xor_b32 s8, exec_lo, s8
	s_cbranch_execz .LBB47_1261
; %bb.1245:
	v_cmp_ne_u16_e32 vcc_lo, 0x80, v0
	s_and_b32 s10, vcc_lo, exec_lo
	s_and_not1_saveexec_b32 s8, s8
	s_cbranch_execnz .LBB47_1262
.LBB47_1246:
	s_or_b32 exec_lo, exec_lo, s8
	v_mov_b32_e32 v4, 0
	s_and_saveexec_b32 s8, s10
	s_cbranch_execz .LBB47_1248
.LBB47_1247:
	v_and_b32_e32 v1, 0xffff, v0
	s_delay_alu instid0(VALU_DEP_1) | instskip(SKIP_1) | instid1(VALU_DEP_2)
	v_and_b32_e32 v3, 7, v1
	v_bfe_u32 v7, v1, 3, 4
	v_clz_i32_u32_e32 v4, v3
	s_delay_alu instid0(VALU_DEP_2) | instskip(NEXT) | instid1(VALU_DEP_2)
	v_cmp_eq_u32_e32 vcc_lo, 0, v7
	v_min_u32_e32 v4, 32, v4
	s_delay_alu instid0(VALU_DEP_1) | instskip(NEXT) | instid1(VALU_DEP_1)
	v_subrev_nc_u32_e32 v5, 28, v4
	v_dual_lshlrev_b32 v1, v5, v1 :: v_dual_sub_nc_u32 v4, 29, v4
	s_delay_alu instid0(VALU_DEP_1) | instskip(NEXT) | instid1(VALU_DEP_1)
	v_dual_lshlrev_b32 v0, 24, v0 :: v_dual_bitop2_b32 v1, 7, v1 bitop3:0x40
	v_cndmask_b32_e32 v1, v3, v1, vcc_lo
	s_delay_alu instid0(VALU_DEP_3) | instskip(NEXT) | instid1(VALU_DEP_3)
	v_cndmask_b32_e32 v4, v7, v4, vcc_lo
	v_and_b32_e32 v0, 0x80000000, v0
	s_delay_alu instid0(VALU_DEP_3) | instskip(NEXT) | instid1(VALU_DEP_3)
	v_lshlrev_b32_e32 v1, 20, v1
	v_lshl_add_u32 v3, v4, 23, 0x3b800000
	s_delay_alu instid0(VALU_DEP_1) | instskip(NEXT) | instid1(VALU_DEP_1)
	v_or3_b32 v0, v0, v3, v1
	v_trunc_f32_e32 v0, v0
	s_delay_alu instid0(VALU_DEP_1) | instskip(NEXT) | instid1(VALU_DEP_1)
	v_mul_f32_e64 v1, 0x2f800000, |v0|
	v_floor_f32_e32 v1, v1
	s_delay_alu instid0(VALU_DEP_1) | instskip(SKIP_1) | instid1(VALU_DEP_2)
	v_fma_f32 v1, 0xcf800000, v1, |v0|
	v_ashrrev_i32_e32 v0, 31, v0
	v_cvt_u32_f32_e32 v1, v1
	s_delay_alu instid0(VALU_DEP_1) | instskip(NEXT) | instid1(VALU_DEP_1)
	v_xor_b32_e32 v1, v1, v0
	v_sub_nc_u32_e32 v4, v1, v0
.LBB47_1248:
	s_or_b32 exec_lo, exec_lo, s8
.LBB47_1249:
	s_mov_b32 s8, -1
.LBB47_1250:
	s_mov_b32 s10, 0
.LBB47_1251:
	s_delay_alu instid0(SALU_CYCLE_1)
	s_and_b32 vcc_lo, exec_lo, s10
	s_cbranch_vccz .LBB47_1282
; %bb.1252:
	s_cmp_gt_i32 s1, 22
	s_cbranch_scc0 .LBB47_1260
; %bb.1253:
	s_cmp_lt_i32 s1, 24
	s_cbranch_scc1 .LBB47_1263
; %bb.1254:
	s_cmp_gt_i32 s1, 24
	s_cbranch_scc0 .LBB47_1264
; %bb.1255:
	global_load_u8 v0, v[8:9], off
	s_mov_b32 s8, 0
	s_mov_b32 s7, exec_lo
	s_wait_loadcnt 0x0
	v_cmpx_lt_i16_e32 0x7f, v0
	s_xor_b32 s7, exec_lo, s7
	s_cbranch_execz .LBB47_1276
; %bb.1256:
	v_cmp_ne_u16_e32 vcc_lo, 0x80, v0
	s_and_b32 s8, vcc_lo, exec_lo
	s_and_not1_saveexec_b32 s7, s7
	s_cbranch_execnz .LBB47_1277
.LBB47_1257:
	s_or_b32 exec_lo, exec_lo, s7
	v_mov_b32_e32 v4, 0
	s_and_saveexec_b32 s7, s8
	s_cbranch_execz .LBB47_1259
.LBB47_1258:
	v_and_b32_e32 v1, 0xffff, v0
	s_delay_alu instid0(VALU_DEP_1) | instskip(SKIP_1) | instid1(VALU_DEP_2)
	v_and_b32_e32 v3, 3, v1
	v_bfe_u32 v7, v1, 2, 5
	v_clz_i32_u32_e32 v4, v3
	s_delay_alu instid0(VALU_DEP_2) | instskip(NEXT) | instid1(VALU_DEP_2)
	v_cmp_eq_u32_e32 vcc_lo, 0, v7
	v_min_u32_e32 v4, 32, v4
	s_delay_alu instid0(VALU_DEP_1) | instskip(NEXT) | instid1(VALU_DEP_1)
	v_subrev_nc_u32_e32 v5, 29, v4
	v_dual_lshlrev_b32 v1, v5, v1 :: v_dual_sub_nc_u32 v4, 30, v4
	s_delay_alu instid0(VALU_DEP_1) | instskip(NEXT) | instid1(VALU_DEP_1)
	v_dual_lshlrev_b32 v0, 24, v0 :: v_dual_bitop2_b32 v1, 3, v1 bitop3:0x40
	v_cndmask_b32_e32 v1, v3, v1, vcc_lo
	s_delay_alu instid0(VALU_DEP_3) | instskip(NEXT) | instid1(VALU_DEP_3)
	v_cndmask_b32_e32 v4, v7, v4, vcc_lo
	v_and_b32_e32 v0, 0x80000000, v0
	s_delay_alu instid0(VALU_DEP_3) | instskip(NEXT) | instid1(VALU_DEP_3)
	v_lshlrev_b32_e32 v1, 21, v1
	v_lshl_add_u32 v3, v4, 23, 0x37800000
	s_delay_alu instid0(VALU_DEP_1) | instskip(NEXT) | instid1(VALU_DEP_1)
	v_or3_b32 v0, v0, v3, v1
	v_trunc_f32_e32 v0, v0
	s_delay_alu instid0(VALU_DEP_1) | instskip(NEXT) | instid1(VALU_DEP_1)
	v_mul_f32_e64 v1, 0x2f800000, |v0|
	v_floor_f32_e32 v1, v1
	s_delay_alu instid0(VALU_DEP_1) | instskip(SKIP_1) | instid1(VALU_DEP_2)
	v_fma_f32 v1, 0xcf800000, v1, |v0|
	v_ashrrev_i32_e32 v0, 31, v0
	v_cvt_u32_f32_e32 v1, v1
	s_delay_alu instid0(VALU_DEP_1) | instskip(NEXT) | instid1(VALU_DEP_1)
	v_xor_b32_e32 v1, v1, v0
	v_sub_nc_u32_e32 v4, v1, v0
.LBB47_1259:
	s_or_b32 exec_lo, exec_lo, s7
	s_mov_b32 s7, 0
	s_branch .LBB47_1265
.LBB47_1260:
	s_mov_b32 s7, -1
                                        ; implicit-def: $vgpr4
	s_branch .LBB47_1271
.LBB47_1261:
	s_and_not1_saveexec_b32 s8, s8
	s_cbranch_execz .LBB47_1246
.LBB47_1262:
	v_cmp_ne_u16_e32 vcc_lo, 0, v0
	s_and_not1_b32 s10, s10, exec_lo
	s_and_b32 s11, vcc_lo, exec_lo
	s_delay_alu instid0(SALU_CYCLE_1)
	s_or_b32 s10, s10, s11
	s_or_b32 exec_lo, exec_lo, s8
	v_mov_b32_e32 v4, 0
	s_and_saveexec_b32 s8, s10
	s_cbranch_execnz .LBB47_1247
	s_branch .LBB47_1248
.LBB47_1263:
	s_mov_b32 s7, -1
                                        ; implicit-def: $vgpr4
	s_branch .LBB47_1268
.LBB47_1264:
	s_mov_b32 s7, -1
                                        ; implicit-def: $vgpr4
.LBB47_1265:
	s_delay_alu instid0(SALU_CYCLE_1)
	s_and_b32 vcc_lo, exec_lo, s7
	s_cbranch_vccz .LBB47_1267
; %bb.1266:
	global_load_u8 v0, v[8:9], off
	s_wait_loadcnt 0x0
	v_lshlrev_b32_e32 v0, 24, v0
	s_delay_alu instid0(VALU_DEP_1) | instskip(NEXT) | instid1(VALU_DEP_1)
	v_and_b32_e32 v1, 0x7f000000, v0
	v_clz_i32_u32_e32 v3, v1
	v_add_nc_u32_e32 v5, 0x1000000, v1
	v_cmp_ne_u32_e32 vcc_lo, 0, v1
	s_delay_alu instid0(VALU_DEP_3) | instskip(NEXT) | instid1(VALU_DEP_1)
	v_min_u32_e32 v3, 32, v3
	v_sub_nc_u32_e64 v3, v3, 4 clamp
	s_delay_alu instid0(VALU_DEP_1) | instskip(NEXT) | instid1(VALU_DEP_1)
	v_dual_lshlrev_b32 v4, v3, v1 :: v_dual_lshlrev_b32 v3, 23, v3
	v_lshrrev_b32_e32 v4, 4, v4
	s_delay_alu instid0(VALU_DEP_1) | instskip(NEXT) | instid1(VALU_DEP_1)
	v_dual_sub_nc_u32 v3, v4, v3 :: v_dual_ashrrev_i32 v4, 8, v5
	v_add_nc_u32_e32 v3, 0x3c000000, v3
	s_delay_alu instid0(VALU_DEP_1) | instskip(NEXT) | instid1(VALU_DEP_1)
	v_and_or_b32 v3, 0x7f800000, v4, v3
	v_cndmask_b32_e32 v1, 0, v3, vcc_lo
	s_delay_alu instid0(VALU_DEP_1) | instskip(NEXT) | instid1(VALU_DEP_1)
	v_and_or_b32 v0, 0x80000000, v0, v1
	v_trunc_f32_e32 v0, v0
	s_delay_alu instid0(VALU_DEP_1) | instskip(NEXT) | instid1(VALU_DEP_1)
	v_mul_f32_e64 v1, 0x2f800000, |v0|
	v_floor_f32_e32 v1, v1
	s_delay_alu instid0(VALU_DEP_1) | instskip(SKIP_1) | instid1(VALU_DEP_2)
	v_fma_f32 v1, 0xcf800000, v1, |v0|
	v_ashrrev_i32_e32 v0, 31, v0
	v_cvt_u32_f32_e32 v1, v1
	s_delay_alu instid0(VALU_DEP_1) | instskip(NEXT) | instid1(VALU_DEP_1)
	v_xor_b32_e32 v1, v1, v0
	v_sub_nc_u32_e32 v4, v1, v0
.LBB47_1267:
	s_mov_b32 s7, 0
.LBB47_1268:
	s_delay_alu instid0(SALU_CYCLE_1)
	s_and_not1_b32 vcc_lo, exec_lo, s7
	s_cbranch_vccnz .LBB47_1270
; %bb.1269:
	global_load_u8 v0, v[8:9], off
	s_wait_loadcnt 0x0
	v_lshlrev_b32_e32 v1, 25, v0
	v_lshlrev_b16 v0, 8, v0
	s_delay_alu instid0(VALU_DEP_2) | instskip(NEXT) | instid1(VALU_DEP_2)
	v_cmp_gt_u32_e32 vcc_lo, 0x8000000, v1
	v_and_or_b32 v4, 0x7f00, v0, 0.5
	v_lshrrev_b32_e32 v3, 4, v1
	v_bfe_i32 v0, v0, 0, 16
	s_delay_alu instid0(VALU_DEP_3) | instskip(NEXT) | instid1(VALU_DEP_3)
	v_add_f32_e32 v4, -0.5, v4
	v_or_b32_e32 v3, 0x70000000, v3
	s_delay_alu instid0(VALU_DEP_1) | instskip(NEXT) | instid1(VALU_DEP_1)
	v_mul_f32_e32 v3, 0x7800000, v3
	v_cndmask_b32_e32 v1, v3, v4, vcc_lo
	s_delay_alu instid0(VALU_DEP_1) | instskip(NEXT) | instid1(VALU_DEP_1)
	v_and_or_b32 v0, 0x80000000, v0, v1
	v_trunc_f32_e32 v0, v0
	s_delay_alu instid0(VALU_DEP_1) | instskip(NEXT) | instid1(VALU_DEP_1)
	v_mul_f32_e64 v1, 0x2f800000, |v0|
	v_floor_f32_e32 v1, v1
	s_delay_alu instid0(VALU_DEP_1) | instskip(SKIP_1) | instid1(VALU_DEP_2)
	v_fma_f32 v1, 0xcf800000, v1, |v0|
	v_ashrrev_i32_e32 v0, 31, v0
	v_cvt_u32_f32_e32 v1, v1
	s_delay_alu instid0(VALU_DEP_1) | instskip(NEXT) | instid1(VALU_DEP_1)
	v_xor_b32_e32 v1, v1, v0
	v_sub_nc_u32_e32 v4, v1, v0
.LBB47_1270:
	s_mov_b32 s7, 0
	s_mov_b32 s8, -1
.LBB47_1271:
	s_and_not1_b32 vcc_lo, exec_lo, s7
	s_mov_b32 s7, 0
	s_cbranch_vccnz .LBB47_1282
; %bb.1272:
	s_cmp_gt_i32 s1, 14
	s_cbranch_scc0 .LBB47_1275
; %bb.1273:
	s_cmp_eq_u32 s1, 15
	s_cbranch_scc0 .LBB47_1278
; %bb.1274:
	global_load_u16 v0, v[8:9], off
	s_mov_b32 s6, 0
	s_mov_b32 s8, -1
	s_wait_loadcnt 0x0
	v_lshlrev_b32_e32 v0, 16, v0
	s_delay_alu instid0(VALU_DEP_1) | instskip(NEXT) | instid1(VALU_DEP_1)
	v_trunc_f32_e32 v0, v0
	v_mul_f32_e64 v1, 0x2f800000, |v0|
	s_delay_alu instid0(VALU_DEP_1) | instskip(NEXT) | instid1(VALU_DEP_1)
	v_floor_f32_e32 v1, v1
	v_fma_f32 v1, 0xcf800000, v1, |v0|
	v_ashrrev_i32_e32 v0, 31, v0
	s_delay_alu instid0(VALU_DEP_2) | instskip(NEXT) | instid1(VALU_DEP_1)
	v_cvt_u32_f32_e32 v1, v1
	v_xor_b32_e32 v1, v1, v0
	s_delay_alu instid0(VALU_DEP_1)
	v_sub_nc_u32_e32 v4, v1, v0
	s_branch .LBB47_1280
.LBB47_1275:
	s_mov_b32 s7, -1
	s_branch .LBB47_1279
.LBB47_1276:
	s_and_not1_saveexec_b32 s7, s7
	s_cbranch_execz .LBB47_1257
.LBB47_1277:
	v_cmp_ne_u16_e32 vcc_lo, 0, v0
	s_and_not1_b32 s8, s8, exec_lo
	s_and_b32 s10, vcc_lo, exec_lo
	s_delay_alu instid0(SALU_CYCLE_1)
	s_or_b32 s8, s8, s10
	s_or_b32 exec_lo, exec_lo, s7
	v_mov_b32_e32 v4, 0
	s_and_saveexec_b32 s7, s8
	s_cbranch_execnz .LBB47_1258
	s_branch .LBB47_1259
.LBB47_1278:
	s_mov_b32 s6, -1
.LBB47_1279:
                                        ; implicit-def: $vgpr4
.LBB47_1280:
	s_and_b32 vcc_lo, exec_lo, s7
	s_mov_b32 s7, 0
	s_cbranch_vccz .LBB47_1282
; %bb.1281:
	s_cmp_lg_u32 s1, 11
	s_mov_b32 s7, -1
	s_cselect_b32 s1, -1, 0
	s_and_not1_b32 s6, s6, exec_lo
	s_and_b32 s1, s1, exec_lo
	s_delay_alu instid0(SALU_CYCLE_1)
	s_or_b32 s6, s6, s1
.LBB47_1282:
	s_mov_b32 s1, 0
.LBB47_1283:
	s_delay_alu instid0(SALU_CYCLE_1)
	s_and_b32 s50, s1, exec_lo
	s_and_not1_b32 s1, s47, exec_lo
	s_and_b32 s6, s6, exec_lo
	s_and_b32 s24, s8, exec_lo
	;; [unrolled: 1-line block ×3, first 2 shown]
	s_or_b32 s51, s1, s6
.LBB47_1284:
	s_wait_xcnt 0x0
	s_or_b32 exec_lo, exec_lo, s36
	s_delay_alu instid0(SALU_CYCLE_1)
	s_and_not1_b32 s1, s47, exec_lo
	s_and_b32 s6, s51, exec_lo
	s_and_b32 s24, s24, exec_lo
	s_and_b32 s50, s50, exec_lo
	s_and_b32 s25, s25, exec_lo
	s_or_b32 s47, s1, s6
.LBB47_1285:
	s_or_b32 exec_lo, exec_lo, s46
	s_delay_alu instid0(SALU_CYCLE_1)
	s_and_not1_b32 s1, s43, exec_lo
	s_and_b32 s6, s48, exec_lo
	s_and_not1_b32 s7, s44, exec_lo
	s_and_b32 s8, s49, exec_lo
	s_or_b32 s43, s1, s6
	s_and_not1_b32 s1, s42, exec_lo
	s_and_b32 s6, s47, exec_lo
	s_or_b32 s44, s7, s8
	s_and_b32 s24, s24, exec_lo
	s_and_b32 s46, s50, exec_lo
	;; [unrolled: 1-line block ×3, first 2 shown]
	s_or_b32 s42, s1, s6
.LBB47_1286:
	s_or_b32 exec_lo, exec_lo, s45
	s_delay_alu instid0(SALU_CYCLE_1)
	s_and_not1_b32 s1, s38, exec_lo
	s_and_b32 s6, s43, exec_lo
	s_and_not1_b32 s7, s39, exec_lo
	s_and_b32 s8, s44, exec_lo
	s_or_b32 s38, s1, s6
	s_and_not1_b32 s1, s40, exec_lo
	s_and_b32 s6, s42, exec_lo
	s_or_b32 s39, s7, s8
	s_and_b32 s24, s24, exec_lo
	s_and_b32 s43, s46, exec_lo
	;; [unrolled: 1-line block ×3, first 2 shown]
	s_or_b32 s40, s1, s6
	s_or_b32 exec_lo, exec_lo, s41
	s_mov_b32 s1, 0
	s_and_saveexec_b32 s6, s40
	s_cbranch_execz .LBB47_400
.LBB47_1287:
	s_mov_b32 s1, exec_lo
	s_and_not1_b32 s19, s19, exec_lo
	s_trap 2
	s_or_b32 exec_lo, exec_lo, s6
	s_and_saveexec_b32 s6, s19
	s_delay_alu instid0(SALU_CYCLE_1)
	s_xor_b32 s6, exec_lo, s6
	s_cbranch_execnz .LBB47_401
.LBB47_1288:
	s_or_b32 exec_lo, exec_lo, s6
	s_and_saveexec_b32 s6, s43
	s_cbranch_execz .LBB47_1334
.LBB47_1289:
	s_sext_i32_i16 s7, s0
	s_delay_alu instid0(SALU_CYCLE_1)
	s_cmp_lt_i32 s7, 5
	s_cbranch_scc1 .LBB47_1294
; %bb.1290:
	s_cmp_lt_i32 s7, 8
	s_cbranch_scc1 .LBB47_1295
; %bb.1291:
	;; [unrolled: 3-line block ×3, first 2 shown]
	s_cmp_gt_i32 s7, 9
	s_cbranch_scc0 .LBB47_1297
; %bb.1293:
	s_wait_loadcnt 0x0
	global_load_b64 v[0:1], v[8:9], off
	s_mov_b32 s7, 0
	s_wait_loadcnt 0x0
	v_trunc_f64_e32 v[0:1], v[0:1]
	s_delay_alu instid0(VALU_DEP_1) | instskip(NEXT) | instid1(VALU_DEP_1)
	v_ldexp_f64 v[4:5], v[0:1], 0xffffffe0
	v_floor_f64_e32 v[4:5], v[4:5]
	s_delay_alu instid0(VALU_DEP_1) | instskip(NEXT) | instid1(VALU_DEP_1)
	v_fmamk_f64 v[0:1], v[4:5], 0xc1f00000, v[0:1]
	v_cvt_u32_f64_e32 v4, v[0:1]
	s_branch .LBB47_1298
.LBB47_1294:
                                        ; implicit-def: $vgpr4
	s_branch .LBB47_1315
.LBB47_1295:
                                        ; implicit-def: $vgpr4
	s_branch .LBB47_1304
.LBB47_1296:
	s_mov_b32 s7, -1
                                        ; implicit-def: $vgpr4
	s_branch .LBB47_1301
.LBB47_1297:
	s_mov_b32 s7, -1
                                        ; implicit-def: $vgpr4
.LBB47_1298:
	s_delay_alu instid0(SALU_CYCLE_1)
	s_and_not1_b32 vcc_lo, exec_lo, s7
	s_cbranch_vccnz .LBB47_1300
; %bb.1299:
	s_wait_loadcnt 0x0
	global_load_b32 v0, v[8:9], off
	s_wait_loadcnt 0x0
	v_trunc_f32_e32 v0, v0
	s_delay_alu instid0(VALU_DEP_1) | instskip(NEXT) | instid1(VALU_DEP_1)
	v_mul_f32_e64 v1, 0x2f800000, |v0|
	v_floor_f32_e32 v1, v1
	s_delay_alu instid0(VALU_DEP_1) | instskip(SKIP_1) | instid1(VALU_DEP_2)
	v_fma_f32 v1, 0xcf800000, v1, |v0|
	v_ashrrev_i32_e32 v0, 31, v0
	v_cvt_u32_f32_e32 v1, v1
	s_delay_alu instid0(VALU_DEP_1) | instskip(NEXT) | instid1(VALU_DEP_1)
	v_xor_b32_e32 v1, v1, v0
	v_sub_nc_u32_e32 v4, v1, v0
.LBB47_1300:
	s_mov_b32 s7, 0
.LBB47_1301:
	s_delay_alu instid0(SALU_CYCLE_1)
	s_and_not1_b32 vcc_lo, exec_lo, s7
	s_cbranch_vccnz .LBB47_1303
; %bb.1302:
	s_wait_loadcnt 0x0
	global_load_b32 v0, v[8:9], off
	s_wait_loadcnt 0x0
	v_cvt_f32_f16_e32 v0, v0
	s_delay_alu instid0(VALU_DEP_1)
	v_cvt_i32_f32_e32 v4, v0
.LBB47_1303:
	s_cbranch_execnz .LBB47_1314
.LBB47_1304:
	s_sext_i32_i16 s7, s0
	s_delay_alu instid0(SALU_CYCLE_1)
	s_cmp_lt_i32 s7, 6
	s_cbranch_scc1 .LBB47_1307
; %bb.1305:
	s_cmp_gt_i32 s7, 6
	s_cbranch_scc0 .LBB47_1308
; %bb.1306:
	s_wait_loadcnt 0x0
	global_load_b64 v[0:1], v[8:9], off
	s_mov_b32 s7, 0
	s_wait_loadcnt 0x0
	v_trunc_f64_e32 v[0:1], v[0:1]
	s_delay_alu instid0(VALU_DEP_1) | instskip(NEXT) | instid1(VALU_DEP_1)
	v_ldexp_f64 v[4:5], v[0:1], 0xffffffe0
	v_floor_f64_e32 v[4:5], v[4:5]
	s_delay_alu instid0(VALU_DEP_1) | instskip(NEXT) | instid1(VALU_DEP_1)
	v_fmamk_f64 v[0:1], v[4:5], 0xc1f00000, v[0:1]
	v_cvt_u32_f64_e32 v4, v[0:1]
	s_branch .LBB47_1309
.LBB47_1307:
	s_mov_b32 s7, -1
                                        ; implicit-def: $vgpr4
	s_branch .LBB47_1312
.LBB47_1308:
	s_mov_b32 s7, -1
                                        ; implicit-def: $vgpr4
.LBB47_1309:
	s_delay_alu instid0(SALU_CYCLE_1)
	s_and_not1_b32 vcc_lo, exec_lo, s7
	s_cbranch_vccnz .LBB47_1311
; %bb.1310:
	s_wait_loadcnt 0x0
	global_load_b32 v0, v[8:9], off
	s_wait_loadcnt 0x0
	v_trunc_f32_e32 v0, v0
	s_delay_alu instid0(VALU_DEP_1) | instskip(NEXT) | instid1(VALU_DEP_1)
	v_mul_f32_e64 v1, 0x2f800000, |v0|
	v_floor_f32_e32 v1, v1
	s_delay_alu instid0(VALU_DEP_1) | instskip(SKIP_1) | instid1(VALU_DEP_2)
	v_fma_f32 v1, 0xcf800000, v1, |v0|
	v_ashrrev_i32_e32 v0, 31, v0
	v_cvt_u32_f32_e32 v1, v1
	s_delay_alu instid0(VALU_DEP_1) | instskip(NEXT) | instid1(VALU_DEP_1)
	v_xor_b32_e32 v1, v1, v0
	v_sub_nc_u32_e32 v4, v1, v0
.LBB47_1311:
	s_mov_b32 s7, 0
.LBB47_1312:
	s_delay_alu instid0(SALU_CYCLE_1)
	s_and_not1_b32 vcc_lo, exec_lo, s7
	s_cbranch_vccnz .LBB47_1314
; %bb.1313:
	s_wait_loadcnt 0x0
	global_load_u16 v0, v[8:9], off
	s_wait_loadcnt 0x0
	v_cvt_f32_f16_e32 v0, v0
	s_delay_alu instid0(VALU_DEP_1)
	v_cvt_i32_f32_e32 v4, v0
.LBB47_1314:
	s_cbranch_execnz .LBB47_1333
.LBB47_1315:
	s_sext_i32_i16 s7, s0
	s_delay_alu instid0(SALU_CYCLE_1)
	s_cmp_lt_i32 s7, 2
	s_cbranch_scc1 .LBB47_1319
; %bb.1316:
	s_cmp_lt_i32 s7, 3
	s_cbranch_scc1 .LBB47_1320
; %bb.1317:
	s_cmp_gt_i32 s7, 3
	s_cbranch_scc0 .LBB47_1321
; %bb.1318:
	s_wait_loadcnt 0x0
	global_load_b64 v[4:5], v[8:9], off
	s_mov_b32 s7, 0
	s_branch .LBB47_1322
.LBB47_1319:
                                        ; implicit-def: $vgpr4
	s_branch .LBB47_1328
.LBB47_1320:
	s_mov_b32 s7, -1
                                        ; implicit-def: $vgpr4
	s_branch .LBB47_1325
.LBB47_1321:
	s_mov_b32 s7, -1
                                        ; implicit-def: $vgpr4
.LBB47_1322:
	s_delay_alu instid0(SALU_CYCLE_1)
	s_and_not1_b32 vcc_lo, exec_lo, s7
	s_cbranch_vccnz .LBB47_1324
; %bb.1323:
	s_wait_loadcnt 0x0
	global_load_b32 v4, v[8:9], off
.LBB47_1324:
	s_mov_b32 s7, 0
.LBB47_1325:
	s_delay_alu instid0(SALU_CYCLE_1)
	s_and_not1_b32 vcc_lo, exec_lo, s7
	s_cbranch_vccnz .LBB47_1327
; %bb.1326:
	s_wait_loadcnt 0x0
	global_load_u16 v4, v[8:9], off
.LBB47_1327:
	s_cbranch_execnz .LBB47_1333
.LBB47_1328:
	s_sext_i32_i16 s0, s0
	s_delay_alu instid0(SALU_CYCLE_1)
	s_cmp_gt_i32 s0, 0
	s_mov_b32 s0, 0
	s_cbranch_scc0 .LBB47_1330
; %bb.1329:
	s_wait_loadcnt 0x0
	global_load_u8 v4, v[8:9], off
	s_branch .LBB47_1331
.LBB47_1330:
	s_mov_b32 s0, -1
                                        ; implicit-def: $vgpr4
.LBB47_1331:
	s_delay_alu instid0(SALU_CYCLE_1)
	s_and_not1_b32 vcc_lo, exec_lo, s0
	s_cbranch_vccnz .LBB47_1333
; %bb.1332:
	s_wait_loadcnt 0x0
	global_load_u8 v4, v[8:9], off
.LBB47_1333:
	s_or_b32 s24, s24, exec_lo
.LBB47_1334:
	s_wait_xcnt 0x0
	s_or_b32 exec_lo, exec_lo, s6
	s_mov_b32 s8, 0
	s_mov_b32 s7, 0
	;; [unrolled: 1-line block ×3, first 2 shown]
                                        ; implicit-def: $sgpr0
                                        ; implicit-def: $vgpr0_vgpr1
                                        ; implicit-def: $vgpr8
	s_and_saveexec_b32 s6, s24
	s_cbranch_execz .LBB47_1342
; %bb.1335:
	v_mov_b32_e32 v7, 0
	s_and_b32 s0, s9, 0xff
	s_delay_alu instid0(SALU_CYCLE_1) | instskip(NEXT) | instid1(VALU_DEP_1)
	s_cmp_lt_i32 s0, 11
	v_add_nc_u64_e32 v[0:1], s[16:17], v[6:7]
	s_cbranch_scc1 .LBB47_1345
; %bb.1336:
	s_and_b32 s7, 0xffff, s0
	s_mov_b32 s9, 0
	s_cmp_gt_i32 s7, 25
	s_cbranch_scc0 .LBB47_1346
; %bb.1337:
	s_cmp_gt_i32 s7, 28
	s_cbranch_scc0 .LBB47_1347
; %bb.1338:
	;; [unrolled: 3-line block ×4, first 2 shown]
	s_cmp_eq_u32 s7, 46
	s_mov_b32 s11, 0
	s_cbranch_scc0 .LBB47_1350
; %bb.1341:
	global_load_b32 v3, v[0:1], off
	s_mov_b32 s10, -1
	s_wait_loadcnt 0x0
	v_lshlrev_b32_e32 v3, 16, v3
	s_delay_alu instid0(VALU_DEP_1) | instskip(NEXT) | instid1(VALU_DEP_1)
	v_trunc_f32_e32 v3, v3
	v_mul_f32_e64 v5, 0x2f800000, |v3|
	s_delay_alu instid0(VALU_DEP_1) | instskip(NEXT) | instid1(VALU_DEP_1)
	v_floor_f32_e32 v5, v5
	v_fma_f32 v5, 0xcf800000, v5, |v3|
	v_ashrrev_i32_e32 v3, 31, v3
	s_delay_alu instid0(VALU_DEP_2) | instskip(NEXT) | instid1(VALU_DEP_1)
	v_cvt_u32_f32_e32 v5, v5
	v_xor_b32_e32 v5, v5, v3
	s_delay_alu instid0(VALU_DEP_1)
	v_sub_nc_u32_e32 v8, v5, v3
	s_branch .LBB47_1352
.LBB47_1342:
	s_or_b32 exec_lo, exec_lo, s6
	s_and_saveexec_b32 s6, s39
	s_cbranch_execnz .LBB47_1411
.LBB47_1343:
	s_or_b32 exec_lo, exec_lo, s6
	s_and_saveexec_b32 s6, s8
	s_delay_alu instid0(SALU_CYCLE_1)
	s_xor_b32 s6, exec_lo, s6
	s_cbranch_execz .LBB47_1412
.LBB47_1344:
	global_load_u8 v3, v[0:1], off
	s_or_b32 s10, s10, exec_lo
	s_wait_loadcnt 0x0
	v_cmp_ne_u16_e32 vcc_lo, 0, v3
	v_cndmask_b32_e64 v8, 0, 1, vcc_lo
	s_wait_xcnt 0x0
	s_or_b32 exec_lo, exec_lo, s6
	s_and_saveexec_b32 s6, s7
	s_cbranch_execz .LBB47_1458
	s_branch .LBB47_1413
.LBB47_1345:
	s_mov_b32 s7, -1
	s_mov_b32 s9, 0
	s_mov_b32 s8, s39
                                        ; implicit-def: $vgpr8
	s_branch .LBB47_1410
.LBB47_1346:
	s_mov_b32 s8, s39
                                        ; implicit-def: $vgpr8
	s_cbranch_execnz .LBB47_1379
	s_branch .LBB47_1409
.LBB47_1347:
	s_mov_b32 s11, -1
	s_mov_b32 s8, s39
                                        ; implicit-def: $vgpr8
	s_branch .LBB47_1362
.LBB47_1348:
	s_mov_b32 s11, -1
	s_mov_b32 s8, s39
                                        ; implicit-def: $vgpr8
	s_branch .LBB47_1357
.LBB47_1349:
	s_mov_b32 s11, -1
	s_mov_b32 s8, s39
	s_branch .LBB47_1351
.LBB47_1350:
	s_mov_b32 s8, -1
.LBB47_1351:
                                        ; implicit-def: $vgpr8
.LBB47_1352:
	s_and_b32 vcc_lo, exec_lo, s11
	s_cbranch_vccz .LBB47_1356
; %bb.1353:
	s_cmp_eq_u32 s7, 44
	s_cbranch_scc0 .LBB47_1355
; %bb.1354:
	global_load_u8 v3, v[0:1], off
	s_mov_b32 s8, 0
	s_mov_b32 s10, -1
	s_wait_loadcnt 0x0
	v_lshlrev_b32_e32 v5, 23, v3
	v_cmp_ne_u32_e32 vcc_lo, 0, v3
	s_delay_alu instid0(VALU_DEP_2) | instskip(NEXT) | instid1(VALU_DEP_1)
	v_trunc_f32_e32 v5, v5
	v_mul_f32_e64 v6, 0x2f800000, |v5|
	s_delay_alu instid0(VALU_DEP_1) | instskip(NEXT) | instid1(VALU_DEP_1)
	v_floor_f32_e32 v6, v6
	v_fma_f32 v6, 0xcf800000, v6, |v5|
	v_ashrrev_i32_e32 v5, 31, v5
	s_delay_alu instid0(VALU_DEP_2) | instskip(NEXT) | instid1(VALU_DEP_1)
	v_cvt_u32_f32_e32 v6, v6
	v_xor_b32_e32 v6, v6, v5
	s_delay_alu instid0(VALU_DEP_1) | instskip(NEXT) | instid1(VALU_DEP_1)
	v_sub_nc_u32_e32 v5, v6, v5
	v_cndmask_b32_e32 v8, 0, v5, vcc_lo
	s_branch .LBB47_1356
.LBB47_1355:
	s_mov_b32 s8, -1
                                        ; implicit-def: $vgpr8
.LBB47_1356:
	s_mov_b32 s11, 0
.LBB47_1357:
	s_delay_alu instid0(SALU_CYCLE_1)
	s_and_b32 vcc_lo, exec_lo, s11
	s_cbranch_vccz .LBB47_1361
; %bb.1358:
	s_cmp_eq_u32 s7, 29
	s_cbranch_scc0 .LBB47_1360
; %bb.1359:
	s_wait_loadcnt 0x0
	global_load_b64 v[8:9], v[0:1], off
	s_mov_b32 s8, 0
	s_mov_b32 s10, -1
	s_branch .LBB47_1361
.LBB47_1360:
	s_mov_b32 s8, -1
                                        ; implicit-def: $vgpr8
.LBB47_1361:
	s_mov_b32 s11, 0
.LBB47_1362:
	s_delay_alu instid0(SALU_CYCLE_1)
	s_and_b32 vcc_lo, exec_lo, s11
	s_cbranch_vccz .LBB47_1378
; %bb.1363:
	s_cmp_lt_i32 s7, 27
	s_cbranch_scc1 .LBB47_1366
; %bb.1364:
	s_cmp_gt_i32 s7, 27
	s_cbranch_scc0 .LBB47_1367
; %bb.1365:
	s_wait_loadcnt 0x0
	global_load_b32 v8, v[0:1], off
	s_mov_b32 s10, 0
	s_branch .LBB47_1368
.LBB47_1366:
	s_mov_b32 s10, -1
                                        ; implicit-def: $vgpr8
	s_branch .LBB47_1371
.LBB47_1367:
	s_mov_b32 s10, -1
                                        ; implicit-def: $vgpr8
.LBB47_1368:
	s_delay_alu instid0(SALU_CYCLE_1)
	s_and_not1_b32 vcc_lo, exec_lo, s10
	s_cbranch_vccnz .LBB47_1370
; %bb.1369:
	s_wait_loadcnt 0x0
	global_load_u16 v8, v[0:1], off
.LBB47_1370:
	s_mov_b32 s10, 0
.LBB47_1371:
	s_delay_alu instid0(SALU_CYCLE_1)
	s_and_not1_b32 vcc_lo, exec_lo, s10
	s_cbranch_vccnz .LBB47_1377
; %bb.1372:
	global_load_u8 v3, v[0:1], off
	s_mov_b32 s11, 0
	s_mov_b32 s10, exec_lo
	s_wait_loadcnt 0x0
	v_cmpx_lt_i16_e32 0x7f, v3
	s_xor_b32 s10, exec_lo, s10
	s_cbranch_execz .LBB47_1388
; %bb.1373:
	v_cmp_ne_u16_e32 vcc_lo, 0x80, v3
	s_and_b32 s11, vcc_lo, exec_lo
	s_and_not1_saveexec_b32 s10, s10
	s_cbranch_execnz .LBB47_1389
.LBB47_1374:
	s_or_b32 exec_lo, exec_lo, s10
	v_mov_b32_e32 v8, 0
	s_and_saveexec_b32 s10, s11
	s_cbranch_execz .LBB47_1376
.LBB47_1375:
	v_and_b32_e32 v5, 0xffff, v3
	s_delay_alu instid0(VALU_DEP_1) | instskip(SKIP_1) | instid1(VALU_DEP_2)
	v_and_b32_e32 v6, 7, v5
	v_bfe_u32 v9, v5, 3, 4
	v_clz_i32_u32_e32 v7, v6
	s_delay_alu instid0(VALU_DEP_2) | instskip(NEXT) | instid1(VALU_DEP_2)
	v_cmp_eq_u32_e32 vcc_lo, 0, v9
	v_min_u32_e32 v7, 32, v7
	s_delay_alu instid0(VALU_DEP_1) | instskip(NEXT) | instid1(VALU_DEP_1)
	v_subrev_nc_u32_e32 v8, 28, v7
	v_dual_lshlrev_b32 v5, v8, v5 :: v_dual_sub_nc_u32 v7, 29, v7
	s_delay_alu instid0(VALU_DEP_1) | instskip(NEXT) | instid1(VALU_DEP_1)
	v_dual_lshlrev_b32 v3, 24, v3 :: v_dual_bitop2_b32 v5, 7, v5 bitop3:0x40
	v_dual_cndmask_b32 v5, v6, v5, vcc_lo :: v_dual_cndmask_b32 v7, v9, v7, vcc_lo
	s_delay_alu instid0(VALU_DEP_2) | instskip(NEXT) | instid1(VALU_DEP_2)
	v_and_b32_e32 v3, 0x80000000, v3
	v_lshlrev_b32_e32 v5, 20, v5
	s_delay_alu instid0(VALU_DEP_3) | instskip(NEXT) | instid1(VALU_DEP_1)
	v_lshl_add_u32 v6, v7, 23, 0x3b800000
	v_or3_b32 v3, v3, v6, v5
	s_delay_alu instid0(VALU_DEP_1) | instskip(NEXT) | instid1(VALU_DEP_1)
	v_trunc_f32_e32 v3, v3
	v_mul_f32_e64 v5, 0x2f800000, |v3|
	s_delay_alu instid0(VALU_DEP_1) | instskip(NEXT) | instid1(VALU_DEP_1)
	v_floor_f32_e32 v5, v5
	v_fma_f32 v5, 0xcf800000, v5, |v3|
	v_ashrrev_i32_e32 v3, 31, v3
	s_delay_alu instid0(VALU_DEP_2) | instskip(NEXT) | instid1(VALU_DEP_1)
	v_cvt_u32_f32_e32 v5, v5
	v_xor_b32_e32 v5, v5, v3
	s_delay_alu instid0(VALU_DEP_1)
	v_sub_nc_u32_e32 v8, v5, v3
.LBB47_1376:
	s_or_b32 exec_lo, exec_lo, s10
.LBB47_1377:
	s_mov_b32 s10, -1
.LBB47_1378:
	s_branch .LBB47_1409
.LBB47_1379:
	s_cmp_gt_i32 s7, 22
	s_cbranch_scc0 .LBB47_1387
; %bb.1380:
	s_cmp_lt_i32 s7, 24
	s_cbranch_scc1 .LBB47_1390
; %bb.1381:
	s_cmp_gt_i32 s7, 24
	s_cbranch_scc0 .LBB47_1391
; %bb.1382:
	global_load_u8 v3, v[0:1], off
	s_mov_b32 s10, 0
	s_mov_b32 s9, exec_lo
	s_wait_loadcnt 0x0
	v_cmpx_lt_i16_e32 0x7f, v3
	s_xor_b32 s9, exec_lo, s9
	s_cbranch_execz .LBB47_1403
; %bb.1383:
	v_cmp_ne_u16_e32 vcc_lo, 0x80, v3
	s_and_b32 s10, vcc_lo, exec_lo
	s_and_not1_saveexec_b32 s9, s9
	s_cbranch_execnz .LBB47_1404
.LBB47_1384:
	s_or_b32 exec_lo, exec_lo, s9
	v_mov_b32_e32 v8, 0
	s_and_saveexec_b32 s9, s10
	s_cbranch_execz .LBB47_1386
.LBB47_1385:
	v_and_b32_e32 v5, 0xffff, v3
	s_delay_alu instid0(VALU_DEP_1) | instskip(SKIP_1) | instid1(VALU_DEP_2)
	v_and_b32_e32 v6, 3, v5
	v_bfe_u32 v9, v5, 2, 5
	v_clz_i32_u32_e32 v7, v6
	s_delay_alu instid0(VALU_DEP_2) | instskip(NEXT) | instid1(VALU_DEP_2)
	v_cmp_eq_u32_e32 vcc_lo, 0, v9
	v_min_u32_e32 v7, 32, v7
	s_delay_alu instid0(VALU_DEP_1) | instskip(NEXT) | instid1(VALU_DEP_1)
	v_subrev_nc_u32_e32 v8, 29, v7
	v_dual_lshlrev_b32 v5, v8, v5 :: v_dual_sub_nc_u32 v7, 30, v7
	s_delay_alu instid0(VALU_DEP_1) | instskip(NEXT) | instid1(VALU_DEP_1)
	v_dual_lshlrev_b32 v3, 24, v3 :: v_dual_bitop2_b32 v5, 3, v5 bitop3:0x40
	v_dual_cndmask_b32 v5, v6, v5, vcc_lo :: v_dual_cndmask_b32 v7, v9, v7, vcc_lo
	s_delay_alu instid0(VALU_DEP_2) | instskip(NEXT) | instid1(VALU_DEP_2)
	v_and_b32_e32 v3, 0x80000000, v3
	v_lshlrev_b32_e32 v5, 21, v5
	s_delay_alu instid0(VALU_DEP_3) | instskip(NEXT) | instid1(VALU_DEP_1)
	v_lshl_add_u32 v6, v7, 23, 0x37800000
	v_or3_b32 v3, v3, v6, v5
	s_delay_alu instid0(VALU_DEP_1) | instskip(NEXT) | instid1(VALU_DEP_1)
	v_trunc_f32_e32 v3, v3
	v_mul_f32_e64 v5, 0x2f800000, |v3|
	s_delay_alu instid0(VALU_DEP_1) | instskip(NEXT) | instid1(VALU_DEP_1)
	v_floor_f32_e32 v5, v5
	v_fma_f32 v5, 0xcf800000, v5, |v3|
	v_ashrrev_i32_e32 v3, 31, v3
	s_delay_alu instid0(VALU_DEP_2) | instskip(NEXT) | instid1(VALU_DEP_1)
	v_cvt_u32_f32_e32 v5, v5
	v_xor_b32_e32 v5, v5, v3
	s_delay_alu instid0(VALU_DEP_1)
	v_sub_nc_u32_e32 v8, v5, v3
.LBB47_1386:
	s_or_b32 exec_lo, exec_lo, s9
	s_mov_b32 s9, 0
	s_branch .LBB47_1392
.LBB47_1387:
	s_mov_b32 s9, -1
                                        ; implicit-def: $vgpr8
	s_branch .LBB47_1398
.LBB47_1388:
	s_and_not1_saveexec_b32 s10, s10
	s_cbranch_execz .LBB47_1374
.LBB47_1389:
	v_cmp_ne_u16_e32 vcc_lo, 0, v3
	s_and_not1_b32 s11, s11, exec_lo
	s_and_b32 s12, vcc_lo, exec_lo
	s_delay_alu instid0(SALU_CYCLE_1)
	s_or_b32 s11, s11, s12
	s_or_b32 exec_lo, exec_lo, s10
	v_mov_b32_e32 v8, 0
	s_and_saveexec_b32 s10, s11
	s_cbranch_execnz .LBB47_1375
	s_branch .LBB47_1376
.LBB47_1390:
	s_mov_b32 s9, -1
                                        ; implicit-def: $vgpr8
	s_branch .LBB47_1395
.LBB47_1391:
	s_mov_b32 s9, -1
                                        ; implicit-def: $vgpr8
.LBB47_1392:
	s_delay_alu instid0(SALU_CYCLE_1)
	s_and_b32 vcc_lo, exec_lo, s9
	s_cbranch_vccz .LBB47_1394
; %bb.1393:
	global_load_u8 v3, v[0:1], off
	s_wait_loadcnt 0x0
	v_lshlrev_b32_e32 v3, 24, v3
	s_delay_alu instid0(VALU_DEP_1) | instskip(NEXT) | instid1(VALU_DEP_1)
	v_and_b32_e32 v5, 0x7f000000, v3
	v_clz_i32_u32_e32 v6, v5
	v_cmp_ne_u32_e32 vcc_lo, 0, v5
	v_add_nc_u32_e32 v8, 0x1000000, v5
	s_delay_alu instid0(VALU_DEP_3) | instskip(NEXT) | instid1(VALU_DEP_1)
	v_min_u32_e32 v6, 32, v6
	v_sub_nc_u32_e64 v6, v6, 4 clamp
	s_delay_alu instid0(VALU_DEP_1) | instskip(NEXT) | instid1(VALU_DEP_1)
	v_dual_lshlrev_b32 v7, v6, v5 :: v_dual_lshlrev_b32 v6, 23, v6
	v_lshrrev_b32_e32 v7, 4, v7
	s_delay_alu instid0(VALU_DEP_1) | instskip(NEXT) | instid1(VALU_DEP_1)
	v_dual_sub_nc_u32 v6, v7, v6 :: v_dual_ashrrev_i32 v7, 8, v8
	v_add_nc_u32_e32 v6, 0x3c000000, v6
	s_delay_alu instid0(VALU_DEP_1) | instskip(NEXT) | instid1(VALU_DEP_1)
	v_and_or_b32 v6, 0x7f800000, v7, v6
	v_cndmask_b32_e32 v5, 0, v6, vcc_lo
	s_delay_alu instid0(VALU_DEP_1) | instskip(NEXT) | instid1(VALU_DEP_1)
	v_and_or_b32 v3, 0x80000000, v3, v5
	v_trunc_f32_e32 v3, v3
	s_delay_alu instid0(VALU_DEP_1) | instskip(NEXT) | instid1(VALU_DEP_1)
	v_mul_f32_e64 v5, 0x2f800000, |v3|
	v_floor_f32_e32 v5, v5
	s_delay_alu instid0(VALU_DEP_1) | instskip(SKIP_1) | instid1(VALU_DEP_2)
	v_fma_f32 v5, 0xcf800000, v5, |v3|
	v_ashrrev_i32_e32 v3, 31, v3
	v_cvt_u32_f32_e32 v5, v5
	s_delay_alu instid0(VALU_DEP_1) | instskip(NEXT) | instid1(VALU_DEP_1)
	v_xor_b32_e32 v5, v5, v3
	v_sub_nc_u32_e32 v8, v5, v3
.LBB47_1394:
	s_mov_b32 s9, 0
.LBB47_1395:
	s_delay_alu instid0(SALU_CYCLE_1)
	s_and_not1_b32 vcc_lo, exec_lo, s9
	s_cbranch_vccnz .LBB47_1397
; %bb.1396:
	global_load_u8 v3, v[0:1], off
	s_wait_loadcnt 0x0
	v_lshlrev_b32_e32 v5, 25, v3
	v_lshlrev_b16 v3, 8, v3
	s_delay_alu instid0(VALU_DEP_1) | instskip(NEXT) | instid1(VALU_DEP_3)
	v_and_or_b32 v7, 0x7f00, v3, 0.5
	v_lshrrev_b32_e32 v6, 4, v5
	v_bfe_i32 v3, v3, 0, 16
	s_delay_alu instid0(VALU_DEP_3) | instskip(NEXT) | instid1(VALU_DEP_3)
	v_add_f32_e32 v7, -0.5, v7
	v_or_b32_e32 v6, 0x70000000, v6
	s_delay_alu instid0(VALU_DEP_1) | instskip(SKIP_1) | instid1(VALU_DEP_2)
	v_mul_f32_e32 v6, 0x7800000, v6
	v_cmp_gt_u32_e32 vcc_lo, 0x8000000, v5
	v_cndmask_b32_e32 v5, v6, v7, vcc_lo
	s_delay_alu instid0(VALU_DEP_1) | instskip(NEXT) | instid1(VALU_DEP_1)
	v_and_or_b32 v3, 0x80000000, v3, v5
	v_trunc_f32_e32 v3, v3
	s_delay_alu instid0(VALU_DEP_1) | instskip(NEXT) | instid1(VALU_DEP_1)
	v_mul_f32_e64 v5, 0x2f800000, |v3|
	v_floor_f32_e32 v5, v5
	s_delay_alu instid0(VALU_DEP_1) | instskip(SKIP_1) | instid1(VALU_DEP_2)
	v_fma_f32 v5, 0xcf800000, v5, |v3|
	v_ashrrev_i32_e32 v3, 31, v3
	v_cvt_u32_f32_e32 v5, v5
	s_delay_alu instid0(VALU_DEP_1) | instskip(NEXT) | instid1(VALU_DEP_1)
	v_xor_b32_e32 v5, v5, v3
	v_sub_nc_u32_e32 v8, v5, v3
.LBB47_1397:
	s_mov_b32 s9, 0
	s_mov_b32 s10, -1
.LBB47_1398:
	s_and_not1_b32 vcc_lo, exec_lo, s9
	s_mov_b32 s9, 0
	s_cbranch_vccnz .LBB47_1409
; %bb.1399:
	s_cmp_gt_i32 s7, 14
	s_cbranch_scc0 .LBB47_1402
; %bb.1400:
	s_cmp_eq_u32 s7, 15
	s_cbranch_scc0 .LBB47_1405
; %bb.1401:
	global_load_u16 v3, v[0:1], off
	s_mov_b32 s8, 0
	s_mov_b32 s10, -1
	s_wait_loadcnt 0x0
	v_lshlrev_b32_e32 v3, 16, v3
	s_delay_alu instid0(VALU_DEP_1) | instskip(NEXT) | instid1(VALU_DEP_1)
	v_trunc_f32_e32 v3, v3
	v_mul_f32_e64 v5, 0x2f800000, |v3|
	s_delay_alu instid0(VALU_DEP_1) | instskip(NEXT) | instid1(VALU_DEP_1)
	v_floor_f32_e32 v5, v5
	v_fma_f32 v5, 0xcf800000, v5, |v3|
	v_ashrrev_i32_e32 v3, 31, v3
	s_delay_alu instid0(VALU_DEP_2) | instskip(NEXT) | instid1(VALU_DEP_1)
	v_cvt_u32_f32_e32 v5, v5
	v_xor_b32_e32 v5, v5, v3
	s_delay_alu instid0(VALU_DEP_1)
	v_sub_nc_u32_e32 v8, v5, v3
	s_branch .LBB47_1407
.LBB47_1402:
	s_mov_b32 s9, -1
	s_branch .LBB47_1406
.LBB47_1403:
	s_and_not1_saveexec_b32 s9, s9
	s_cbranch_execz .LBB47_1384
.LBB47_1404:
	v_cmp_ne_u16_e32 vcc_lo, 0, v3
	s_and_not1_b32 s10, s10, exec_lo
	s_and_b32 s11, vcc_lo, exec_lo
	s_delay_alu instid0(SALU_CYCLE_1)
	s_or_b32 s10, s10, s11
	s_or_b32 exec_lo, exec_lo, s9
	v_mov_b32_e32 v8, 0
	s_and_saveexec_b32 s9, s10
	s_cbranch_execnz .LBB47_1385
	s_branch .LBB47_1386
.LBB47_1405:
	s_mov_b32 s8, -1
.LBB47_1406:
                                        ; implicit-def: $vgpr8
.LBB47_1407:
	s_and_b32 vcc_lo, exec_lo, s9
	s_mov_b32 s9, 0
	s_cbranch_vccz .LBB47_1409
; %bb.1408:
	s_cmp_lg_u32 s7, 11
	s_mov_b32 s9, -1
	s_cselect_b32 s7, -1, 0
	s_and_not1_b32 s8, s8, exec_lo
	s_and_b32 s7, s7, exec_lo
	s_delay_alu instid0(SALU_CYCLE_1)
	s_or_b32 s8, s8, s7
.LBB47_1409:
	s_mov_b32 s7, 0
.LBB47_1410:
	s_and_not1_b32 s11, s39, exec_lo
	s_and_b32 s12, s8, exec_lo
	s_and_b32 s10, s10, exec_lo
	;; [unrolled: 1-line block ×4, first 2 shown]
	s_or_b32 s39, s11, s12
	s_wait_xcnt 0x0
	s_or_b32 exec_lo, exec_lo, s6
	s_and_saveexec_b32 s6, s39
	s_cbranch_execz .LBB47_1343
.LBB47_1411:
	s_or_b32 s1, s1, exec_lo
	s_and_not1_b32 s8, s8, exec_lo
	s_trap 2
	s_or_b32 exec_lo, exec_lo, s6
	s_and_saveexec_b32 s6, s8
	s_delay_alu instid0(SALU_CYCLE_1)
	s_xor_b32 s6, exec_lo, s6
	s_cbranch_execnz .LBB47_1344
.LBB47_1412:
	s_or_b32 exec_lo, exec_lo, s6
	s_and_saveexec_b32 s6, s7
	s_cbranch_execz .LBB47_1458
.LBB47_1413:
	s_sext_i32_i16 s7, s0
	s_delay_alu instid0(SALU_CYCLE_1)
	s_cmp_lt_i32 s7, 5
	s_cbranch_scc1 .LBB47_1418
; %bb.1414:
	s_cmp_lt_i32 s7, 8
	s_cbranch_scc1 .LBB47_1419
; %bb.1415:
	;; [unrolled: 3-line block ×3, first 2 shown]
	s_cmp_gt_i32 s7, 9
	s_cbranch_scc0 .LBB47_1421
; %bb.1417:
	global_load_b64 v[6:7], v[0:1], off
	s_mov_b32 s7, 0
	s_wait_loadcnt 0x0
	v_trunc_f64_e32 v[6:7], v[6:7]
	s_delay_alu instid0(VALU_DEP_1) | instskip(NEXT) | instid1(VALU_DEP_1)
	v_ldexp_f64 v[8:9], v[6:7], 0xffffffe0
	v_floor_f64_e32 v[8:9], v[8:9]
	s_delay_alu instid0(VALU_DEP_1) | instskip(NEXT) | instid1(VALU_DEP_1)
	v_fmamk_f64 v[6:7], v[8:9], 0xc1f00000, v[6:7]
	v_cvt_u32_f64_e32 v8, v[6:7]
	s_branch .LBB47_1422
.LBB47_1418:
                                        ; implicit-def: $vgpr8
	s_branch .LBB47_1439
.LBB47_1419:
                                        ; implicit-def: $vgpr8
	s_branch .LBB47_1428
.LBB47_1420:
	s_mov_b32 s7, -1
                                        ; implicit-def: $vgpr8
	s_branch .LBB47_1425
.LBB47_1421:
	s_mov_b32 s7, -1
                                        ; implicit-def: $vgpr8
.LBB47_1422:
	s_delay_alu instid0(SALU_CYCLE_1)
	s_and_not1_b32 vcc_lo, exec_lo, s7
	s_cbranch_vccnz .LBB47_1424
; %bb.1423:
	global_load_b32 v3, v[0:1], off
	s_wait_loadcnt 0x0
	v_trunc_f32_e32 v3, v3
	s_delay_alu instid0(VALU_DEP_1) | instskip(NEXT) | instid1(VALU_DEP_1)
	v_mul_f32_e64 v5, 0x2f800000, |v3|
	v_floor_f32_e32 v5, v5
	s_delay_alu instid0(VALU_DEP_1) | instskip(SKIP_1) | instid1(VALU_DEP_2)
	v_fma_f32 v5, 0xcf800000, v5, |v3|
	v_ashrrev_i32_e32 v3, 31, v3
	v_cvt_u32_f32_e32 v5, v5
	s_delay_alu instid0(VALU_DEP_1) | instskip(NEXT) | instid1(VALU_DEP_1)
	v_xor_b32_e32 v5, v5, v3
	v_sub_nc_u32_e32 v8, v5, v3
.LBB47_1424:
	s_mov_b32 s7, 0
.LBB47_1425:
	s_delay_alu instid0(SALU_CYCLE_1)
	s_and_not1_b32 vcc_lo, exec_lo, s7
	s_cbranch_vccnz .LBB47_1427
; %bb.1426:
	global_load_b32 v3, v[0:1], off
	s_wait_loadcnt 0x0
	v_cvt_f32_f16_e32 v3, v3
	s_delay_alu instid0(VALU_DEP_1)
	v_cvt_i32_f32_e32 v8, v3
.LBB47_1427:
	s_cbranch_execnz .LBB47_1438
.LBB47_1428:
	s_sext_i32_i16 s7, s0
	s_delay_alu instid0(SALU_CYCLE_1)
	s_cmp_lt_i32 s7, 6
	s_cbranch_scc1 .LBB47_1431
; %bb.1429:
	s_cmp_gt_i32 s7, 6
	s_cbranch_scc0 .LBB47_1432
; %bb.1430:
	global_load_b64 v[6:7], v[0:1], off
	s_mov_b32 s7, 0
	s_wait_loadcnt 0x0
	v_trunc_f64_e32 v[6:7], v[6:7]
	s_delay_alu instid0(VALU_DEP_1) | instskip(NEXT) | instid1(VALU_DEP_1)
	v_ldexp_f64 v[8:9], v[6:7], 0xffffffe0
	v_floor_f64_e32 v[8:9], v[8:9]
	s_delay_alu instid0(VALU_DEP_1) | instskip(NEXT) | instid1(VALU_DEP_1)
	v_fmamk_f64 v[6:7], v[8:9], 0xc1f00000, v[6:7]
	v_cvt_u32_f64_e32 v8, v[6:7]
	s_branch .LBB47_1433
.LBB47_1431:
	s_mov_b32 s7, -1
                                        ; implicit-def: $vgpr8
	s_branch .LBB47_1436
.LBB47_1432:
	s_mov_b32 s7, -1
                                        ; implicit-def: $vgpr8
.LBB47_1433:
	s_delay_alu instid0(SALU_CYCLE_1)
	s_and_not1_b32 vcc_lo, exec_lo, s7
	s_cbranch_vccnz .LBB47_1435
; %bb.1434:
	global_load_b32 v3, v[0:1], off
	s_wait_loadcnt 0x0
	v_trunc_f32_e32 v3, v3
	s_delay_alu instid0(VALU_DEP_1) | instskip(NEXT) | instid1(VALU_DEP_1)
	v_mul_f32_e64 v5, 0x2f800000, |v3|
	v_floor_f32_e32 v5, v5
	s_delay_alu instid0(VALU_DEP_1) | instskip(SKIP_1) | instid1(VALU_DEP_2)
	v_fma_f32 v5, 0xcf800000, v5, |v3|
	v_ashrrev_i32_e32 v3, 31, v3
	v_cvt_u32_f32_e32 v5, v5
	s_delay_alu instid0(VALU_DEP_1) | instskip(NEXT) | instid1(VALU_DEP_1)
	v_xor_b32_e32 v5, v5, v3
	v_sub_nc_u32_e32 v8, v5, v3
.LBB47_1435:
	s_mov_b32 s7, 0
.LBB47_1436:
	s_delay_alu instid0(SALU_CYCLE_1)
	s_and_not1_b32 vcc_lo, exec_lo, s7
	s_cbranch_vccnz .LBB47_1438
; %bb.1437:
	global_load_u16 v3, v[0:1], off
	s_wait_loadcnt 0x0
	v_cvt_f32_f16_e32 v3, v3
	s_delay_alu instid0(VALU_DEP_1)
	v_cvt_i32_f32_e32 v8, v3
.LBB47_1438:
	s_cbranch_execnz .LBB47_1457
.LBB47_1439:
	s_sext_i32_i16 s7, s0
	s_delay_alu instid0(SALU_CYCLE_1)
	s_cmp_lt_i32 s7, 2
	s_cbranch_scc1 .LBB47_1443
; %bb.1440:
	s_cmp_lt_i32 s7, 3
	s_cbranch_scc1 .LBB47_1444
; %bb.1441:
	s_cmp_gt_i32 s7, 3
	s_cbranch_scc0 .LBB47_1445
; %bb.1442:
	s_wait_loadcnt 0x0
	global_load_b64 v[8:9], v[0:1], off
	s_mov_b32 s7, 0
	s_branch .LBB47_1446
.LBB47_1443:
                                        ; implicit-def: $vgpr8
	s_branch .LBB47_1452
.LBB47_1444:
	s_mov_b32 s7, -1
                                        ; implicit-def: $vgpr8
	s_branch .LBB47_1449
.LBB47_1445:
	s_mov_b32 s7, -1
                                        ; implicit-def: $vgpr8
.LBB47_1446:
	s_delay_alu instid0(SALU_CYCLE_1)
	s_and_not1_b32 vcc_lo, exec_lo, s7
	s_cbranch_vccnz .LBB47_1448
; %bb.1447:
	s_wait_loadcnt 0x0
	global_load_b32 v8, v[0:1], off
.LBB47_1448:
	s_mov_b32 s7, 0
.LBB47_1449:
	s_delay_alu instid0(SALU_CYCLE_1)
	s_and_not1_b32 vcc_lo, exec_lo, s7
	s_cbranch_vccnz .LBB47_1451
; %bb.1450:
	s_wait_loadcnt 0x0
	global_load_u16 v8, v[0:1], off
.LBB47_1451:
	s_cbranch_execnz .LBB47_1457
.LBB47_1452:
	s_sext_i32_i16 s0, s0
	s_delay_alu instid0(SALU_CYCLE_1)
	s_cmp_gt_i32 s0, 0
	s_mov_b32 s0, 0
	s_cbranch_scc0 .LBB47_1454
; %bb.1453:
	s_wait_loadcnt 0x0
	global_load_u8 v8, v[0:1], off
	s_branch .LBB47_1455
.LBB47_1454:
	s_mov_b32 s0, -1
                                        ; implicit-def: $vgpr8
.LBB47_1455:
	s_delay_alu instid0(SALU_CYCLE_1)
	s_and_not1_b32 vcc_lo, exec_lo, s0
	s_cbranch_vccnz .LBB47_1457
; %bb.1456:
	s_wait_loadcnt 0x0
	global_load_u8 v8, v[0:1], off
.LBB47_1457:
	s_or_b32 s10, s10, exec_lo
.LBB47_1458:
	s_wait_xcnt 0x0
	s_or_b32 exec_lo, exec_lo, s6
	s_mov_b32 s0, 0
	s_mov_b32 s8, 0
                                        ; implicit-def: $sgpr6
                                        ; implicit-def: $vgpr0_vgpr1
                                        ; implicit-def: $vgpr5
	s_and_saveexec_b32 s7, s10
	s_cbranch_execz .LBB47_1472
; %bb.1459:
	s_wait_loadcnt 0x0
	v_and_b32_e32 v0, 0xff, v4
	s_mov_b32 s6, 0
	s_delay_alu instid0(VALU_DEP_1) | instskip(NEXT) | instid1(VALU_DEP_3)
	v_cmp_ne_u16_e32 vcc_lo, 0, v0
	v_mov_b32_e32 v0, v8
	s_and_saveexec_b32 s0, vcc_lo
	s_cbranch_execz .LBB47_1463
; %bb.1460:
	v_dual_mov_b32 v3, v4 :: v_dual_mov_b32 v1, v8
.LBB47_1461:                            ; =>This Inner Loop Header: Depth=1
	s_delay_alu instid0(VALU_DEP_1) | instskip(NEXT) | instid1(VALU_DEP_2)
	v_cvt_f32_ubyte0_e32 v6, v1
	v_mov_b32_e32 v0, v3
	s_delay_alu instid0(VALU_DEP_1) | instskip(NEXT) | instid1(VALU_DEP_1)
	v_cvt_f32_ubyte0_e32 v3, v0
	v_rcp_iflag_f32_e32 v5, v3
	v_nop
	s_delay_alu instid0(TRANS32_DEP_1) | instskip(NEXT) | instid1(VALU_DEP_1)
	v_mul_f32_e32 v5, v6, v5
	v_trunc_f32_e32 v5, v5
	s_delay_alu instid0(VALU_DEP_1) | instskip(SKIP_1) | instid1(VALU_DEP_2)
	v_fma_f32 v6, -v5, v3, v6
	v_cvt_u32_f32_e32 v5, v5
	v_cmp_ge_f32_e64 vcc_lo, |v6|, v3
	s_delay_alu instid0(VALU_DEP_1) | instskip(NEXT) | instid1(VALU_DEP_1)
	v_add_co_ci_u32_e64 v3, null, 0, v5, vcc_lo
	v_mul_lo_u32 v3, v3, v0
	s_delay_alu instid0(VALU_DEP_1) | instskip(NEXT) | instid1(VALU_DEP_1)
	v_sub_nc_u32_e32 v1, v1, v3
	v_and_b32_e32 v3, 0xff, v1
	v_mov_b32_e32 v1, v0
	s_delay_alu instid0(VALU_DEP_2) | instskip(SKIP_1) | instid1(SALU_CYCLE_1)
	v_cmp_eq_u16_e32 vcc_lo, 0, v3
	s_or_b32 s6, vcc_lo, s6
	s_and_not1_b32 exec_lo, exec_lo, s6
	s_cbranch_execnz .LBB47_1461
; %bb.1462:
	s_or_b32 exec_lo, exec_lo, s6
.LBB47_1463:
	s_delay_alu instid0(SALU_CYCLE_1) | instskip(NEXT) | instid1(VALU_DEP_1)
	s_or_b32 exec_lo, exec_lo, s0
	v_and_b32_e32 v1, 0xff, v0
	v_mov_b32_e32 v5, 0
	s_mov_b32 s0, exec_lo
	s_delay_alu instid0(VALU_DEP_2)
	v_cmpx_ne_u16_e32 0, v1
	s_cbranch_execz .LBB47_1465
; %bb.1464:
	v_cvt_f32_ubyte0_e32 v0, v0
	v_cvt_f32_ubyte0_e32 v3, v4
	s_delay_alu instid0(VALU_DEP_2) | instskip(SKIP_1) | instid1(TRANS32_DEP_1)
	v_rcp_iflag_f32_e32 v1, v0
	v_nop
	v_mul_f32_e32 v1, v3, v1
	s_delay_alu instid0(VALU_DEP_1) | instskip(NEXT) | instid1(VALU_DEP_1)
	v_trunc_f32_e32 v1, v1
	v_fma_f32 v3, -v1, v0, v3
	v_cvt_u32_f32_e32 v1, v1
	s_delay_alu instid0(VALU_DEP_2) | instskip(NEXT) | instid1(VALU_DEP_1)
	v_cmp_ge_f32_e64 vcc_lo, |v3|, v0
	v_add_co_ci_u32_e64 v0, null, 0, v1, vcc_lo
	s_delay_alu instid0(VALU_DEP_1)
	v_mul_lo_u16 v5, v0, v8
.LBB47_1465:
	s_or_b32 exec_lo, exec_lo, s0
	v_mov_b32_e32 v3, 0
	s_and_b32 s6, s31, 0xff
	s_delay_alu instid0(SALU_CYCLE_1) | instskip(NEXT) | instid1(VALU_DEP_1)
	s_cmp_lt_i32 s6, 11
	v_add_nc_u64_e32 v[0:1], s[4:5], v[2:3]
	s_cbranch_scc1 .LBB47_1475
; %bb.1466:
	s_and_b32 s4, 0xffff, s6
	s_mov_b32 s5, -1
	s_cmp_gt_i32 s4, 25
	s_mov_b32 s0, s38
	s_cbranch_scc0 .LBB47_1503
; %bb.1467:
	s_cmp_gt_i32 s4, 28
	s_mov_b32 s0, s38
	s_cbranch_scc0 .LBB47_1487
; %bb.1468:
	;; [unrolled: 4-line block ×4, first 2 shown]
	s_cmp_eq_u32 s4, 46
	s_mov_b32 s0, -1
	s_cbranch_scc0 .LBB47_1476
; %bb.1471:
	v_cvt_f32_ubyte0_e32 v2, v5
	s_mov_b32 s0, 0
	s_mov_b32 s5, 0
	s_delay_alu instid0(VALU_DEP_1) | instskip(NEXT) | instid1(VALU_DEP_1)
	v_bfe_u32 v3, v2, 16, 1
	v_add3_u32 v2, v2, v3, 0x7fff
	s_delay_alu instid0(VALU_DEP_1)
	v_lshrrev_b32_e32 v2, 16, v2
	global_store_b32 v[0:1], v2, off
	s_branch .LBB47_1477
.LBB47_1472:
	s_or_b32 exec_lo, exec_lo, s7
	s_and_saveexec_b32 s4, s38
	s_cbranch_execnz .LBB47_1545
.LBB47_1473:
	s_or_b32 exec_lo, exec_lo, s4
	s_and_saveexec_b32 s4, s0
	s_delay_alu instid0(SALU_CYCLE_1)
	s_xor_b32 s0, exec_lo, s4
	s_cbranch_execz .LBB47_1546
.LBB47_1474:
	s_wait_loadcnt 0x0
	v_and_b32_e32 v2, 0xff, v5
	s_delay_alu instid0(VALU_DEP_1)
	v_cmp_ne_u16_e32 vcc_lo, 0, v2
	v_cndmask_b32_e64 v2, 0, 1, vcc_lo
	global_store_b8 v[0:1], v2, off
	s_wait_xcnt 0x0
	s_or_b32 exec_lo, exec_lo, s0
	s_and_saveexec_b32 s0, s8
	s_delay_alu instid0(SALU_CYCLE_1)
	s_xor_b32 s0, exec_lo, s0
	s_cbranch_execz .LBB47_1584
	s_branch .LBB47_1547
.LBB47_1475:
	s_mov_b32 s9, 0
	s_mov_b32 s5, -1
	s_mov_b32 s0, s38
	s_branch .LBB47_1544
.LBB47_1476:
	s_mov_b32 s5, 0
.LBB47_1477:
	s_delay_alu instid0(SALU_CYCLE_1)
	s_and_b32 vcc_lo, exec_lo, s5
	s_cbranch_vccz .LBB47_1482
; %bb.1478:
	s_cmp_eq_u32 s4, 44
	s_mov_b32 s0, -1
	s_cbranch_scc0 .LBB47_1482
; %bb.1479:
	v_cvt_f32_ubyte0_e32 v4, v5
	s_mov_b32 s5, exec_lo
	s_wait_xcnt 0x0
	s_delay_alu instid0(VALU_DEP_1) | instskip(NEXT) | instid1(VALU_DEP_1)
	v_dual_mov_b32 v3, 0xff :: v_dual_lshrrev_b32 v2, 23, v4
	v_cmpx_ne_u32_e32 0xff, v2
; %bb.1480:
	v_and_b32_e32 v3, 0x400000, v4
	v_and_or_b32 v4, 0x3fffff, v4, v2
	s_delay_alu instid0(VALU_DEP_2) | instskip(NEXT) | instid1(VALU_DEP_2)
	v_cmp_ne_u32_e32 vcc_lo, 0, v3
	v_cmp_ne_u32_e64 s0, 0, v4
	s_and_b32 s0, vcc_lo, s0
	s_delay_alu instid0(SALU_CYCLE_1) | instskip(NEXT) | instid1(VALU_DEP_1)
	v_cndmask_b32_e64 v3, 0, 1, s0
	v_add_nc_u32_e32 v3, v2, v3
; %bb.1481:
	s_or_b32 exec_lo, exec_lo, s5
	s_mov_b32 s0, 0
	global_store_b8 v[0:1], v3, off
.LBB47_1482:
	s_mov_b32 s5, 0
.LBB47_1483:
	s_delay_alu instid0(SALU_CYCLE_1)
	s_and_b32 vcc_lo, exec_lo, s5
	s_cbranch_vccz .LBB47_1486
; %bb.1484:
	s_cmp_eq_u32 s4, 29
	s_mov_b32 s0, -1
	s_cbranch_scc0 .LBB47_1486
; %bb.1485:
	s_wait_xcnt 0x0
	v_and_b32_e32 v2, 0xff, v5
	v_mov_b32_e32 v3, 0
	s_mov_b32 s0, 0
	s_mov_b32 s5, 0
	global_store_b64 v[0:1], v[2:3], off
	s_branch .LBB47_1487
.LBB47_1486:
	s_mov_b32 s5, 0
.LBB47_1487:
	s_delay_alu instid0(SALU_CYCLE_1)
	s_and_b32 vcc_lo, exec_lo, s5
	s_cbranch_vccz .LBB47_1502
; %bb.1488:
	s_cmp_lt_i32 s4, 27
	s_mov_b32 s5, -1
	s_cbranch_scc1 .LBB47_1494
; %bb.1489:
	s_cmp_gt_i32 s4, 27
	s_cbranch_scc0 .LBB47_1491
; %bb.1490:
	s_wait_xcnt 0x0
	v_and_b32_e32 v2, 0xff, v5
	s_mov_b32 s5, 0
	global_store_b32 v[0:1], v2, off
.LBB47_1491:
	s_and_not1_b32 vcc_lo, exec_lo, s5
	s_cbranch_vccnz .LBB47_1493
; %bb.1492:
	s_wait_xcnt 0x0
	v_and_b32_e32 v2, 0xff, v5
	global_store_b16 v[0:1], v2, off
.LBB47_1493:
	s_mov_b32 s5, 0
.LBB47_1494:
	s_delay_alu instid0(SALU_CYCLE_1)
	s_and_not1_b32 vcc_lo, exec_lo, s5
	s_cbranch_vccnz .LBB47_1502
; %bb.1495:
	s_wait_xcnt 0x0
	v_cvt_f32_ubyte0_e32 v3, v5
	v_mov_b32_e32 v4, 0x80
	s_mov_b32 s5, exec_lo
	s_delay_alu instid0(VALU_DEP_2)
	v_cmpx_gt_u32_e32 0x43800000, v3
	s_cbranch_execz .LBB47_1501
; %bb.1496:
	s_mov_b32 s8, 0
	s_mov_b32 s9, exec_lo
                                        ; implicit-def: $vgpr2
	v_cmpx_lt_u32_e32 0x3bffffff, v3
	s_xor_b32 s9, exec_lo, s9
	s_cbranch_execz .LBB47_1643
; %bb.1497:
	v_bfe_u32 v2, v3, 20, 1
	s_mov_b32 s8, exec_lo
	s_delay_alu instid0(VALU_DEP_1) | instskip(NEXT) | instid1(VALU_DEP_1)
	v_add3_u32 v2, v3, v2, 0x487ffff
                                        ; implicit-def: $vgpr3
	v_lshrrev_b32_e32 v2, 20, v2
	s_and_not1_saveexec_b32 s9, s9
	s_cbranch_execnz .LBB47_1644
.LBB47_1498:
	s_or_b32 exec_lo, exec_lo, s9
	v_mov_b32_e32 v4, 0
	s_and_saveexec_b32 s9, s8
.LBB47_1499:
	v_mov_b32_e32 v4, v2
.LBB47_1500:
	s_or_b32 exec_lo, exec_lo, s9
.LBB47_1501:
	s_delay_alu instid0(SALU_CYCLE_1)
	s_or_b32 exec_lo, exec_lo, s5
	global_store_b8 v[0:1], v4, off
.LBB47_1502:
	s_mov_b32 s5, 0
.LBB47_1503:
	s_delay_alu instid0(SALU_CYCLE_1)
	s_and_b32 vcc_lo, exec_lo, s5
	s_mov_b32 s5, 0
	s_cbranch_vccz .LBB47_1543
; %bb.1504:
	s_cmp_gt_i32 s4, 22
	s_mov_b32 s8, -1
	s_cbranch_scc0 .LBB47_1536
; %bb.1505:
	s_cmp_lt_i32 s4, 24
	s_cbranch_scc1 .LBB47_1525
; %bb.1506:
	s_cmp_gt_i32 s4, 24
	s_cbranch_scc0 .LBB47_1514
; %bb.1507:
	s_wait_xcnt 0x0
	v_cvt_f32_ubyte0_e32 v3, v5
	v_mov_b32_e32 v4, 0x80
	s_mov_b32 s8, exec_lo
	s_delay_alu instid0(VALU_DEP_2)
	v_cmpx_gt_u32_e32 0x47800000, v3
	s_cbranch_execz .LBB47_1513
; %bb.1508:
	s_mov_b32 s9, 0
	s_mov_b32 s10, exec_lo
                                        ; implicit-def: $vgpr2
	v_cmpx_lt_u32_e32 0x37ffffff, v3
	s_xor_b32 s10, exec_lo, s10
	s_cbranch_execz .LBB47_1764
; %bb.1509:
	v_bfe_u32 v2, v3, 21, 1
	s_mov_b32 s9, exec_lo
	s_delay_alu instid0(VALU_DEP_1) | instskip(NEXT) | instid1(VALU_DEP_1)
	v_add3_u32 v2, v3, v2, 0x88fffff
                                        ; implicit-def: $vgpr3
	v_lshrrev_b32_e32 v2, 21, v2
	s_and_not1_saveexec_b32 s10, s10
	s_cbranch_execnz .LBB47_1765
.LBB47_1510:
	s_or_b32 exec_lo, exec_lo, s10
	v_mov_b32_e32 v4, 0
	s_and_saveexec_b32 s10, s9
.LBB47_1511:
	v_mov_b32_e32 v4, v2
.LBB47_1512:
	s_or_b32 exec_lo, exec_lo, s10
.LBB47_1513:
	s_delay_alu instid0(SALU_CYCLE_1)
	s_or_b32 exec_lo, exec_lo, s8
	s_mov_b32 s8, 0
	global_store_b8 v[0:1], v4, off
.LBB47_1514:
	s_and_b32 vcc_lo, exec_lo, s8
	s_cbranch_vccz .LBB47_1524
; %bb.1515:
	s_wait_xcnt 0x0
	v_cvt_f32_ubyte0_e32 v3, v5
	s_mov_b32 s8, exec_lo
                                        ; implicit-def: $vgpr2
	s_delay_alu instid0(VALU_DEP_1)
	v_cmpx_gt_u32_e32 0x43f00000, v3
	s_xor_b32 s8, exec_lo, s8
	s_cbranch_execz .LBB47_1521
; %bb.1516:
	s_mov_b32 s9, exec_lo
                                        ; implicit-def: $vgpr2
	v_cmpx_lt_u32_e32 0x3c7fffff, v3
	s_xor_b32 s9, exec_lo, s9
; %bb.1517:
	v_bfe_u32 v2, v3, 20, 1
	s_delay_alu instid0(VALU_DEP_1) | instskip(NEXT) | instid1(VALU_DEP_1)
	v_add3_u32 v2, v3, v2, 0x407ffff
	v_and_b32_e32 v3, 0xff00000, v2
	v_lshrrev_b32_e32 v2, 20, v2
	s_delay_alu instid0(VALU_DEP_2) | instskip(NEXT) | instid1(VALU_DEP_2)
	v_cmp_ne_u32_e32 vcc_lo, 0x7f00000, v3
                                        ; implicit-def: $vgpr3
	v_cndmask_b32_e32 v2, 0x7e, v2, vcc_lo
; %bb.1518:
	s_and_not1_saveexec_b32 s9, s9
; %bb.1519:
	v_add_f32_e32 v2, 0x46800000, v3
; %bb.1520:
	s_or_b32 exec_lo, exec_lo, s9
                                        ; implicit-def: $vgpr3
.LBB47_1521:
	s_and_not1_saveexec_b32 s8, s8
; %bb.1522:
	v_mov_b32_e32 v2, 0x7f
	v_cmp_lt_u32_e32 vcc_lo, 0x7f800000, v3
	s_delay_alu instid0(VALU_DEP_2)
	v_cndmask_b32_e32 v2, 0x7e, v2, vcc_lo
; %bb.1523:
	s_or_b32 exec_lo, exec_lo, s8
	global_store_b8 v[0:1], v2, off
.LBB47_1524:
	s_mov_b32 s8, 0
.LBB47_1525:
	s_delay_alu instid0(SALU_CYCLE_1)
	s_and_not1_b32 vcc_lo, exec_lo, s8
	s_cbranch_vccnz .LBB47_1535
; %bb.1526:
	s_wait_xcnt 0x0
	v_cvt_f32_ubyte0_e32 v3, v5
	s_mov_b32 s8, exec_lo
                                        ; implicit-def: $vgpr2
	s_delay_alu instid0(VALU_DEP_1)
	v_cmpx_gt_u32_e32 0x47800000, v3
	s_xor_b32 s8, exec_lo, s8
	s_cbranch_execz .LBB47_1532
; %bb.1527:
	s_mov_b32 s9, exec_lo
                                        ; implicit-def: $vgpr2
	v_cmpx_lt_u32_e32 0x387fffff, v3
	s_xor_b32 s9, exec_lo, s9
; %bb.1528:
	v_bfe_u32 v2, v3, 21, 1
	s_delay_alu instid0(VALU_DEP_1) | instskip(NEXT) | instid1(VALU_DEP_1)
	v_add3_u32 v2, v3, v2, 0x80fffff
                                        ; implicit-def: $vgpr3
	v_lshrrev_b32_e32 v2, 21, v2
; %bb.1529:
	s_and_not1_saveexec_b32 s9, s9
; %bb.1530:
	v_add_f32_e32 v2, 0x43000000, v3
; %bb.1531:
	s_or_b32 exec_lo, exec_lo, s9
                                        ; implicit-def: $vgpr3
.LBB47_1532:
	s_and_not1_saveexec_b32 s8, s8
; %bb.1533:
	v_mov_b32_e32 v2, 0x7f
	v_cmp_lt_u32_e32 vcc_lo, 0x7f800000, v3
	s_delay_alu instid0(VALU_DEP_2)
	v_cndmask_b32_e32 v2, 0x7c, v2, vcc_lo
; %bb.1534:
	s_or_b32 exec_lo, exec_lo, s8
	global_store_b8 v[0:1], v2, off
.LBB47_1535:
	s_mov_b32 s8, 0
.LBB47_1536:
	s_delay_alu instid0(SALU_CYCLE_1)
	s_and_not1_b32 vcc_lo, exec_lo, s8
	s_mov_b32 s9, 0
	s_cbranch_vccnz .LBB47_1544
; %bb.1537:
	s_cmp_gt_i32 s4, 14
	s_mov_b32 s8, -1
	s_cbranch_scc0 .LBB47_1541
; %bb.1538:
	s_cmp_eq_u32 s4, 15
	s_mov_b32 s0, -1
	s_cbranch_scc0 .LBB47_1540
; %bb.1539:
	s_wait_xcnt 0x0
	v_cvt_f32_ubyte0_e32 v2, v5
	s_mov_b32 s0, 0
	s_delay_alu instid0(VALU_DEP_1) | instskip(NEXT) | instid1(VALU_DEP_1)
	v_bfe_u32 v3, v2, 16, 1
	v_add3_u32 v2, v2, v3, 0x7fff
	global_store_d16_hi_b16 v[0:1], v2, off
.LBB47_1540:
	s_mov_b32 s8, 0
.LBB47_1541:
	s_delay_alu instid0(SALU_CYCLE_1)
	s_and_b32 vcc_lo, exec_lo, s8
	s_cbranch_vccz .LBB47_1544
; %bb.1542:
	s_cmp_lg_u32 s4, 11
	s_mov_b32 s9, -1
	s_cselect_b32 s4, -1, 0
	s_and_not1_b32 s0, s0, exec_lo
	s_and_b32 s4, s4, exec_lo
	s_delay_alu instid0(SALU_CYCLE_1)
	s_or_b32 s0, s0, s4
	s_branch .LBB47_1544
.LBB47_1543:
	s_mov_b32 s9, 0
.LBB47_1544:
	s_and_b32 s8, s5, exec_lo
	s_and_not1_b32 s4, s38, exec_lo
	s_and_b32 s5, s0, exec_lo
	s_and_b32 s0, s9, exec_lo
	s_or_b32 s38, s4, s5
	s_wait_xcnt 0x0
	s_or_b32 exec_lo, exec_lo, s7
	s_and_saveexec_b32 s4, s38
	s_cbranch_execz .LBB47_1473
.LBB47_1545:
	s_or_b32 s1, s1, exec_lo
	s_and_not1_b32 s0, s0, exec_lo
	s_trap 2
	s_or_b32 exec_lo, exec_lo, s4
	s_and_saveexec_b32 s4, s0
	s_delay_alu instid0(SALU_CYCLE_1)
	s_xor_b32 s0, exec_lo, s4
	s_cbranch_execnz .LBB47_1474
.LBB47_1546:
	s_or_b32 exec_lo, exec_lo, s0
	s_and_saveexec_b32 s0, s8
	s_delay_alu instid0(SALU_CYCLE_1)
	s_xor_b32 s0, exec_lo, s0
	s_cbranch_execz .LBB47_1584
.LBB47_1547:
	s_sext_i32_i16 s5, s6
	s_mov_b32 s4, -1
	s_cmp_lt_i32 s5, 5
	s_cbranch_scc1 .LBB47_1568
; %bb.1548:
	s_cmp_lt_i32 s5, 8
	s_cbranch_scc1 .LBB47_1558
; %bb.1549:
	;; [unrolled: 3-line block ×3, first 2 shown]
	s_cmp_gt_i32 s5, 9
	s_cbranch_scc0 .LBB47_1552
; %bb.1551:
	s_wait_loadcnt 0x0
	v_and_b32_e32 v2, 0xff, v5
	v_mov_b32_e32 v8, 0
	s_mov_b32 s4, 0
	s_delay_alu instid0(VALU_DEP_2) | instskip(NEXT) | instid1(VALU_DEP_2)
	v_and_b32_e32 v2, 0xffff, v2
	v_mov_b32_e32 v9, v8
	s_delay_alu instid0(VALU_DEP_2)
	v_cvt_f64_u32_e32 v[6:7], v2
	global_store_b128 v[0:1], v[6:9], off
.LBB47_1552:
	s_and_not1_b32 vcc_lo, exec_lo, s4
	s_cbranch_vccnz .LBB47_1554
; %bb.1553:
	s_wait_loadcnt 0x0
	v_cvt_f32_ubyte0_e32 v2, v5
	v_mov_b32_e32 v3, 0
	global_store_b64 v[0:1], v[2:3], off
.LBB47_1554:
	s_mov_b32 s4, 0
.LBB47_1555:
	s_delay_alu instid0(SALU_CYCLE_1)
	s_and_not1_b32 vcc_lo, exec_lo, s4
	s_cbranch_vccnz .LBB47_1557
; %bb.1556:
	s_wait_loadcnt 0x0
	v_and_b32_e32 v2, 0xff, v5
	s_delay_alu instid0(VALU_DEP_1) | instskip(NEXT) | instid1(VALU_DEP_1)
	v_cvt_f16_u16_e32 v2, v2
	v_and_b32_e32 v2, 0xffff, v2
	global_store_b32 v[0:1], v2, off
.LBB47_1557:
	s_mov_b32 s4, 0
.LBB47_1558:
	s_delay_alu instid0(SALU_CYCLE_1)
	s_and_not1_b32 vcc_lo, exec_lo, s4
	s_cbranch_vccnz .LBB47_1567
; %bb.1559:
	s_sext_i32_i16 s5, s6
	s_mov_b32 s4, -1
	s_cmp_lt_i32 s5, 6
	s_cbranch_scc1 .LBB47_1565
; %bb.1560:
	s_cmp_gt_i32 s5, 6
	s_cbranch_scc0 .LBB47_1562
; %bb.1561:
	s_wait_loadcnt 0x0
	v_and_b32_e32 v2, 0xff, v5
	s_mov_b32 s4, 0
	s_delay_alu instid0(VALU_DEP_1) | instskip(NEXT) | instid1(VALU_DEP_1)
	v_and_b32_e32 v2, 0xffff, v2
	v_cvt_f64_u32_e32 v[2:3], v2
	global_store_b64 v[0:1], v[2:3], off
.LBB47_1562:
	s_and_not1_b32 vcc_lo, exec_lo, s4
	s_cbranch_vccnz .LBB47_1564
; %bb.1563:
	s_wait_loadcnt 0x0
	v_cvt_f32_ubyte0_e32 v2, v5
	global_store_b32 v[0:1], v2, off
.LBB47_1564:
	s_mov_b32 s4, 0
.LBB47_1565:
	s_delay_alu instid0(SALU_CYCLE_1)
	s_and_not1_b32 vcc_lo, exec_lo, s4
	s_cbranch_vccnz .LBB47_1567
; %bb.1566:
	s_wait_loadcnt 0x0
	v_and_b32_e32 v2, 0xff, v5
	s_delay_alu instid0(VALU_DEP_1)
	v_cvt_f16_u16_e32 v2, v2
	global_store_b16 v[0:1], v2, off
.LBB47_1567:
	s_mov_b32 s4, 0
.LBB47_1568:
	s_delay_alu instid0(SALU_CYCLE_1)
	s_and_not1_b32 vcc_lo, exec_lo, s4
	s_cbranch_vccnz .LBB47_1584
; %bb.1569:
	s_sext_i32_i16 s5, s6
	s_mov_b32 s4, -1
	s_cmp_lt_i32 s5, 2
	s_cbranch_scc1 .LBB47_1579
; %bb.1570:
	s_cmp_lt_i32 s5, 3
	s_cbranch_scc1 .LBB47_1576
; %bb.1571:
	s_cmp_gt_i32 s5, 3
	s_cbranch_scc0 .LBB47_1573
; %bb.1572:
	s_wait_loadcnt 0x0
	v_and_b32_e32 v2, 0xff, v5
	v_mov_b32_e32 v3, 0
	s_mov_b32 s4, 0
	global_store_b64 v[0:1], v[2:3], off
.LBB47_1573:
	s_and_not1_b32 vcc_lo, exec_lo, s4
	s_cbranch_vccnz .LBB47_1575
; %bb.1574:
	s_wait_loadcnt 0x0
	v_and_b32_e32 v2, 0xff, v5
	global_store_b32 v[0:1], v2, off
.LBB47_1575:
	s_mov_b32 s4, 0
.LBB47_1576:
	s_delay_alu instid0(SALU_CYCLE_1)
	s_and_not1_b32 vcc_lo, exec_lo, s4
	s_cbranch_vccnz .LBB47_1578
; %bb.1577:
	s_wait_loadcnt 0x0
	v_and_b32_e32 v2, 0xff, v5
	global_store_b16 v[0:1], v2, off
.LBB47_1578:
	s_mov_b32 s4, 0
.LBB47_1579:
	s_delay_alu instid0(SALU_CYCLE_1)
	s_and_not1_b32 vcc_lo, exec_lo, s4
	s_cbranch_vccnz .LBB47_1584
; %bb.1580:
	s_sext_i32_i16 s4, s6
	s_delay_alu instid0(SALU_CYCLE_1)
	s_cmp_gt_i32 s4, 0
	s_mov_b32 s4, -1
	s_cbranch_scc0 .LBB47_1582
; %bb.1581:
	s_mov_b32 s4, 0
	s_wait_loadcnt 0x0
	global_store_b8 v[0:1], v5, off
.LBB47_1582:
	s_and_not1_b32 vcc_lo, exec_lo, s4
	s_cbranch_vccnz .LBB47_1584
; %bb.1583:
	s_wait_loadcnt 0x0
	global_store_b8 v[0:1], v5, off
.LBB47_1584:
	s_wait_xcnt 0x0
	s_or_b32 exec_lo, exec_lo, s0
	s_delay_alu instid0(SALU_CYCLE_1)
	s_and_b32 s8, s1, exec_lo
                                        ; implicit-def: $vgpr1
                                        ; implicit-def: $vgpr0
.LBB47_1585:
	s_or_saveexec_b32 s9, s30
	s_mov_b32 s0, 0
                                        ; implicit-def: $vgpr2_vgpr3
                                        ; implicit-def: $sgpr1
                                        ; implicit-def: $vgpr8
	s_xor_b32 exec_lo, exec_lo, s9
	s_cbranch_execz .LBB47_2743
; %bb.1586:
	v_cndmask_b32_e64 v3, 0, 1, s29
	s_and_not1_b32 vcc_lo, exec_lo, s29
	s_cbranch_vccnz .LBB47_1592
; %bb.1587:
	s_cmp_lg_u32 s26, 0
	s_mov_b32 s4, 0
	s_cbranch_scc0 .LBB47_1596
; %bb.1588:
	s_min_u32 s5, s27, 15
	v_dual_mov_b32 v6, 0 :: v_dual_mov_b32 v2, v0
	v_dual_mov_b32 v22, 0 :: v_dual_mov_b32 v20, 0
	s_add_co_i32 s6, s5, 1
	s_mov_b64 s[0:1], 0xffffffffffffffe8
	s_and_b32 s6, s6, 30
	s_add_nc_u64 s[0:1], s[2:3], s[0:1]
.LBB47_1589:                            ; =>This Inner Loop Header: Depth=1
	s_clause 0x1
	s_load_b128 s[12:15], s[0:1], 0x1c
	s_load_b64 s[10:11], s[0:1], 0x2c
	s_add_co_i32 s6, s6, -2
	s_delay_alu instid0(SALU_CYCLE_1) | instskip(SKIP_3) | instid1(VALU_DEP_1)
	s_cmp_lg_u32 s6, 0
	s_wait_loadcnt 0x0
	s_wait_kmcnt 0x0
	v_mul_hi_u32 v4, s13, v2
	v_add_nc_u32_e32 v4, v2, v4
	s_delay_alu instid0(VALU_DEP_1) | instskip(NEXT) | instid1(VALU_DEP_1)
	v_lshrrev_b32_e32 v4, s14, v4
	v_mul_hi_u32 v5, s10, v4
	v_mul_lo_u32 v7, v4, s12
	s_clause 0x1
	s_load_b128 s[16:19], s[0:1], 0xdc
	s_load_b64 s[12:13], s[0:1], 0xec
	s_wait_xcnt 0x0
	s_add_nc_u64 s[0:1], s[0:1], 24
	s_delay_alu instid0(VALU_DEP_1) | instskip(NEXT) | instid1(VALU_DEP_1)
	v_dual_add_nc_u32 v5, v4, v5 :: v_dual_sub_nc_u32 v7, v2, v7
	v_lshrrev_b32_e32 v2, s11, v5
	s_wait_kmcnt 0x0
	s_delay_alu instid0(VALU_DEP_2) | instskip(NEXT) | instid1(VALU_DEP_2)
	v_mad_u32 v6, v7, s16, v6
	v_mul_lo_u32 v5, v2, s15
	v_mad_u32 v8, v7, s18, v20
	v_mad_u32 v7, v7, s17, v22
	s_delay_alu instid0(VALU_DEP_3) | instskip(NEXT) | instid1(VALU_DEP_1)
	v_sub_nc_u32_e32 v4, v4, v5
	v_mad_u32 v6, v4, s19, v6
	s_delay_alu instid0(VALU_DEP_4) | instskip(NEXT) | instid1(VALU_DEP_4)
	v_mad_u32 v20, v4, s13, v8
	v_mad_u32 v22, v4, s12, v7
	s_cbranch_scc1 .LBB47_1589
; %bb.1590:
	s_bitcmp1_b32 s5, 0
	s_cselect_b32 s5, -1, 0
	s_delay_alu instid0(SALU_CYCLE_1)
	s_and_b32 vcc_lo, exec_lo, s5
	s_cbranch_vccnz .LBB47_1593
; %bb.1591:
	s_clause 0x1
	s_load_b96 s[12:14], s[0:1], 0x1c
	s_load_b96 s[16:18], s[0:1], 0xdc
	s_wait_kmcnt 0x0
	v_mul_hi_u32 v4, s13, v2
	s_delay_alu instid0(VALU_DEP_1) | instskip(NEXT) | instid1(VALU_DEP_1)
	v_add_nc_u32_e32 v4, v2, v4
	v_lshrrev_b32_e32 v4, s14, v4
	s_delay_alu instid0(VALU_DEP_1) | instskip(NEXT) | instid1(VALU_DEP_1)
	v_mul_lo_u32 v4, v4, s12
	v_sub_nc_u32_e32 v2, v2, v4
	s_delay_alu instid0(VALU_DEP_1)
	v_mad_u32 v6, v2, s16, v6
	v_mad_u32 v22, v2, s17, v22
	;; [unrolled: 1-line block ×3, first 2 shown]
	s_and_not1_b32 vcc_lo, exec_lo, s4
	s_cbranch_vccz .LBB47_1594
	s_branch .LBB47_1597
.LBB47_1592:
	s_mov_b32 s4, -1
                                        ; implicit-def: $vgpr20
                                        ; implicit-def: $vgpr22
                                        ; implicit-def: $vgpr6
.LBB47_1593:
	s_delay_alu instid0(SALU_CYCLE_1)
	s_and_not1_b32 vcc_lo, exec_lo, s4
	s_cbranch_vccnz .LBB47_1597
.LBB47_1594:
	s_clause 0x1
	s_load_b96 s[4:6], s[2:3], 0x4
	s_load_b96 s[12:14], s[2:3], 0xc4
	s_cmp_lt_u32 s26, 2
	s_wait_kmcnt 0x0
	v_mul_hi_u32 v2, s5, v0
	s_delay_alu instid0(VALU_DEP_1) | instskip(NEXT) | instid1(VALU_DEP_1)
	v_add_nc_u32_e32 v2, v0, v2
	v_lshrrev_b32_e32 v2, s6, v2
	s_wait_loadcnt 0x0
	s_delay_alu instid0(VALU_DEP_1) | instskip(NEXT) | instid1(VALU_DEP_1)
	v_mul_lo_u32 v4, v2, s4
	v_sub_nc_u32_e32 v4, v0, v4
	s_delay_alu instid0(VALU_DEP_1)
	v_mul_lo_u32 v6, v4, s12
	v_mul_lo_u32 v20, v4, s14
	;; [unrolled: 1-line block ×3, first 2 shown]
	s_cbranch_scc1 .LBB47_1597
; %bb.1595:
	s_clause 0x1
	s_load_b96 s[4:6], s[2:3], 0x10
	s_load_b96 s[12:14], s[2:3], 0xd0
	s_wait_kmcnt 0x0
	v_mul_hi_u32 v4, s5, v2
	s_delay_alu instid0(VALU_DEP_1) | instskip(NEXT) | instid1(VALU_DEP_1)
	v_add_nc_u32_e32 v4, v2, v4
	v_lshrrev_b32_e32 v4, s6, v4
	s_delay_alu instid0(VALU_DEP_1) | instskip(NEXT) | instid1(VALU_DEP_1)
	v_mul_lo_u32 v4, v4, s4
	v_sub_nc_u32_e32 v2, v2, v4
	s_delay_alu instid0(VALU_DEP_1)
	v_mad_u32 v6, v2, s12, v6
	v_mad_u32 v22, v2, s13, v22
	;; [unrolled: 1-line block ×3, first 2 shown]
	s_branch .LBB47_1597
.LBB47_1596:
	v_dual_mov_b32 v20, 0 :: v_dual_mov_b32 v22, 0
	v_mov_b32_e32 v6, 0
	s_and_not1_b32 vcc_lo, exec_lo, s4
	s_cbranch_vccz .LBB47_1594
.LBB47_1597:
	v_cmp_ne_u32_e32 vcc_lo, 1, v3
	v_add_nc_u32_e32 v2, 0x80, v0
	s_cbranch_vccnz .LBB47_1603
; %bb.1598:
	s_cmp_lg_u32 s26, 0
	s_mov_b32 s4, 0
	s_cbranch_scc0 .LBB47_1607
; %bb.1599:
	s_min_u32 s5, s27, 15
	s_wait_loadcnt 0x0
	v_dual_mov_b32 v4, 0 :: v_dual_mov_b32 v5, v2
	v_dual_mov_b32 v18, 0 :: v_dual_mov_b32 v16, 0
	s_add_co_i32 s6, s5, 1
	s_mov_b64 s[0:1], 0xffffffffffffffe8
	s_and_b32 s6, s6, 30
	s_add_nc_u64 s[0:1], s[2:3], s[0:1]
.LBB47_1600:                            ; =>This Inner Loop Header: Depth=1
	s_clause 0x1
	s_load_b128 s[12:15], s[0:1], 0x1c
	s_load_b64 s[10:11], s[0:1], 0x2c
	s_add_co_i32 s6, s6, -2
	s_delay_alu instid0(SALU_CYCLE_1) | instskip(SKIP_2) | instid1(VALU_DEP_1)
	s_cmp_lg_u32 s6, 0
	s_wait_kmcnt 0x0
	v_mul_hi_u32 v7, s13, v5
	v_add_nc_u32_e32 v7, v5, v7
	s_delay_alu instid0(VALU_DEP_1) | instskip(NEXT) | instid1(VALU_DEP_1)
	v_lshrrev_b32_e32 v7, s14, v7
	v_mul_hi_u32 v8, s10, v7
	v_mul_lo_u32 v9, v7, s12
	s_clause 0x1
	s_load_b128 s[16:19], s[0:1], 0xdc
	s_load_b64 s[12:13], s[0:1], 0xec
	s_wait_xcnt 0x0
	s_add_nc_u64 s[0:1], s[0:1], 24
	s_delay_alu instid0(VALU_DEP_1) | instskip(NEXT) | instid1(VALU_DEP_1)
	v_dual_add_nc_u32 v8, v7, v8 :: v_dual_sub_nc_u32 v9, v5, v9
	v_lshrrev_b32_e32 v5, s11, v8
	s_wait_kmcnt 0x0
	s_delay_alu instid0(VALU_DEP_2) | instskip(NEXT) | instid1(VALU_DEP_2)
	v_mad_u32 v4, v9, s16, v4
	v_mul_lo_u32 v8, v5, s15
	v_mad_u32 v10, v9, s18, v16
	v_mad_u32 v9, v9, s17, v18
	s_delay_alu instid0(VALU_DEP_3) | instskip(NEXT) | instid1(VALU_DEP_1)
	v_sub_nc_u32_e32 v7, v7, v8
	v_mad_u32 v4, v7, s19, v4
	s_delay_alu instid0(VALU_DEP_4) | instskip(NEXT) | instid1(VALU_DEP_4)
	v_mad_u32 v16, v7, s13, v10
	v_mad_u32 v18, v7, s12, v9
	s_cbranch_scc1 .LBB47_1600
; %bb.1601:
	s_bitcmp1_b32 s5, 0
	s_cselect_b32 s5, -1, 0
	s_delay_alu instid0(SALU_CYCLE_1)
	s_and_b32 vcc_lo, exec_lo, s5
	s_cbranch_vccnz .LBB47_1604
; %bb.1602:
	s_clause 0x1
	s_load_b96 s[12:14], s[0:1], 0x1c
	s_load_b96 s[16:18], s[0:1], 0xdc
	s_wait_kmcnt 0x0
	v_mul_hi_u32 v7, s13, v5
	s_delay_alu instid0(VALU_DEP_1) | instskip(NEXT) | instid1(VALU_DEP_1)
	v_add_nc_u32_e32 v7, v5, v7
	v_lshrrev_b32_e32 v7, s14, v7
	s_delay_alu instid0(VALU_DEP_1) | instskip(NEXT) | instid1(VALU_DEP_1)
	v_mul_lo_u32 v7, v7, s12
	v_sub_nc_u32_e32 v5, v5, v7
	s_delay_alu instid0(VALU_DEP_1)
	v_mad_u32 v4, v5, s16, v4
	v_mad_u32 v18, v5, s17, v18
	;; [unrolled: 1-line block ×3, first 2 shown]
	s_and_not1_b32 vcc_lo, exec_lo, s4
	s_cbranch_vccz .LBB47_1605
	s_branch .LBB47_1608
.LBB47_1603:
	s_mov_b32 s4, -1
                                        ; implicit-def: $vgpr16
                                        ; implicit-def: $vgpr18
                                        ; implicit-def: $vgpr4
.LBB47_1604:
	s_delay_alu instid0(SALU_CYCLE_1)
	s_and_not1_b32 vcc_lo, exec_lo, s4
	s_cbranch_vccnz .LBB47_1608
.LBB47_1605:
	s_clause 0x1
	s_load_b96 s[4:6], s[2:3], 0x4
	s_load_b96 s[12:14], s[2:3], 0xc4
	s_cmp_lt_u32 s26, 2
	s_wait_loadcnt 0x0
	s_wait_kmcnt 0x0
	v_mul_hi_u32 v4, s5, v2
	s_delay_alu instid0(VALU_DEP_1) | instskip(NEXT) | instid1(VALU_DEP_1)
	v_add_nc_u32_e32 v4, v2, v4
	v_lshrrev_b32_e32 v5, s6, v4
	s_delay_alu instid0(VALU_DEP_1) | instskip(NEXT) | instid1(VALU_DEP_1)
	v_mul_lo_u32 v4, v5, s4
	v_sub_nc_u32_e32 v2, v2, v4
	s_delay_alu instid0(VALU_DEP_1)
	v_mul_lo_u32 v4, v2, s12
	v_mul_lo_u32 v16, v2, s14
	;; [unrolled: 1-line block ×3, first 2 shown]
	s_cbranch_scc1 .LBB47_1608
; %bb.1606:
	s_clause 0x1
	s_load_b96 s[4:6], s[2:3], 0x10
	s_load_b96 s[12:14], s[2:3], 0xd0
	s_wait_kmcnt 0x0
	v_mul_hi_u32 v2, s5, v5
	s_delay_alu instid0(VALU_DEP_1) | instskip(NEXT) | instid1(VALU_DEP_1)
	v_add_nc_u32_e32 v2, v5, v2
	v_lshrrev_b32_e32 v2, s6, v2
	s_delay_alu instid0(VALU_DEP_1) | instskip(NEXT) | instid1(VALU_DEP_1)
	v_mul_lo_u32 v2, v2, s4
	v_sub_nc_u32_e32 v2, v5, v2
	s_delay_alu instid0(VALU_DEP_1)
	v_mad_u32 v4, v2, s12, v4
	v_mad_u32 v18, v2, s13, v18
	;; [unrolled: 1-line block ×3, first 2 shown]
	s_branch .LBB47_1608
.LBB47_1607:
	v_dual_mov_b32 v16, 0 :: v_dual_mov_b32 v18, 0
	s_wait_loadcnt 0x0
	v_mov_b32_e32 v4, 0
	s_and_not1_b32 vcc_lo, exec_lo, s4
	s_cbranch_vccz .LBB47_1605
.LBB47_1608:
	v_cmp_ne_u32_e32 vcc_lo, 1, v3
	v_add_nc_u32_e32 v0, 0x100, v0
	s_cbranch_vccnz .LBB47_1614
; %bb.1609:
	s_cmp_lg_u32 s26, 0
	s_mov_b32 s4, 0
	s_cbranch_scc0 .LBB47_1618
; %bb.1610:
	s_min_u32 s5, s27, 15
	s_wait_loadcnt 0x0
	v_dual_mov_b32 v2, 0 :: v_dual_mov_b32 v5, v0
	v_dual_mov_b32 v14, 0 :: v_dual_mov_b32 v12, 0
	s_add_co_i32 s6, s5, 1
	s_mov_b64 s[0:1], 0xffffffffffffffe8
	s_and_b32 s6, s6, 30
	s_add_nc_u64 s[0:1], s[2:3], s[0:1]
.LBB47_1611:                            ; =>This Inner Loop Header: Depth=1
	s_clause 0x1
	s_load_b128 s[12:15], s[0:1], 0x1c
	s_load_b64 s[10:11], s[0:1], 0x2c
	s_add_co_i32 s6, s6, -2
	s_delay_alu instid0(SALU_CYCLE_1) | instskip(SKIP_2) | instid1(VALU_DEP_1)
	s_cmp_lg_u32 s6, 0
	s_wait_kmcnt 0x0
	v_mul_hi_u32 v7, s13, v5
	v_add_nc_u32_e32 v7, v5, v7
	s_delay_alu instid0(VALU_DEP_1) | instskip(NEXT) | instid1(VALU_DEP_1)
	v_lshrrev_b32_e32 v7, s14, v7
	v_mul_hi_u32 v8, s10, v7
	v_mul_lo_u32 v9, v7, s12
	s_clause 0x1
	s_load_b128 s[16:19], s[0:1], 0xdc
	s_load_b64 s[12:13], s[0:1], 0xec
	s_wait_xcnt 0x0
	s_add_nc_u64 s[0:1], s[0:1], 24
	s_delay_alu instid0(VALU_DEP_1) | instskip(NEXT) | instid1(VALU_DEP_1)
	v_dual_add_nc_u32 v8, v7, v8 :: v_dual_sub_nc_u32 v9, v5, v9
	v_lshrrev_b32_e32 v5, s11, v8
	s_wait_kmcnt 0x0
	s_delay_alu instid0(VALU_DEP_2) | instskip(NEXT) | instid1(VALU_DEP_2)
	v_mad_u32 v2, v9, s16, v2
	v_mul_lo_u32 v8, v5, s15
	v_mad_u32 v10, v9, s18, v12
	v_mad_u32 v9, v9, s17, v14
	s_delay_alu instid0(VALU_DEP_3) | instskip(NEXT) | instid1(VALU_DEP_1)
	v_sub_nc_u32_e32 v7, v7, v8
	v_mad_u32 v2, v7, s19, v2
	s_delay_alu instid0(VALU_DEP_4) | instskip(NEXT) | instid1(VALU_DEP_4)
	v_mad_u32 v12, v7, s13, v10
	v_mad_u32 v14, v7, s12, v9
	s_cbranch_scc1 .LBB47_1611
; %bb.1612:
	s_bitcmp1_b32 s5, 0
	s_cselect_b32 s5, -1, 0
	s_delay_alu instid0(SALU_CYCLE_1)
	s_and_b32 vcc_lo, exec_lo, s5
	s_cbranch_vccnz .LBB47_1615
; %bb.1613:
	s_clause 0x1
	s_load_b96 s[12:14], s[0:1], 0x1c
	s_load_b96 s[16:18], s[0:1], 0xdc
	s_wait_kmcnt 0x0
	v_mul_hi_u32 v7, s13, v5
	s_delay_alu instid0(VALU_DEP_1) | instskip(NEXT) | instid1(VALU_DEP_1)
	v_add_nc_u32_e32 v7, v5, v7
	v_lshrrev_b32_e32 v7, s14, v7
	s_delay_alu instid0(VALU_DEP_1) | instskip(NEXT) | instid1(VALU_DEP_1)
	v_mul_lo_u32 v7, v7, s12
	v_sub_nc_u32_e32 v5, v5, v7
	s_delay_alu instid0(VALU_DEP_1)
	v_mad_u32 v2, v5, s16, v2
	v_mad_u32 v14, v5, s17, v14
	;; [unrolled: 1-line block ×3, first 2 shown]
	s_and_not1_b32 vcc_lo, exec_lo, s4
	s_cbranch_vccz .LBB47_1616
	s_branch .LBB47_1619
.LBB47_1614:
	s_mov_b32 s4, -1
                                        ; implicit-def: $vgpr12
                                        ; implicit-def: $vgpr14
                                        ; implicit-def: $vgpr2
.LBB47_1615:
	s_delay_alu instid0(SALU_CYCLE_1)
	s_and_not1_b32 vcc_lo, exec_lo, s4
	s_cbranch_vccnz .LBB47_1619
.LBB47_1616:
	s_clause 0x1
	s_load_b96 s[4:6], s[2:3], 0x4
	s_load_b96 s[12:14], s[2:3], 0xc4
	s_cmp_lt_u32 s26, 2
	s_wait_kmcnt 0x0
	v_mul_hi_u32 v2, s5, v0
	s_delay_alu instid0(VALU_DEP_1) | instskip(SKIP_1) | instid1(VALU_DEP_1)
	v_add_nc_u32_e32 v2, v0, v2
	s_wait_loadcnt 0x0
	v_lshrrev_b32_e32 v5, s6, v2
	s_delay_alu instid0(VALU_DEP_1) | instskip(NEXT) | instid1(VALU_DEP_1)
	v_mul_lo_u32 v2, v5, s4
	v_sub_nc_u32_e32 v0, v0, v2
	s_delay_alu instid0(VALU_DEP_1)
	v_mul_lo_u32 v2, v0, s12
	v_mul_lo_u32 v12, v0, s14
	;; [unrolled: 1-line block ×3, first 2 shown]
	s_cbranch_scc1 .LBB47_1619
; %bb.1617:
	s_clause 0x1
	s_load_b96 s[4:6], s[2:3], 0x10
	s_load_b96 s[12:14], s[2:3], 0xd0
	s_wait_kmcnt 0x0
	v_mul_hi_u32 v0, s5, v5
	s_delay_alu instid0(VALU_DEP_1) | instskip(NEXT) | instid1(VALU_DEP_1)
	v_add_nc_u32_e32 v0, v5, v0
	v_lshrrev_b32_e32 v0, s6, v0
	s_delay_alu instid0(VALU_DEP_1) | instskip(NEXT) | instid1(VALU_DEP_1)
	v_mul_lo_u32 v0, v0, s4
	v_sub_nc_u32_e32 v0, v5, v0
	s_delay_alu instid0(VALU_DEP_1)
	v_mad_u32 v2, v0, s12, v2
	v_mad_u32 v14, v0, s13, v14
	;; [unrolled: 1-line block ×3, first 2 shown]
	s_branch .LBB47_1619
.LBB47_1618:
	v_dual_mov_b32 v12, 0 :: v_dual_mov_b32 v14, 0
	v_mov_b32_e32 v2, 0
	s_and_not1_b32 vcc_lo, exec_lo, s4
	s_cbranch_vccz .LBB47_1616
.LBB47_1619:
	v_cmp_ne_u32_e32 vcc_lo, 1, v3
	s_cbranch_vccnz .LBB47_1625
; %bb.1620:
	s_cmp_lg_u32 s26, 0
	s_mov_b32 s4, 0
	s_cbranch_scc0 .LBB47_1629
; %bb.1621:
	s_min_u32 s5, s27, 15
	v_dual_mov_b32 v0, 0 :: v_dual_mov_b32 v3, v1
	s_wait_loadcnt 0x0
	v_dual_mov_b32 v10, 0 :: v_dual_mov_b32 v8, 0
	s_add_co_i32 s6, s5, 1
	s_mov_b64 s[0:1], 0xffffffffffffffe8
	s_and_b32 s6, s6, 30
	s_add_nc_u64 s[0:1], s[2:3], s[0:1]
.LBB47_1622:                            ; =>This Inner Loop Header: Depth=1
	s_clause 0x1
	s_load_b128 s[12:15], s[0:1], 0x1c
	s_load_b64 s[10:11], s[0:1], 0x2c
	s_add_co_i32 s6, s6, -2
	s_delay_alu instid0(SALU_CYCLE_1) | instskip(SKIP_2) | instid1(VALU_DEP_1)
	s_cmp_lg_u32 s6, 0
	s_wait_kmcnt 0x0
	v_mul_hi_u32 v5, s13, v3
	v_add_nc_u32_e32 v5, v3, v5
	s_delay_alu instid0(VALU_DEP_1) | instskip(NEXT) | instid1(VALU_DEP_1)
	v_lshrrev_b32_e32 v5, s14, v5
	v_mul_hi_u32 v7, s10, v5
	v_mul_lo_u32 v9, v5, s12
	s_clause 0x1
	s_load_b128 s[16:19], s[0:1], 0xdc
	s_load_b64 s[12:13], s[0:1], 0xec
	s_wait_xcnt 0x0
	s_add_nc_u64 s[0:1], s[0:1], 24
	s_delay_alu instid0(VALU_DEP_1) | instskip(NEXT) | instid1(VALU_DEP_1)
	v_dual_add_nc_u32 v7, v5, v7 :: v_dual_sub_nc_u32 v9, v3, v9
	v_lshrrev_b32_e32 v3, s11, v7
	s_wait_kmcnt 0x0
	s_delay_alu instid0(VALU_DEP_2) | instskip(NEXT) | instid1(VALU_DEP_2)
	v_mad_u32 v0, v9, s16, v0
	v_mul_lo_u32 v7, v3, s15
	v_mad_u32 v8, v9, s18, v8
	v_mad_u32 v9, v9, s17, v10
	s_delay_alu instid0(VALU_DEP_3) | instskip(NEXT) | instid1(VALU_DEP_1)
	v_sub_nc_u32_e32 v5, v5, v7
	v_mad_u32 v0, v5, s19, v0
	s_delay_alu instid0(VALU_DEP_4) | instskip(NEXT) | instid1(VALU_DEP_4)
	v_mad_u32 v8, v5, s13, v8
	v_mad_u32 v10, v5, s12, v9
	s_cbranch_scc1 .LBB47_1622
; %bb.1623:
	s_bitcmp1_b32 s5, 0
	s_cselect_b32 s5, -1, 0
	s_delay_alu instid0(SALU_CYCLE_1)
	s_and_b32 vcc_lo, exec_lo, s5
	s_cbranch_vccnz .LBB47_1626
; %bb.1624:
	s_clause 0x1
	s_load_b96 s[12:14], s[0:1], 0x1c
	s_load_b96 s[16:18], s[0:1], 0xdc
	s_wait_kmcnt 0x0
	v_mul_hi_u32 v5, s13, v3
	s_delay_alu instid0(VALU_DEP_1) | instskip(NEXT) | instid1(VALU_DEP_1)
	v_add_nc_u32_e32 v5, v3, v5
	v_lshrrev_b32_e32 v5, s14, v5
	s_delay_alu instid0(VALU_DEP_1) | instskip(NEXT) | instid1(VALU_DEP_1)
	v_mul_lo_u32 v5, v5, s12
	v_sub_nc_u32_e32 v3, v3, v5
	s_delay_alu instid0(VALU_DEP_1)
	v_mad_u32 v0, v3, s16, v0
	v_mad_u32 v10, v3, s17, v10
	;; [unrolled: 1-line block ×3, first 2 shown]
	s_and_not1_b32 vcc_lo, exec_lo, s4
	s_cbranch_vccz .LBB47_1627
	s_branch .LBB47_1630
.LBB47_1625:
	s_mov_b32 s4, -1
                                        ; implicit-def: $vgpr8
                                        ; implicit-def: $vgpr10
                                        ; implicit-def: $vgpr0
.LBB47_1626:
	s_delay_alu instid0(SALU_CYCLE_1)
	s_and_not1_b32 vcc_lo, exec_lo, s4
	s_cbranch_vccnz .LBB47_1630
.LBB47_1627:
	s_clause 0x1
	s_load_b96 s[4:6], s[2:3], 0x4
	s_load_b96 s[12:14], s[2:3], 0xc4
	s_cmp_lt_u32 s26, 2
	s_wait_kmcnt 0x0
	v_mul_hi_u32 v0, s5, v1
	s_delay_alu instid0(VALU_DEP_1) | instskip(NEXT) | instid1(VALU_DEP_1)
	v_add_nc_u32_e32 v0, v1, v0
	v_lshrrev_b32_e32 v3, s6, v0
	s_delay_alu instid0(VALU_DEP_1) | instskip(NEXT) | instid1(VALU_DEP_1)
	v_mul_lo_u32 v0, v3, s4
	v_sub_nc_u32_e32 v1, v1, v0
	s_delay_alu instid0(VALU_DEP_1)
	v_mul_lo_u32 v0, v1, s12
	s_wait_loadcnt 0x0
	v_mul_lo_u32 v8, v1, s14
	v_mul_lo_u32 v10, v1, s13
	s_cbranch_scc1 .LBB47_1630
; %bb.1628:
	s_clause 0x1
	s_load_b96 s[4:6], s[2:3], 0x10
	s_load_b96 s[12:14], s[2:3], 0xd0
	s_wait_kmcnt 0x0
	v_mul_hi_u32 v1, s5, v3
	s_delay_alu instid0(VALU_DEP_1) | instskip(NEXT) | instid1(VALU_DEP_1)
	v_add_nc_u32_e32 v1, v3, v1
	v_lshrrev_b32_e32 v1, s6, v1
	s_delay_alu instid0(VALU_DEP_1) | instskip(NEXT) | instid1(VALU_DEP_1)
	v_mul_lo_u32 v1, v1, s4
	v_sub_nc_u32_e32 v1, v3, v1
	s_delay_alu instid0(VALU_DEP_1)
	v_mad_u32 v0, v1, s12, v0
	v_mad_u32 v10, v1, s13, v10
	;; [unrolled: 1-line block ×3, first 2 shown]
	s_branch .LBB47_1630
.LBB47_1629:
	s_wait_loadcnt 0x0
	v_dual_mov_b32 v8, 0 :: v_dual_mov_b32 v10, 0
	v_mov_b32_e32 v0, 0
	s_and_not1_b32 vcc_lo, exec_lo, s4
	s_cbranch_vccz .LBB47_1627
.LBB47_1630:
	v_mov_b32_e32 v23, 0
	s_load_b128 s[4:7], s[2:3], 0x188
	global_load_u8 v1, v23, s[2:3] offset:418
	s_wait_kmcnt 0x0
	v_add_nc_u64_e32 v[24:25], s[6:7], v[22:23]
	s_wait_loadcnt 0x0
	v_and_b32_e32 v3, 0xffff, v1
	v_readfirstlane_b32 s11, v1
	s_delay_alu instid0(VALU_DEP_2)
	v_cmp_gt_i32_e32 vcc_lo, 11, v3
	s_cbranch_vccnz .LBB47_1637
; %bb.1631:
	s_and_b32 s0, 0xffff, s11
	s_mov_b32 s12, 0
	s_cmp_gt_i32 s0, 25
	s_cbranch_scc0 .LBB47_1639
; %bb.1632:
	s_cmp_gt_i32 s0, 28
	s_cbranch_scc0 .LBB47_1640
; %bb.1633:
	;; [unrolled: 3-line block ×4, first 2 shown]
	s_cmp_eq_u32 s0, 46
	s_mov_b32 s10, 0
	s_cbranch_scc0 .LBB47_1645
; %bb.1636:
	global_load_b32 v1, v[24:25], off
	s_mov_b32 s1, 0
	s_mov_b32 s13, -1
	s_wait_loadcnt 0x0
	v_lshlrev_b32_e32 v1, 16, v1
	s_delay_alu instid0(VALU_DEP_1) | instskip(NEXT) | instid1(VALU_DEP_1)
	v_trunc_f32_e32 v1, v1
	v_mul_f32_e64 v3, 0x2f800000, |v1|
	s_delay_alu instid0(VALU_DEP_1) | instskip(NEXT) | instid1(VALU_DEP_1)
	v_floor_f32_e32 v3, v3
	v_fma_f32 v3, 0xcf800000, v3, |v1|
	v_ashrrev_i32_e32 v1, 31, v1
	s_delay_alu instid0(VALU_DEP_2) | instskip(NEXT) | instid1(VALU_DEP_1)
	v_cvt_u32_f32_e32 v3, v3
	v_xor_b32_e32 v3, v3, v1
	s_delay_alu instid0(VALU_DEP_1)
	v_sub_nc_u32_e32 v22, v3, v1
	s_branch .LBB47_1647
.LBB47_1637:
	s_mov_b32 s13, 0
	s_mov_b32 s10, s8
                                        ; implicit-def: $vgpr22
	s_cbranch_execnz .LBB47_1705
.LBB47_1638:
	s_and_not1_b32 vcc_lo, exec_lo, s13
	s_cbranch_vccz .LBB47_1750
	s_branch .LBB47_2741
.LBB47_1639:
	s_mov_b32 s13, 0
	s_mov_b32 s1, 0
                                        ; implicit-def: $vgpr22
	s_cbranch_execnz .LBB47_1672
	s_branch .LBB47_1701
.LBB47_1640:
	s_mov_b32 s13, 0
	s_mov_b32 s1, 0
                                        ; implicit-def: $vgpr22
	s_cbranch_execz .LBB47_1671
	s_branch .LBB47_1656
.LBB47_1641:
	s_mov_b32 s13, 0
	s_mov_b32 s1, 0
                                        ; implicit-def: $vgpr22
	s_cbranch_execnz .LBB47_1652
	s_branch .LBB47_1655
.LBB47_1642:
	s_mov_b32 s10, -1
	s_mov_b32 s13, 0
	s_mov_b32 s1, 0
	s_branch .LBB47_1646
.LBB47_1643:
	s_and_not1_saveexec_b32 s9, s9
	s_cbranch_execz .LBB47_1498
.LBB47_1644:
	v_add_f32_e32 v2, 0x46000000, v3
	s_and_not1_b32 s8, s8, exec_lo
	s_delay_alu instid0(VALU_DEP_1) | instskip(NEXT) | instid1(VALU_DEP_1)
	v_and_b32_e32 v2, 0xff, v2
	v_cmp_ne_u32_e32 vcc_lo, 0, v2
	s_and_b32 s10, vcc_lo, exec_lo
	s_delay_alu instid0(SALU_CYCLE_1)
	s_or_b32 s8, s8, s10
	s_or_b32 exec_lo, exec_lo, s9
	v_mov_b32_e32 v4, 0
	s_and_saveexec_b32 s9, s8
	s_cbranch_execnz .LBB47_1499
	s_branch .LBB47_1500
.LBB47_1645:
	s_mov_b32 s1, -1
	s_mov_b32 s13, 0
.LBB47_1646:
                                        ; implicit-def: $vgpr22
.LBB47_1647:
	s_and_b32 vcc_lo, exec_lo, s10
	s_cbranch_vccz .LBB47_1650
; %bb.1648:
	s_cmp_eq_u32 s0, 44
	s_cbranch_scc0 .LBB47_1651
; %bb.1649:
	global_load_u8 v1, v[24:25], off
	s_mov_b32 s1, 0
	s_mov_b32 s13, -1
	s_wait_loadcnt 0x0
	v_lshlrev_b32_e32 v3, 23, v1
	v_cmp_ne_u32_e32 vcc_lo, 0, v1
	s_delay_alu instid0(VALU_DEP_2) | instskip(NEXT) | instid1(VALU_DEP_1)
	v_trunc_f32_e32 v3, v3
	v_mul_f32_e64 v5, 0x2f800000, |v3|
	s_delay_alu instid0(VALU_DEP_1) | instskip(NEXT) | instid1(VALU_DEP_1)
	v_floor_f32_e32 v5, v5
	v_fma_f32 v5, 0xcf800000, v5, |v3|
	v_ashrrev_i32_e32 v3, 31, v3
	s_delay_alu instid0(VALU_DEP_2) | instskip(NEXT) | instid1(VALU_DEP_1)
	v_cvt_u32_f32_e32 v5, v5
	v_xor_b32_e32 v5, v5, v3
	s_delay_alu instid0(VALU_DEP_1) | instskip(NEXT) | instid1(VALU_DEP_1)
	v_sub_nc_u32_e32 v3, v5, v3
	v_cndmask_b32_e32 v22, 0, v3, vcc_lo
.LBB47_1650:
	s_branch .LBB47_1655
.LBB47_1651:
	s_mov_b32 s1, -1
                                        ; implicit-def: $vgpr22
	s_branch .LBB47_1655
.LBB47_1652:
	s_cmp_eq_u32 s0, 29
	s_cbranch_scc0 .LBB47_1654
; %bb.1653:
	global_load_b64 v[22:23], v[24:25], off
	s_mov_b32 s1, 0
	s_mov_b32 s13, -1
	s_branch .LBB47_1655
.LBB47_1654:
	s_mov_b32 s1, -1
                                        ; implicit-def: $vgpr22
.LBB47_1655:
	s_branch .LBB47_1671
.LBB47_1656:
	s_cmp_lt_i32 s0, 27
	s_cbranch_scc1 .LBB47_1659
; %bb.1657:
	s_cmp_gt_i32 s0, 27
	s_cbranch_scc0 .LBB47_1660
; %bb.1658:
	s_wait_loadcnt 0x0
	global_load_b32 v22, v[24:25], off
	s_mov_b32 s10, 0
	s_branch .LBB47_1661
.LBB47_1659:
	s_mov_b32 s10, -1
                                        ; implicit-def: $vgpr22
	s_branch .LBB47_1664
.LBB47_1660:
	s_mov_b32 s10, -1
                                        ; implicit-def: $vgpr22
.LBB47_1661:
	s_delay_alu instid0(SALU_CYCLE_1)
	s_and_not1_b32 vcc_lo, exec_lo, s10
	s_cbranch_vccnz .LBB47_1663
; %bb.1662:
	s_wait_loadcnt 0x0
	global_load_u16 v22, v[24:25], off
.LBB47_1663:
	s_mov_b32 s10, 0
.LBB47_1664:
	s_delay_alu instid0(SALU_CYCLE_1)
	s_and_not1_b32 vcc_lo, exec_lo, s10
	s_cbranch_vccnz .LBB47_1670
; %bb.1665:
	global_load_u8 v1, v[24:25], off
	s_mov_b32 s13, 0
	s_mov_b32 s10, exec_lo
	s_wait_loadcnt 0x0
	v_cmpx_lt_i16_e32 0x7f, v1
	s_xor_b32 s10, exec_lo, s10
	s_cbranch_execz .LBB47_1681
; %bb.1666:
	v_cmp_ne_u16_e32 vcc_lo, 0x80, v1
	s_and_b32 s13, vcc_lo, exec_lo
	s_and_not1_saveexec_b32 s10, s10
	s_cbranch_execnz .LBB47_1682
.LBB47_1667:
	s_or_b32 exec_lo, exec_lo, s10
	v_mov_b32_e32 v22, 0
	s_and_saveexec_b32 s10, s13
	s_cbranch_execz .LBB47_1669
.LBB47_1668:
	v_and_b32_e32 v3, 0xffff, v1
	s_delay_alu instid0(VALU_DEP_1) | instskip(SKIP_1) | instid1(VALU_DEP_2)
	v_dual_lshlrev_b32 v1, 24, v1 :: v_dual_bitop2_b32 v5, 7, v3 bitop3:0x40
	v_bfe_u32 v11, v3, 3, 4
	v_and_b32_e32 v1, 0x80000000, v1
	s_delay_alu instid0(VALU_DEP_3) | instskip(NEXT) | instid1(VALU_DEP_3)
	v_clz_i32_u32_e32 v7, v5
	v_cmp_eq_u32_e32 vcc_lo, 0, v11
	s_delay_alu instid0(VALU_DEP_2) | instskip(NEXT) | instid1(VALU_DEP_1)
	v_min_u32_e32 v7, 32, v7
	v_subrev_nc_u32_e32 v9, 28, v7
	v_sub_nc_u32_e32 v7, 29, v7
	s_delay_alu instid0(VALU_DEP_2) | instskip(NEXT) | instid1(VALU_DEP_2)
	v_lshlrev_b32_e32 v3, v9, v3
	v_cndmask_b32_e32 v7, v11, v7, vcc_lo
	s_delay_alu instid0(VALU_DEP_2) | instskip(NEXT) | instid1(VALU_DEP_1)
	v_and_b32_e32 v3, 7, v3
	v_cndmask_b32_e32 v3, v5, v3, vcc_lo
	s_delay_alu instid0(VALU_DEP_3) | instskip(NEXT) | instid1(VALU_DEP_2)
	v_lshl_add_u32 v5, v7, 23, 0x3b800000
	v_lshlrev_b32_e32 v3, 20, v3
	s_delay_alu instid0(VALU_DEP_1) | instskip(NEXT) | instid1(VALU_DEP_1)
	v_or3_b32 v1, v1, v5, v3
	v_trunc_f32_e32 v1, v1
	s_delay_alu instid0(VALU_DEP_1) | instskip(NEXT) | instid1(VALU_DEP_1)
	v_mul_f32_e64 v3, 0x2f800000, |v1|
	v_floor_f32_e32 v3, v3
	s_delay_alu instid0(VALU_DEP_1) | instskip(SKIP_1) | instid1(VALU_DEP_2)
	v_fma_f32 v3, 0xcf800000, v3, |v1|
	v_ashrrev_i32_e32 v1, 31, v1
	v_cvt_u32_f32_e32 v3, v3
	s_delay_alu instid0(VALU_DEP_1) | instskip(NEXT) | instid1(VALU_DEP_1)
	v_xor_b32_e32 v3, v3, v1
	v_sub_nc_u32_e32 v22, v3, v1
.LBB47_1669:
	s_or_b32 exec_lo, exec_lo, s10
.LBB47_1670:
	s_mov_b32 s13, -1
.LBB47_1671:
	s_branch .LBB47_1701
.LBB47_1672:
	s_cmp_gt_i32 s0, 22
	s_cbranch_scc0 .LBB47_1680
; %bb.1673:
	s_cmp_lt_i32 s0, 24
	s_cbranch_scc1 .LBB47_1683
; %bb.1674:
	s_cmp_gt_i32 s0, 24
	s_cbranch_scc0 .LBB47_1684
; %bb.1675:
	global_load_u8 v1, v[24:25], off
	s_mov_b32 s10, exec_lo
	s_wait_loadcnt 0x0
	v_cmpx_lt_i16_e32 0x7f, v1
	s_xor_b32 s10, exec_lo, s10
	s_cbranch_execz .LBB47_1695
; %bb.1676:
	v_cmp_ne_u16_e32 vcc_lo, 0x80, v1
	s_and_b32 s12, vcc_lo, exec_lo
	s_and_not1_saveexec_b32 s10, s10
	s_cbranch_execnz .LBB47_1696
.LBB47_1677:
	s_or_b32 exec_lo, exec_lo, s10
	v_mov_b32_e32 v22, 0
	s_and_saveexec_b32 s10, s12
	s_cbranch_execz .LBB47_1679
.LBB47_1678:
	v_and_b32_e32 v3, 0xffff, v1
	s_delay_alu instid0(VALU_DEP_1) | instskip(SKIP_1) | instid1(VALU_DEP_2)
	v_dual_lshlrev_b32 v1, 24, v1 :: v_dual_bitop2_b32 v5, 3, v3 bitop3:0x40
	v_bfe_u32 v11, v3, 2, 5
	v_and_b32_e32 v1, 0x80000000, v1
	s_delay_alu instid0(VALU_DEP_3) | instskip(NEXT) | instid1(VALU_DEP_3)
	v_clz_i32_u32_e32 v7, v5
	v_cmp_eq_u32_e32 vcc_lo, 0, v11
	s_delay_alu instid0(VALU_DEP_2) | instskip(NEXT) | instid1(VALU_DEP_1)
	v_min_u32_e32 v7, 32, v7
	v_subrev_nc_u32_e32 v9, 29, v7
	v_sub_nc_u32_e32 v7, 30, v7
	s_delay_alu instid0(VALU_DEP_2) | instskip(NEXT) | instid1(VALU_DEP_2)
	v_lshlrev_b32_e32 v3, v9, v3
	v_cndmask_b32_e32 v7, v11, v7, vcc_lo
	s_delay_alu instid0(VALU_DEP_2) | instskip(NEXT) | instid1(VALU_DEP_1)
	v_and_b32_e32 v3, 3, v3
	v_cndmask_b32_e32 v3, v5, v3, vcc_lo
	s_delay_alu instid0(VALU_DEP_3) | instskip(NEXT) | instid1(VALU_DEP_2)
	v_lshl_add_u32 v5, v7, 23, 0x37800000
	v_lshlrev_b32_e32 v3, 21, v3
	s_delay_alu instid0(VALU_DEP_1) | instskip(NEXT) | instid1(VALU_DEP_1)
	v_or3_b32 v1, v1, v5, v3
	v_trunc_f32_e32 v1, v1
	s_delay_alu instid0(VALU_DEP_1) | instskip(NEXT) | instid1(VALU_DEP_1)
	v_mul_f32_e64 v3, 0x2f800000, |v1|
	v_floor_f32_e32 v3, v3
	s_delay_alu instid0(VALU_DEP_1) | instskip(SKIP_1) | instid1(VALU_DEP_2)
	v_fma_f32 v3, 0xcf800000, v3, |v1|
	v_ashrrev_i32_e32 v1, 31, v1
	v_cvt_u32_f32_e32 v3, v3
	s_delay_alu instid0(VALU_DEP_1) | instskip(NEXT) | instid1(VALU_DEP_1)
	v_xor_b32_e32 v3, v3, v1
	v_sub_nc_u32_e32 v22, v3, v1
.LBB47_1679:
	s_or_b32 exec_lo, exec_lo, s10
	s_mov_b32 s10, 0
	s_branch .LBB47_1685
.LBB47_1680:
                                        ; implicit-def: $vgpr22
	s_mov_b32 s12, 0
	s_branch .LBB47_1691
.LBB47_1681:
	s_and_not1_saveexec_b32 s10, s10
	s_cbranch_execz .LBB47_1667
.LBB47_1682:
	v_cmp_ne_u16_e32 vcc_lo, 0, v1
	s_and_not1_b32 s13, s13, exec_lo
	s_and_b32 s14, vcc_lo, exec_lo
	s_delay_alu instid0(SALU_CYCLE_1)
	s_or_b32 s13, s13, s14
	s_or_b32 exec_lo, exec_lo, s10
	v_mov_b32_e32 v22, 0
	s_and_saveexec_b32 s10, s13
	s_cbranch_execnz .LBB47_1668
	s_branch .LBB47_1669
.LBB47_1683:
	s_mov_b32 s10, -1
                                        ; implicit-def: $vgpr22
	s_branch .LBB47_1688
.LBB47_1684:
	s_mov_b32 s10, -1
                                        ; implicit-def: $vgpr22
.LBB47_1685:
	s_delay_alu instid0(SALU_CYCLE_1)
	s_and_b32 vcc_lo, exec_lo, s10
	s_cbranch_vccz .LBB47_1687
; %bb.1686:
	global_load_u8 v1, v[24:25], off
	s_wait_loadcnt 0x0
	v_lshlrev_b32_e32 v1, 24, v1
	s_delay_alu instid0(VALU_DEP_1) | instskip(NEXT) | instid1(VALU_DEP_1)
	v_and_b32_e32 v3, 0x7f000000, v1
	v_clz_i32_u32_e32 v5, v3
	v_add_nc_u32_e32 v9, 0x1000000, v3
	v_cmp_ne_u32_e32 vcc_lo, 0, v3
	s_delay_alu instid0(VALU_DEP_3) | instskip(NEXT) | instid1(VALU_DEP_1)
	v_min_u32_e32 v5, 32, v5
	v_sub_nc_u32_e64 v5, v5, 4 clamp
	s_delay_alu instid0(VALU_DEP_1) | instskip(NEXT) | instid1(VALU_DEP_1)
	v_dual_lshlrev_b32 v7, v5, v3 :: v_dual_lshlrev_b32 v5, 23, v5
	v_lshrrev_b32_e32 v7, 4, v7
	s_delay_alu instid0(VALU_DEP_1) | instskip(SKIP_1) | instid1(VALU_DEP_2)
	v_sub_nc_u32_e32 v5, v7, v5
	v_ashrrev_i32_e32 v7, 8, v9
	v_add_nc_u32_e32 v5, 0x3c000000, v5
	s_delay_alu instid0(VALU_DEP_1) | instskip(NEXT) | instid1(VALU_DEP_1)
	v_and_or_b32 v5, 0x7f800000, v7, v5
	v_cndmask_b32_e32 v3, 0, v5, vcc_lo
	s_delay_alu instid0(VALU_DEP_1) | instskip(NEXT) | instid1(VALU_DEP_1)
	v_and_or_b32 v1, 0x80000000, v1, v3
	v_trunc_f32_e32 v1, v1
	s_delay_alu instid0(VALU_DEP_1) | instskip(NEXT) | instid1(VALU_DEP_1)
	v_mul_f32_e64 v3, 0x2f800000, |v1|
	v_floor_f32_e32 v3, v3
	s_delay_alu instid0(VALU_DEP_1) | instskip(SKIP_1) | instid1(VALU_DEP_2)
	v_fma_f32 v3, 0xcf800000, v3, |v1|
	v_ashrrev_i32_e32 v1, 31, v1
	v_cvt_u32_f32_e32 v3, v3
	s_delay_alu instid0(VALU_DEP_1) | instskip(NEXT) | instid1(VALU_DEP_1)
	v_xor_b32_e32 v3, v3, v1
	v_sub_nc_u32_e32 v22, v3, v1
.LBB47_1687:
	s_mov_b32 s10, 0
.LBB47_1688:
	s_delay_alu instid0(SALU_CYCLE_1)
	s_and_not1_b32 vcc_lo, exec_lo, s10
	s_cbranch_vccnz .LBB47_1690
; %bb.1689:
	global_load_u8 v1, v[24:25], off
	s_wait_loadcnt 0x0
	v_lshlrev_b32_e32 v3, 25, v1
	v_lshlrev_b16 v1, 8, v1
	s_delay_alu instid0(VALU_DEP_1) | instskip(SKIP_1) | instid1(VALU_DEP_2)
	v_and_or_b32 v7, 0x7f00, v1, 0.5
	v_bfe_i32 v1, v1, 0, 16
	v_add_f32_e32 v7, -0.5, v7
	v_lshrrev_b32_e32 v5, 4, v3
	v_cmp_gt_u32_e32 vcc_lo, 0x8000000, v3
	s_delay_alu instid0(VALU_DEP_2) | instskip(NEXT) | instid1(VALU_DEP_1)
	v_or_b32_e32 v5, 0x70000000, v5
	v_mul_f32_e32 v5, 0x7800000, v5
	s_delay_alu instid0(VALU_DEP_1) | instskip(NEXT) | instid1(VALU_DEP_1)
	v_cndmask_b32_e32 v3, v5, v7, vcc_lo
	v_and_or_b32 v1, 0x80000000, v1, v3
	s_delay_alu instid0(VALU_DEP_1) | instskip(NEXT) | instid1(VALU_DEP_1)
	v_trunc_f32_e32 v1, v1
	v_mul_f32_e64 v3, 0x2f800000, |v1|
	s_delay_alu instid0(VALU_DEP_1) | instskip(NEXT) | instid1(VALU_DEP_1)
	v_floor_f32_e32 v3, v3
	v_fma_f32 v3, 0xcf800000, v3, |v1|
	v_ashrrev_i32_e32 v1, 31, v1
	s_delay_alu instid0(VALU_DEP_2) | instskip(NEXT) | instid1(VALU_DEP_1)
	v_cvt_u32_f32_e32 v3, v3
	v_xor_b32_e32 v3, v3, v1
	s_delay_alu instid0(VALU_DEP_1)
	v_sub_nc_u32_e32 v22, v3, v1
.LBB47_1690:
	s_mov_b32 s13, -1
	s_mov_b32 s12, 0
	s_cbranch_execnz .LBB47_1701
.LBB47_1691:
	s_cmp_gt_i32 s0, 14
	s_cbranch_scc0 .LBB47_1694
; %bb.1692:
	s_cmp_eq_u32 s0, 15
	s_cbranch_scc0 .LBB47_1697
; %bb.1693:
	global_load_u16 v1, v[24:25], off
	s_mov_b32 s1, 0
	s_mov_b32 s13, -1
	s_wait_loadcnt 0x0
	v_lshlrev_b32_e32 v1, 16, v1
	s_delay_alu instid0(VALU_DEP_1) | instskip(NEXT) | instid1(VALU_DEP_1)
	v_trunc_f32_e32 v1, v1
	v_mul_f32_e64 v3, 0x2f800000, |v1|
	s_delay_alu instid0(VALU_DEP_1) | instskip(NEXT) | instid1(VALU_DEP_1)
	v_floor_f32_e32 v3, v3
	v_fma_f32 v3, 0xcf800000, v3, |v1|
	v_ashrrev_i32_e32 v1, 31, v1
	s_delay_alu instid0(VALU_DEP_2) | instskip(NEXT) | instid1(VALU_DEP_1)
	v_cvt_u32_f32_e32 v3, v3
	v_xor_b32_e32 v3, v3, v1
	s_delay_alu instid0(VALU_DEP_1)
	v_sub_nc_u32_e32 v22, v3, v1
	s_branch .LBB47_1698
.LBB47_1694:
	s_mov_b32 s10, -1
                                        ; implicit-def: $vgpr22
	s_branch .LBB47_1699
.LBB47_1695:
	s_and_not1_saveexec_b32 s10, s10
	s_cbranch_execz .LBB47_1677
.LBB47_1696:
	v_cmp_ne_u16_e32 vcc_lo, 0, v1
	s_and_not1_b32 s12, s12, exec_lo
	s_and_b32 s13, vcc_lo, exec_lo
	s_delay_alu instid0(SALU_CYCLE_1)
	s_or_b32 s12, s12, s13
	s_or_b32 exec_lo, exec_lo, s10
	v_mov_b32_e32 v22, 0
	s_and_saveexec_b32 s10, s12
	s_cbranch_execnz .LBB47_1678
	s_branch .LBB47_1679
.LBB47_1697:
	s_mov_b32 s1, -1
                                        ; implicit-def: $vgpr22
.LBB47_1698:
	s_mov_b32 s10, 0
.LBB47_1699:
	s_delay_alu instid0(SALU_CYCLE_1)
	s_and_b32 vcc_lo, exec_lo, s10
	s_cbranch_vccz .LBB47_1701
; %bb.1700:
	s_cmp_lg_u32 s0, 11
	s_mov_b32 s12, -1
	s_cselect_b32 s1, -1, 0
.LBB47_1701:
	s_delay_alu instid0(SALU_CYCLE_1)
	s_and_b32 vcc_lo, exec_lo, s1
	s_mov_b32 s10, s8
	s_cbranch_vccnz .LBB47_1762
; %bb.1702:
	s_and_not1_b32 vcc_lo, exec_lo, s12
	s_cbranch_vccnz .LBB47_1704
.LBB47_1703:
	global_load_u8 v1, v[24:25], off
	s_mov_b32 s13, -1
	s_wait_loadcnt 0x0
	v_cmp_ne_u16_e32 vcc_lo, 0, v1
	v_cndmask_b32_e64 v22, 0, 1, vcc_lo
.LBB47_1704:
	s_branch .LBB47_1638
.LBB47_1705:
	s_and_b32 s0, 0xffff, s11
	s_delay_alu instid0(SALU_CYCLE_1)
	s_cmp_lt_i32 s0, 5
	s_cbranch_scc1 .LBB47_1710
; %bb.1706:
	s_cmp_lt_i32 s0, 8
	s_cbranch_scc1 .LBB47_1711
; %bb.1707:
	;; [unrolled: 3-line block ×3, first 2 shown]
	s_cmp_gt_i32 s0, 9
	s_cbranch_scc0 .LBB47_1713
; %bb.1709:
	s_wait_loadcnt 0x0
	global_load_b64 v[22:23], v[24:25], off
	s_mov_b32 s1, 0
	s_wait_loadcnt 0x0
	v_trunc_f64_e32 v[22:23], v[22:23]
	s_delay_alu instid0(VALU_DEP_1) | instskip(NEXT) | instid1(VALU_DEP_1)
	v_ldexp_f64 v[26:27], v[22:23], 0xffffffe0
	v_floor_f64_e32 v[26:27], v[26:27]
	s_delay_alu instid0(VALU_DEP_1) | instskip(NEXT) | instid1(VALU_DEP_1)
	v_fmamk_f64 v[22:23], v[26:27], 0xc1f00000, v[22:23]
	v_cvt_u32_f64_e32 v22, v[22:23]
	s_branch .LBB47_1714
.LBB47_1710:
                                        ; implicit-def: $vgpr22
	s_branch .LBB47_1731
.LBB47_1711:
                                        ; implicit-def: $vgpr22
	s_branch .LBB47_1720
.LBB47_1712:
	s_mov_b32 s1, -1
                                        ; implicit-def: $vgpr22
	s_branch .LBB47_1717
.LBB47_1713:
	s_mov_b32 s1, -1
                                        ; implicit-def: $vgpr22
.LBB47_1714:
	s_delay_alu instid0(SALU_CYCLE_1)
	s_and_not1_b32 vcc_lo, exec_lo, s1
	s_cbranch_vccnz .LBB47_1716
; %bb.1715:
	global_load_b32 v1, v[24:25], off
	s_wait_loadcnt 0x0
	v_trunc_f32_e32 v1, v1
	s_delay_alu instid0(VALU_DEP_1) | instskip(NEXT) | instid1(VALU_DEP_1)
	v_mul_f32_e64 v3, 0x2f800000, |v1|
	v_floor_f32_e32 v3, v3
	s_delay_alu instid0(VALU_DEP_1) | instskip(SKIP_1) | instid1(VALU_DEP_2)
	v_fma_f32 v3, 0xcf800000, v3, |v1|
	v_ashrrev_i32_e32 v1, 31, v1
	v_cvt_u32_f32_e32 v3, v3
	s_delay_alu instid0(VALU_DEP_1) | instskip(NEXT) | instid1(VALU_DEP_1)
	v_xor_b32_e32 v3, v3, v1
	v_sub_nc_u32_e32 v22, v3, v1
.LBB47_1716:
	s_mov_b32 s1, 0
.LBB47_1717:
	s_delay_alu instid0(SALU_CYCLE_1)
	s_and_not1_b32 vcc_lo, exec_lo, s1
	s_cbranch_vccnz .LBB47_1719
; %bb.1718:
	global_load_b32 v1, v[24:25], off
	s_wait_loadcnt 0x0
	v_cvt_f32_f16_e32 v1, v1
	s_delay_alu instid0(VALU_DEP_1)
	v_cvt_i32_f32_e32 v22, v1
.LBB47_1719:
	s_cbranch_execnz .LBB47_1730
.LBB47_1720:
	s_cmp_lt_i32 s0, 6
	s_cbranch_scc1 .LBB47_1723
; %bb.1721:
	s_cmp_gt_i32 s0, 6
	s_cbranch_scc0 .LBB47_1724
; %bb.1722:
	s_wait_loadcnt 0x0
	global_load_b64 v[22:23], v[24:25], off
	s_mov_b32 s1, 0
	s_wait_loadcnt 0x0
	v_trunc_f64_e32 v[22:23], v[22:23]
	s_delay_alu instid0(VALU_DEP_1) | instskip(NEXT) | instid1(VALU_DEP_1)
	v_ldexp_f64 v[26:27], v[22:23], 0xffffffe0
	v_floor_f64_e32 v[26:27], v[26:27]
	s_delay_alu instid0(VALU_DEP_1) | instskip(NEXT) | instid1(VALU_DEP_1)
	v_fmamk_f64 v[22:23], v[26:27], 0xc1f00000, v[22:23]
	v_cvt_u32_f64_e32 v22, v[22:23]
	s_branch .LBB47_1725
.LBB47_1723:
	s_mov_b32 s1, -1
                                        ; implicit-def: $vgpr22
	s_branch .LBB47_1728
.LBB47_1724:
	s_mov_b32 s1, -1
                                        ; implicit-def: $vgpr22
.LBB47_1725:
	s_delay_alu instid0(SALU_CYCLE_1)
	s_and_not1_b32 vcc_lo, exec_lo, s1
	s_cbranch_vccnz .LBB47_1727
; %bb.1726:
	global_load_b32 v1, v[24:25], off
	s_wait_loadcnt 0x0
	v_trunc_f32_e32 v1, v1
	s_delay_alu instid0(VALU_DEP_1) | instskip(NEXT) | instid1(VALU_DEP_1)
	v_mul_f32_e64 v3, 0x2f800000, |v1|
	v_floor_f32_e32 v3, v3
	s_delay_alu instid0(VALU_DEP_1) | instskip(SKIP_1) | instid1(VALU_DEP_2)
	v_fma_f32 v3, 0xcf800000, v3, |v1|
	v_ashrrev_i32_e32 v1, 31, v1
	v_cvt_u32_f32_e32 v3, v3
	s_delay_alu instid0(VALU_DEP_1) | instskip(NEXT) | instid1(VALU_DEP_1)
	v_xor_b32_e32 v3, v3, v1
	v_sub_nc_u32_e32 v22, v3, v1
.LBB47_1727:
	s_mov_b32 s1, 0
.LBB47_1728:
	s_delay_alu instid0(SALU_CYCLE_1)
	s_and_not1_b32 vcc_lo, exec_lo, s1
	s_cbranch_vccnz .LBB47_1730
; %bb.1729:
	global_load_u16 v1, v[24:25], off
	s_wait_loadcnt 0x0
	v_cvt_f32_f16_e32 v1, v1
	s_delay_alu instid0(VALU_DEP_1)
	v_cvt_i32_f32_e32 v22, v1
.LBB47_1730:
	s_cbranch_execnz .LBB47_1749
.LBB47_1731:
	s_cmp_lt_i32 s0, 2
	s_cbranch_scc1 .LBB47_1735
; %bb.1732:
	s_cmp_lt_i32 s0, 3
	s_cbranch_scc1 .LBB47_1736
; %bb.1733:
	s_cmp_gt_i32 s0, 3
	s_cbranch_scc0 .LBB47_1737
; %bb.1734:
	s_wait_loadcnt 0x0
	global_load_b64 v[22:23], v[24:25], off
	s_mov_b32 s1, 0
	s_branch .LBB47_1738
.LBB47_1735:
                                        ; implicit-def: $vgpr22
	s_branch .LBB47_1744
.LBB47_1736:
	s_mov_b32 s1, -1
                                        ; implicit-def: $vgpr22
	s_branch .LBB47_1741
.LBB47_1737:
	s_mov_b32 s1, -1
                                        ; implicit-def: $vgpr22
.LBB47_1738:
	s_delay_alu instid0(SALU_CYCLE_1)
	s_and_not1_b32 vcc_lo, exec_lo, s1
	s_cbranch_vccnz .LBB47_1740
; %bb.1739:
	s_wait_loadcnt 0x0
	global_load_b32 v22, v[24:25], off
.LBB47_1740:
	s_mov_b32 s1, 0
.LBB47_1741:
	s_delay_alu instid0(SALU_CYCLE_1)
	s_and_not1_b32 vcc_lo, exec_lo, s1
	s_cbranch_vccnz .LBB47_1743
; %bb.1742:
	s_wait_loadcnt 0x0
	global_load_u16 v22, v[24:25], off
.LBB47_1743:
	s_cbranch_execnz .LBB47_1749
.LBB47_1744:
	s_cmp_gt_i32 s0, 0
	s_mov_b32 s0, 0
	s_cbranch_scc0 .LBB47_1746
; %bb.1745:
	s_wait_loadcnt 0x0
	global_load_u8 v22, v[24:25], off
	s_branch .LBB47_1747
.LBB47_1746:
	s_mov_b32 s0, -1
                                        ; implicit-def: $vgpr22
.LBB47_1747:
	s_delay_alu instid0(SALU_CYCLE_1)
	s_and_not1_b32 vcc_lo, exec_lo, s0
	s_cbranch_vccnz .LBB47_1749
; %bb.1748:
	s_wait_loadcnt 0x0
	global_load_u8 v22, v[24:25], off
.LBB47_1749:
.LBB47_1750:
	v_mov_b32_e32 v21, 0
	s_load_b64 s[0:1], s[2:3], 0x198
	global_load_u8 v1, v21, s[2:3] offset:419
	s_wait_kmcnt 0x0
	v_add_nc_u64_e32 v[20:21], s[0:1], v[20:21]
	s_wait_loadcnt 0x0
	v_and_b32_e32 v3, 0xffff, v1
	v_readfirstlane_b32 s12, v1
	s_delay_alu instid0(VALU_DEP_2)
	v_cmp_gt_i32_e32 vcc_lo, 11, v3
	s_cbranch_vccnz .LBB47_1757
; %bb.1751:
	s_and_b32 s13, 0xffff, s12
	s_mov_b32 s15, 0
	s_cmp_gt_i32 s13, 25
	s_cbranch_scc0 .LBB47_1759
; %bb.1752:
	s_cmp_gt_i32 s13, 28
	s_cbranch_scc0 .LBB47_1760
; %bb.1753:
	;; [unrolled: 3-line block ×4, first 2 shown]
	s_cmp_eq_u32 s13, 46
	s_mov_b32 s17, 0
	s_cbranch_scc0 .LBB47_1766
; %bb.1756:
	global_load_b32 v1, v[20:21], off
	s_mov_b32 s14, 0
	s_mov_b32 s16, -1
	s_wait_loadcnt 0x0
	v_lshlrev_b32_e32 v1, 16, v1
	s_delay_alu instid0(VALU_DEP_1) | instskip(NEXT) | instid1(VALU_DEP_1)
	v_trunc_f32_e32 v1, v1
	v_mul_f32_e64 v3, 0x2f800000, |v1|
	s_delay_alu instid0(VALU_DEP_1) | instskip(NEXT) | instid1(VALU_DEP_1)
	v_floor_f32_e32 v3, v3
	v_fma_f32 v3, 0xcf800000, v3, |v1|
	v_ashrrev_i32_e32 v1, 31, v1
	s_delay_alu instid0(VALU_DEP_2) | instskip(NEXT) | instid1(VALU_DEP_1)
	v_cvt_u32_f32_e32 v3, v3
	v_xor_b32_e32 v3, v3, v1
	s_delay_alu instid0(VALU_DEP_1)
	v_sub_nc_u32_e32 v24, v3, v1
	s_branch .LBB47_1768
.LBB47_1757:
	s_mov_b32 s16, 0
                                        ; implicit-def: $vgpr24
	s_cbranch_execnz .LBB47_1829
.LBB47_1758:
	s_and_not1_b32 vcc_lo, exec_lo, s16
	s_cbranch_vccnz .LBB47_2741
	s_branch .LBB47_1876
.LBB47_1759:
	s_mov_b32 s16, 0
	s_mov_b32 s14, 0
                                        ; implicit-def: $vgpr24
	s_cbranch_execnz .LBB47_1795
	s_branch .LBB47_1825
.LBB47_1760:
	s_mov_b32 s17, -1
	s_mov_b32 s16, 0
	s_mov_b32 s14, 0
                                        ; implicit-def: $vgpr24
	s_branch .LBB47_1778
.LBB47_1761:
	s_mov_b32 s17, -1
	s_mov_b32 s16, 0
	s_mov_b32 s14, 0
                                        ; implicit-def: $vgpr24
	s_branch .LBB47_1773
.LBB47_1762:
	s_or_b32 s10, s8, exec_lo
	s_trap 2
	s_cbranch_execz .LBB47_1703
	s_branch .LBB47_1704
.LBB47_1763:
	s_mov_b32 s17, -1
	s_mov_b32 s16, 0
	s_mov_b32 s14, 0
	s_branch .LBB47_1767
.LBB47_1764:
	s_and_not1_saveexec_b32 s10, s10
	s_cbranch_execz .LBB47_1510
.LBB47_1765:
	v_add_f32_e32 v2, 0x42800000, v3
	s_and_not1_b32 s9, s9, exec_lo
	s_delay_alu instid0(VALU_DEP_1) | instskip(NEXT) | instid1(VALU_DEP_1)
	v_and_b32_e32 v2, 0xff, v2
	v_cmp_ne_u32_e32 vcc_lo, 0, v2
	s_and_b32 s11, vcc_lo, exec_lo
	s_delay_alu instid0(SALU_CYCLE_1)
	s_or_b32 s9, s9, s11
	s_or_b32 exec_lo, exec_lo, s10
	v_mov_b32_e32 v4, 0
	s_and_saveexec_b32 s10, s9
	s_cbranch_execnz .LBB47_1511
	s_branch .LBB47_1512
.LBB47_1766:
	s_mov_b32 s14, -1
	s_mov_b32 s16, 0
.LBB47_1767:
                                        ; implicit-def: $vgpr24
.LBB47_1768:
	s_and_b32 vcc_lo, exec_lo, s17
	s_cbranch_vccz .LBB47_1772
; %bb.1769:
	s_cmp_eq_u32 s13, 44
	s_cbranch_scc0 .LBB47_1771
; %bb.1770:
	global_load_u8 v1, v[20:21], off
	s_mov_b32 s14, 0
	s_mov_b32 s16, -1
	s_wait_loadcnt 0x0
	v_lshlrev_b32_e32 v3, 23, v1
	v_cmp_ne_u32_e32 vcc_lo, 0, v1
	s_delay_alu instid0(VALU_DEP_2) | instskip(NEXT) | instid1(VALU_DEP_1)
	v_trunc_f32_e32 v3, v3
	v_mul_f32_e64 v5, 0x2f800000, |v3|
	s_delay_alu instid0(VALU_DEP_1) | instskip(NEXT) | instid1(VALU_DEP_1)
	v_floor_f32_e32 v5, v5
	v_fma_f32 v5, 0xcf800000, v5, |v3|
	v_ashrrev_i32_e32 v3, 31, v3
	s_delay_alu instid0(VALU_DEP_2) | instskip(NEXT) | instid1(VALU_DEP_1)
	v_cvt_u32_f32_e32 v5, v5
	v_xor_b32_e32 v5, v5, v3
	s_delay_alu instid0(VALU_DEP_1) | instskip(NEXT) | instid1(VALU_DEP_1)
	v_sub_nc_u32_e32 v3, v5, v3
	v_cndmask_b32_e32 v24, 0, v3, vcc_lo
	s_branch .LBB47_1772
.LBB47_1771:
	s_mov_b32 s14, -1
                                        ; implicit-def: $vgpr24
.LBB47_1772:
	s_mov_b32 s17, 0
.LBB47_1773:
	s_delay_alu instid0(SALU_CYCLE_1)
	s_and_b32 vcc_lo, exec_lo, s17
	s_cbranch_vccz .LBB47_1777
; %bb.1774:
	s_cmp_eq_u32 s13, 29
	s_cbranch_scc0 .LBB47_1776
; %bb.1775:
	global_load_b64 v[24:25], v[20:21], off
	s_mov_b32 s14, 0
	s_mov_b32 s16, -1
	s_branch .LBB47_1777
.LBB47_1776:
	s_mov_b32 s14, -1
                                        ; implicit-def: $vgpr24
.LBB47_1777:
	s_mov_b32 s17, 0
.LBB47_1778:
	s_delay_alu instid0(SALU_CYCLE_1)
	s_and_b32 vcc_lo, exec_lo, s17
	s_cbranch_vccz .LBB47_1794
; %bb.1779:
	s_cmp_lt_i32 s13, 27
	s_cbranch_scc1 .LBB47_1782
; %bb.1780:
	s_cmp_gt_i32 s13, 27
	s_cbranch_scc0 .LBB47_1783
; %bb.1781:
	s_wait_loadcnt 0x0
	global_load_b32 v24, v[20:21], off
	s_mov_b32 s16, 0
	s_branch .LBB47_1784
.LBB47_1782:
	s_mov_b32 s16, -1
                                        ; implicit-def: $vgpr24
	s_branch .LBB47_1787
.LBB47_1783:
	s_mov_b32 s16, -1
                                        ; implicit-def: $vgpr24
.LBB47_1784:
	s_delay_alu instid0(SALU_CYCLE_1)
	s_and_not1_b32 vcc_lo, exec_lo, s16
	s_cbranch_vccnz .LBB47_1786
; %bb.1785:
	s_wait_loadcnt 0x0
	global_load_u16 v24, v[20:21], off
.LBB47_1786:
	s_mov_b32 s16, 0
.LBB47_1787:
	s_delay_alu instid0(SALU_CYCLE_1)
	s_and_not1_b32 vcc_lo, exec_lo, s16
	s_cbranch_vccnz .LBB47_1793
; %bb.1788:
	global_load_u8 v1, v[20:21], off
	s_mov_b32 s17, 0
	s_mov_b32 s16, exec_lo
	s_wait_loadcnt 0x0
	v_cmpx_lt_i16_e32 0x7f, v1
	s_xor_b32 s16, exec_lo, s16
	s_cbranch_execz .LBB47_1804
; %bb.1789:
	v_cmp_ne_u16_e32 vcc_lo, 0x80, v1
	s_and_b32 s17, vcc_lo, exec_lo
	s_and_not1_saveexec_b32 s16, s16
	s_cbranch_execnz .LBB47_1805
.LBB47_1790:
	s_or_b32 exec_lo, exec_lo, s16
	v_mov_b32_e32 v24, 0
	s_and_saveexec_b32 s16, s17
	s_cbranch_execz .LBB47_1792
.LBB47_1791:
	v_and_b32_e32 v3, 0xffff, v1
	s_delay_alu instid0(VALU_DEP_1) | instskip(SKIP_1) | instid1(VALU_DEP_2)
	v_dual_lshlrev_b32 v1, 24, v1 :: v_dual_bitop2_b32 v5, 7, v3 bitop3:0x40
	v_bfe_u32 v11, v3, 3, 4
	v_and_b32_e32 v1, 0x80000000, v1
	s_delay_alu instid0(VALU_DEP_3) | instskip(NEXT) | instid1(VALU_DEP_3)
	v_clz_i32_u32_e32 v7, v5
	v_cmp_eq_u32_e32 vcc_lo, 0, v11
	s_delay_alu instid0(VALU_DEP_2) | instskip(NEXT) | instid1(VALU_DEP_1)
	v_min_u32_e32 v7, 32, v7
	v_subrev_nc_u32_e32 v9, 28, v7
	v_sub_nc_u32_e32 v7, 29, v7
	s_delay_alu instid0(VALU_DEP_2) | instskip(NEXT) | instid1(VALU_DEP_2)
	v_lshlrev_b32_e32 v3, v9, v3
	v_cndmask_b32_e32 v7, v11, v7, vcc_lo
	s_delay_alu instid0(VALU_DEP_2) | instskip(NEXT) | instid1(VALU_DEP_1)
	v_and_b32_e32 v3, 7, v3
	v_cndmask_b32_e32 v3, v5, v3, vcc_lo
	s_delay_alu instid0(VALU_DEP_3) | instskip(NEXT) | instid1(VALU_DEP_2)
	v_lshl_add_u32 v5, v7, 23, 0x3b800000
	v_lshlrev_b32_e32 v3, 20, v3
	s_delay_alu instid0(VALU_DEP_1) | instskip(NEXT) | instid1(VALU_DEP_1)
	v_or3_b32 v1, v1, v5, v3
	v_trunc_f32_e32 v1, v1
	s_delay_alu instid0(VALU_DEP_1) | instskip(NEXT) | instid1(VALU_DEP_1)
	v_mul_f32_e64 v3, 0x2f800000, |v1|
	v_floor_f32_e32 v3, v3
	s_delay_alu instid0(VALU_DEP_1) | instskip(SKIP_1) | instid1(VALU_DEP_2)
	v_fma_f32 v3, 0xcf800000, v3, |v1|
	v_ashrrev_i32_e32 v1, 31, v1
	v_cvt_u32_f32_e32 v3, v3
	s_delay_alu instid0(VALU_DEP_1) | instskip(NEXT) | instid1(VALU_DEP_1)
	v_xor_b32_e32 v3, v3, v1
	v_sub_nc_u32_e32 v24, v3, v1
.LBB47_1792:
	s_or_b32 exec_lo, exec_lo, s16
.LBB47_1793:
	s_mov_b32 s16, -1
.LBB47_1794:
	s_branch .LBB47_1825
.LBB47_1795:
	s_cmp_gt_i32 s13, 22
	s_cbranch_scc0 .LBB47_1803
; %bb.1796:
	s_cmp_lt_i32 s13, 24
	s_cbranch_scc1 .LBB47_1806
; %bb.1797:
	s_cmp_gt_i32 s13, 24
	s_cbranch_scc0 .LBB47_1807
; %bb.1798:
	global_load_u8 v1, v[20:21], off
	s_mov_b32 s16, 0
	s_mov_b32 s15, exec_lo
	s_wait_loadcnt 0x0
	v_cmpx_lt_i16_e32 0x7f, v1
	s_xor_b32 s15, exec_lo, s15
	s_cbranch_execz .LBB47_1819
; %bb.1799:
	v_cmp_ne_u16_e32 vcc_lo, 0x80, v1
	s_and_b32 s16, vcc_lo, exec_lo
	s_and_not1_saveexec_b32 s15, s15
	s_cbranch_execnz .LBB47_1820
.LBB47_1800:
	s_or_b32 exec_lo, exec_lo, s15
	v_mov_b32_e32 v24, 0
	s_and_saveexec_b32 s15, s16
	s_cbranch_execz .LBB47_1802
.LBB47_1801:
	v_and_b32_e32 v3, 0xffff, v1
	s_delay_alu instid0(VALU_DEP_1) | instskip(SKIP_1) | instid1(VALU_DEP_2)
	v_dual_lshlrev_b32 v1, 24, v1 :: v_dual_bitop2_b32 v5, 3, v3 bitop3:0x40
	v_bfe_u32 v11, v3, 2, 5
	v_and_b32_e32 v1, 0x80000000, v1
	s_delay_alu instid0(VALU_DEP_3) | instskip(NEXT) | instid1(VALU_DEP_3)
	v_clz_i32_u32_e32 v7, v5
	v_cmp_eq_u32_e32 vcc_lo, 0, v11
	s_delay_alu instid0(VALU_DEP_2) | instskip(NEXT) | instid1(VALU_DEP_1)
	v_min_u32_e32 v7, 32, v7
	v_subrev_nc_u32_e32 v9, 29, v7
	v_sub_nc_u32_e32 v7, 30, v7
	s_delay_alu instid0(VALU_DEP_2) | instskip(NEXT) | instid1(VALU_DEP_2)
	v_lshlrev_b32_e32 v3, v9, v3
	v_cndmask_b32_e32 v7, v11, v7, vcc_lo
	s_delay_alu instid0(VALU_DEP_2) | instskip(NEXT) | instid1(VALU_DEP_1)
	v_and_b32_e32 v3, 3, v3
	v_cndmask_b32_e32 v3, v5, v3, vcc_lo
	s_delay_alu instid0(VALU_DEP_3) | instskip(NEXT) | instid1(VALU_DEP_2)
	v_lshl_add_u32 v5, v7, 23, 0x37800000
	v_lshlrev_b32_e32 v3, 21, v3
	s_delay_alu instid0(VALU_DEP_1) | instskip(NEXT) | instid1(VALU_DEP_1)
	v_or3_b32 v1, v1, v5, v3
	v_trunc_f32_e32 v1, v1
	s_delay_alu instid0(VALU_DEP_1) | instskip(NEXT) | instid1(VALU_DEP_1)
	v_mul_f32_e64 v3, 0x2f800000, |v1|
	v_floor_f32_e32 v3, v3
	s_delay_alu instid0(VALU_DEP_1) | instskip(SKIP_1) | instid1(VALU_DEP_2)
	v_fma_f32 v3, 0xcf800000, v3, |v1|
	v_ashrrev_i32_e32 v1, 31, v1
	v_cvt_u32_f32_e32 v3, v3
	s_delay_alu instid0(VALU_DEP_1) | instskip(NEXT) | instid1(VALU_DEP_1)
	v_xor_b32_e32 v3, v3, v1
	v_sub_nc_u32_e32 v24, v3, v1
.LBB47_1802:
	s_or_b32 exec_lo, exec_lo, s15
	s_mov_b32 s15, 0
	s_branch .LBB47_1808
.LBB47_1803:
	s_mov_b32 s15, -1
                                        ; implicit-def: $vgpr24
	s_branch .LBB47_1814
.LBB47_1804:
	s_and_not1_saveexec_b32 s16, s16
	s_cbranch_execz .LBB47_1790
.LBB47_1805:
	v_cmp_ne_u16_e32 vcc_lo, 0, v1
	s_and_not1_b32 s17, s17, exec_lo
	s_and_b32 s18, vcc_lo, exec_lo
	s_delay_alu instid0(SALU_CYCLE_1)
	s_or_b32 s17, s17, s18
	s_or_b32 exec_lo, exec_lo, s16
	v_mov_b32_e32 v24, 0
	s_and_saveexec_b32 s16, s17
	s_cbranch_execnz .LBB47_1791
	s_branch .LBB47_1792
.LBB47_1806:
	s_mov_b32 s15, -1
                                        ; implicit-def: $vgpr24
	s_branch .LBB47_1811
.LBB47_1807:
	s_mov_b32 s15, -1
                                        ; implicit-def: $vgpr24
.LBB47_1808:
	s_delay_alu instid0(SALU_CYCLE_1)
	s_and_b32 vcc_lo, exec_lo, s15
	s_cbranch_vccz .LBB47_1810
; %bb.1809:
	global_load_u8 v1, v[20:21], off
	s_wait_loadcnt 0x0
	v_lshlrev_b32_e32 v1, 24, v1
	s_delay_alu instid0(VALU_DEP_1) | instskip(NEXT) | instid1(VALU_DEP_1)
	v_and_b32_e32 v3, 0x7f000000, v1
	v_clz_i32_u32_e32 v5, v3
	v_add_nc_u32_e32 v9, 0x1000000, v3
	v_cmp_ne_u32_e32 vcc_lo, 0, v3
	s_delay_alu instid0(VALU_DEP_3) | instskip(NEXT) | instid1(VALU_DEP_1)
	v_min_u32_e32 v5, 32, v5
	v_sub_nc_u32_e64 v5, v5, 4 clamp
	s_delay_alu instid0(VALU_DEP_1) | instskip(NEXT) | instid1(VALU_DEP_1)
	v_dual_lshlrev_b32 v7, v5, v3 :: v_dual_lshlrev_b32 v5, 23, v5
	v_lshrrev_b32_e32 v7, 4, v7
	s_delay_alu instid0(VALU_DEP_1) | instskip(SKIP_1) | instid1(VALU_DEP_2)
	v_sub_nc_u32_e32 v5, v7, v5
	v_ashrrev_i32_e32 v7, 8, v9
	v_add_nc_u32_e32 v5, 0x3c000000, v5
	s_delay_alu instid0(VALU_DEP_1) | instskip(NEXT) | instid1(VALU_DEP_1)
	v_and_or_b32 v5, 0x7f800000, v7, v5
	v_cndmask_b32_e32 v3, 0, v5, vcc_lo
	s_delay_alu instid0(VALU_DEP_1) | instskip(NEXT) | instid1(VALU_DEP_1)
	v_and_or_b32 v1, 0x80000000, v1, v3
	v_trunc_f32_e32 v1, v1
	s_delay_alu instid0(VALU_DEP_1) | instskip(NEXT) | instid1(VALU_DEP_1)
	v_mul_f32_e64 v3, 0x2f800000, |v1|
	v_floor_f32_e32 v3, v3
	s_delay_alu instid0(VALU_DEP_1) | instskip(SKIP_1) | instid1(VALU_DEP_2)
	v_fma_f32 v3, 0xcf800000, v3, |v1|
	v_ashrrev_i32_e32 v1, 31, v1
	v_cvt_u32_f32_e32 v3, v3
	s_delay_alu instid0(VALU_DEP_1) | instskip(NEXT) | instid1(VALU_DEP_1)
	v_xor_b32_e32 v3, v3, v1
	v_sub_nc_u32_e32 v24, v3, v1
.LBB47_1810:
	s_mov_b32 s15, 0
.LBB47_1811:
	s_delay_alu instid0(SALU_CYCLE_1)
	s_and_not1_b32 vcc_lo, exec_lo, s15
	s_cbranch_vccnz .LBB47_1813
; %bb.1812:
	global_load_u8 v1, v[20:21], off
	s_wait_loadcnt 0x0
	v_lshlrev_b32_e32 v3, 25, v1
	v_lshlrev_b16 v1, 8, v1
	s_delay_alu instid0(VALU_DEP_1) | instskip(SKIP_1) | instid1(VALU_DEP_2)
	v_and_or_b32 v7, 0x7f00, v1, 0.5
	v_bfe_i32 v1, v1, 0, 16
	v_add_f32_e32 v7, -0.5, v7
	v_lshrrev_b32_e32 v5, 4, v3
	v_cmp_gt_u32_e32 vcc_lo, 0x8000000, v3
	s_delay_alu instid0(VALU_DEP_2) | instskip(NEXT) | instid1(VALU_DEP_1)
	v_or_b32_e32 v5, 0x70000000, v5
	v_mul_f32_e32 v5, 0x7800000, v5
	s_delay_alu instid0(VALU_DEP_1) | instskip(NEXT) | instid1(VALU_DEP_1)
	v_cndmask_b32_e32 v3, v5, v7, vcc_lo
	v_and_or_b32 v1, 0x80000000, v1, v3
	s_delay_alu instid0(VALU_DEP_1) | instskip(NEXT) | instid1(VALU_DEP_1)
	v_trunc_f32_e32 v1, v1
	v_mul_f32_e64 v3, 0x2f800000, |v1|
	s_delay_alu instid0(VALU_DEP_1) | instskip(NEXT) | instid1(VALU_DEP_1)
	v_floor_f32_e32 v3, v3
	v_fma_f32 v3, 0xcf800000, v3, |v1|
	v_ashrrev_i32_e32 v1, 31, v1
	s_delay_alu instid0(VALU_DEP_2) | instskip(NEXT) | instid1(VALU_DEP_1)
	v_cvt_u32_f32_e32 v3, v3
	v_xor_b32_e32 v3, v3, v1
	s_delay_alu instid0(VALU_DEP_1)
	v_sub_nc_u32_e32 v24, v3, v1
.LBB47_1813:
	s_mov_b32 s15, 0
	s_mov_b32 s16, -1
.LBB47_1814:
	s_and_not1_b32 vcc_lo, exec_lo, s15
	s_mov_b32 s15, 0
	s_cbranch_vccnz .LBB47_1825
; %bb.1815:
	s_cmp_gt_i32 s13, 14
	s_cbranch_scc0 .LBB47_1818
; %bb.1816:
	s_cmp_eq_u32 s13, 15
	s_cbranch_scc0 .LBB47_1821
; %bb.1817:
	global_load_u16 v1, v[20:21], off
	s_mov_b32 s14, 0
	s_mov_b32 s16, -1
	s_wait_loadcnt 0x0
	v_lshlrev_b32_e32 v1, 16, v1
	s_delay_alu instid0(VALU_DEP_1) | instskip(NEXT) | instid1(VALU_DEP_1)
	v_trunc_f32_e32 v1, v1
	v_mul_f32_e64 v3, 0x2f800000, |v1|
	s_delay_alu instid0(VALU_DEP_1) | instskip(NEXT) | instid1(VALU_DEP_1)
	v_floor_f32_e32 v3, v3
	v_fma_f32 v3, 0xcf800000, v3, |v1|
	v_ashrrev_i32_e32 v1, 31, v1
	s_delay_alu instid0(VALU_DEP_2) | instskip(NEXT) | instid1(VALU_DEP_1)
	v_cvt_u32_f32_e32 v3, v3
	v_xor_b32_e32 v3, v3, v1
	s_delay_alu instid0(VALU_DEP_1)
	v_sub_nc_u32_e32 v24, v3, v1
	s_branch .LBB47_1823
.LBB47_1818:
	s_mov_b32 s15, -1
	s_branch .LBB47_1822
.LBB47_1819:
	s_and_not1_saveexec_b32 s15, s15
	s_cbranch_execz .LBB47_1800
.LBB47_1820:
	v_cmp_ne_u16_e32 vcc_lo, 0, v1
	s_and_not1_b32 s16, s16, exec_lo
	s_and_b32 s17, vcc_lo, exec_lo
	s_delay_alu instid0(SALU_CYCLE_1)
	s_or_b32 s16, s16, s17
	s_or_b32 exec_lo, exec_lo, s15
	v_mov_b32_e32 v24, 0
	s_and_saveexec_b32 s15, s16
	s_cbranch_execnz .LBB47_1801
	s_branch .LBB47_1802
.LBB47_1821:
	s_mov_b32 s14, -1
.LBB47_1822:
                                        ; implicit-def: $vgpr24
.LBB47_1823:
	s_and_b32 vcc_lo, exec_lo, s15
	s_mov_b32 s15, 0
	s_cbranch_vccz .LBB47_1825
; %bb.1824:
	s_cmp_lg_u32 s13, 11
	s_mov_b32 s15, -1
	s_cselect_b32 s14, -1, 0
.LBB47_1825:
	s_delay_alu instid0(SALU_CYCLE_1)
	s_and_b32 vcc_lo, exec_lo, s14
	s_cbranch_vccnz .LBB47_1894
; %bb.1826:
	s_and_not1_b32 vcc_lo, exec_lo, s15
	s_cbranch_vccnz .LBB47_1828
.LBB47_1827:
	global_load_u8 v1, v[20:21], off
	s_mov_b32 s16, -1
	s_wait_loadcnt 0x0
	v_cmp_ne_u16_e32 vcc_lo, 0, v1
	v_cndmask_b32_e64 v24, 0, 1, vcc_lo
.LBB47_1828:
	s_branch .LBB47_1758
.LBB47_1829:
	s_and_b32 s13, 0xffff, s12
	s_delay_alu instid0(SALU_CYCLE_1)
	s_cmp_lt_i32 s13, 5
	s_cbranch_scc1 .LBB47_1834
; %bb.1830:
	s_cmp_lt_i32 s13, 8
	s_cbranch_scc1 .LBB47_1835
; %bb.1831:
	;; [unrolled: 3-line block ×3, first 2 shown]
	s_cmp_gt_i32 s13, 9
	s_cbranch_scc0 .LBB47_1837
; %bb.1833:
	s_wait_loadcnt 0x0
	global_load_b64 v[24:25], v[20:21], off
	s_mov_b32 s14, 0
	s_wait_loadcnt 0x0
	v_trunc_f64_e32 v[24:25], v[24:25]
	s_delay_alu instid0(VALU_DEP_1) | instskip(NEXT) | instid1(VALU_DEP_1)
	v_ldexp_f64 v[26:27], v[24:25], 0xffffffe0
	v_floor_f64_e32 v[26:27], v[26:27]
	s_delay_alu instid0(VALU_DEP_1) | instskip(NEXT) | instid1(VALU_DEP_1)
	v_fmamk_f64 v[24:25], v[26:27], 0xc1f00000, v[24:25]
	v_cvt_u32_f64_e32 v24, v[24:25]
	s_branch .LBB47_1838
.LBB47_1834:
                                        ; implicit-def: $vgpr24
	s_branch .LBB47_1856
.LBB47_1835:
	s_mov_b32 s14, -1
                                        ; implicit-def: $vgpr24
	s_branch .LBB47_1844
.LBB47_1836:
	s_mov_b32 s14, -1
                                        ; implicit-def: $vgpr24
	s_branch .LBB47_1841
.LBB47_1837:
	s_mov_b32 s14, -1
                                        ; implicit-def: $vgpr24
.LBB47_1838:
	s_delay_alu instid0(SALU_CYCLE_1)
	s_and_not1_b32 vcc_lo, exec_lo, s14
	s_cbranch_vccnz .LBB47_1840
; %bb.1839:
	global_load_b32 v1, v[20:21], off
	s_wait_loadcnt 0x0
	v_trunc_f32_e32 v1, v1
	s_delay_alu instid0(VALU_DEP_1) | instskip(NEXT) | instid1(VALU_DEP_1)
	v_mul_f32_e64 v3, 0x2f800000, |v1|
	v_floor_f32_e32 v3, v3
	s_delay_alu instid0(VALU_DEP_1) | instskip(SKIP_1) | instid1(VALU_DEP_2)
	v_fma_f32 v3, 0xcf800000, v3, |v1|
	v_ashrrev_i32_e32 v1, 31, v1
	v_cvt_u32_f32_e32 v3, v3
	s_delay_alu instid0(VALU_DEP_1) | instskip(NEXT) | instid1(VALU_DEP_1)
	v_xor_b32_e32 v3, v3, v1
	v_sub_nc_u32_e32 v24, v3, v1
.LBB47_1840:
	s_mov_b32 s14, 0
.LBB47_1841:
	s_delay_alu instid0(SALU_CYCLE_1)
	s_and_not1_b32 vcc_lo, exec_lo, s14
	s_cbranch_vccnz .LBB47_1843
; %bb.1842:
	global_load_b32 v1, v[20:21], off
	s_wait_loadcnt 0x0
	v_cvt_f32_f16_e32 v1, v1
	s_delay_alu instid0(VALU_DEP_1)
	v_cvt_i32_f32_e32 v24, v1
.LBB47_1843:
	s_mov_b32 s14, 0
.LBB47_1844:
	s_delay_alu instid0(SALU_CYCLE_1)
	s_and_not1_b32 vcc_lo, exec_lo, s14
	s_cbranch_vccnz .LBB47_1855
; %bb.1845:
	s_cmp_lt_i32 s13, 6
	s_cbranch_scc1 .LBB47_1848
; %bb.1846:
	s_cmp_gt_i32 s13, 6
	s_cbranch_scc0 .LBB47_1849
; %bb.1847:
	s_wait_loadcnt 0x0
	global_load_b64 v[24:25], v[20:21], off
	s_mov_b32 s14, 0
	s_wait_loadcnt 0x0
	v_trunc_f64_e32 v[24:25], v[24:25]
	s_delay_alu instid0(VALU_DEP_1) | instskip(NEXT) | instid1(VALU_DEP_1)
	v_ldexp_f64 v[26:27], v[24:25], 0xffffffe0
	v_floor_f64_e32 v[26:27], v[26:27]
	s_delay_alu instid0(VALU_DEP_1) | instskip(NEXT) | instid1(VALU_DEP_1)
	v_fmamk_f64 v[24:25], v[26:27], 0xc1f00000, v[24:25]
	v_cvt_u32_f64_e32 v24, v[24:25]
	s_branch .LBB47_1850
.LBB47_1848:
	s_mov_b32 s14, -1
                                        ; implicit-def: $vgpr24
	s_branch .LBB47_1853
.LBB47_1849:
	s_mov_b32 s14, -1
                                        ; implicit-def: $vgpr24
.LBB47_1850:
	s_delay_alu instid0(SALU_CYCLE_1)
	s_and_not1_b32 vcc_lo, exec_lo, s14
	s_cbranch_vccnz .LBB47_1852
; %bb.1851:
	global_load_b32 v1, v[20:21], off
	s_wait_loadcnt 0x0
	v_trunc_f32_e32 v1, v1
	s_delay_alu instid0(VALU_DEP_1) | instskip(NEXT) | instid1(VALU_DEP_1)
	v_mul_f32_e64 v3, 0x2f800000, |v1|
	v_floor_f32_e32 v3, v3
	s_delay_alu instid0(VALU_DEP_1) | instskip(SKIP_1) | instid1(VALU_DEP_2)
	v_fma_f32 v3, 0xcf800000, v3, |v1|
	v_ashrrev_i32_e32 v1, 31, v1
	v_cvt_u32_f32_e32 v3, v3
	s_delay_alu instid0(VALU_DEP_1) | instskip(NEXT) | instid1(VALU_DEP_1)
	v_xor_b32_e32 v3, v3, v1
	v_sub_nc_u32_e32 v24, v3, v1
.LBB47_1852:
	s_mov_b32 s14, 0
.LBB47_1853:
	s_delay_alu instid0(SALU_CYCLE_1)
	s_and_not1_b32 vcc_lo, exec_lo, s14
	s_cbranch_vccnz .LBB47_1855
; %bb.1854:
	global_load_u16 v1, v[20:21], off
	s_wait_loadcnt 0x0
	v_cvt_f32_f16_e32 v1, v1
	s_delay_alu instid0(VALU_DEP_1)
	v_cvt_i32_f32_e32 v24, v1
.LBB47_1855:
	s_cbranch_execnz .LBB47_1875
.LBB47_1856:
	s_cmp_lt_i32 s13, 2
	s_cbranch_scc1 .LBB47_1860
; %bb.1857:
	s_cmp_lt_i32 s13, 3
	s_cbranch_scc1 .LBB47_1861
; %bb.1858:
	s_cmp_gt_i32 s13, 3
	s_cbranch_scc0 .LBB47_1862
; %bb.1859:
	s_wait_loadcnt 0x0
	global_load_b64 v[24:25], v[20:21], off
	s_mov_b32 s14, 0
	s_branch .LBB47_1863
.LBB47_1860:
	s_mov_b32 s14, -1
                                        ; implicit-def: $vgpr24
	s_branch .LBB47_1869
.LBB47_1861:
	s_mov_b32 s14, -1
                                        ; implicit-def: $vgpr24
	s_branch .LBB47_1866
.LBB47_1862:
	s_mov_b32 s14, -1
                                        ; implicit-def: $vgpr24
.LBB47_1863:
	s_delay_alu instid0(SALU_CYCLE_1)
	s_and_not1_b32 vcc_lo, exec_lo, s14
	s_cbranch_vccnz .LBB47_1865
; %bb.1864:
	s_wait_loadcnt 0x0
	global_load_b32 v24, v[20:21], off
.LBB47_1865:
	s_mov_b32 s14, 0
.LBB47_1866:
	s_delay_alu instid0(SALU_CYCLE_1)
	s_and_not1_b32 vcc_lo, exec_lo, s14
	s_cbranch_vccnz .LBB47_1868
; %bb.1867:
	s_wait_loadcnt 0x0
	global_load_u16 v24, v[20:21], off
.LBB47_1868:
	s_mov_b32 s14, 0
.LBB47_1869:
	s_delay_alu instid0(SALU_CYCLE_1)
	s_and_not1_b32 vcc_lo, exec_lo, s14
	s_cbranch_vccnz .LBB47_1875
; %bb.1870:
	s_cmp_gt_i32 s13, 0
	s_mov_b32 s13, 0
	s_cbranch_scc0 .LBB47_1872
; %bb.1871:
	s_wait_loadcnt 0x0
	global_load_u8 v24, v[20:21], off
	s_branch .LBB47_1873
.LBB47_1872:
	s_mov_b32 s13, -1
                                        ; implicit-def: $vgpr24
.LBB47_1873:
	s_delay_alu instid0(SALU_CYCLE_1)
	s_and_not1_b32 vcc_lo, exec_lo, s13
	s_cbranch_vccnz .LBB47_1875
; %bb.1874:
	s_wait_loadcnt 0x0
	global_load_u8 v24, v[20:21], off
.LBB47_1875:
.LBB47_1876:
	v_and_b32_e32 v1, 0xff, v22
	s_wait_loadcnt 0x0
	s_delay_alu instid0(VALU_DEP_2)
	v_mov_b32_e32 v3, v24
	s_mov_b32 s14, 0
	s_mov_b32 s13, exec_lo
	s_wait_xcnt 0x0
	v_cmpx_ne_u16_e32 0, v1
	s_cbranch_execz .LBB47_1880
; %bb.1877:
	v_dual_mov_b32 v5, v22 :: v_dual_mov_b32 v1, v24
.LBB47_1878:                            ; =>This Inner Loop Header: Depth=1
	s_delay_alu instid0(VALU_DEP_1) | instskip(NEXT) | instid1(VALU_DEP_2)
	v_cvt_f32_ubyte0_e32 v9, v1
	v_mov_b32_e32 v3, v5
	s_delay_alu instid0(VALU_DEP_1) | instskip(NEXT) | instid1(VALU_DEP_1)
	v_cvt_f32_ubyte0_e32 v5, v3
	v_rcp_iflag_f32_e32 v7, v5
	v_nop
	s_delay_alu instid0(TRANS32_DEP_1) | instskip(NEXT) | instid1(VALU_DEP_1)
	v_mul_f32_e32 v7, v9, v7
	v_trunc_f32_e32 v7, v7
	s_delay_alu instid0(VALU_DEP_1) | instskip(SKIP_1) | instid1(VALU_DEP_2)
	v_fma_f32 v9, -v7, v5, v9
	v_cvt_u32_f32_e32 v7, v7
	v_cmp_ge_f32_e64 vcc_lo, |v9|, v5
	s_delay_alu instid0(VALU_DEP_1) | instskip(NEXT) | instid1(VALU_DEP_1)
	v_add_co_ci_u32_e64 v5, null, 0, v7, vcc_lo
	v_mul_lo_u32 v5, v5, v3
	s_delay_alu instid0(VALU_DEP_1) | instskip(NEXT) | instid1(VALU_DEP_1)
	v_sub_nc_u32_e32 v1, v1, v5
	v_and_b32_e32 v5, 0xff, v1
	v_mov_b32_e32 v1, v3
	s_delay_alu instid0(VALU_DEP_2) | instskip(SKIP_1) | instid1(SALU_CYCLE_1)
	v_cmp_eq_u16_e32 vcc_lo, 0, v5
	s_or_b32 s14, vcc_lo, s14
	s_and_not1_b32 exec_lo, exec_lo, s14
	s_cbranch_execnz .LBB47_1878
; %bb.1879:
	s_or_b32 exec_lo, exec_lo, s14
.LBB47_1880:
	s_delay_alu instid0(SALU_CYCLE_1) | instskip(SKIP_3) | instid1(VALU_DEP_2)
	s_or_b32 exec_lo, exec_lo, s13
	v_and_b32_e32 v5, 0xff, v3
	v_mov_b32_e32 v1, 0
	s_mov_b32 s13, exec_lo
	v_cmpx_ne_u16_e32 0, v5
	s_cbranch_execz .LBB47_1882
; %bb.1881:
	v_cvt_f32_ubyte0_e32 v1, v3
	v_cvt_f32_ubyte0_e32 v5, v22
	s_delay_alu instid0(VALU_DEP_2) | instskip(SKIP_1) | instid1(TRANS32_DEP_1)
	v_rcp_iflag_f32_e32 v3, v1
	v_nop
	v_mul_f32_e32 v3, v5, v3
	s_delay_alu instid0(VALU_DEP_1) | instskip(NEXT) | instid1(VALU_DEP_1)
	v_trunc_f32_e32 v3, v3
	v_fma_f32 v5, -v3, v1, v5
	v_cvt_u32_f32_e32 v3, v3
	s_delay_alu instid0(VALU_DEP_2) | instskip(NEXT) | instid1(VALU_DEP_1)
	v_cmp_ge_f32_e64 vcc_lo, |v5|, v1
	v_add_co_ci_u32_e64 v1, null, 0, v3, vcc_lo
	s_delay_alu instid0(VALU_DEP_1)
	v_mul_lo_u16 v1, v1, v24
.LBB47_1882:
	s_or_b32 exec_lo, exec_lo, s13
	v_mov_b32_e32 v19, 0
	s_and_b32 s11, 0xffff, s11
	s_delay_alu instid0(SALU_CYCLE_1) | instskip(NEXT) | instid1(VALU_DEP_1)
	s_cmp_lt_i32 s11, 11
	v_add_nc_u64_e32 v[20:21], s[6:7], v[18:19]
	s_cbranch_scc1 .LBB47_1889
; %bb.1883:
	s_cmp_gt_i32 s11, 25
	s_mov_b32 s14, 0
	s_cbranch_scc0 .LBB47_1891
; %bb.1884:
	s_cmp_gt_i32 s11, 28
	s_cbranch_scc0 .LBB47_1892
; %bb.1885:
	s_cmp_gt_i32 s11, 43
	;; [unrolled: 3-line block ×3, first 2 shown]
	s_cbranch_scc0 .LBB47_1895
; %bb.1887:
	s_cmp_eq_u32 s11, 46
	s_mov_b32 s16, 0
	s_cbranch_scc0 .LBB47_1896
; %bb.1888:
	global_load_b32 v3, v[20:21], off
	s_mov_b32 s13, 0
	s_mov_b32 s15, -1
	s_wait_loadcnt 0x0
	v_lshlrev_b32_e32 v3, 16, v3
	s_delay_alu instid0(VALU_DEP_1) | instskip(NEXT) | instid1(VALU_DEP_1)
	v_trunc_f32_e32 v3, v3
	v_mul_f32_e64 v5, 0x2f800000, |v3|
	s_delay_alu instid0(VALU_DEP_1) | instskip(NEXT) | instid1(VALU_DEP_1)
	v_floor_f32_e32 v5, v5
	v_fma_f32 v5, 0xcf800000, v5, |v3|
	v_ashrrev_i32_e32 v3, 31, v3
	s_delay_alu instid0(VALU_DEP_2) | instskip(NEXT) | instid1(VALU_DEP_1)
	v_cvt_u32_f32_e32 v5, v5
	v_xor_b32_e32 v5, v5, v3
	s_delay_alu instid0(VALU_DEP_1)
	v_sub_nc_u32_e32 v18, v5, v3
	s_branch .LBB47_1898
.LBB47_1889:
	s_mov_b32 s15, 0
                                        ; implicit-def: $vgpr18
	s_cbranch_execnz .LBB47_1960
.LBB47_1890:
	s_and_not1_b32 vcc_lo, exec_lo, s15
	s_cbranch_vccnz .LBB47_2741
	s_branch .LBB47_2008
.LBB47_1891:
	s_mov_b32 s16, -1
	s_mov_b32 s15, 0
	s_mov_b32 s13, 0
                                        ; implicit-def: $vgpr18
	s_branch .LBB47_1925
.LBB47_1892:
	s_mov_b32 s16, -1
	s_mov_b32 s15, 0
	s_mov_b32 s13, 0
                                        ; implicit-def: $vgpr18
	s_branch .LBB47_1908
.LBB47_1893:
	s_mov_b32 s16, -1
	s_mov_b32 s15, 0
	s_mov_b32 s13, 0
                                        ; implicit-def: $vgpr18
	s_branch .LBB47_1903
.LBB47_1894:
	s_or_b32 s10, s10, exec_lo
	s_trap 2
	s_cbranch_execz .LBB47_1827
	s_branch .LBB47_1828
.LBB47_1895:
	s_mov_b32 s16, -1
	s_mov_b32 s15, 0
	s_mov_b32 s13, 0
	s_branch .LBB47_1897
.LBB47_1896:
	s_mov_b32 s13, -1
	s_mov_b32 s15, 0
.LBB47_1897:
                                        ; implicit-def: $vgpr18
.LBB47_1898:
	s_and_b32 vcc_lo, exec_lo, s16
	s_cbranch_vccz .LBB47_1902
; %bb.1899:
	s_cmp_eq_u32 s11, 44
	s_cbranch_scc0 .LBB47_1901
; %bb.1900:
	global_load_u8 v3, v[20:21], off
	s_mov_b32 s13, 0
	s_mov_b32 s15, -1
	s_wait_loadcnt 0x0
	v_lshlrev_b32_e32 v5, 23, v3
	v_cmp_ne_u32_e32 vcc_lo, 0, v3
	s_delay_alu instid0(VALU_DEP_2) | instskip(NEXT) | instid1(VALU_DEP_1)
	v_trunc_f32_e32 v5, v5
	v_mul_f32_e64 v7, 0x2f800000, |v5|
	s_delay_alu instid0(VALU_DEP_1) | instskip(NEXT) | instid1(VALU_DEP_1)
	v_floor_f32_e32 v7, v7
	v_fma_f32 v7, 0xcf800000, v7, |v5|
	v_ashrrev_i32_e32 v5, 31, v5
	s_delay_alu instid0(VALU_DEP_2) | instskip(NEXT) | instid1(VALU_DEP_1)
	v_cvt_u32_f32_e32 v7, v7
	v_xor_b32_e32 v7, v7, v5
	s_delay_alu instid0(VALU_DEP_1) | instskip(NEXT) | instid1(VALU_DEP_1)
	v_sub_nc_u32_e32 v5, v7, v5
	v_cndmask_b32_e32 v18, 0, v5, vcc_lo
	s_branch .LBB47_1902
.LBB47_1901:
	s_mov_b32 s13, -1
                                        ; implicit-def: $vgpr18
.LBB47_1902:
	s_mov_b32 s16, 0
.LBB47_1903:
	s_delay_alu instid0(SALU_CYCLE_1)
	s_and_b32 vcc_lo, exec_lo, s16
	s_cbranch_vccz .LBB47_1907
; %bb.1904:
	s_cmp_eq_u32 s11, 29
	s_cbranch_scc0 .LBB47_1906
; %bb.1905:
	global_load_b64 v[18:19], v[20:21], off
	s_mov_b32 s13, 0
	s_mov_b32 s15, -1
	s_branch .LBB47_1907
.LBB47_1906:
	s_mov_b32 s13, -1
                                        ; implicit-def: $vgpr18
.LBB47_1907:
	s_mov_b32 s16, 0
.LBB47_1908:
	s_delay_alu instid0(SALU_CYCLE_1)
	s_and_b32 vcc_lo, exec_lo, s16
	s_cbranch_vccz .LBB47_1924
; %bb.1909:
	s_cmp_lt_i32 s11, 27
	s_cbranch_scc1 .LBB47_1912
; %bb.1910:
	s_cmp_gt_i32 s11, 27
	s_cbranch_scc0 .LBB47_1913
; %bb.1911:
	s_wait_loadcnt 0x0
	global_load_b32 v18, v[20:21], off
	s_mov_b32 s15, 0
	s_branch .LBB47_1914
.LBB47_1912:
	s_mov_b32 s15, -1
                                        ; implicit-def: $vgpr18
	s_branch .LBB47_1917
.LBB47_1913:
	s_mov_b32 s15, -1
                                        ; implicit-def: $vgpr18
.LBB47_1914:
	s_delay_alu instid0(SALU_CYCLE_1)
	s_and_not1_b32 vcc_lo, exec_lo, s15
	s_cbranch_vccnz .LBB47_1916
; %bb.1915:
	s_wait_loadcnt 0x0
	global_load_u16 v18, v[20:21], off
.LBB47_1916:
	s_mov_b32 s15, 0
.LBB47_1917:
	s_delay_alu instid0(SALU_CYCLE_1)
	s_and_not1_b32 vcc_lo, exec_lo, s15
	s_cbranch_vccnz .LBB47_1923
; %bb.1918:
	global_load_u8 v3, v[20:21], off
	s_mov_b32 s16, 0
	s_mov_b32 s15, exec_lo
	s_wait_loadcnt 0x0
	v_cmpx_lt_i16_e32 0x7f, v3
	s_xor_b32 s15, exec_lo, s15
	s_cbranch_execz .LBB47_1935
; %bb.1919:
	v_cmp_ne_u16_e32 vcc_lo, 0x80, v3
	s_and_b32 s16, vcc_lo, exec_lo
	s_and_not1_saveexec_b32 s15, s15
	s_cbranch_execnz .LBB47_1936
.LBB47_1920:
	s_or_b32 exec_lo, exec_lo, s15
	v_mov_b32_e32 v18, 0
	s_and_saveexec_b32 s15, s16
	s_cbranch_execz .LBB47_1922
.LBB47_1921:
	v_and_b32_e32 v5, 0xffff, v3
	s_delay_alu instid0(VALU_DEP_1) | instskip(SKIP_1) | instid1(VALU_DEP_2)
	v_dual_lshlrev_b32 v3, 24, v3 :: v_dual_bitop2_b32 v7, 7, v5 bitop3:0x40
	v_bfe_u32 v13, v5, 3, 4
	v_and_b32_e32 v3, 0x80000000, v3
	s_delay_alu instid0(VALU_DEP_3) | instskip(NEXT) | instid1(VALU_DEP_3)
	v_clz_i32_u32_e32 v9, v7
	v_cmp_eq_u32_e32 vcc_lo, 0, v13
	s_delay_alu instid0(VALU_DEP_2) | instskip(NEXT) | instid1(VALU_DEP_1)
	v_min_u32_e32 v9, 32, v9
	v_subrev_nc_u32_e32 v11, 28, v9
	v_sub_nc_u32_e32 v9, 29, v9
	s_delay_alu instid0(VALU_DEP_2) | instskip(NEXT) | instid1(VALU_DEP_2)
	v_lshlrev_b32_e32 v5, v11, v5
	v_cndmask_b32_e32 v9, v13, v9, vcc_lo
	s_delay_alu instid0(VALU_DEP_2) | instskip(NEXT) | instid1(VALU_DEP_1)
	v_and_b32_e32 v5, 7, v5
	v_cndmask_b32_e32 v5, v7, v5, vcc_lo
	s_delay_alu instid0(VALU_DEP_3) | instskip(NEXT) | instid1(VALU_DEP_2)
	v_lshl_add_u32 v7, v9, 23, 0x3b800000
	v_lshlrev_b32_e32 v5, 20, v5
	s_delay_alu instid0(VALU_DEP_1) | instskip(NEXT) | instid1(VALU_DEP_1)
	v_or3_b32 v3, v3, v7, v5
	v_trunc_f32_e32 v3, v3
	s_delay_alu instid0(VALU_DEP_1) | instskip(NEXT) | instid1(VALU_DEP_1)
	v_mul_f32_e64 v5, 0x2f800000, |v3|
	v_floor_f32_e32 v5, v5
	s_delay_alu instid0(VALU_DEP_1) | instskip(SKIP_1) | instid1(VALU_DEP_2)
	v_fma_f32 v5, 0xcf800000, v5, |v3|
	v_ashrrev_i32_e32 v3, 31, v3
	v_cvt_u32_f32_e32 v5, v5
	s_delay_alu instid0(VALU_DEP_1) | instskip(NEXT) | instid1(VALU_DEP_1)
	v_xor_b32_e32 v5, v5, v3
	v_sub_nc_u32_e32 v18, v5, v3
.LBB47_1922:
	s_or_b32 exec_lo, exec_lo, s15
.LBB47_1923:
	s_mov_b32 s15, -1
.LBB47_1924:
	s_mov_b32 s16, 0
.LBB47_1925:
	s_delay_alu instid0(SALU_CYCLE_1)
	s_and_b32 vcc_lo, exec_lo, s16
	s_cbranch_vccz .LBB47_1956
; %bb.1926:
	s_cmp_gt_i32 s11, 22
	s_cbranch_scc0 .LBB47_1934
; %bb.1927:
	s_cmp_lt_i32 s11, 24
	s_cbranch_scc1 .LBB47_1937
; %bb.1928:
	s_cmp_gt_i32 s11, 24
	s_cbranch_scc0 .LBB47_1938
; %bb.1929:
	global_load_u8 v3, v[20:21], off
	s_mov_b32 s15, 0
	s_mov_b32 s14, exec_lo
	s_wait_loadcnt 0x0
	v_cmpx_lt_i16_e32 0x7f, v3
	s_xor_b32 s14, exec_lo, s14
	s_cbranch_execz .LBB47_1950
; %bb.1930:
	v_cmp_ne_u16_e32 vcc_lo, 0x80, v3
	s_and_b32 s15, vcc_lo, exec_lo
	s_and_not1_saveexec_b32 s14, s14
	s_cbranch_execnz .LBB47_1951
.LBB47_1931:
	s_or_b32 exec_lo, exec_lo, s14
	v_mov_b32_e32 v18, 0
	s_and_saveexec_b32 s14, s15
	s_cbranch_execz .LBB47_1933
.LBB47_1932:
	v_and_b32_e32 v5, 0xffff, v3
	s_delay_alu instid0(VALU_DEP_1) | instskip(SKIP_1) | instid1(VALU_DEP_2)
	v_dual_lshlrev_b32 v3, 24, v3 :: v_dual_bitop2_b32 v7, 3, v5 bitop3:0x40
	v_bfe_u32 v13, v5, 2, 5
	v_and_b32_e32 v3, 0x80000000, v3
	s_delay_alu instid0(VALU_DEP_3) | instskip(NEXT) | instid1(VALU_DEP_3)
	v_clz_i32_u32_e32 v9, v7
	v_cmp_eq_u32_e32 vcc_lo, 0, v13
	s_delay_alu instid0(VALU_DEP_2) | instskip(NEXT) | instid1(VALU_DEP_1)
	v_min_u32_e32 v9, 32, v9
	v_subrev_nc_u32_e32 v11, 29, v9
	v_sub_nc_u32_e32 v9, 30, v9
	s_delay_alu instid0(VALU_DEP_2) | instskip(NEXT) | instid1(VALU_DEP_2)
	v_lshlrev_b32_e32 v5, v11, v5
	v_cndmask_b32_e32 v9, v13, v9, vcc_lo
	s_delay_alu instid0(VALU_DEP_2) | instskip(NEXT) | instid1(VALU_DEP_1)
	v_and_b32_e32 v5, 3, v5
	v_cndmask_b32_e32 v5, v7, v5, vcc_lo
	s_delay_alu instid0(VALU_DEP_3) | instskip(NEXT) | instid1(VALU_DEP_2)
	v_lshl_add_u32 v7, v9, 23, 0x37800000
	v_lshlrev_b32_e32 v5, 21, v5
	s_delay_alu instid0(VALU_DEP_1) | instskip(NEXT) | instid1(VALU_DEP_1)
	v_or3_b32 v3, v3, v7, v5
	v_trunc_f32_e32 v3, v3
	s_delay_alu instid0(VALU_DEP_1) | instskip(NEXT) | instid1(VALU_DEP_1)
	v_mul_f32_e64 v5, 0x2f800000, |v3|
	v_floor_f32_e32 v5, v5
	s_delay_alu instid0(VALU_DEP_1) | instskip(SKIP_1) | instid1(VALU_DEP_2)
	v_fma_f32 v5, 0xcf800000, v5, |v3|
	v_ashrrev_i32_e32 v3, 31, v3
	v_cvt_u32_f32_e32 v5, v5
	s_delay_alu instid0(VALU_DEP_1) | instskip(NEXT) | instid1(VALU_DEP_1)
	v_xor_b32_e32 v5, v5, v3
	v_sub_nc_u32_e32 v18, v5, v3
.LBB47_1933:
	s_or_b32 exec_lo, exec_lo, s14
	s_mov_b32 s14, 0
	s_branch .LBB47_1939
.LBB47_1934:
	s_mov_b32 s14, -1
                                        ; implicit-def: $vgpr18
	s_branch .LBB47_1945
.LBB47_1935:
	s_and_not1_saveexec_b32 s15, s15
	s_cbranch_execz .LBB47_1920
.LBB47_1936:
	v_cmp_ne_u16_e32 vcc_lo, 0, v3
	s_and_not1_b32 s16, s16, exec_lo
	s_and_b32 s17, vcc_lo, exec_lo
	s_delay_alu instid0(SALU_CYCLE_1)
	s_or_b32 s16, s16, s17
	s_or_b32 exec_lo, exec_lo, s15
	v_mov_b32_e32 v18, 0
	s_and_saveexec_b32 s15, s16
	s_cbranch_execnz .LBB47_1921
	s_branch .LBB47_1922
.LBB47_1937:
	s_mov_b32 s14, -1
                                        ; implicit-def: $vgpr18
	s_branch .LBB47_1942
.LBB47_1938:
	s_mov_b32 s14, -1
                                        ; implicit-def: $vgpr18
.LBB47_1939:
	s_delay_alu instid0(SALU_CYCLE_1)
	s_and_b32 vcc_lo, exec_lo, s14
	s_cbranch_vccz .LBB47_1941
; %bb.1940:
	global_load_u8 v3, v[20:21], off
	s_wait_loadcnt 0x0
	v_lshlrev_b32_e32 v3, 24, v3
	s_delay_alu instid0(VALU_DEP_1) | instskip(NEXT) | instid1(VALU_DEP_1)
	v_and_b32_e32 v5, 0x7f000000, v3
	v_clz_i32_u32_e32 v7, v5
	v_add_nc_u32_e32 v11, 0x1000000, v5
	v_cmp_ne_u32_e32 vcc_lo, 0, v5
	s_delay_alu instid0(VALU_DEP_3) | instskip(NEXT) | instid1(VALU_DEP_1)
	v_min_u32_e32 v7, 32, v7
	v_sub_nc_u32_e64 v7, v7, 4 clamp
	s_delay_alu instid0(VALU_DEP_1) | instskip(NEXT) | instid1(VALU_DEP_1)
	v_dual_lshlrev_b32 v9, v7, v5 :: v_dual_lshlrev_b32 v7, 23, v7
	v_lshrrev_b32_e32 v9, 4, v9
	s_delay_alu instid0(VALU_DEP_1) | instskip(SKIP_1) | instid1(VALU_DEP_2)
	v_sub_nc_u32_e32 v7, v9, v7
	v_ashrrev_i32_e32 v9, 8, v11
	v_add_nc_u32_e32 v7, 0x3c000000, v7
	s_delay_alu instid0(VALU_DEP_1) | instskip(NEXT) | instid1(VALU_DEP_1)
	v_and_or_b32 v7, 0x7f800000, v9, v7
	v_cndmask_b32_e32 v5, 0, v7, vcc_lo
	s_delay_alu instid0(VALU_DEP_1) | instskip(NEXT) | instid1(VALU_DEP_1)
	v_and_or_b32 v3, 0x80000000, v3, v5
	v_trunc_f32_e32 v3, v3
	s_delay_alu instid0(VALU_DEP_1) | instskip(NEXT) | instid1(VALU_DEP_1)
	v_mul_f32_e64 v5, 0x2f800000, |v3|
	v_floor_f32_e32 v5, v5
	s_delay_alu instid0(VALU_DEP_1) | instskip(SKIP_1) | instid1(VALU_DEP_2)
	v_fma_f32 v5, 0xcf800000, v5, |v3|
	v_ashrrev_i32_e32 v3, 31, v3
	v_cvt_u32_f32_e32 v5, v5
	s_delay_alu instid0(VALU_DEP_1) | instskip(NEXT) | instid1(VALU_DEP_1)
	v_xor_b32_e32 v5, v5, v3
	v_sub_nc_u32_e32 v18, v5, v3
.LBB47_1941:
	s_mov_b32 s14, 0
.LBB47_1942:
	s_delay_alu instid0(SALU_CYCLE_1)
	s_and_not1_b32 vcc_lo, exec_lo, s14
	s_cbranch_vccnz .LBB47_1944
; %bb.1943:
	global_load_u8 v3, v[20:21], off
	s_wait_loadcnt 0x0
	v_lshlrev_b32_e32 v5, 25, v3
	v_lshlrev_b16 v3, 8, v3
	s_delay_alu instid0(VALU_DEP_1) | instskip(SKIP_1) | instid1(VALU_DEP_2)
	v_and_or_b32 v9, 0x7f00, v3, 0.5
	v_bfe_i32 v3, v3, 0, 16
	v_add_f32_e32 v9, -0.5, v9
	v_lshrrev_b32_e32 v7, 4, v5
	v_cmp_gt_u32_e32 vcc_lo, 0x8000000, v5
	s_delay_alu instid0(VALU_DEP_2) | instskip(NEXT) | instid1(VALU_DEP_1)
	v_or_b32_e32 v7, 0x70000000, v7
	v_mul_f32_e32 v7, 0x7800000, v7
	s_delay_alu instid0(VALU_DEP_1) | instskip(NEXT) | instid1(VALU_DEP_1)
	v_cndmask_b32_e32 v5, v7, v9, vcc_lo
	v_and_or_b32 v3, 0x80000000, v3, v5
	s_delay_alu instid0(VALU_DEP_1) | instskip(NEXT) | instid1(VALU_DEP_1)
	v_trunc_f32_e32 v3, v3
	v_mul_f32_e64 v5, 0x2f800000, |v3|
	s_delay_alu instid0(VALU_DEP_1) | instskip(NEXT) | instid1(VALU_DEP_1)
	v_floor_f32_e32 v5, v5
	v_fma_f32 v5, 0xcf800000, v5, |v3|
	v_ashrrev_i32_e32 v3, 31, v3
	s_delay_alu instid0(VALU_DEP_2) | instskip(NEXT) | instid1(VALU_DEP_1)
	v_cvt_u32_f32_e32 v5, v5
	v_xor_b32_e32 v5, v5, v3
	s_delay_alu instid0(VALU_DEP_1)
	v_sub_nc_u32_e32 v18, v5, v3
.LBB47_1944:
	s_mov_b32 s14, 0
	s_mov_b32 s15, -1
.LBB47_1945:
	s_and_not1_b32 vcc_lo, exec_lo, s14
	s_mov_b32 s14, 0
	s_cbranch_vccnz .LBB47_1956
; %bb.1946:
	s_cmp_gt_i32 s11, 14
	s_cbranch_scc0 .LBB47_1949
; %bb.1947:
	s_cmp_eq_u32 s11, 15
	s_cbranch_scc0 .LBB47_1952
; %bb.1948:
	global_load_u16 v3, v[20:21], off
	s_mov_b32 s13, 0
	s_mov_b32 s15, -1
	s_wait_loadcnt 0x0
	v_lshlrev_b32_e32 v3, 16, v3
	s_delay_alu instid0(VALU_DEP_1) | instskip(NEXT) | instid1(VALU_DEP_1)
	v_trunc_f32_e32 v3, v3
	v_mul_f32_e64 v5, 0x2f800000, |v3|
	s_delay_alu instid0(VALU_DEP_1) | instskip(NEXT) | instid1(VALU_DEP_1)
	v_floor_f32_e32 v5, v5
	v_fma_f32 v5, 0xcf800000, v5, |v3|
	v_ashrrev_i32_e32 v3, 31, v3
	s_delay_alu instid0(VALU_DEP_2) | instskip(NEXT) | instid1(VALU_DEP_1)
	v_cvt_u32_f32_e32 v5, v5
	v_xor_b32_e32 v5, v5, v3
	s_delay_alu instid0(VALU_DEP_1)
	v_sub_nc_u32_e32 v18, v5, v3
	s_branch .LBB47_1954
.LBB47_1949:
	s_mov_b32 s14, -1
	s_branch .LBB47_1953
.LBB47_1950:
	s_and_not1_saveexec_b32 s14, s14
	s_cbranch_execz .LBB47_1931
.LBB47_1951:
	v_cmp_ne_u16_e32 vcc_lo, 0, v3
	s_and_not1_b32 s15, s15, exec_lo
	s_and_b32 s16, vcc_lo, exec_lo
	s_delay_alu instid0(SALU_CYCLE_1)
	s_or_b32 s15, s15, s16
	s_or_b32 exec_lo, exec_lo, s14
	v_mov_b32_e32 v18, 0
	s_and_saveexec_b32 s14, s15
	s_cbranch_execnz .LBB47_1932
	s_branch .LBB47_1933
.LBB47_1952:
	s_mov_b32 s13, -1
.LBB47_1953:
                                        ; implicit-def: $vgpr18
.LBB47_1954:
	s_and_b32 vcc_lo, exec_lo, s14
	s_mov_b32 s14, 0
	s_cbranch_vccz .LBB47_1956
; %bb.1955:
	s_cmp_lg_u32 s11, 11
	s_mov_b32 s14, -1
	s_cselect_b32 s13, -1, 0
.LBB47_1956:
	s_delay_alu instid0(SALU_CYCLE_1)
	s_and_b32 vcc_lo, exec_lo, s13
	s_cbranch_vccnz .LBB47_2019
; %bb.1957:
	s_and_not1_b32 vcc_lo, exec_lo, s14
	s_cbranch_vccnz .LBB47_1959
.LBB47_1958:
	global_load_u8 v3, v[20:21], off
	s_mov_b32 s15, -1
	s_wait_loadcnt 0x0
	v_cmp_ne_u16_e32 vcc_lo, 0, v3
	v_cndmask_b32_e64 v18, 0, 1, vcc_lo
.LBB47_1959:
	s_branch .LBB47_1890
.LBB47_1960:
	s_cmp_lt_i32 s11, 5
	s_cbranch_scc1 .LBB47_1965
; %bb.1961:
	s_cmp_lt_i32 s11, 8
	s_cbranch_scc1 .LBB47_1966
; %bb.1962:
	;; [unrolled: 3-line block ×3, first 2 shown]
	s_cmp_gt_i32 s11, 9
	s_cbranch_scc0 .LBB47_1968
; %bb.1964:
	s_wait_loadcnt 0x0
	global_load_b64 v[18:19], v[20:21], off
	s_mov_b32 s13, 0
	s_wait_loadcnt 0x0
	v_trunc_f64_e32 v[18:19], v[18:19]
	s_delay_alu instid0(VALU_DEP_1) | instskip(NEXT) | instid1(VALU_DEP_1)
	v_ldexp_f64 v[22:23], v[18:19], 0xffffffe0
	v_floor_f64_e32 v[22:23], v[22:23]
	s_delay_alu instid0(VALU_DEP_1) | instskip(NEXT) | instid1(VALU_DEP_1)
	v_fmamk_f64 v[18:19], v[22:23], 0xc1f00000, v[18:19]
	v_cvt_u32_f64_e32 v18, v[18:19]
	s_branch .LBB47_1969
.LBB47_1965:
	s_mov_b32 s13, -1
                                        ; implicit-def: $vgpr18
	s_branch .LBB47_1987
.LBB47_1966:
	s_mov_b32 s13, -1
                                        ; implicit-def: $vgpr18
	s_branch .LBB47_1975
.LBB47_1967:
	s_mov_b32 s13, -1
                                        ; implicit-def: $vgpr18
	s_branch .LBB47_1972
.LBB47_1968:
	s_mov_b32 s13, -1
                                        ; implicit-def: $vgpr18
.LBB47_1969:
	s_delay_alu instid0(SALU_CYCLE_1)
	s_and_not1_b32 vcc_lo, exec_lo, s13
	s_cbranch_vccnz .LBB47_1971
; %bb.1970:
	global_load_b32 v3, v[20:21], off
	s_wait_loadcnt 0x0
	v_trunc_f32_e32 v3, v3
	s_delay_alu instid0(VALU_DEP_1) | instskip(NEXT) | instid1(VALU_DEP_1)
	v_mul_f32_e64 v5, 0x2f800000, |v3|
	v_floor_f32_e32 v5, v5
	s_delay_alu instid0(VALU_DEP_1) | instskip(SKIP_1) | instid1(VALU_DEP_2)
	v_fma_f32 v5, 0xcf800000, v5, |v3|
	v_ashrrev_i32_e32 v3, 31, v3
	v_cvt_u32_f32_e32 v5, v5
	s_delay_alu instid0(VALU_DEP_1) | instskip(NEXT) | instid1(VALU_DEP_1)
	v_xor_b32_e32 v5, v5, v3
	v_sub_nc_u32_e32 v18, v5, v3
.LBB47_1971:
	s_mov_b32 s13, 0
.LBB47_1972:
	s_delay_alu instid0(SALU_CYCLE_1)
	s_and_not1_b32 vcc_lo, exec_lo, s13
	s_cbranch_vccnz .LBB47_1974
; %bb.1973:
	global_load_b32 v3, v[20:21], off
	s_wait_loadcnt 0x0
	v_cvt_f32_f16_e32 v3, v3
	s_delay_alu instid0(VALU_DEP_1)
	v_cvt_i32_f32_e32 v18, v3
.LBB47_1974:
	s_mov_b32 s13, 0
.LBB47_1975:
	s_delay_alu instid0(SALU_CYCLE_1)
	s_and_not1_b32 vcc_lo, exec_lo, s13
	s_cbranch_vccnz .LBB47_1986
; %bb.1976:
	s_cmp_lt_i32 s11, 6
	s_cbranch_scc1 .LBB47_1979
; %bb.1977:
	s_cmp_gt_i32 s11, 6
	s_cbranch_scc0 .LBB47_1980
; %bb.1978:
	s_wait_loadcnt 0x0
	global_load_b64 v[18:19], v[20:21], off
	s_mov_b32 s13, 0
	s_wait_loadcnt 0x0
	v_trunc_f64_e32 v[18:19], v[18:19]
	s_delay_alu instid0(VALU_DEP_1) | instskip(NEXT) | instid1(VALU_DEP_1)
	v_ldexp_f64 v[22:23], v[18:19], 0xffffffe0
	v_floor_f64_e32 v[22:23], v[22:23]
	s_delay_alu instid0(VALU_DEP_1) | instskip(NEXT) | instid1(VALU_DEP_1)
	v_fmamk_f64 v[18:19], v[22:23], 0xc1f00000, v[18:19]
	v_cvt_u32_f64_e32 v18, v[18:19]
	s_branch .LBB47_1981
.LBB47_1979:
	s_mov_b32 s13, -1
                                        ; implicit-def: $vgpr18
	s_branch .LBB47_1984
.LBB47_1980:
	s_mov_b32 s13, -1
                                        ; implicit-def: $vgpr18
.LBB47_1981:
	s_delay_alu instid0(SALU_CYCLE_1)
	s_and_not1_b32 vcc_lo, exec_lo, s13
	s_cbranch_vccnz .LBB47_1983
; %bb.1982:
	global_load_b32 v3, v[20:21], off
	s_wait_loadcnt 0x0
	v_trunc_f32_e32 v3, v3
	s_delay_alu instid0(VALU_DEP_1) | instskip(NEXT) | instid1(VALU_DEP_1)
	v_mul_f32_e64 v5, 0x2f800000, |v3|
	v_floor_f32_e32 v5, v5
	s_delay_alu instid0(VALU_DEP_1) | instskip(SKIP_1) | instid1(VALU_DEP_2)
	v_fma_f32 v5, 0xcf800000, v5, |v3|
	v_ashrrev_i32_e32 v3, 31, v3
	v_cvt_u32_f32_e32 v5, v5
	s_delay_alu instid0(VALU_DEP_1) | instskip(NEXT) | instid1(VALU_DEP_1)
	v_xor_b32_e32 v5, v5, v3
	v_sub_nc_u32_e32 v18, v5, v3
.LBB47_1983:
	s_mov_b32 s13, 0
.LBB47_1984:
	s_delay_alu instid0(SALU_CYCLE_1)
	s_and_not1_b32 vcc_lo, exec_lo, s13
	s_cbranch_vccnz .LBB47_1986
; %bb.1985:
	global_load_u16 v3, v[20:21], off
	s_wait_loadcnt 0x0
	v_cvt_f32_f16_e32 v3, v3
	s_delay_alu instid0(VALU_DEP_1)
	v_cvt_i32_f32_e32 v18, v3
.LBB47_1986:
	s_mov_b32 s13, 0
.LBB47_1987:
	s_delay_alu instid0(SALU_CYCLE_1)
	s_and_not1_b32 vcc_lo, exec_lo, s13
	s_cbranch_vccnz .LBB47_2007
; %bb.1988:
	s_cmp_lt_i32 s11, 2
	s_cbranch_scc1 .LBB47_1992
; %bb.1989:
	s_cmp_lt_i32 s11, 3
	s_cbranch_scc1 .LBB47_1993
; %bb.1990:
	s_cmp_gt_i32 s11, 3
	s_cbranch_scc0 .LBB47_1994
; %bb.1991:
	s_wait_loadcnt 0x0
	global_load_b64 v[18:19], v[20:21], off
	s_mov_b32 s13, 0
	s_branch .LBB47_1995
.LBB47_1992:
	s_mov_b32 s13, -1
                                        ; implicit-def: $vgpr18
	s_branch .LBB47_2001
.LBB47_1993:
	s_mov_b32 s13, -1
                                        ; implicit-def: $vgpr18
	s_branch .LBB47_1998
.LBB47_1994:
	s_mov_b32 s13, -1
                                        ; implicit-def: $vgpr18
.LBB47_1995:
	s_delay_alu instid0(SALU_CYCLE_1)
	s_and_not1_b32 vcc_lo, exec_lo, s13
	s_cbranch_vccnz .LBB47_1997
; %bb.1996:
	s_wait_loadcnt 0x0
	global_load_b32 v18, v[20:21], off
.LBB47_1997:
	s_mov_b32 s13, 0
.LBB47_1998:
	s_delay_alu instid0(SALU_CYCLE_1)
	s_and_not1_b32 vcc_lo, exec_lo, s13
	s_cbranch_vccnz .LBB47_2000
; %bb.1999:
	s_wait_loadcnt 0x0
	global_load_u16 v18, v[20:21], off
.LBB47_2000:
	s_mov_b32 s13, 0
.LBB47_2001:
	s_delay_alu instid0(SALU_CYCLE_1)
	s_and_not1_b32 vcc_lo, exec_lo, s13
	s_cbranch_vccnz .LBB47_2007
; %bb.2002:
	s_cmp_gt_i32 s11, 0
	s_mov_b32 s13, 0
	s_cbranch_scc0 .LBB47_2004
; %bb.2003:
	s_wait_loadcnt 0x0
	global_load_u8 v18, v[20:21], off
	s_branch .LBB47_2005
.LBB47_2004:
	s_mov_b32 s13, -1
                                        ; implicit-def: $vgpr18
.LBB47_2005:
	s_delay_alu instid0(SALU_CYCLE_1)
	s_and_not1_b32 vcc_lo, exec_lo, s13
	s_cbranch_vccnz .LBB47_2007
; %bb.2006:
	s_wait_loadcnt 0x0
	global_load_u8 v18, v[20:21], off
.LBB47_2007:
.LBB47_2008:
	v_mov_b32_e32 v17, 0
	s_and_b32 s12, 0xffff, s12
	s_delay_alu instid0(SALU_CYCLE_1) | instskip(NEXT) | instid1(VALU_DEP_1)
	s_cmp_lt_i32 s12, 11
	v_add_nc_u64_e32 v[16:17], s[0:1], v[16:17]
	s_cbranch_scc1 .LBB47_2015
; %bb.2009:
	s_cmp_gt_i32 s12, 25
	s_mov_b32 s14, 0
	s_cbranch_scc0 .LBB47_2016
; %bb.2010:
	s_cmp_gt_i32 s12, 28
	s_cbranch_scc0 .LBB47_2017
; %bb.2011:
	s_cmp_gt_i32 s12, 43
	;; [unrolled: 3-line block ×3, first 2 shown]
	s_cbranch_scc0 .LBB47_2020
; %bb.2013:
	s_cmp_eq_u32 s12, 46
	s_mov_b32 s16, 0
	s_cbranch_scc0 .LBB47_2021
; %bb.2014:
	global_load_b32 v3, v[16:17], off
	s_mov_b32 s13, 0
	s_mov_b32 s15, -1
	s_wait_loadcnt 0x0
	v_lshlrev_b32_e32 v3, 16, v3
	s_delay_alu instid0(VALU_DEP_1) | instskip(NEXT) | instid1(VALU_DEP_1)
	v_trunc_f32_e32 v3, v3
	v_mul_f32_e64 v5, 0x2f800000, |v3|
	s_delay_alu instid0(VALU_DEP_1) | instskip(NEXT) | instid1(VALU_DEP_1)
	v_floor_f32_e32 v5, v5
	v_fma_f32 v5, 0xcf800000, v5, |v3|
	v_ashrrev_i32_e32 v3, 31, v3
	s_delay_alu instid0(VALU_DEP_2) | instskip(NEXT) | instid1(VALU_DEP_1)
	v_cvt_u32_f32_e32 v5, v5
	v_xor_b32_e32 v5, v5, v3
	s_wait_xcnt 0x1
	s_delay_alu instid0(VALU_DEP_1)
	v_sub_nc_u32_e32 v20, v5, v3
	s_branch .LBB47_2023
.LBB47_2015:
	s_mov_b32 s13, -1
	s_mov_b32 s15, 0
                                        ; implicit-def: $vgpr20
	s_branch .LBB47_2085
.LBB47_2016:
	s_mov_b32 s16, -1
	s_mov_b32 s15, 0
	s_mov_b32 s13, 0
                                        ; implicit-def: $vgpr20
	s_branch .LBB47_2050
.LBB47_2017:
	s_mov_b32 s16, -1
	s_mov_b32 s15, 0
	s_mov_b32 s13, 0
                                        ; implicit-def: $vgpr20
	s_branch .LBB47_2033
.LBB47_2018:
	s_mov_b32 s16, -1
	s_mov_b32 s15, 0
	s_mov_b32 s13, 0
                                        ; implicit-def: $vgpr20
	s_branch .LBB47_2028
.LBB47_2019:
	s_or_b32 s10, s10, exec_lo
	s_trap 2
	s_cbranch_execz .LBB47_1958
	s_branch .LBB47_1959
.LBB47_2020:
	s_mov_b32 s16, -1
	s_mov_b32 s15, 0
	s_mov_b32 s13, 0
	s_branch .LBB47_2022
.LBB47_2021:
	s_mov_b32 s13, -1
	s_mov_b32 s15, 0
.LBB47_2022:
                                        ; implicit-def: $vgpr20
.LBB47_2023:
	s_and_b32 vcc_lo, exec_lo, s16
	s_cbranch_vccz .LBB47_2027
; %bb.2024:
	s_cmp_eq_u32 s12, 44
	s_cbranch_scc0 .LBB47_2026
; %bb.2025:
	global_load_u8 v3, v[16:17], off
	s_mov_b32 s13, 0
	s_mov_b32 s15, -1
	s_wait_loadcnt 0x0
	v_lshlrev_b32_e32 v5, 23, v3
	v_cmp_ne_u32_e32 vcc_lo, 0, v3
	s_delay_alu instid0(VALU_DEP_2) | instskip(NEXT) | instid1(VALU_DEP_1)
	v_trunc_f32_e32 v5, v5
	v_mul_f32_e64 v7, 0x2f800000, |v5|
	s_delay_alu instid0(VALU_DEP_1) | instskip(NEXT) | instid1(VALU_DEP_1)
	v_floor_f32_e32 v7, v7
	v_fma_f32 v7, 0xcf800000, v7, |v5|
	v_ashrrev_i32_e32 v5, 31, v5
	s_delay_alu instid0(VALU_DEP_2) | instskip(NEXT) | instid1(VALU_DEP_1)
	v_cvt_u32_f32_e32 v7, v7
	v_xor_b32_e32 v7, v7, v5
	s_delay_alu instid0(VALU_DEP_1) | instskip(SKIP_1) | instid1(VALU_DEP_1)
	v_sub_nc_u32_e32 v5, v7, v5
	s_wait_xcnt 0x1
	v_cndmask_b32_e32 v20, 0, v5, vcc_lo
	s_branch .LBB47_2027
.LBB47_2026:
	s_mov_b32 s13, -1
                                        ; implicit-def: $vgpr20
.LBB47_2027:
	s_mov_b32 s16, 0
.LBB47_2028:
	s_delay_alu instid0(SALU_CYCLE_1)
	s_and_b32 vcc_lo, exec_lo, s16
	s_cbranch_vccz .LBB47_2032
; %bb.2029:
	s_cmp_eq_u32 s12, 29
	s_cbranch_scc0 .LBB47_2031
; %bb.2030:
	global_load_b64 v[20:21], v[16:17], off
	s_mov_b32 s13, 0
	s_mov_b32 s15, -1
	s_branch .LBB47_2032
.LBB47_2031:
	s_mov_b32 s13, -1
                                        ; implicit-def: $vgpr20
.LBB47_2032:
	s_mov_b32 s16, 0
.LBB47_2033:
	s_delay_alu instid0(SALU_CYCLE_1)
	s_and_b32 vcc_lo, exec_lo, s16
	s_cbranch_vccz .LBB47_2049
; %bb.2034:
	s_cmp_lt_i32 s12, 27
	s_cbranch_scc1 .LBB47_2037
; %bb.2035:
	s_cmp_gt_i32 s12, 27
	s_cbranch_scc0 .LBB47_2038
; %bb.2036:
	s_wait_loadcnt 0x0
	global_load_b32 v20, v[16:17], off
	s_mov_b32 s15, 0
	s_branch .LBB47_2039
.LBB47_2037:
	s_mov_b32 s15, -1
                                        ; implicit-def: $vgpr20
	s_branch .LBB47_2042
.LBB47_2038:
	s_mov_b32 s15, -1
                                        ; implicit-def: $vgpr20
.LBB47_2039:
	s_delay_alu instid0(SALU_CYCLE_1)
	s_and_not1_b32 vcc_lo, exec_lo, s15
	s_cbranch_vccnz .LBB47_2041
; %bb.2040:
	s_wait_loadcnt 0x0
	global_load_u16 v20, v[16:17], off
.LBB47_2041:
	s_mov_b32 s15, 0
.LBB47_2042:
	s_delay_alu instid0(SALU_CYCLE_1)
	s_and_not1_b32 vcc_lo, exec_lo, s15
	s_cbranch_vccnz .LBB47_2048
; %bb.2043:
	global_load_u8 v3, v[16:17], off
	s_mov_b32 s16, 0
	s_mov_b32 s15, exec_lo
	s_wait_loadcnt 0x0
	v_cmpx_lt_i16_e32 0x7f, v3
	s_xor_b32 s15, exec_lo, s15
	s_cbranch_execz .LBB47_2060
; %bb.2044:
	v_cmp_ne_u16_e32 vcc_lo, 0x80, v3
	s_and_b32 s16, vcc_lo, exec_lo
	s_and_not1_saveexec_b32 s15, s15
	s_cbranch_execnz .LBB47_2061
.LBB47_2045:
	s_or_b32 exec_lo, exec_lo, s15
	v_mov_b32_e32 v20, 0
	s_and_saveexec_b32 s15, s16
	s_cbranch_execz .LBB47_2047
.LBB47_2046:
	v_and_b32_e32 v5, 0xffff, v3
	s_delay_alu instid0(VALU_DEP_1) | instskip(SKIP_1) | instid1(VALU_DEP_2)
	v_dual_lshlrev_b32 v3, 24, v3 :: v_dual_bitop2_b32 v7, 7, v5 bitop3:0x40
	v_bfe_u32 v13, v5, 3, 4
	v_and_b32_e32 v3, 0x80000000, v3
	s_delay_alu instid0(VALU_DEP_3) | instskip(NEXT) | instid1(VALU_DEP_3)
	v_clz_i32_u32_e32 v9, v7
	v_cmp_eq_u32_e32 vcc_lo, 0, v13
	s_delay_alu instid0(VALU_DEP_2) | instskip(NEXT) | instid1(VALU_DEP_1)
	v_min_u32_e32 v9, 32, v9
	v_subrev_nc_u32_e32 v11, 28, v9
	v_sub_nc_u32_e32 v9, 29, v9
	s_delay_alu instid0(VALU_DEP_2) | instskip(NEXT) | instid1(VALU_DEP_2)
	v_lshlrev_b32_e32 v5, v11, v5
	v_cndmask_b32_e32 v9, v13, v9, vcc_lo
	s_delay_alu instid0(VALU_DEP_2) | instskip(NEXT) | instid1(VALU_DEP_1)
	v_and_b32_e32 v5, 7, v5
	v_cndmask_b32_e32 v5, v7, v5, vcc_lo
	s_delay_alu instid0(VALU_DEP_3) | instskip(NEXT) | instid1(VALU_DEP_2)
	v_lshl_add_u32 v7, v9, 23, 0x3b800000
	v_lshlrev_b32_e32 v5, 20, v5
	s_delay_alu instid0(VALU_DEP_1) | instskip(NEXT) | instid1(VALU_DEP_1)
	v_or3_b32 v3, v3, v7, v5
	v_trunc_f32_e32 v3, v3
	s_delay_alu instid0(VALU_DEP_1) | instskip(NEXT) | instid1(VALU_DEP_1)
	v_mul_f32_e64 v5, 0x2f800000, |v3|
	v_floor_f32_e32 v5, v5
	s_delay_alu instid0(VALU_DEP_1) | instskip(SKIP_1) | instid1(VALU_DEP_2)
	v_fma_f32 v5, 0xcf800000, v5, |v3|
	v_ashrrev_i32_e32 v3, 31, v3
	v_cvt_u32_f32_e32 v5, v5
	s_delay_alu instid0(VALU_DEP_1) | instskip(NEXT) | instid1(VALU_DEP_1)
	v_xor_b32_e32 v5, v5, v3
	v_sub_nc_u32_e32 v20, v5, v3
.LBB47_2047:
	s_or_b32 exec_lo, exec_lo, s15
.LBB47_2048:
	s_mov_b32 s15, -1
.LBB47_2049:
	s_mov_b32 s16, 0
.LBB47_2050:
	s_delay_alu instid0(SALU_CYCLE_1)
	s_and_b32 vcc_lo, exec_lo, s16
	s_cbranch_vccz .LBB47_2081
; %bb.2051:
	s_cmp_gt_i32 s12, 22
	s_cbranch_scc0 .LBB47_2059
; %bb.2052:
	s_cmp_lt_i32 s12, 24
	s_cbranch_scc1 .LBB47_2062
; %bb.2053:
	s_cmp_gt_i32 s12, 24
	s_cbranch_scc0 .LBB47_2063
; %bb.2054:
	global_load_u8 v3, v[16:17], off
	s_mov_b32 s15, 0
	s_mov_b32 s14, exec_lo
	s_wait_loadcnt 0x0
	v_cmpx_lt_i16_e32 0x7f, v3
	s_xor_b32 s14, exec_lo, s14
	s_cbranch_execz .LBB47_2075
; %bb.2055:
	v_cmp_ne_u16_e32 vcc_lo, 0x80, v3
	s_and_b32 s15, vcc_lo, exec_lo
	s_and_not1_saveexec_b32 s14, s14
	s_cbranch_execnz .LBB47_2076
.LBB47_2056:
	s_or_b32 exec_lo, exec_lo, s14
	v_mov_b32_e32 v20, 0
	s_and_saveexec_b32 s14, s15
	s_cbranch_execz .LBB47_2058
.LBB47_2057:
	v_and_b32_e32 v5, 0xffff, v3
	s_delay_alu instid0(VALU_DEP_1) | instskip(SKIP_1) | instid1(VALU_DEP_2)
	v_dual_lshlrev_b32 v3, 24, v3 :: v_dual_bitop2_b32 v7, 3, v5 bitop3:0x40
	v_bfe_u32 v13, v5, 2, 5
	v_and_b32_e32 v3, 0x80000000, v3
	s_delay_alu instid0(VALU_DEP_3) | instskip(NEXT) | instid1(VALU_DEP_3)
	v_clz_i32_u32_e32 v9, v7
	v_cmp_eq_u32_e32 vcc_lo, 0, v13
	s_delay_alu instid0(VALU_DEP_2) | instskip(NEXT) | instid1(VALU_DEP_1)
	v_min_u32_e32 v9, 32, v9
	v_subrev_nc_u32_e32 v11, 29, v9
	v_sub_nc_u32_e32 v9, 30, v9
	s_delay_alu instid0(VALU_DEP_2) | instskip(NEXT) | instid1(VALU_DEP_2)
	v_lshlrev_b32_e32 v5, v11, v5
	v_cndmask_b32_e32 v9, v13, v9, vcc_lo
	s_delay_alu instid0(VALU_DEP_2) | instskip(NEXT) | instid1(VALU_DEP_1)
	v_and_b32_e32 v5, 3, v5
	v_cndmask_b32_e32 v5, v7, v5, vcc_lo
	s_delay_alu instid0(VALU_DEP_3) | instskip(NEXT) | instid1(VALU_DEP_2)
	v_lshl_add_u32 v7, v9, 23, 0x37800000
	v_lshlrev_b32_e32 v5, 21, v5
	s_delay_alu instid0(VALU_DEP_1) | instskip(NEXT) | instid1(VALU_DEP_1)
	v_or3_b32 v3, v3, v7, v5
	v_trunc_f32_e32 v3, v3
	s_delay_alu instid0(VALU_DEP_1) | instskip(NEXT) | instid1(VALU_DEP_1)
	v_mul_f32_e64 v5, 0x2f800000, |v3|
	v_floor_f32_e32 v5, v5
	s_delay_alu instid0(VALU_DEP_1) | instskip(SKIP_1) | instid1(VALU_DEP_2)
	v_fma_f32 v5, 0xcf800000, v5, |v3|
	v_ashrrev_i32_e32 v3, 31, v3
	v_cvt_u32_f32_e32 v5, v5
	s_delay_alu instid0(VALU_DEP_1) | instskip(NEXT) | instid1(VALU_DEP_1)
	v_xor_b32_e32 v5, v5, v3
	v_sub_nc_u32_e32 v20, v5, v3
.LBB47_2058:
	s_or_b32 exec_lo, exec_lo, s14
	s_mov_b32 s14, 0
	s_branch .LBB47_2064
.LBB47_2059:
	s_mov_b32 s14, -1
                                        ; implicit-def: $vgpr20
	s_branch .LBB47_2070
.LBB47_2060:
	s_and_not1_saveexec_b32 s15, s15
	s_cbranch_execz .LBB47_2045
.LBB47_2061:
	v_cmp_ne_u16_e32 vcc_lo, 0, v3
	s_and_not1_b32 s16, s16, exec_lo
	s_and_b32 s17, vcc_lo, exec_lo
	s_delay_alu instid0(SALU_CYCLE_1)
	s_or_b32 s16, s16, s17
	s_or_b32 exec_lo, exec_lo, s15
	v_mov_b32_e32 v20, 0
	s_and_saveexec_b32 s15, s16
	s_cbranch_execnz .LBB47_2046
	s_branch .LBB47_2047
.LBB47_2062:
	s_mov_b32 s14, -1
                                        ; implicit-def: $vgpr20
	s_branch .LBB47_2067
.LBB47_2063:
	s_mov_b32 s14, -1
                                        ; implicit-def: $vgpr20
.LBB47_2064:
	s_delay_alu instid0(SALU_CYCLE_1)
	s_and_b32 vcc_lo, exec_lo, s14
	s_cbranch_vccz .LBB47_2066
; %bb.2065:
	global_load_u8 v3, v[16:17], off
	s_wait_loadcnt 0x0
	v_lshlrev_b32_e32 v3, 24, v3
	s_delay_alu instid0(VALU_DEP_1) | instskip(NEXT) | instid1(VALU_DEP_1)
	v_and_b32_e32 v5, 0x7f000000, v3
	v_clz_i32_u32_e32 v7, v5
	v_add_nc_u32_e32 v11, 0x1000000, v5
	v_cmp_ne_u32_e32 vcc_lo, 0, v5
	s_delay_alu instid0(VALU_DEP_3) | instskip(NEXT) | instid1(VALU_DEP_1)
	v_min_u32_e32 v7, 32, v7
	v_sub_nc_u32_e64 v7, v7, 4 clamp
	s_delay_alu instid0(VALU_DEP_1) | instskip(NEXT) | instid1(VALU_DEP_1)
	v_dual_lshlrev_b32 v9, v7, v5 :: v_dual_lshlrev_b32 v7, 23, v7
	v_lshrrev_b32_e32 v9, 4, v9
	s_delay_alu instid0(VALU_DEP_1) | instskip(SKIP_1) | instid1(VALU_DEP_2)
	v_sub_nc_u32_e32 v7, v9, v7
	v_ashrrev_i32_e32 v9, 8, v11
	v_add_nc_u32_e32 v7, 0x3c000000, v7
	s_delay_alu instid0(VALU_DEP_1) | instskip(NEXT) | instid1(VALU_DEP_1)
	v_and_or_b32 v7, 0x7f800000, v9, v7
	v_cndmask_b32_e32 v5, 0, v7, vcc_lo
	s_delay_alu instid0(VALU_DEP_1) | instskip(NEXT) | instid1(VALU_DEP_1)
	v_and_or_b32 v3, 0x80000000, v3, v5
	v_trunc_f32_e32 v3, v3
	s_delay_alu instid0(VALU_DEP_1) | instskip(NEXT) | instid1(VALU_DEP_1)
	v_mul_f32_e64 v5, 0x2f800000, |v3|
	v_floor_f32_e32 v5, v5
	s_delay_alu instid0(VALU_DEP_1) | instskip(SKIP_1) | instid1(VALU_DEP_2)
	v_fma_f32 v5, 0xcf800000, v5, |v3|
	v_ashrrev_i32_e32 v3, 31, v3
	v_cvt_u32_f32_e32 v5, v5
	s_delay_alu instid0(VALU_DEP_1) | instskip(SKIP_1) | instid1(VALU_DEP_1)
	v_xor_b32_e32 v5, v5, v3
	s_wait_xcnt 0x1
	v_sub_nc_u32_e32 v20, v5, v3
.LBB47_2066:
	s_mov_b32 s14, 0
.LBB47_2067:
	s_delay_alu instid0(SALU_CYCLE_1)
	s_and_not1_b32 vcc_lo, exec_lo, s14
	s_cbranch_vccnz .LBB47_2069
; %bb.2068:
	global_load_u8 v3, v[16:17], off
	s_wait_loadcnt 0x0
	v_lshlrev_b32_e32 v5, 25, v3
	v_lshlrev_b16 v3, 8, v3
	s_delay_alu instid0(VALU_DEP_1) | instskip(SKIP_1) | instid1(VALU_DEP_2)
	v_and_or_b32 v9, 0x7f00, v3, 0.5
	v_bfe_i32 v3, v3, 0, 16
	v_add_f32_e32 v9, -0.5, v9
	v_lshrrev_b32_e32 v7, 4, v5
	v_cmp_gt_u32_e32 vcc_lo, 0x8000000, v5
	s_delay_alu instid0(VALU_DEP_2) | instskip(NEXT) | instid1(VALU_DEP_1)
	v_or_b32_e32 v7, 0x70000000, v7
	v_mul_f32_e32 v7, 0x7800000, v7
	s_delay_alu instid0(VALU_DEP_1) | instskip(NEXT) | instid1(VALU_DEP_1)
	v_cndmask_b32_e32 v5, v7, v9, vcc_lo
	v_and_or_b32 v3, 0x80000000, v3, v5
	s_delay_alu instid0(VALU_DEP_1) | instskip(NEXT) | instid1(VALU_DEP_1)
	v_trunc_f32_e32 v3, v3
	v_mul_f32_e64 v5, 0x2f800000, |v3|
	s_delay_alu instid0(VALU_DEP_1) | instskip(NEXT) | instid1(VALU_DEP_1)
	v_floor_f32_e32 v5, v5
	v_fma_f32 v5, 0xcf800000, v5, |v3|
	v_ashrrev_i32_e32 v3, 31, v3
	s_delay_alu instid0(VALU_DEP_2) | instskip(NEXT) | instid1(VALU_DEP_1)
	v_cvt_u32_f32_e32 v5, v5
	v_xor_b32_e32 v5, v5, v3
	s_wait_xcnt 0x1
	s_delay_alu instid0(VALU_DEP_1)
	v_sub_nc_u32_e32 v20, v5, v3
.LBB47_2069:
	s_mov_b32 s14, 0
	s_mov_b32 s15, -1
.LBB47_2070:
	s_and_not1_b32 vcc_lo, exec_lo, s14
	s_mov_b32 s14, 0
	s_cbranch_vccnz .LBB47_2081
; %bb.2071:
	s_cmp_gt_i32 s12, 14
	s_cbranch_scc0 .LBB47_2074
; %bb.2072:
	s_cmp_eq_u32 s12, 15
	s_cbranch_scc0 .LBB47_2077
; %bb.2073:
	global_load_u16 v3, v[16:17], off
	s_mov_b32 s13, 0
	s_mov_b32 s15, -1
	s_wait_loadcnt 0x0
	v_lshlrev_b32_e32 v3, 16, v3
	s_delay_alu instid0(VALU_DEP_1) | instskip(NEXT) | instid1(VALU_DEP_1)
	v_trunc_f32_e32 v3, v3
	v_mul_f32_e64 v5, 0x2f800000, |v3|
	s_delay_alu instid0(VALU_DEP_1) | instskip(NEXT) | instid1(VALU_DEP_1)
	v_floor_f32_e32 v5, v5
	v_fma_f32 v5, 0xcf800000, v5, |v3|
	v_ashrrev_i32_e32 v3, 31, v3
	s_delay_alu instid0(VALU_DEP_2) | instskip(NEXT) | instid1(VALU_DEP_1)
	v_cvt_u32_f32_e32 v5, v5
	v_xor_b32_e32 v5, v5, v3
	s_wait_xcnt 0x1
	s_delay_alu instid0(VALU_DEP_1)
	v_sub_nc_u32_e32 v20, v5, v3
	s_branch .LBB47_2079
.LBB47_2074:
	s_mov_b32 s14, -1
	s_branch .LBB47_2078
.LBB47_2075:
	s_and_not1_saveexec_b32 s14, s14
	s_cbranch_execz .LBB47_2056
.LBB47_2076:
	v_cmp_ne_u16_e32 vcc_lo, 0, v3
	s_and_not1_b32 s15, s15, exec_lo
	s_and_b32 s16, vcc_lo, exec_lo
	s_delay_alu instid0(SALU_CYCLE_1)
	s_or_b32 s15, s15, s16
	s_or_b32 exec_lo, exec_lo, s14
	v_mov_b32_e32 v20, 0
	s_and_saveexec_b32 s14, s15
	s_cbranch_execnz .LBB47_2057
	s_branch .LBB47_2058
.LBB47_2077:
	s_mov_b32 s13, -1
.LBB47_2078:
                                        ; implicit-def: $vgpr20
.LBB47_2079:
	s_and_b32 vcc_lo, exec_lo, s14
	s_mov_b32 s14, 0
	s_cbranch_vccz .LBB47_2081
; %bb.2080:
	s_cmp_lg_u32 s12, 11
	s_mov_b32 s14, -1
	s_cselect_b32 s13, -1, 0
.LBB47_2081:
	s_delay_alu instid0(SALU_CYCLE_1)
	s_and_b32 vcc_lo, exec_lo, s13
	s_cbranch_vccnz .LBB47_2152
; %bb.2082:
	s_and_not1_b32 vcc_lo, exec_lo, s14
	s_cbranch_vccnz .LBB47_2084
.LBB47_2083:
	global_load_u8 v3, v[16:17], off
	s_mov_b32 s15, -1
	s_wait_loadcnt 0x0
	v_cmp_ne_u16_e32 vcc_lo, 0, v3
	s_wait_xcnt 0x1
	v_cndmask_b32_e64 v20, 0, 1, vcc_lo
.LBB47_2084:
	s_mov_b32 s13, 0
.LBB47_2085:
	s_delay_alu instid0(SALU_CYCLE_1)
	s_and_b32 vcc_lo, exec_lo, s13
	s_cbranch_vccz .LBB47_2134
; %bb.2086:
	s_cmp_lt_i32 s12, 5
	s_cbranch_scc1 .LBB47_2091
; %bb.2087:
	s_cmp_lt_i32 s12, 8
	s_cbranch_scc1 .LBB47_2092
	;; [unrolled: 3-line block ×3, first 2 shown]
; %bb.2089:
	s_cmp_gt_i32 s12, 9
	s_cbranch_scc0 .LBB47_2094
; %bb.2090:
	s_wait_loadcnt 0x0
	global_load_b64 v[20:21], v[16:17], off
	s_mov_b32 s13, 0
	s_wait_loadcnt 0x0
	v_trunc_f64_e32 v[20:21], v[20:21]
	s_delay_alu instid0(VALU_DEP_1) | instskip(NEXT) | instid1(VALU_DEP_1)
	v_ldexp_f64 v[22:23], v[20:21], 0xffffffe0
	v_floor_f64_e32 v[22:23], v[22:23]
	s_delay_alu instid0(VALU_DEP_1) | instskip(NEXT) | instid1(VALU_DEP_1)
	v_fmamk_f64 v[20:21], v[22:23], 0xc1f00000, v[20:21]
	v_cvt_u32_f64_e32 v20, v[20:21]
	s_branch .LBB47_2095
.LBB47_2091:
	s_mov_b32 s13, -1
                                        ; implicit-def: $vgpr20
	s_branch .LBB47_2113
.LBB47_2092:
	s_mov_b32 s13, -1
                                        ; implicit-def: $vgpr20
	s_branch .LBB47_2101
.LBB47_2093:
	s_mov_b32 s13, -1
                                        ; implicit-def: $vgpr20
	s_branch .LBB47_2098
.LBB47_2094:
	s_mov_b32 s13, -1
                                        ; implicit-def: $vgpr20
.LBB47_2095:
	s_delay_alu instid0(SALU_CYCLE_1)
	s_and_not1_b32 vcc_lo, exec_lo, s13
	s_cbranch_vccnz .LBB47_2097
; %bb.2096:
	global_load_b32 v3, v[16:17], off
	s_wait_loadcnt 0x0
	v_trunc_f32_e32 v3, v3
	s_delay_alu instid0(VALU_DEP_1) | instskip(NEXT) | instid1(VALU_DEP_1)
	v_mul_f32_e64 v5, 0x2f800000, |v3|
	v_floor_f32_e32 v5, v5
	s_delay_alu instid0(VALU_DEP_1) | instskip(SKIP_1) | instid1(VALU_DEP_2)
	v_fma_f32 v5, 0xcf800000, v5, |v3|
	v_ashrrev_i32_e32 v3, 31, v3
	v_cvt_u32_f32_e32 v5, v5
	s_delay_alu instid0(VALU_DEP_1) | instskip(SKIP_1) | instid1(VALU_DEP_1)
	v_xor_b32_e32 v5, v5, v3
	s_wait_xcnt 0x1
	v_sub_nc_u32_e32 v20, v5, v3
.LBB47_2097:
	s_mov_b32 s13, 0
.LBB47_2098:
	s_delay_alu instid0(SALU_CYCLE_1)
	s_and_not1_b32 vcc_lo, exec_lo, s13
	s_cbranch_vccnz .LBB47_2100
; %bb.2099:
	global_load_b32 v3, v[16:17], off
	s_wait_loadcnt 0x0
	v_cvt_f32_f16_e32 v3, v3
	s_wait_xcnt 0x1
	s_delay_alu instid0(VALU_DEP_1)
	v_cvt_i32_f32_e32 v20, v3
.LBB47_2100:
	s_mov_b32 s13, 0
.LBB47_2101:
	s_delay_alu instid0(SALU_CYCLE_1)
	s_and_not1_b32 vcc_lo, exec_lo, s13
	s_cbranch_vccnz .LBB47_2112
; %bb.2102:
	s_cmp_lt_i32 s12, 6
	s_cbranch_scc1 .LBB47_2105
; %bb.2103:
	s_cmp_gt_i32 s12, 6
	s_cbranch_scc0 .LBB47_2106
; %bb.2104:
	s_wait_loadcnt 0x0
	global_load_b64 v[20:21], v[16:17], off
	s_mov_b32 s13, 0
	s_wait_loadcnt 0x0
	v_trunc_f64_e32 v[20:21], v[20:21]
	s_delay_alu instid0(VALU_DEP_1) | instskip(NEXT) | instid1(VALU_DEP_1)
	v_ldexp_f64 v[22:23], v[20:21], 0xffffffe0
	v_floor_f64_e32 v[22:23], v[22:23]
	s_delay_alu instid0(VALU_DEP_1) | instskip(NEXT) | instid1(VALU_DEP_1)
	v_fmamk_f64 v[20:21], v[22:23], 0xc1f00000, v[20:21]
	v_cvt_u32_f64_e32 v20, v[20:21]
	s_branch .LBB47_2107
.LBB47_2105:
	s_mov_b32 s13, -1
                                        ; implicit-def: $vgpr20
	s_branch .LBB47_2110
.LBB47_2106:
	s_mov_b32 s13, -1
                                        ; implicit-def: $vgpr20
.LBB47_2107:
	s_delay_alu instid0(SALU_CYCLE_1)
	s_and_not1_b32 vcc_lo, exec_lo, s13
	s_cbranch_vccnz .LBB47_2109
; %bb.2108:
	global_load_b32 v3, v[16:17], off
	s_wait_loadcnt 0x0
	v_trunc_f32_e32 v3, v3
	s_delay_alu instid0(VALU_DEP_1) | instskip(NEXT) | instid1(VALU_DEP_1)
	v_mul_f32_e64 v5, 0x2f800000, |v3|
	v_floor_f32_e32 v5, v5
	s_delay_alu instid0(VALU_DEP_1) | instskip(SKIP_1) | instid1(VALU_DEP_2)
	v_fma_f32 v5, 0xcf800000, v5, |v3|
	v_ashrrev_i32_e32 v3, 31, v3
	v_cvt_u32_f32_e32 v5, v5
	s_delay_alu instid0(VALU_DEP_1) | instskip(SKIP_1) | instid1(VALU_DEP_1)
	v_xor_b32_e32 v5, v5, v3
	s_wait_xcnt 0x1
	v_sub_nc_u32_e32 v20, v5, v3
.LBB47_2109:
	s_mov_b32 s13, 0
.LBB47_2110:
	s_delay_alu instid0(SALU_CYCLE_1)
	s_and_not1_b32 vcc_lo, exec_lo, s13
	s_cbranch_vccnz .LBB47_2112
; %bb.2111:
	global_load_u16 v3, v[16:17], off
	s_wait_loadcnt 0x0
	v_cvt_f32_f16_e32 v3, v3
	s_wait_xcnt 0x1
	s_delay_alu instid0(VALU_DEP_1)
	v_cvt_i32_f32_e32 v20, v3
.LBB47_2112:
	s_mov_b32 s13, 0
.LBB47_2113:
	s_delay_alu instid0(SALU_CYCLE_1)
	s_and_not1_b32 vcc_lo, exec_lo, s13
	s_cbranch_vccnz .LBB47_2133
; %bb.2114:
	s_cmp_lt_i32 s12, 2
	s_cbranch_scc1 .LBB47_2118
; %bb.2115:
	s_cmp_lt_i32 s12, 3
	s_cbranch_scc1 .LBB47_2119
; %bb.2116:
	s_cmp_gt_i32 s12, 3
	s_cbranch_scc0 .LBB47_2120
; %bb.2117:
	s_wait_loadcnt 0x0
	global_load_b64 v[20:21], v[16:17], off
	s_mov_b32 s13, 0
	s_branch .LBB47_2121
.LBB47_2118:
	s_mov_b32 s13, -1
                                        ; implicit-def: $vgpr20
	s_branch .LBB47_2127
.LBB47_2119:
	s_mov_b32 s13, -1
                                        ; implicit-def: $vgpr20
	s_branch .LBB47_2124
.LBB47_2120:
	s_mov_b32 s13, -1
                                        ; implicit-def: $vgpr20
.LBB47_2121:
	s_delay_alu instid0(SALU_CYCLE_1)
	s_and_not1_b32 vcc_lo, exec_lo, s13
	s_cbranch_vccnz .LBB47_2123
; %bb.2122:
	s_wait_loadcnt 0x0
	global_load_b32 v20, v[16:17], off
.LBB47_2123:
	s_mov_b32 s13, 0
.LBB47_2124:
	s_delay_alu instid0(SALU_CYCLE_1)
	s_and_not1_b32 vcc_lo, exec_lo, s13
	s_cbranch_vccnz .LBB47_2126
; %bb.2125:
	s_wait_loadcnt 0x0
	global_load_u16 v20, v[16:17], off
.LBB47_2126:
	s_mov_b32 s13, 0
.LBB47_2127:
	s_delay_alu instid0(SALU_CYCLE_1)
	s_and_not1_b32 vcc_lo, exec_lo, s13
	s_cbranch_vccnz .LBB47_2133
; %bb.2128:
	s_cmp_gt_i32 s12, 0
	s_mov_b32 s13, 0
	s_cbranch_scc0 .LBB47_2130
; %bb.2129:
	s_wait_loadcnt 0x0
	global_load_u8 v20, v[16:17], off
	s_branch .LBB47_2131
.LBB47_2130:
	s_mov_b32 s13, -1
                                        ; implicit-def: $vgpr20
.LBB47_2131:
	s_delay_alu instid0(SALU_CYCLE_1)
	s_and_not1_b32 vcc_lo, exec_lo, s13
	s_cbranch_vccnz .LBB47_2133
; %bb.2132:
	s_wait_loadcnt 0x0
	global_load_u8 v20, v[16:17], off
.LBB47_2133:
	s_mov_b32 s15, -1
.LBB47_2134:
	s_delay_alu instid0(SALU_CYCLE_1)
	s_and_not1_b32 vcc_lo, exec_lo, s15
	s_cbranch_vccnz .LBB47_2741
; %bb.2135:
	s_wait_loadcnt 0x0
	s_delay_alu instid0(VALU_DEP_3) | instskip(NEXT) | instid1(VALU_DEP_2)
	v_and_b32_e32 v3, 0xff, v18
	v_mov_b32_e32 v5, v20
	s_mov_b32 s14, 0
	s_mov_b32 s13, exec_lo
	s_wait_xcnt 0x0
	v_cmpx_ne_u16_e32 0, v3
	s_cbranch_execz .LBB47_2139
; %bb.2136:
	v_dual_mov_b32 v7, v18 :: v_dual_mov_b32 v3, v20
.LBB47_2137:                            ; =>This Inner Loop Header: Depth=1
	s_delay_alu instid0(VALU_DEP_1) | instskip(NEXT) | instid1(VALU_DEP_2)
	v_cvt_f32_ubyte0_e32 v11, v3
	v_mov_b32_e32 v5, v7
	s_delay_alu instid0(VALU_DEP_1) | instskip(NEXT) | instid1(VALU_DEP_1)
	v_cvt_f32_ubyte0_e32 v7, v5
	v_rcp_iflag_f32_e32 v9, v7
	v_nop
	s_delay_alu instid0(TRANS32_DEP_1) | instskip(NEXT) | instid1(VALU_DEP_1)
	v_mul_f32_e32 v9, v11, v9
	v_trunc_f32_e32 v9, v9
	s_delay_alu instid0(VALU_DEP_1) | instskip(SKIP_1) | instid1(VALU_DEP_2)
	v_fma_f32 v11, -v9, v7, v11
	v_cvt_u32_f32_e32 v9, v9
	v_cmp_ge_f32_e64 vcc_lo, |v11|, v7
	s_delay_alu instid0(VALU_DEP_1) | instskip(NEXT) | instid1(VALU_DEP_1)
	v_add_co_ci_u32_e64 v7, null, 0, v9, vcc_lo
	v_mul_lo_u32 v7, v7, v5
	s_delay_alu instid0(VALU_DEP_1) | instskip(NEXT) | instid1(VALU_DEP_1)
	v_sub_nc_u32_e32 v3, v3, v7
	v_and_b32_e32 v7, 0xff, v3
	v_mov_b32_e32 v3, v5
	s_delay_alu instid0(VALU_DEP_2) | instskip(SKIP_1) | instid1(SALU_CYCLE_1)
	v_cmp_eq_u16_e32 vcc_lo, 0, v7
	s_or_b32 s14, vcc_lo, s14
	s_and_not1_b32 exec_lo, exec_lo, s14
	s_cbranch_execnz .LBB47_2137
; %bb.2138:
	s_or_b32 exec_lo, exec_lo, s14
.LBB47_2139:
	s_delay_alu instid0(SALU_CYCLE_1) | instskip(SKIP_3) | instid1(VALU_DEP_2)
	s_or_b32 exec_lo, exec_lo, s13
	v_and_b32_e32 v7, 0xff, v5
	v_mov_b32_e32 v3, 0
	s_mov_b32 s13, exec_lo
	v_cmpx_ne_u16_e32 0, v7
	s_cbranch_execz .LBB47_2141
; %bb.2140:
	v_cvt_f32_ubyte0_e32 v3, v5
	v_cvt_f32_ubyte0_e32 v7, v18
	s_delay_alu instid0(VALU_DEP_2) | instskip(SKIP_1) | instid1(TRANS32_DEP_1)
	v_rcp_iflag_f32_e32 v5, v3
	v_nop
	v_mul_f32_e32 v5, v7, v5
	s_delay_alu instid0(VALU_DEP_1) | instskip(NEXT) | instid1(VALU_DEP_1)
	v_trunc_f32_e32 v5, v5
	v_fma_f32 v7, -v5, v3, v7
	v_cvt_u32_f32_e32 v5, v5
	s_delay_alu instid0(VALU_DEP_2) | instskip(NEXT) | instid1(VALU_DEP_1)
	v_cmp_ge_f32_e64 vcc_lo, |v7|, v3
	v_add_co_ci_u32_e64 v3, null, 0, v5, vcc_lo
	s_delay_alu instid0(VALU_DEP_1)
	v_mul_lo_u16 v3, v3, v20
.LBB47_2141:
	s_or_b32 exec_lo, exec_lo, s13
	v_mov_b32_e32 v15, 0
	s_cmp_lt_i32 s11, 11
	s_delay_alu instid0(VALU_DEP_1)
	v_add_nc_u64_e32 v[16:17], s[6:7], v[14:15]
	s_cbranch_scc1 .LBB47_2148
; %bb.2142:
	s_cmp_gt_i32 s11, 25
	s_mov_b32 s14, 0
	s_cbranch_scc0 .LBB47_2149
; %bb.2143:
	s_cmp_gt_i32 s11, 28
	s_cbranch_scc0 .LBB47_2150
; %bb.2144:
	s_cmp_gt_i32 s11, 43
	;; [unrolled: 3-line block ×3, first 2 shown]
	s_cbranch_scc0 .LBB47_2153
; %bb.2146:
	s_cmp_eq_u32 s11, 46
	s_mov_b32 s16, 0
	s_cbranch_scc0 .LBB47_2154
; %bb.2147:
	global_load_b32 v5, v[16:17], off
	s_mov_b32 s13, 0
	s_mov_b32 s15, -1
	s_wait_loadcnt 0x0
	v_lshlrev_b32_e32 v5, 16, v5
	s_delay_alu instid0(VALU_DEP_1) | instskip(NEXT) | instid1(VALU_DEP_1)
	v_trunc_f32_e32 v5, v5
	v_mul_f32_e64 v7, 0x2f800000, |v5|
	s_delay_alu instid0(VALU_DEP_1) | instskip(NEXT) | instid1(VALU_DEP_1)
	v_floor_f32_e32 v7, v7
	v_fma_f32 v7, 0xcf800000, v7, |v5|
	v_ashrrev_i32_e32 v5, 31, v5
	s_delay_alu instid0(VALU_DEP_2) | instskip(NEXT) | instid1(VALU_DEP_1)
	v_cvt_u32_f32_e32 v7, v7
	v_xor_b32_e32 v7, v7, v5
	s_delay_alu instid0(VALU_DEP_1)
	v_sub_nc_u32_e32 v14, v7, v5
	s_branch .LBB47_2156
.LBB47_2148:
	s_mov_b32 s13, -1
	s_mov_b32 s15, 0
                                        ; implicit-def: $vgpr14
	s_branch .LBB47_2218
.LBB47_2149:
	s_mov_b32 s16, -1
	s_mov_b32 s15, 0
	s_mov_b32 s13, 0
                                        ; implicit-def: $vgpr14
	s_branch .LBB47_2183
.LBB47_2150:
	s_mov_b32 s16, -1
	s_mov_b32 s15, 0
	s_mov_b32 s13, 0
                                        ; implicit-def: $vgpr14
	s_branch .LBB47_2166
.LBB47_2151:
	s_mov_b32 s16, -1
	s_mov_b32 s15, 0
	s_mov_b32 s13, 0
                                        ; implicit-def: $vgpr14
	s_branch .LBB47_2161
.LBB47_2152:
	s_or_b32 s10, s10, exec_lo
	s_trap 2
	s_cbranch_execz .LBB47_2083
	s_branch .LBB47_2084
.LBB47_2153:
	s_mov_b32 s16, -1
	s_mov_b32 s15, 0
	s_mov_b32 s13, 0
	s_branch .LBB47_2155
.LBB47_2154:
	s_mov_b32 s13, -1
	s_mov_b32 s15, 0
.LBB47_2155:
                                        ; implicit-def: $vgpr14
.LBB47_2156:
	s_and_b32 vcc_lo, exec_lo, s16
	s_cbranch_vccz .LBB47_2160
; %bb.2157:
	s_cmp_eq_u32 s11, 44
	s_cbranch_scc0 .LBB47_2159
; %bb.2158:
	global_load_u8 v5, v[16:17], off
	s_mov_b32 s13, 0
	s_mov_b32 s15, -1
	s_wait_loadcnt 0x0
	v_lshlrev_b32_e32 v7, 23, v5
	v_cmp_ne_u32_e32 vcc_lo, 0, v5
	s_delay_alu instid0(VALU_DEP_2) | instskip(NEXT) | instid1(VALU_DEP_1)
	v_trunc_f32_e32 v7, v7
	v_mul_f32_e64 v9, 0x2f800000, |v7|
	s_delay_alu instid0(VALU_DEP_1) | instskip(NEXT) | instid1(VALU_DEP_1)
	v_floor_f32_e32 v9, v9
	v_fma_f32 v9, 0xcf800000, v9, |v7|
	v_ashrrev_i32_e32 v7, 31, v7
	s_delay_alu instid0(VALU_DEP_2) | instskip(NEXT) | instid1(VALU_DEP_1)
	v_cvt_u32_f32_e32 v9, v9
	v_xor_b32_e32 v9, v9, v7
	s_delay_alu instid0(VALU_DEP_1) | instskip(NEXT) | instid1(VALU_DEP_1)
	v_sub_nc_u32_e32 v7, v9, v7
	v_cndmask_b32_e32 v14, 0, v7, vcc_lo
	s_branch .LBB47_2160
.LBB47_2159:
	s_mov_b32 s13, -1
                                        ; implicit-def: $vgpr14
.LBB47_2160:
	s_mov_b32 s16, 0
.LBB47_2161:
	s_delay_alu instid0(SALU_CYCLE_1)
	s_and_b32 vcc_lo, exec_lo, s16
	s_cbranch_vccz .LBB47_2165
; %bb.2162:
	s_cmp_eq_u32 s11, 29
	s_cbranch_scc0 .LBB47_2164
; %bb.2163:
	global_load_b64 v[14:15], v[16:17], off
	s_mov_b32 s13, 0
	s_mov_b32 s15, -1
	s_branch .LBB47_2165
.LBB47_2164:
	s_mov_b32 s13, -1
                                        ; implicit-def: $vgpr14
.LBB47_2165:
	s_mov_b32 s16, 0
.LBB47_2166:
	s_delay_alu instid0(SALU_CYCLE_1)
	s_and_b32 vcc_lo, exec_lo, s16
	s_cbranch_vccz .LBB47_2182
; %bb.2167:
	s_cmp_lt_i32 s11, 27
	s_cbranch_scc1 .LBB47_2170
; %bb.2168:
	s_cmp_gt_i32 s11, 27
	s_cbranch_scc0 .LBB47_2171
; %bb.2169:
	s_wait_loadcnt 0x0
	global_load_b32 v14, v[16:17], off
	s_mov_b32 s15, 0
	s_branch .LBB47_2172
.LBB47_2170:
	s_mov_b32 s15, -1
                                        ; implicit-def: $vgpr14
	s_branch .LBB47_2175
.LBB47_2171:
	s_mov_b32 s15, -1
                                        ; implicit-def: $vgpr14
.LBB47_2172:
	s_delay_alu instid0(SALU_CYCLE_1)
	s_and_not1_b32 vcc_lo, exec_lo, s15
	s_cbranch_vccnz .LBB47_2174
; %bb.2173:
	s_wait_loadcnt 0x0
	global_load_u16 v14, v[16:17], off
.LBB47_2174:
	s_mov_b32 s15, 0
.LBB47_2175:
	s_delay_alu instid0(SALU_CYCLE_1)
	s_and_not1_b32 vcc_lo, exec_lo, s15
	s_cbranch_vccnz .LBB47_2181
; %bb.2176:
	global_load_u8 v5, v[16:17], off
	s_mov_b32 s16, 0
	s_mov_b32 s15, exec_lo
	s_wait_loadcnt 0x0
	v_cmpx_lt_i16_e32 0x7f, v5
	s_xor_b32 s15, exec_lo, s15
	s_cbranch_execz .LBB47_2193
; %bb.2177:
	v_cmp_ne_u16_e32 vcc_lo, 0x80, v5
	s_and_b32 s16, vcc_lo, exec_lo
	s_and_not1_saveexec_b32 s15, s15
	s_cbranch_execnz .LBB47_2194
.LBB47_2178:
	s_or_b32 exec_lo, exec_lo, s15
	v_mov_b32_e32 v14, 0
	s_and_saveexec_b32 s15, s16
	s_cbranch_execz .LBB47_2180
.LBB47_2179:
	v_and_b32_e32 v7, 0xffff, v5
	s_delay_alu instid0(VALU_DEP_1) | instskip(SKIP_1) | instid1(VALU_DEP_2)
	v_dual_lshlrev_b32 v5, 24, v5 :: v_dual_bitop2_b32 v9, 7, v7 bitop3:0x40
	v_bfe_u32 v14, v7, 3, 4
	v_and_b32_e32 v5, 0x80000000, v5
	s_delay_alu instid0(VALU_DEP_3) | instskip(NEXT) | instid1(VALU_DEP_3)
	v_clz_i32_u32_e32 v11, v9
	v_cmp_eq_u32_e32 vcc_lo, 0, v14
	s_delay_alu instid0(VALU_DEP_2) | instskip(NEXT) | instid1(VALU_DEP_1)
	v_min_u32_e32 v11, 32, v11
	v_subrev_nc_u32_e32 v13, 28, v11
	v_sub_nc_u32_e32 v11, 29, v11
	s_delay_alu instid0(VALU_DEP_2) | instskip(NEXT) | instid1(VALU_DEP_2)
	v_lshlrev_b32_e32 v7, v13, v7
	v_cndmask_b32_e32 v11, v14, v11, vcc_lo
	s_delay_alu instid0(VALU_DEP_2) | instskip(NEXT) | instid1(VALU_DEP_1)
	v_and_b32_e32 v7, 7, v7
	v_cndmask_b32_e32 v7, v9, v7, vcc_lo
	s_delay_alu instid0(VALU_DEP_3) | instskip(NEXT) | instid1(VALU_DEP_2)
	v_lshl_add_u32 v9, v11, 23, 0x3b800000
	v_lshlrev_b32_e32 v7, 20, v7
	s_delay_alu instid0(VALU_DEP_1) | instskip(NEXT) | instid1(VALU_DEP_1)
	v_or3_b32 v5, v5, v9, v7
	v_trunc_f32_e32 v5, v5
	s_delay_alu instid0(VALU_DEP_1) | instskip(NEXT) | instid1(VALU_DEP_1)
	v_mul_f32_e64 v7, 0x2f800000, |v5|
	v_floor_f32_e32 v7, v7
	s_delay_alu instid0(VALU_DEP_1) | instskip(SKIP_1) | instid1(VALU_DEP_2)
	v_fma_f32 v7, 0xcf800000, v7, |v5|
	v_ashrrev_i32_e32 v5, 31, v5
	v_cvt_u32_f32_e32 v7, v7
	s_delay_alu instid0(VALU_DEP_1) | instskip(NEXT) | instid1(VALU_DEP_1)
	v_xor_b32_e32 v7, v7, v5
	v_sub_nc_u32_e32 v14, v7, v5
.LBB47_2180:
	s_or_b32 exec_lo, exec_lo, s15
.LBB47_2181:
	s_mov_b32 s15, -1
.LBB47_2182:
	s_mov_b32 s16, 0
.LBB47_2183:
	s_delay_alu instid0(SALU_CYCLE_1)
	s_and_b32 vcc_lo, exec_lo, s16
	s_cbranch_vccz .LBB47_2214
; %bb.2184:
	s_cmp_gt_i32 s11, 22
	s_cbranch_scc0 .LBB47_2192
; %bb.2185:
	s_cmp_lt_i32 s11, 24
	s_cbranch_scc1 .LBB47_2195
; %bb.2186:
	s_cmp_gt_i32 s11, 24
	s_cbranch_scc0 .LBB47_2196
; %bb.2187:
	global_load_u8 v5, v[16:17], off
	s_mov_b32 s15, 0
	s_mov_b32 s14, exec_lo
	s_wait_loadcnt 0x0
	v_cmpx_lt_i16_e32 0x7f, v5
	s_xor_b32 s14, exec_lo, s14
	s_cbranch_execz .LBB47_2208
; %bb.2188:
	v_cmp_ne_u16_e32 vcc_lo, 0x80, v5
	s_and_b32 s15, vcc_lo, exec_lo
	s_and_not1_saveexec_b32 s14, s14
	s_cbranch_execnz .LBB47_2209
.LBB47_2189:
	s_or_b32 exec_lo, exec_lo, s14
	v_mov_b32_e32 v14, 0
	s_and_saveexec_b32 s14, s15
	s_cbranch_execz .LBB47_2191
.LBB47_2190:
	v_and_b32_e32 v7, 0xffff, v5
	s_delay_alu instid0(VALU_DEP_1) | instskip(SKIP_1) | instid1(VALU_DEP_2)
	v_dual_lshlrev_b32 v5, 24, v5 :: v_dual_bitop2_b32 v9, 3, v7 bitop3:0x40
	v_bfe_u32 v14, v7, 2, 5
	v_and_b32_e32 v5, 0x80000000, v5
	s_delay_alu instid0(VALU_DEP_3) | instskip(NEXT) | instid1(VALU_DEP_3)
	v_clz_i32_u32_e32 v11, v9
	v_cmp_eq_u32_e32 vcc_lo, 0, v14
	s_delay_alu instid0(VALU_DEP_2) | instskip(NEXT) | instid1(VALU_DEP_1)
	v_min_u32_e32 v11, 32, v11
	v_subrev_nc_u32_e32 v13, 29, v11
	v_sub_nc_u32_e32 v11, 30, v11
	s_delay_alu instid0(VALU_DEP_2) | instskip(NEXT) | instid1(VALU_DEP_2)
	v_lshlrev_b32_e32 v7, v13, v7
	v_cndmask_b32_e32 v11, v14, v11, vcc_lo
	s_delay_alu instid0(VALU_DEP_2) | instskip(NEXT) | instid1(VALU_DEP_1)
	v_and_b32_e32 v7, 3, v7
	v_cndmask_b32_e32 v7, v9, v7, vcc_lo
	s_delay_alu instid0(VALU_DEP_3) | instskip(NEXT) | instid1(VALU_DEP_2)
	v_lshl_add_u32 v9, v11, 23, 0x37800000
	v_lshlrev_b32_e32 v7, 21, v7
	s_delay_alu instid0(VALU_DEP_1) | instskip(NEXT) | instid1(VALU_DEP_1)
	v_or3_b32 v5, v5, v9, v7
	v_trunc_f32_e32 v5, v5
	s_delay_alu instid0(VALU_DEP_1) | instskip(NEXT) | instid1(VALU_DEP_1)
	v_mul_f32_e64 v7, 0x2f800000, |v5|
	v_floor_f32_e32 v7, v7
	s_delay_alu instid0(VALU_DEP_1) | instskip(SKIP_1) | instid1(VALU_DEP_2)
	v_fma_f32 v7, 0xcf800000, v7, |v5|
	v_ashrrev_i32_e32 v5, 31, v5
	v_cvt_u32_f32_e32 v7, v7
	s_delay_alu instid0(VALU_DEP_1) | instskip(NEXT) | instid1(VALU_DEP_1)
	v_xor_b32_e32 v7, v7, v5
	v_sub_nc_u32_e32 v14, v7, v5
.LBB47_2191:
	s_or_b32 exec_lo, exec_lo, s14
	s_mov_b32 s14, 0
	s_branch .LBB47_2197
.LBB47_2192:
	s_mov_b32 s14, -1
                                        ; implicit-def: $vgpr14
	s_branch .LBB47_2203
.LBB47_2193:
	s_and_not1_saveexec_b32 s15, s15
	s_cbranch_execz .LBB47_2178
.LBB47_2194:
	v_cmp_ne_u16_e32 vcc_lo, 0, v5
	s_and_not1_b32 s16, s16, exec_lo
	s_and_b32 s17, vcc_lo, exec_lo
	s_delay_alu instid0(SALU_CYCLE_1)
	s_or_b32 s16, s16, s17
	s_or_b32 exec_lo, exec_lo, s15
	v_mov_b32_e32 v14, 0
	s_and_saveexec_b32 s15, s16
	s_cbranch_execnz .LBB47_2179
	s_branch .LBB47_2180
.LBB47_2195:
	s_mov_b32 s14, -1
                                        ; implicit-def: $vgpr14
	s_branch .LBB47_2200
.LBB47_2196:
	s_mov_b32 s14, -1
                                        ; implicit-def: $vgpr14
.LBB47_2197:
	s_delay_alu instid0(SALU_CYCLE_1)
	s_and_b32 vcc_lo, exec_lo, s14
	s_cbranch_vccz .LBB47_2199
; %bb.2198:
	global_load_u8 v5, v[16:17], off
	s_wait_loadcnt 0x0
	v_lshlrev_b32_e32 v5, 24, v5
	s_delay_alu instid0(VALU_DEP_1) | instskip(NEXT) | instid1(VALU_DEP_1)
	v_and_b32_e32 v7, 0x7f000000, v5
	v_clz_i32_u32_e32 v9, v7
	v_add_nc_u32_e32 v13, 0x1000000, v7
	v_cmp_ne_u32_e32 vcc_lo, 0, v7
	s_delay_alu instid0(VALU_DEP_3) | instskip(NEXT) | instid1(VALU_DEP_1)
	v_min_u32_e32 v9, 32, v9
	v_sub_nc_u32_e64 v9, v9, 4 clamp
	s_delay_alu instid0(VALU_DEP_1) | instskip(NEXT) | instid1(VALU_DEP_1)
	v_dual_lshlrev_b32 v11, v9, v7 :: v_dual_lshlrev_b32 v9, 23, v9
	v_lshrrev_b32_e32 v11, 4, v11
	s_delay_alu instid0(VALU_DEP_1) | instskip(SKIP_1) | instid1(VALU_DEP_2)
	v_sub_nc_u32_e32 v9, v11, v9
	v_ashrrev_i32_e32 v11, 8, v13
	v_add_nc_u32_e32 v9, 0x3c000000, v9
	s_delay_alu instid0(VALU_DEP_1) | instskip(NEXT) | instid1(VALU_DEP_1)
	v_and_or_b32 v9, 0x7f800000, v11, v9
	v_cndmask_b32_e32 v7, 0, v9, vcc_lo
	s_delay_alu instid0(VALU_DEP_1) | instskip(NEXT) | instid1(VALU_DEP_1)
	v_and_or_b32 v5, 0x80000000, v5, v7
	v_trunc_f32_e32 v5, v5
	s_delay_alu instid0(VALU_DEP_1) | instskip(NEXT) | instid1(VALU_DEP_1)
	v_mul_f32_e64 v7, 0x2f800000, |v5|
	v_floor_f32_e32 v7, v7
	s_delay_alu instid0(VALU_DEP_1) | instskip(SKIP_1) | instid1(VALU_DEP_2)
	v_fma_f32 v7, 0xcf800000, v7, |v5|
	v_ashrrev_i32_e32 v5, 31, v5
	v_cvt_u32_f32_e32 v7, v7
	s_delay_alu instid0(VALU_DEP_1) | instskip(NEXT) | instid1(VALU_DEP_1)
	v_xor_b32_e32 v7, v7, v5
	v_sub_nc_u32_e32 v14, v7, v5
.LBB47_2199:
	s_mov_b32 s14, 0
.LBB47_2200:
	s_delay_alu instid0(SALU_CYCLE_1)
	s_and_not1_b32 vcc_lo, exec_lo, s14
	s_cbranch_vccnz .LBB47_2202
; %bb.2201:
	global_load_u8 v5, v[16:17], off
	s_wait_loadcnt 0x0
	v_lshlrev_b32_e32 v7, 25, v5
	v_lshlrev_b16 v5, 8, v5
	s_delay_alu instid0(VALU_DEP_1) | instskip(SKIP_1) | instid1(VALU_DEP_2)
	v_and_or_b32 v11, 0x7f00, v5, 0.5
	v_bfe_i32 v5, v5, 0, 16
	v_add_f32_e32 v11, -0.5, v11
	v_lshrrev_b32_e32 v9, 4, v7
	v_cmp_gt_u32_e32 vcc_lo, 0x8000000, v7
	s_delay_alu instid0(VALU_DEP_2) | instskip(NEXT) | instid1(VALU_DEP_1)
	v_or_b32_e32 v9, 0x70000000, v9
	v_mul_f32_e32 v9, 0x7800000, v9
	s_delay_alu instid0(VALU_DEP_1) | instskip(NEXT) | instid1(VALU_DEP_1)
	v_cndmask_b32_e32 v7, v9, v11, vcc_lo
	v_and_or_b32 v5, 0x80000000, v5, v7
	s_delay_alu instid0(VALU_DEP_1) | instskip(NEXT) | instid1(VALU_DEP_1)
	v_trunc_f32_e32 v5, v5
	v_mul_f32_e64 v7, 0x2f800000, |v5|
	s_delay_alu instid0(VALU_DEP_1) | instskip(NEXT) | instid1(VALU_DEP_1)
	v_floor_f32_e32 v7, v7
	v_fma_f32 v7, 0xcf800000, v7, |v5|
	v_ashrrev_i32_e32 v5, 31, v5
	s_delay_alu instid0(VALU_DEP_2) | instskip(NEXT) | instid1(VALU_DEP_1)
	v_cvt_u32_f32_e32 v7, v7
	v_xor_b32_e32 v7, v7, v5
	s_delay_alu instid0(VALU_DEP_1)
	v_sub_nc_u32_e32 v14, v7, v5
.LBB47_2202:
	s_mov_b32 s14, 0
	s_mov_b32 s15, -1
.LBB47_2203:
	s_and_not1_b32 vcc_lo, exec_lo, s14
	s_mov_b32 s14, 0
	s_cbranch_vccnz .LBB47_2214
; %bb.2204:
	s_cmp_gt_i32 s11, 14
	s_cbranch_scc0 .LBB47_2207
; %bb.2205:
	s_cmp_eq_u32 s11, 15
	s_cbranch_scc0 .LBB47_2210
; %bb.2206:
	global_load_u16 v5, v[16:17], off
	s_mov_b32 s13, 0
	s_mov_b32 s15, -1
	s_wait_loadcnt 0x0
	v_lshlrev_b32_e32 v5, 16, v5
	s_delay_alu instid0(VALU_DEP_1) | instskip(NEXT) | instid1(VALU_DEP_1)
	v_trunc_f32_e32 v5, v5
	v_mul_f32_e64 v7, 0x2f800000, |v5|
	s_delay_alu instid0(VALU_DEP_1) | instskip(NEXT) | instid1(VALU_DEP_1)
	v_floor_f32_e32 v7, v7
	v_fma_f32 v7, 0xcf800000, v7, |v5|
	v_ashrrev_i32_e32 v5, 31, v5
	s_delay_alu instid0(VALU_DEP_2) | instskip(NEXT) | instid1(VALU_DEP_1)
	v_cvt_u32_f32_e32 v7, v7
	v_xor_b32_e32 v7, v7, v5
	s_delay_alu instid0(VALU_DEP_1)
	v_sub_nc_u32_e32 v14, v7, v5
	s_branch .LBB47_2212
.LBB47_2207:
	s_mov_b32 s14, -1
	s_branch .LBB47_2211
.LBB47_2208:
	s_and_not1_saveexec_b32 s14, s14
	s_cbranch_execz .LBB47_2189
.LBB47_2209:
	v_cmp_ne_u16_e32 vcc_lo, 0, v5
	s_and_not1_b32 s15, s15, exec_lo
	s_and_b32 s16, vcc_lo, exec_lo
	s_delay_alu instid0(SALU_CYCLE_1)
	s_or_b32 s15, s15, s16
	s_or_b32 exec_lo, exec_lo, s14
	v_mov_b32_e32 v14, 0
	s_and_saveexec_b32 s14, s15
	s_cbranch_execnz .LBB47_2190
	s_branch .LBB47_2191
.LBB47_2210:
	s_mov_b32 s13, -1
.LBB47_2211:
                                        ; implicit-def: $vgpr14
.LBB47_2212:
	s_and_b32 vcc_lo, exec_lo, s14
	s_mov_b32 s14, 0
	s_cbranch_vccz .LBB47_2214
; %bb.2213:
	s_cmp_lg_u32 s11, 11
	s_mov_b32 s14, -1
	s_cselect_b32 s13, -1, 0
.LBB47_2214:
	s_delay_alu instid0(SALU_CYCLE_1)
	s_and_b32 vcc_lo, exec_lo, s13
	s_cbranch_vccnz .LBB47_2279
; %bb.2215:
	s_and_not1_b32 vcc_lo, exec_lo, s14
	s_cbranch_vccnz .LBB47_2217
.LBB47_2216:
	global_load_u8 v5, v[16:17], off
	s_mov_b32 s15, -1
	s_wait_loadcnt 0x0
	v_cmp_ne_u16_e32 vcc_lo, 0, v5
	v_cndmask_b32_e64 v14, 0, 1, vcc_lo
.LBB47_2217:
	s_mov_b32 s13, 0
.LBB47_2218:
	s_delay_alu instid0(SALU_CYCLE_1)
	s_and_b32 vcc_lo, exec_lo, s13
	s_cbranch_vccz .LBB47_2267
; %bb.2219:
	s_cmp_lt_i32 s11, 5
	s_cbranch_scc1 .LBB47_2224
; %bb.2220:
	s_cmp_lt_i32 s11, 8
	s_cbranch_scc1 .LBB47_2225
	;; [unrolled: 3-line block ×3, first 2 shown]
; %bb.2222:
	s_cmp_gt_i32 s11, 9
	s_cbranch_scc0 .LBB47_2227
; %bb.2223:
	s_wait_loadcnt 0x0
	global_load_b64 v[14:15], v[16:17], off
	s_mov_b32 s13, 0
	s_wait_loadcnt 0x0
	v_trunc_f64_e32 v[14:15], v[14:15]
	s_delay_alu instid0(VALU_DEP_1) | instskip(NEXT) | instid1(VALU_DEP_1)
	v_ldexp_f64 v[18:19], v[14:15], 0xffffffe0
	v_floor_f64_e32 v[18:19], v[18:19]
	s_delay_alu instid0(VALU_DEP_1) | instskip(NEXT) | instid1(VALU_DEP_1)
	v_fmamk_f64 v[14:15], v[18:19], 0xc1f00000, v[14:15]
	v_cvt_u32_f64_e32 v14, v[14:15]
	s_branch .LBB47_2228
.LBB47_2224:
	s_mov_b32 s13, -1
                                        ; implicit-def: $vgpr14
	s_branch .LBB47_2246
.LBB47_2225:
	s_mov_b32 s13, -1
                                        ; implicit-def: $vgpr14
	s_branch .LBB47_2234
.LBB47_2226:
	s_mov_b32 s13, -1
                                        ; implicit-def: $vgpr14
	s_branch .LBB47_2231
.LBB47_2227:
	s_mov_b32 s13, -1
                                        ; implicit-def: $vgpr14
.LBB47_2228:
	s_delay_alu instid0(SALU_CYCLE_1)
	s_and_not1_b32 vcc_lo, exec_lo, s13
	s_cbranch_vccnz .LBB47_2230
; %bb.2229:
	global_load_b32 v5, v[16:17], off
	s_wait_loadcnt 0x0
	v_trunc_f32_e32 v5, v5
	s_delay_alu instid0(VALU_DEP_1) | instskip(NEXT) | instid1(VALU_DEP_1)
	v_mul_f32_e64 v7, 0x2f800000, |v5|
	v_floor_f32_e32 v7, v7
	s_delay_alu instid0(VALU_DEP_1) | instskip(SKIP_1) | instid1(VALU_DEP_2)
	v_fma_f32 v7, 0xcf800000, v7, |v5|
	v_ashrrev_i32_e32 v5, 31, v5
	v_cvt_u32_f32_e32 v7, v7
	s_delay_alu instid0(VALU_DEP_1) | instskip(NEXT) | instid1(VALU_DEP_1)
	v_xor_b32_e32 v7, v7, v5
	v_sub_nc_u32_e32 v14, v7, v5
.LBB47_2230:
	s_mov_b32 s13, 0
.LBB47_2231:
	s_delay_alu instid0(SALU_CYCLE_1)
	s_and_not1_b32 vcc_lo, exec_lo, s13
	s_cbranch_vccnz .LBB47_2233
; %bb.2232:
	global_load_b32 v5, v[16:17], off
	s_wait_loadcnt 0x0
	v_cvt_f32_f16_e32 v5, v5
	s_delay_alu instid0(VALU_DEP_1)
	v_cvt_i32_f32_e32 v14, v5
.LBB47_2233:
	s_mov_b32 s13, 0
.LBB47_2234:
	s_delay_alu instid0(SALU_CYCLE_1)
	s_and_not1_b32 vcc_lo, exec_lo, s13
	s_cbranch_vccnz .LBB47_2245
; %bb.2235:
	s_cmp_lt_i32 s11, 6
	s_cbranch_scc1 .LBB47_2238
; %bb.2236:
	s_cmp_gt_i32 s11, 6
	s_cbranch_scc0 .LBB47_2239
; %bb.2237:
	s_wait_loadcnt 0x0
	global_load_b64 v[14:15], v[16:17], off
	s_mov_b32 s13, 0
	s_wait_loadcnt 0x0
	v_trunc_f64_e32 v[14:15], v[14:15]
	s_delay_alu instid0(VALU_DEP_1) | instskip(NEXT) | instid1(VALU_DEP_1)
	v_ldexp_f64 v[18:19], v[14:15], 0xffffffe0
	v_floor_f64_e32 v[18:19], v[18:19]
	s_delay_alu instid0(VALU_DEP_1) | instskip(NEXT) | instid1(VALU_DEP_1)
	v_fmamk_f64 v[14:15], v[18:19], 0xc1f00000, v[14:15]
	v_cvt_u32_f64_e32 v14, v[14:15]
	s_branch .LBB47_2240
.LBB47_2238:
	s_mov_b32 s13, -1
                                        ; implicit-def: $vgpr14
	s_branch .LBB47_2243
.LBB47_2239:
	s_mov_b32 s13, -1
                                        ; implicit-def: $vgpr14
.LBB47_2240:
	s_delay_alu instid0(SALU_CYCLE_1)
	s_and_not1_b32 vcc_lo, exec_lo, s13
	s_cbranch_vccnz .LBB47_2242
; %bb.2241:
	global_load_b32 v5, v[16:17], off
	s_wait_loadcnt 0x0
	v_trunc_f32_e32 v5, v5
	s_delay_alu instid0(VALU_DEP_1) | instskip(NEXT) | instid1(VALU_DEP_1)
	v_mul_f32_e64 v7, 0x2f800000, |v5|
	v_floor_f32_e32 v7, v7
	s_delay_alu instid0(VALU_DEP_1) | instskip(SKIP_1) | instid1(VALU_DEP_2)
	v_fma_f32 v7, 0xcf800000, v7, |v5|
	v_ashrrev_i32_e32 v5, 31, v5
	v_cvt_u32_f32_e32 v7, v7
	s_delay_alu instid0(VALU_DEP_1) | instskip(NEXT) | instid1(VALU_DEP_1)
	v_xor_b32_e32 v7, v7, v5
	v_sub_nc_u32_e32 v14, v7, v5
.LBB47_2242:
	s_mov_b32 s13, 0
.LBB47_2243:
	s_delay_alu instid0(SALU_CYCLE_1)
	s_and_not1_b32 vcc_lo, exec_lo, s13
	s_cbranch_vccnz .LBB47_2245
; %bb.2244:
	global_load_u16 v5, v[16:17], off
	s_wait_loadcnt 0x0
	v_cvt_f32_f16_e32 v5, v5
	s_delay_alu instid0(VALU_DEP_1)
	v_cvt_i32_f32_e32 v14, v5
.LBB47_2245:
	s_mov_b32 s13, 0
.LBB47_2246:
	s_delay_alu instid0(SALU_CYCLE_1)
	s_and_not1_b32 vcc_lo, exec_lo, s13
	s_cbranch_vccnz .LBB47_2266
; %bb.2247:
	s_cmp_lt_i32 s11, 2
	s_cbranch_scc1 .LBB47_2251
; %bb.2248:
	s_cmp_lt_i32 s11, 3
	s_cbranch_scc1 .LBB47_2252
; %bb.2249:
	s_cmp_gt_i32 s11, 3
	s_cbranch_scc0 .LBB47_2253
; %bb.2250:
	s_wait_loadcnt 0x0
	global_load_b64 v[14:15], v[16:17], off
	s_mov_b32 s13, 0
	s_branch .LBB47_2254
.LBB47_2251:
	s_mov_b32 s13, -1
                                        ; implicit-def: $vgpr14
	s_branch .LBB47_2260
.LBB47_2252:
	s_mov_b32 s13, -1
                                        ; implicit-def: $vgpr14
	s_branch .LBB47_2257
.LBB47_2253:
	s_mov_b32 s13, -1
                                        ; implicit-def: $vgpr14
.LBB47_2254:
	s_delay_alu instid0(SALU_CYCLE_1)
	s_and_not1_b32 vcc_lo, exec_lo, s13
	s_cbranch_vccnz .LBB47_2256
; %bb.2255:
	s_wait_loadcnt 0x0
	global_load_b32 v14, v[16:17], off
.LBB47_2256:
	s_mov_b32 s13, 0
.LBB47_2257:
	s_delay_alu instid0(SALU_CYCLE_1)
	s_and_not1_b32 vcc_lo, exec_lo, s13
	s_cbranch_vccnz .LBB47_2259
; %bb.2258:
	s_wait_loadcnt 0x0
	global_load_u16 v14, v[16:17], off
.LBB47_2259:
	s_mov_b32 s13, 0
.LBB47_2260:
	s_delay_alu instid0(SALU_CYCLE_1)
	s_and_not1_b32 vcc_lo, exec_lo, s13
	s_cbranch_vccnz .LBB47_2266
; %bb.2261:
	s_cmp_gt_i32 s11, 0
	s_mov_b32 s13, 0
	s_cbranch_scc0 .LBB47_2263
; %bb.2262:
	s_wait_loadcnt 0x0
	global_load_u8 v14, v[16:17], off
	s_branch .LBB47_2264
.LBB47_2263:
	s_mov_b32 s13, -1
                                        ; implicit-def: $vgpr14
.LBB47_2264:
	s_delay_alu instid0(SALU_CYCLE_1)
	s_and_not1_b32 vcc_lo, exec_lo, s13
	s_cbranch_vccnz .LBB47_2266
; %bb.2265:
	s_wait_loadcnt 0x0
	global_load_u8 v14, v[16:17], off
.LBB47_2266:
	s_mov_b32 s15, -1
.LBB47_2267:
	s_delay_alu instid0(SALU_CYCLE_1)
	s_and_not1_b32 vcc_lo, exec_lo, s15
	s_cbranch_vccnz .LBB47_2741
; %bb.2268:
	v_mov_b32_e32 v13, 0
	s_cmp_lt_i32 s12, 11
	s_delay_alu instid0(VALU_DEP_1)
	v_add_nc_u64_e32 v[12:13], s[0:1], v[12:13]
	s_cbranch_scc1 .LBB47_2275
; %bb.2269:
	s_cmp_gt_i32 s12, 25
	s_mov_b32 s14, 0
	s_cbranch_scc0 .LBB47_2276
; %bb.2270:
	s_cmp_gt_i32 s12, 28
	s_cbranch_scc0 .LBB47_2277
; %bb.2271:
	s_cmp_gt_i32 s12, 43
	;; [unrolled: 3-line block ×3, first 2 shown]
	s_cbranch_scc0 .LBB47_2280
; %bb.2273:
	s_cmp_eq_u32 s12, 46
	s_mov_b32 s16, 0
	s_cbranch_scc0 .LBB47_2283
; %bb.2274:
	global_load_b32 v5, v[12:13], off
	s_mov_b32 s13, 0
	s_mov_b32 s15, -1
	s_wait_loadcnt 0x0
	v_lshlrev_b32_e32 v5, 16, v5
	s_delay_alu instid0(VALU_DEP_1) | instskip(NEXT) | instid1(VALU_DEP_1)
	v_trunc_f32_e32 v5, v5
	v_mul_f32_e64 v7, 0x2f800000, |v5|
	s_delay_alu instid0(VALU_DEP_1) | instskip(NEXT) | instid1(VALU_DEP_1)
	v_floor_f32_e32 v7, v7
	v_fma_f32 v7, 0xcf800000, v7, |v5|
	v_ashrrev_i32_e32 v5, 31, v5
	s_delay_alu instid0(VALU_DEP_2) | instskip(NEXT) | instid1(VALU_DEP_1)
	v_cvt_u32_f32_e32 v7, v7
	v_xor_b32_e32 v7, v7, v5
	s_wait_xcnt 0x1
	s_delay_alu instid0(VALU_DEP_1)
	v_sub_nc_u32_e32 v16, v7, v5
	s_branch .LBB47_2285
.LBB47_2275:
	s_mov_b32 s13, -1
	s_mov_b32 s15, 0
                                        ; implicit-def: $vgpr16
	s_branch .LBB47_2347
.LBB47_2276:
	s_mov_b32 s16, -1
	s_mov_b32 s15, 0
	s_mov_b32 s13, 0
                                        ; implicit-def: $vgpr16
	s_branch .LBB47_2312
.LBB47_2277:
	s_mov_b32 s16, -1
	s_mov_b32 s15, 0
	s_mov_b32 s13, 0
                                        ; implicit-def: $vgpr16
	s_branch .LBB47_2295
.LBB47_2278:
	s_mov_b32 s16, -1
	s_mov_b32 s15, 0
	s_mov_b32 s13, 0
                                        ; implicit-def: $vgpr16
	s_branch .LBB47_2290
.LBB47_2279:
	s_or_b32 s10, s10, exec_lo
	s_trap 2
	s_cbranch_execz .LBB47_2216
	s_branch .LBB47_2217
.LBB47_2280:
	s_mov_b32 s16, -1
	s_mov_b32 s15, 0
	s_mov_b32 s13, 0
	s_branch .LBB47_2284
.LBB47_2281:
	s_and_not1_saveexec_b32 s51, s51
	s_cbranch_execz .LBB47_1115
.LBB47_2282:
	v_add_f32_e32 v4, 0x42800000, v5
	s_and_not1_b32 s50, s50, exec_lo
	s_delay_alu instid0(VALU_DEP_1) | instskip(NEXT) | instid1(VALU_DEP_1)
	v_and_b32_e32 v4, 0xff, v4
	v_cmp_ne_u32_e32 vcc_lo, 0, v4
	s_and_b32 s52, vcc_lo, exec_lo
	s_delay_alu instid0(SALU_CYCLE_1)
	s_or_b32 s50, s50, s52
	s_or_b32 exec_lo, exec_lo, s51
	v_mov_b32_e32 v6, 0
	s_and_saveexec_b32 s51, s50
	s_cbranch_execnz .LBB47_1116
	s_branch .LBB47_1117
.LBB47_2283:
	s_mov_b32 s13, -1
	s_mov_b32 s15, 0
.LBB47_2284:
                                        ; implicit-def: $vgpr16
.LBB47_2285:
	s_and_b32 vcc_lo, exec_lo, s16
	s_cbranch_vccz .LBB47_2289
; %bb.2286:
	s_cmp_eq_u32 s12, 44
	s_cbranch_scc0 .LBB47_2288
; %bb.2287:
	global_load_u8 v5, v[12:13], off
	s_mov_b32 s13, 0
	s_mov_b32 s15, -1
	s_wait_loadcnt 0x0
	v_lshlrev_b32_e32 v7, 23, v5
	v_cmp_ne_u32_e32 vcc_lo, 0, v5
	s_delay_alu instid0(VALU_DEP_2) | instskip(NEXT) | instid1(VALU_DEP_1)
	v_trunc_f32_e32 v7, v7
	v_mul_f32_e64 v9, 0x2f800000, |v7|
	s_delay_alu instid0(VALU_DEP_1) | instskip(NEXT) | instid1(VALU_DEP_1)
	v_floor_f32_e32 v9, v9
	v_fma_f32 v9, 0xcf800000, v9, |v7|
	v_ashrrev_i32_e32 v7, 31, v7
	s_delay_alu instid0(VALU_DEP_2) | instskip(NEXT) | instid1(VALU_DEP_1)
	v_cvt_u32_f32_e32 v9, v9
	v_xor_b32_e32 v9, v9, v7
	s_delay_alu instid0(VALU_DEP_1) | instskip(SKIP_1) | instid1(VALU_DEP_1)
	v_sub_nc_u32_e32 v7, v9, v7
	s_wait_xcnt 0x1
	v_cndmask_b32_e32 v16, 0, v7, vcc_lo
	s_branch .LBB47_2289
.LBB47_2288:
	s_mov_b32 s13, -1
                                        ; implicit-def: $vgpr16
.LBB47_2289:
	s_mov_b32 s16, 0
.LBB47_2290:
	s_delay_alu instid0(SALU_CYCLE_1)
	s_and_b32 vcc_lo, exec_lo, s16
	s_cbranch_vccz .LBB47_2294
; %bb.2291:
	s_cmp_eq_u32 s12, 29
	s_cbranch_scc0 .LBB47_2293
; %bb.2292:
	global_load_b64 v[16:17], v[12:13], off
	s_mov_b32 s13, 0
	s_mov_b32 s15, -1
	s_branch .LBB47_2294
.LBB47_2293:
	s_mov_b32 s13, -1
                                        ; implicit-def: $vgpr16
.LBB47_2294:
	s_mov_b32 s16, 0
.LBB47_2295:
	s_delay_alu instid0(SALU_CYCLE_1)
	s_and_b32 vcc_lo, exec_lo, s16
	s_cbranch_vccz .LBB47_2311
; %bb.2296:
	s_cmp_lt_i32 s12, 27
	s_cbranch_scc1 .LBB47_2299
; %bb.2297:
	s_cmp_gt_i32 s12, 27
	s_cbranch_scc0 .LBB47_2300
; %bb.2298:
	s_wait_loadcnt 0x0
	global_load_b32 v16, v[12:13], off
	s_mov_b32 s15, 0
	s_branch .LBB47_2301
.LBB47_2299:
	s_mov_b32 s15, -1
                                        ; implicit-def: $vgpr16
	s_branch .LBB47_2304
.LBB47_2300:
	s_mov_b32 s15, -1
                                        ; implicit-def: $vgpr16
.LBB47_2301:
	s_delay_alu instid0(SALU_CYCLE_1)
	s_and_not1_b32 vcc_lo, exec_lo, s15
	s_cbranch_vccnz .LBB47_2303
; %bb.2302:
	s_wait_loadcnt 0x0
	global_load_u16 v16, v[12:13], off
.LBB47_2303:
	s_mov_b32 s15, 0
.LBB47_2304:
	s_delay_alu instid0(SALU_CYCLE_1)
	s_and_not1_b32 vcc_lo, exec_lo, s15
	s_cbranch_vccnz .LBB47_2310
; %bb.2305:
	global_load_u8 v5, v[12:13], off
	s_mov_b32 s16, 0
	s_mov_b32 s15, exec_lo
	s_wait_loadcnt 0x0
	v_cmpx_lt_i16_e32 0x7f, v5
	s_xor_b32 s15, exec_lo, s15
	s_cbranch_execz .LBB47_2322
; %bb.2306:
	v_cmp_ne_u16_e32 vcc_lo, 0x80, v5
	s_and_b32 s16, vcc_lo, exec_lo
	s_and_not1_saveexec_b32 s15, s15
	s_cbranch_execnz .LBB47_2323
.LBB47_2307:
	s_or_b32 exec_lo, exec_lo, s15
	v_mov_b32_e32 v16, 0
	s_and_saveexec_b32 s15, s16
	s_cbranch_execz .LBB47_2309
.LBB47_2308:
	v_and_b32_e32 v7, 0xffff, v5
	s_delay_alu instid0(VALU_DEP_1) | instskip(SKIP_1) | instid1(VALU_DEP_2)
	v_dual_lshlrev_b32 v5, 24, v5 :: v_dual_bitop2_b32 v9, 7, v7 bitop3:0x40
	v_bfe_u32 v16, v7, 3, 4
	v_and_b32_e32 v5, 0x80000000, v5
	s_delay_alu instid0(VALU_DEP_3) | instskip(NEXT) | instid1(VALU_DEP_3)
	v_clz_i32_u32_e32 v11, v9
	v_cmp_eq_u32_e32 vcc_lo, 0, v16
	s_delay_alu instid0(VALU_DEP_2) | instskip(NEXT) | instid1(VALU_DEP_1)
	v_min_u32_e32 v11, 32, v11
	v_subrev_nc_u32_e32 v15, 28, v11
	v_sub_nc_u32_e32 v11, 29, v11
	s_delay_alu instid0(VALU_DEP_2) | instskip(NEXT) | instid1(VALU_DEP_2)
	v_lshlrev_b32_e32 v7, v15, v7
	v_cndmask_b32_e32 v11, v16, v11, vcc_lo
	s_delay_alu instid0(VALU_DEP_2) | instskip(NEXT) | instid1(VALU_DEP_1)
	v_and_b32_e32 v7, 7, v7
	v_cndmask_b32_e32 v7, v9, v7, vcc_lo
	s_delay_alu instid0(VALU_DEP_3) | instskip(NEXT) | instid1(VALU_DEP_2)
	v_lshl_add_u32 v9, v11, 23, 0x3b800000
	v_lshlrev_b32_e32 v7, 20, v7
	s_delay_alu instid0(VALU_DEP_1) | instskip(NEXT) | instid1(VALU_DEP_1)
	v_or3_b32 v5, v5, v9, v7
	v_trunc_f32_e32 v5, v5
	s_delay_alu instid0(VALU_DEP_1) | instskip(NEXT) | instid1(VALU_DEP_1)
	v_mul_f32_e64 v7, 0x2f800000, |v5|
	v_floor_f32_e32 v7, v7
	s_delay_alu instid0(VALU_DEP_1) | instskip(SKIP_1) | instid1(VALU_DEP_2)
	v_fma_f32 v7, 0xcf800000, v7, |v5|
	v_ashrrev_i32_e32 v5, 31, v5
	v_cvt_u32_f32_e32 v7, v7
	s_delay_alu instid0(VALU_DEP_1) | instskip(NEXT) | instid1(VALU_DEP_1)
	v_xor_b32_e32 v7, v7, v5
	v_sub_nc_u32_e32 v16, v7, v5
.LBB47_2309:
	s_or_b32 exec_lo, exec_lo, s15
.LBB47_2310:
	s_mov_b32 s15, -1
.LBB47_2311:
	s_mov_b32 s16, 0
.LBB47_2312:
	s_delay_alu instid0(SALU_CYCLE_1)
	s_and_b32 vcc_lo, exec_lo, s16
	s_cbranch_vccz .LBB47_2343
; %bb.2313:
	s_cmp_gt_i32 s12, 22
	s_cbranch_scc0 .LBB47_2321
; %bb.2314:
	s_cmp_lt_i32 s12, 24
	s_cbranch_scc1 .LBB47_2324
; %bb.2315:
	s_cmp_gt_i32 s12, 24
	s_cbranch_scc0 .LBB47_2325
; %bb.2316:
	global_load_u8 v5, v[12:13], off
	s_mov_b32 s15, 0
	s_mov_b32 s14, exec_lo
	s_wait_loadcnt 0x0
	v_cmpx_lt_i16_e32 0x7f, v5
	s_xor_b32 s14, exec_lo, s14
	s_cbranch_execz .LBB47_2337
; %bb.2317:
	v_cmp_ne_u16_e32 vcc_lo, 0x80, v5
	s_and_b32 s15, vcc_lo, exec_lo
	s_and_not1_saveexec_b32 s14, s14
	s_cbranch_execnz .LBB47_2338
.LBB47_2318:
	s_or_b32 exec_lo, exec_lo, s14
	v_mov_b32_e32 v16, 0
	s_and_saveexec_b32 s14, s15
	s_cbranch_execz .LBB47_2320
.LBB47_2319:
	v_and_b32_e32 v7, 0xffff, v5
	s_delay_alu instid0(VALU_DEP_1) | instskip(SKIP_1) | instid1(VALU_DEP_2)
	v_dual_lshlrev_b32 v5, 24, v5 :: v_dual_bitop2_b32 v9, 3, v7 bitop3:0x40
	v_bfe_u32 v16, v7, 2, 5
	v_and_b32_e32 v5, 0x80000000, v5
	s_delay_alu instid0(VALU_DEP_3) | instskip(NEXT) | instid1(VALU_DEP_3)
	v_clz_i32_u32_e32 v11, v9
	v_cmp_eq_u32_e32 vcc_lo, 0, v16
	s_delay_alu instid0(VALU_DEP_2) | instskip(NEXT) | instid1(VALU_DEP_1)
	v_min_u32_e32 v11, 32, v11
	v_subrev_nc_u32_e32 v15, 29, v11
	v_sub_nc_u32_e32 v11, 30, v11
	s_delay_alu instid0(VALU_DEP_2) | instskip(NEXT) | instid1(VALU_DEP_2)
	v_lshlrev_b32_e32 v7, v15, v7
	v_cndmask_b32_e32 v11, v16, v11, vcc_lo
	s_delay_alu instid0(VALU_DEP_2) | instskip(NEXT) | instid1(VALU_DEP_1)
	v_and_b32_e32 v7, 3, v7
	v_cndmask_b32_e32 v7, v9, v7, vcc_lo
	s_delay_alu instid0(VALU_DEP_3) | instskip(NEXT) | instid1(VALU_DEP_2)
	v_lshl_add_u32 v9, v11, 23, 0x37800000
	v_lshlrev_b32_e32 v7, 21, v7
	s_delay_alu instid0(VALU_DEP_1) | instskip(NEXT) | instid1(VALU_DEP_1)
	v_or3_b32 v5, v5, v9, v7
	v_trunc_f32_e32 v5, v5
	s_delay_alu instid0(VALU_DEP_1) | instskip(NEXT) | instid1(VALU_DEP_1)
	v_mul_f32_e64 v7, 0x2f800000, |v5|
	v_floor_f32_e32 v7, v7
	s_delay_alu instid0(VALU_DEP_1) | instskip(SKIP_1) | instid1(VALU_DEP_2)
	v_fma_f32 v7, 0xcf800000, v7, |v5|
	v_ashrrev_i32_e32 v5, 31, v5
	v_cvt_u32_f32_e32 v7, v7
	s_delay_alu instid0(VALU_DEP_1) | instskip(NEXT) | instid1(VALU_DEP_1)
	v_xor_b32_e32 v7, v7, v5
	v_sub_nc_u32_e32 v16, v7, v5
.LBB47_2320:
	s_or_b32 exec_lo, exec_lo, s14
	s_mov_b32 s14, 0
	s_branch .LBB47_2326
.LBB47_2321:
	s_mov_b32 s14, -1
                                        ; implicit-def: $vgpr16
	s_branch .LBB47_2332
.LBB47_2322:
	s_and_not1_saveexec_b32 s15, s15
	s_cbranch_execz .LBB47_2307
.LBB47_2323:
	v_cmp_ne_u16_e32 vcc_lo, 0, v5
	s_and_not1_b32 s16, s16, exec_lo
	s_and_b32 s17, vcc_lo, exec_lo
	s_delay_alu instid0(SALU_CYCLE_1)
	s_or_b32 s16, s16, s17
	s_or_b32 exec_lo, exec_lo, s15
	v_mov_b32_e32 v16, 0
	s_and_saveexec_b32 s15, s16
	s_cbranch_execnz .LBB47_2308
	s_branch .LBB47_2309
.LBB47_2324:
	s_mov_b32 s14, -1
                                        ; implicit-def: $vgpr16
	s_branch .LBB47_2329
.LBB47_2325:
	s_mov_b32 s14, -1
                                        ; implicit-def: $vgpr16
.LBB47_2326:
	s_delay_alu instid0(SALU_CYCLE_1)
	s_and_b32 vcc_lo, exec_lo, s14
	s_cbranch_vccz .LBB47_2328
; %bb.2327:
	global_load_u8 v5, v[12:13], off
	s_wait_loadcnt 0x0
	v_lshlrev_b32_e32 v5, 24, v5
	s_delay_alu instid0(VALU_DEP_1) | instskip(NEXT) | instid1(VALU_DEP_1)
	v_and_b32_e32 v7, 0x7f000000, v5
	v_clz_i32_u32_e32 v9, v7
	v_add_nc_u32_e32 v15, 0x1000000, v7
	v_cmp_ne_u32_e32 vcc_lo, 0, v7
	s_delay_alu instid0(VALU_DEP_3) | instskip(NEXT) | instid1(VALU_DEP_1)
	v_min_u32_e32 v9, 32, v9
	v_sub_nc_u32_e64 v9, v9, 4 clamp
	s_delay_alu instid0(VALU_DEP_1) | instskip(NEXT) | instid1(VALU_DEP_1)
	v_dual_lshlrev_b32 v11, v9, v7 :: v_dual_lshlrev_b32 v9, 23, v9
	v_lshrrev_b32_e32 v11, 4, v11
	s_delay_alu instid0(VALU_DEP_1) | instskip(NEXT) | instid1(VALU_DEP_1)
	v_dual_sub_nc_u32 v9, v11, v9 :: v_dual_ashrrev_i32 v11, 8, v15
	v_add_nc_u32_e32 v9, 0x3c000000, v9
	s_delay_alu instid0(VALU_DEP_1) | instskip(NEXT) | instid1(VALU_DEP_1)
	v_and_or_b32 v9, 0x7f800000, v11, v9
	v_cndmask_b32_e32 v7, 0, v9, vcc_lo
	s_delay_alu instid0(VALU_DEP_1) | instskip(NEXT) | instid1(VALU_DEP_1)
	v_and_or_b32 v5, 0x80000000, v5, v7
	v_trunc_f32_e32 v5, v5
	s_delay_alu instid0(VALU_DEP_1) | instskip(NEXT) | instid1(VALU_DEP_1)
	v_mul_f32_e64 v7, 0x2f800000, |v5|
	v_floor_f32_e32 v7, v7
	s_delay_alu instid0(VALU_DEP_1) | instskip(SKIP_1) | instid1(VALU_DEP_2)
	v_fma_f32 v7, 0xcf800000, v7, |v5|
	v_ashrrev_i32_e32 v5, 31, v5
	v_cvt_u32_f32_e32 v7, v7
	s_delay_alu instid0(VALU_DEP_1) | instskip(SKIP_1) | instid1(VALU_DEP_1)
	v_xor_b32_e32 v7, v7, v5
	s_wait_xcnt 0x1
	v_sub_nc_u32_e32 v16, v7, v5
.LBB47_2328:
	s_mov_b32 s14, 0
.LBB47_2329:
	s_delay_alu instid0(SALU_CYCLE_1)
	s_and_not1_b32 vcc_lo, exec_lo, s14
	s_cbranch_vccnz .LBB47_2331
; %bb.2330:
	global_load_u8 v5, v[12:13], off
	s_wait_loadcnt 0x0
	v_lshlrev_b32_e32 v7, 25, v5
	v_lshlrev_b16 v5, 8, v5
	s_delay_alu instid0(VALU_DEP_1) | instskip(SKIP_1) | instid1(VALU_DEP_2)
	v_and_or_b32 v11, 0x7f00, v5, 0.5
	v_bfe_i32 v5, v5, 0, 16
	v_add_f32_e32 v11, -0.5, v11
	v_lshrrev_b32_e32 v9, 4, v7
	v_cmp_gt_u32_e32 vcc_lo, 0x8000000, v7
	s_delay_alu instid0(VALU_DEP_2) | instskip(NEXT) | instid1(VALU_DEP_1)
	v_or_b32_e32 v9, 0x70000000, v9
	v_mul_f32_e32 v9, 0x7800000, v9
	s_delay_alu instid0(VALU_DEP_1) | instskip(NEXT) | instid1(VALU_DEP_1)
	v_cndmask_b32_e32 v7, v9, v11, vcc_lo
	v_and_or_b32 v5, 0x80000000, v5, v7
	s_delay_alu instid0(VALU_DEP_1) | instskip(NEXT) | instid1(VALU_DEP_1)
	v_trunc_f32_e32 v5, v5
	v_mul_f32_e64 v7, 0x2f800000, |v5|
	s_delay_alu instid0(VALU_DEP_1) | instskip(NEXT) | instid1(VALU_DEP_1)
	v_floor_f32_e32 v7, v7
	v_fma_f32 v7, 0xcf800000, v7, |v5|
	v_ashrrev_i32_e32 v5, 31, v5
	s_delay_alu instid0(VALU_DEP_2) | instskip(NEXT) | instid1(VALU_DEP_1)
	v_cvt_u32_f32_e32 v7, v7
	v_xor_b32_e32 v7, v7, v5
	s_wait_xcnt 0x1
	s_delay_alu instid0(VALU_DEP_1)
	v_sub_nc_u32_e32 v16, v7, v5
.LBB47_2331:
	s_mov_b32 s14, 0
	s_mov_b32 s15, -1
.LBB47_2332:
	s_and_not1_b32 vcc_lo, exec_lo, s14
	s_mov_b32 s14, 0
	s_cbranch_vccnz .LBB47_2343
; %bb.2333:
	s_cmp_gt_i32 s12, 14
	s_cbranch_scc0 .LBB47_2336
; %bb.2334:
	s_cmp_eq_u32 s12, 15
	s_cbranch_scc0 .LBB47_2339
; %bb.2335:
	global_load_u16 v5, v[12:13], off
	s_mov_b32 s13, 0
	s_mov_b32 s15, -1
	s_wait_loadcnt 0x0
	v_lshlrev_b32_e32 v5, 16, v5
	s_delay_alu instid0(VALU_DEP_1) | instskip(NEXT) | instid1(VALU_DEP_1)
	v_trunc_f32_e32 v5, v5
	v_mul_f32_e64 v7, 0x2f800000, |v5|
	s_delay_alu instid0(VALU_DEP_1) | instskip(NEXT) | instid1(VALU_DEP_1)
	v_floor_f32_e32 v7, v7
	v_fma_f32 v7, 0xcf800000, v7, |v5|
	v_ashrrev_i32_e32 v5, 31, v5
	s_delay_alu instid0(VALU_DEP_2) | instskip(NEXT) | instid1(VALU_DEP_1)
	v_cvt_u32_f32_e32 v7, v7
	v_xor_b32_e32 v7, v7, v5
	s_wait_xcnt 0x1
	s_delay_alu instid0(VALU_DEP_1)
	v_sub_nc_u32_e32 v16, v7, v5
	s_branch .LBB47_2341
.LBB47_2336:
	s_mov_b32 s14, -1
	s_branch .LBB47_2340
.LBB47_2337:
	s_and_not1_saveexec_b32 s14, s14
	s_cbranch_execz .LBB47_2318
.LBB47_2338:
	v_cmp_ne_u16_e32 vcc_lo, 0, v5
	s_and_not1_b32 s15, s15, exec_lo
	s_and_b32 s16, vcc_lo, exec_lo
	s_delay_alu instid0(SALU_CYCLE_1)
	s_or_b32 s15, s15, s16
	s_or_b32 exec_lo, exec_lo, s14
	v_mov_b32_e32 v16, 0
	s_and_saveexec_b32 s14, s15
	s_cbranch_execnz .LBB47_2319
	s_branch .LBB47_2320
.LBB47_2339:
	s_mov_b32 s13, -1
.LBB47_2340:
                                        ; implicit-def: $vgpr16
.LBB47_2341:
	s_and_b32 vcc_lo, exec_lo, s14
	s_mov_b32 s14, 0
	s_cbranch_vccz .LBB47_2343
; %bb.2342:
	s_cmp_lg_u32 s12, 11
	s_mov_b32 s14, -1
	s_cselect_b32 s13, -1, 0
.LBB47_2343:
	s_delay_alu instid0(SALU_CYCLE_1)
	s_and_b32 vcc_lo, exec_lo, s13
	s_cbranch_vccnz .LBB47_2414
; %bb.2344:
	s_and_not1_b32 vcc_lo, exec_lo, s14
	s_cbranch_vccnz .LBB47_2346
.LBB47_2345:
	global_load_u8 v5, v[12:13], off
	s_mov_b32 s15, -1
	s_wait_loadcnt 0x0
	v_cmp_ne_u16_e32 vcc_lo, 0, v5
	s_wait_xcnt 0x1
	v_cndmask_b32_e64 v16, 0, 1, vcc_lo
.LBB47_2346:
	s_mov_b32 s13, 0
.LBB47_2347:
	s_delay_alu instid0(SALU_CYCLE_1)
	s_and_b32 vcc_lo, exec_lo, s13
	s_cbranch_vccz .LBB47_2396
; %bb.2348:
	s_cmp_lt_i32 s12, 5
	s_cbranch_scc1 .LBB47_2353
; %bb.2349:
	s_cmp_lt_i32 s12, 8
	s_cbranch_scc1 .LBB47_2354
	;; [unrolled: 3-line block ×3, first 2 shown]
; %bb.2351:
	s_cmp_gt_i32 s12, 9
	s_cbranch_scc0 .LBB47_2356
; %bb.2352:
	s_wait_loadcnt 0x0
	global_load_b64 v[16:17], v[12:13], off
	s_mov_b32 s13, 0
	s_wait_loadcnt 0x0
	v_trunc_f64_e32 v[16:17], v[16:17]
	s_delay_alu instid0(VALU_DEP_1) | instskip(NEXT) | instid1(VALU_DEP_1)
	v_ldexp_f64 v[18:19], v[16:17], 0xffffffe0
	v_floor_f64_e32 v[18:19], v[18:19]
	s_delay_alu instid0(VALU_DEP_1) | instskip(NEXT) | instid1(VALU_DEP_1)
	v_fmamk_f64 v[16:17], v[18:19], 0xc1f00000, v[16:17]
	v_cvt_u32_f64_e32 v16, v[16:17]
	s_branch .LBB47_2357
.LBB47_2353:
	s_mov_b32 s13, -1
                                        ; implicit-def: $vgpr16
	s_branch .LBB47_2375
.LBB47_2354:
	s_mov_b32 s13, -1
                                        ; implicit-def: $vgpr16
	s_branch .LBB47_2363
.LBB47_2355:
	s_mov_b32 s13, -1
                                        ; implicit-def: $vgpr16
	s_branch .LBB47_2360
.LBB47_2356:
	s_mov_b32 s13, -1
                                        ; implicit-def: $vgpr16
.LBB47_2357:
	s_delay_alu instid0(SALU_CYCLE_1)
	s_and_not1_b32 vcc_lo, exec_lo, s13
	s_cbranch_vccnz .LBB47_2359
; %bb.2358:
	global_load_b32 v5, v[12:13], off
	s_wait_loadcnt 0x0
	v_trunc_f32_e32 v5, v5
	s_delay_alu instid0(VALU_DEP_1) | instskip(NEXT) | instid1(VALU_DEP_1)
	v_mul_f32_e64 v7, 0x2f800000, |v5|
	v_floor_f32_e32 v7, v7
	s_delay_alu instid0(VALU_DEP_1) | instskip(SKIP_1) | instid1(VALU_DEP_2)
	v_fma_f32 v7, 0xcf800000, v7, |v5|
	v_ashrrev_i32_e32 v5, 31, v5
	v_cvt_u32_f32_e32 v7, v7
	s_delay_alu instid0(VALU_DEP_1) | instskip(SKIP_1) | instid1(VALU_DEP_1)
	v_xor_b32_e32 v7, v7, v5
	s_wait_xcnt 0x1
	v_sub_nc_u32_e32 v16, v7, v5
.LBB47_2359:
	s_mov_b32 s13, 0
.LBB47_2360:
	s_delay_alu instid0(SALU_CYCLE_1)
	s_and_not1_b32 vcc_lo, exec_lo, s13
	s_cbranch_vccnz .LBB47_2362
; %bb.2361:
	global_load_b32 v5, v[12:13], off
	s_wait_loadcnt 0x0
	v_cvt_f32_f16_e32 v5, v5
	s_wait_xcnt 0x1
	s_delay_alu instid0(VALU_DEP_1)
	v_cvt_i32_f32_e32 v16, v5
.LBB47_2362:
	s_mov_b32 s13, 0
.LBB47_2363:
	s_delay_alu instid0(SALU_CYCLE_1)
	s_and_not1_b32 vcc_lo, exec_lo, s13
	s_cbranch_vccnz .LBB47_2374
; %bb.2364:
	s_cmp_lt_i32 s12, 6
	s_cbranch_scc1 .LBB47_2367
; %bb.2365:
	s_cmp_gt_i32 s12, 6
	s_cbranch_scc0 .LBB47_2368
; %bb.2366:
	s_wait_loadcnt 0x0
	global_load_b64 v[16:17], v[12:13], off
	s_mov_b32 s13, 0
	s_wait_loadcnt 0x0
	v_trunc_f64_e32 v[16:17], v[16:17]
	s_delay_alu instid0(VALU_DEP_1) | instskip(NEXT) | instid1(VALU_DEP_1)
	v_ldexp_f64 v[18:19], v[16:17], 0xffffffe0
	v_floor_f64_e32 v[18:19], v[18:19]
	s_delay_alu instid0(VALU_DEP_1) | instskip(NEXT) | instid1(VALU_DEP_1)
	v_fmamk_f64 v[16:17], v[18:19], 0xc1f00000, v[16:17]
	v_cvt_u32_f64_e32 v16, v[16:17]
	s_branch .LBB47_2369
.LBB47_2367:
	s_mov_b32 s13, -1
                                        ; implicit-def: $vgpr16
	s_branch .LBB47_2372
.LBB47_2368:
	s_mov_b32 s13, -1
                                        ; implicit-def: $vgpr16
.LBB47_2369:
	s_delay_alu instid0(SALU_CYCLE_1)
	s_and_not1_b32 vcc_lo, exec_lo, s13
	s_cbranch_vccnz .LBB47_2371
; %bb.2370:
	global_load_b32 v5, v[12:13], off
	s_wait_loadcnt 0x0
	v_trunc_f32_e32 v5, v5
	s_delay_alu instid0(VALU_DEP_1) | instskip(NEXT) | instid1(VALU_DEP_1)
	v_mul_f32_e64 v7, 0x2f800000, |v5|
	v_floor_f32_e32 v7, v7
	s_delay_alu instid0(VALU_DEP_1) | instskip(SKIP_1) | instid1(VALU_DEP_2)
	v_fma_f32 v7, 0xcf800000, v7, |v5|
	v_ashrrev_i32_e32 v5, 31, v5
	v_cvt_u32_f32_e32 v7, v7
	s_delay_alu instid0(VALU_DEP_1) | instskip(SKIP_1) | instid1(VALU_DEP_1)
	v_xor_b32_e32 v7, v7, v5
	s_wait_xcnt 0x1
	v_sub_nc_u32_e32 v16, v7, v5
.LBB47_2371:
	s_mov_b32 s13, 0
.LBB47_2372:
	s_delay_alu instid0(SALU_CYCLE_1)
	s_and_not1_b32 vcc_lo, exec_lo, s13
	s_cbranch_vccnz .LBB47_2374
; %bb.2373:
	global_load_u16 v5, v[12:13], off
	s_wait_loadcnt 0x0
	v_cvt_f32_f16_e32 v5, v5
	s_wait_xcnt 0x1
	s_delay_alu instid0(VALU_DEP_1)
	v_cvt_i32_f32_e32 v16, v5
.LBB47_2374:
	s_mov_b32 s13, 0
.LBB47_2375:
	s_delay_alu instid0(SALU_CYCLE_1)
	s_and_not1_b32 vcc_lo, exec_lo, s13
	s_cbranch_vccnz .LBB47_2395
; %bb.2376:
	s_cmp_lt_i32 s12, 2
	s_cbranch_scc1 .LBB47_2380
; %bb.2377:
	s_cmp_lt_i32 s12, 3
	s_cbranch_scc1 .LBB47_2381
; %bb.2378:
	s_cmp_gt_i32 s12, 3
	s_cbranch_scc0 .LBB47_2382
; %bb.2379:
	s_wait_loadcnt 0x0
	global_load_b64 v[16:17], v[12:13], off
	s_mov_b32 s13, 0
	s_branch .LBB47_2383
.LBB47_2380:
	s_mov_b32 s13, -1
                                        ; implicit-def: $vgpr16
	s_branch .LBB47_2389
.LBB47_2381:
	s_mov_b32 s13, -1
                                        ; implicit-def: $vgpr16
	s_branch .LBB47_2386
.LBB47_2382:
	s_mov_b32 s13, -1
                                        ; implicit-def: $vgpr16
.LBB47_2383:
	s_delay_alu instid0(SALU_CYCLE_1)
	s_and_not1_b32 vcc_lo, exec_lo, s13
	s_cbranch_vccnz .LBB47_2385
; %bb.2384:
	s_wait_loadcnt 0x0
	global_load_b32 v16, v[12:13], off
.LBB47_2385:
	s_mov_b32 s13, 0
.LBB47_2386:
	s_delay_alu instid0(SALU_CYCLE_1)
	s_and_not1_b32 vcc_lo, exec_lo, s13
	s_cbranch_vccnz .LBB47_2388
; %bb.2387:
	s_wait_loadcnt 0x0
	global_load_u16 v16, v[12:13], off
.LBB47_2388:
	s_mov_b32 s13, 0
.LBB47_2389:
	s_delay_alu instid0(SALU_CYCLE_1)
	s_and_not1_b32 vcc_lo, exec_lo, s13
	s_cbranch_vccnz .LBB47_2395
; %bb.2390:
	s_cmp_gt_i32 s12, 0
	s_mov_b32 s13, 0
	s_cbranch_scc0 .LBB47_2392
; %bb.2391:
	s_wait_loadcnt 0x0
	global_load_u8 v16, v[12:13], off
	s_branch .LBB47_2393
.LBB47_2392:
	s_mov_b32 s13, -1
                                        ; implicit-def: $vgpr16
.LBB47_2393:
	s_delay_alu instid0(SALU_CYCLE_1)
	s_and_not1_b32 vcc_lo, exec_lo, s13
	s_cbranch_vccnz .LBB47_2395
; %bb.2394:
	s_wait_loadcnt 0x0
	global_load_u8 v16, v[12:13], off
.LBB47_2395:
	s_mov_b32 s15, -1
.LBB47_2396:
	s_delay_alu instid0(SALU_CYCLE_1)
	s_and_not1_b32 vcc_lo, exec_lo, s15
	s_cbranch_vccnz .LBB47_2741
; %bb.2397:
	s_wait_loadcnt 0x0
	s_delay_alu instid0(VALU_DEP_3) | instskip(SKIP_1) | instid1(VALU_DEP_1)
	v_and_b32_e32 v5, 0xff, v14
	s_mov_b32 s14, 0
	v_cmp_ne_u16_e32 vcc_lo, 0, v5
	s_delay_alu instid0(VALU_DEP_3)
	v_mov_b32_e32 v5, v16
	s_wait_xcnt 0x0
	s_and_saveexec_b32 s13, vcc_lo
	s_cbranch_execz .LBB47_2401
; %bb.2398:
	v_dual_mov_b32 v9, v14 :: v_dual_mov_b32 v7, v16
.LBB47_2399:                            ; =>This Inner Loop Header: Depth=1
	s_delay_alu instid0(VALU_DEP_1) | instskip(NEXT) | instid1(VALU_DEP_2)
	v_cvt_f32_ubyte0_e32 v12, v7
	v_mov_b32_e32 v5, v9
	s_delay_alu instid0(VALU_DEP_1) | instskip(NEXT) | instid1(VALU_DEP_1)
	v_cvt_f32_ubyte0_e32 v9, v5
	v_rcp_iflag_f32_e32 v11, v9
	v_nop
	s_delay_alu instid0(TRANS32_DEP_1) | instskip(NEXT) | instid1(VALU_DEP_1)
	v_mul_f32_e32 v11, v12, v11
	v_trunc_f32_e32 v11, v11
	s_delay_alu instid0(VALU_DEP_1) | instskip(SKIP_1) | instid1(VALU_DEP_2)
	v_fma_f32 v12, -v11, v9, v12
	v_cvt_u32_f32_e32 v11, v11
	v_cmp_ge_f32_e64 vcc_lo, |v12|, v9
	s_delay_alu instid0(VALU_DEP_1) | instskip(NEXT) | instid1(VALU_DEP_1)
	v_add_co_ci_u32_e64 v9, null, 0, v11, vcc_lo
	v_mul_lo_u32 v9, v9, v5
	s_delay_alu instid0(VALU_DEP_1) | instskip(NEXT) | instid1(VALU_DEP_1)
	v_sub_nc_u32_e32 v7, v7, v9
	v_and_b32_e32 v9, 0xff, v7
	v_mov_b32_e32 v7, v5
	s_delay_alu instid0(VALU_DEP_2) | instskip(SKIP_1) | instid1(SALU_CYCLE_1)
	v_cmp_eq_u16_e32 vcc_lo, 0, v9
	s_or_b32 s14, vcc_lo, s14
	s_and_not1_b32 exec_lo, exec_lo, s14
	s_cbranch_execnz .LBB47_2399
; %bb.2400:
	s_or_b32 exec_lo, exec_lo, s14
.LBB47_2401:
	s_delay_alu instid0(SALU_CYCLE_1) | instskip(SKIP_3) | instid1(VALU_DEP_2)
	s_or_b32 exec_lo, exec_lo, s13
	v_and_b32_e32 v7, 0xff, v5
	v_mov_b32_e32 v15, 0
	s_mov_b32 s13, exec_lo
	v_cmpx_ne_u16_e32 0, v7
	s_cbranch_execz .LBB47_2403
; %bb.2402:
	v_cvt_f32_ubyte0_e32 v5, v5
	v_cvt_f32_ubyte0_e32 v9, v14
	s_delay_alu instid0(VALU_DEP_2) | instskip(SKIP_1) | instid1(TRANS32_DEP_1)
	v_rcp_iflag_f32_e32 v7, v5
	v_nop
	v_mul_f32_e32 v7, v9, v7
	s_delay_alu instid0(VALU_DEP_1) | instskip(NEXT) | instid1(VALU_DEP_1)
	v_trunc_f32_e32 v7, v7
	v_fma_f32 v9, -v7, v5, v9
	v_cvt_u32_f32_e32 v7, v7
	s_delay_alu instid0(VALU_DEP_2) | instskip(NEXT) | instid1(VALU_DEP_1)
	v_cmp_ge_f32_e64 vcc_lo, |v9|, v5
	v_add_co_ci_u32_e64 v5, null, 0, v7, vcc_lo
	s_delay_alu instid0(VALU_DEP_1)
	v_mul_lo_u16 v15, v5, v16
.LBB47_2403:
	s_or_b32 exec_lo, exec_lo, s13
	v_mov_b32_e32 v11, 0
	s_cmp_lt_i32 s11, 11
	s_delay_alu instid0(VALU_DEP_1)
	v_add_nc_u64_e32 v[12:13], s[6:7], v[10:11]
	s_cbranch_scc1 .LBB47_2410
; %bb.2404:
	s_cmp_gt_i32 s11, 25
	s_mov_b32 s7, 0
	s_cbranch_scc0 .LBB47_2411
; %bb.2405:
	s_cmp_gt_i32 s11, 28
	s_cbranch_scc0 .LBB47_2412
; %bb.2406:
	s_cmp_gt_i32 s11, 43
	;; [unrolled: 3-line block ×3, first 2 shown]
	s_cbranch_scc0 .LBB47_2415
; %bb.2408:
	s_cmp_eq_u32 s11, 46
	s_mov_b32 s14, 0
	s_cbranch_scc0 .LBB47_2416
; %bb.2409:
	global_load_b32 v5, v[12:13], off
	s_mov_b32 s6, 0
	s_mov_b32 s13, -1
	s_wait_loadcnt 0x0
	v_lshlrev_b32_e32 v5, 16, v5
	s_delay_alu instid0(VALU_DEP_1) | instskip(NEXT) | instid1(VALU_DEP_1)
	v_trunc_f32_e32 v5, v5
	v_mul_f32_e64 v7, 0x2f800000, |v5|
	s_delay_alu instid0(VALU_DEP_1) | instskip(NEXT) | instid1(VALU_DEP_1)
	v_floor_f32_e32 v7, v7
	v_fma_f32 v7, 0xcf800000, v7, |v5|
	v_ashrrev_i32_e32 v5, 31, v5
	s_delay_alu instid0(VALU_DEP_2) | instskip(NEXT) | instid1(VALU_DEP_1)
	v_cvt_u32_f32_e32 v7, v7
	v_xor_b32_e32 v7, v7, v5
	s_delay_alu instid0(VALU_DEP_1)
	v_sub_nc_u32_e32 v10, v7, v5
	s_branch .LBB47_2418
.LBB47_2410:
	s_mov_b32 s6, -1
	s_mov_b32 s13, 0
                                        ; implicit-def: $vgpr10
	s_branch .LBB47_2480
.LBB47_2411:
	s_mov_b32 s14, -1
	s_mov_b32 s13, 0
	s_mov_b32 s6, 0
                                        ; implicit-def: $vgpr10
	s_branch .LBB47_2445
.LBB47_2412:
	s_mov_b32 s14, -1
	s_mov_b32 s13, 0
	s_mov_b32 s6, 0
                                        ; implicit-def: $vgpr10
	s_branch .LBB47_2428
.LBB47_2413:
	s_mov_b32 s14, -1
	s_mov_b32 s13, 0
	s_mov_b32 s6, 0
                                        ; implicit-def: $vgpr10
	s_branch .LBB47_2423
.LBB47_2414:
	s_or_b32 s10, s10, exec_lo
	s_trap 2
	s_cbranch_execz .LBB47_2345
	s_branch .LBB47_2346
.LBB47_2415:
	s_mov_b32 s14, -1
	s_mov_b32 s13, 0
	s_mov_b32 s6, 0
	s_branch .LBB47_2417
.LBB47_2416:
	s_mov_b32 s6, -1
	s_mov_b32 s13, 0
.LBB47_2417:
                                        ; implicit-def: $vgpr10
.LBB47_2418:
	s_and_b32 vcc_lo, exec_lo, s14
	s_cbranch_vccz .LBB47_2422
; %bb.2419:
	s_cmp_eq_u32 s11, 44
	s_cbranch_scc0 .LBB47_2421
; %bb.2420:
	global_load_u8 v5, v[12:13], off
	s_mov_b32 s6, 0
	s_mov_b32 s13, -1
	s_wait_loadcnt 0x0
	v_lshlrev_b32_e32 v7, 23, v5
	v_cmp_ne_u32_e32 vcc_lo, 0, v5
	s_delay_alu instid0(VALU_DEP_2) | instskip(NEXT) | instid1(VALU_DEP_1)
	v_trunc_f32_e32 v7, v7
	v_mul_f32_e64 v9, 0x2f800000, |v7|
	s_delay_alu instid0(VALU_DEP_1) | instskip(NEXT) | instid1(VALU_DEP_1)
	v_floor_f32_e32 v9, v9
	v_fma_f32 v9, 0xcf800000, v9, |v7|
	v_ashrrev_i32_e32 v7, 31, v7
	s_delay_alu instid0(VALU_DEP_2) | instskip(NEXT) | instid1(VALU_DEP_1)
	v_cvt_u32_f32_e32 v9, v9
	v_xor_b32_e32 v9, v9, v7
	s_delay_alu instid0(VALU_DEP_1) | instskip(NEXT) | instid1(VALU_DEP_1)
	v_sub_nc_u32_e32 v7, v9, v7
	v_cndmask_b32_e32 v10, 0, v7, vcc_lo
	s_branch .LBB47_2422
.LBB47_2421:
	s_mov_b32 s6, -1
                                        ; implicit-def: $vgpr10
.LBB47_2422:
	s_mov_b32 s14, 0
.LBB47_2423:
	s_delay_alu instid0(SALU_CYCLE_1)
	s_and_b32 vcc_lo, exec_lo, s14
	s_cbranch_vccz .LBB47_2427
; %bb.2424:
	s_cmp_eq_u32 s11, 29
	s_cbranch_scc0 .LBB47_2426
; %bb.2425:
	global_load_b64 v[10:11], v[12:13], off
	s_mov_b32 s6, 0
	s_mov_b32 s13, -1
	s_branch .LBB47_2427
.LBB47_2426:
	s_mov_b32 s6, -1
                                        ; implicit-def: $vgpr10
.LBB47_2427:
	s_mov_b32 s14, 0
.LBB47_2428:
	s_delay_alu instid0(SALU_CYCLE_1)
	s_and_b32 vcc_lo, exec_lo, s14
	s_cbranch_vccz .LBB47_2444
; %bb.2429:
	s_cmp_lt_i32 s11, 27
	s_cbranch_scc1 .LBB47_2432
; %bb.2430:
	s_cmp_gt_i32 s11, 27
	s_cbranch_scc0 .LBB47_2433
; %bb.2431:
	s_wait_loadcnt 0x0
	global_load_b32 v10, v[12:13], off
	s_mov_b32 s13, 0
	s_branch .LBB47_2434
.LBB47_2432:
	s_mov_b32 s13, -1
                                        ; implicit-def: $vgpr10
	s_branch .LBB47_2437
.LBB47_2433:
	s_mov_b32 s13, -1
                                        ; implicit-def: $vgpr10
.LBB47_2434:
	s_delay_alu instid0(SALU_CYCLE_1)
	s_and_not1_b32 vcc_lo, exec_lo, s13
	s_cbranch_vccnz .LBB47_2436
; %bb.2435:
	s_wait_loadcnt 0x0
	global_load_u16 v10, v[12:13], off
.LBB47_2436:
	s_mov_b32 s13, 0
.LBB47_2437:
	s_delay_alu instid0(SALU_CYCLE_1)
	s_and_not1_b32 vcc_lo, exec_lo, s13
	s_cbranch_vccnz .LBB47_2443
; %bb.2438:
	global_load_u8 v5, v[12:13], off
	s_mov_b32 s14, 0
	s_mov_b32 s13, exec_lo
	s_wait_loadcnt 0x0
	v_cmpx_lt_i16_e32 0x7f, v5
	s_xor_b32 s13, exec_lo, s13
	s_cbranch_execz .LBB47_2455
; %bb.2439:
	v_cmp_ne_u16_e32 vcc_lo, 0x80, v5
	s_and_b32 s14, vcc_lo, exec_lo
	s_and_not1_saveexec_b32 s13, s13
	s_cbranch_execnz .LBB47_2456
.LBB47_2440:
	s_or_b32 exec_lo, exec_lo, s13
	v_mov_b32_e32 v10, 0
	s_and_saveexec_b32 s13, s14
	s_cbranch_execz .LBB47_2442
.LBB47_2441:
	v_and_b32_e32 v7, 0xffff, v5
	s_delay_alu instid0(VALU_DEP_1) | instskip(SKIP_1) | instid1(VALU_DEP_2)
	v_and_b32_e32 v9, 7, v7
	v_bfe_u32 v14, v7, 3, 4
	v_clz_i32_u32_e32 v10, v9
	s_delay_alu instid0(VALU_DEP_2) | instskip(NEXT) | instid1(VALU_DEP_2)
	v_cmp_eq_u32_e32 vcc_lo, 0, v14
	v_min_u32_e32 v10, 32, v10
	s_delay_alu instid0(VALU_DEP_1) | instskip(NEXT) | instid1(VALU_DEP_1)
	v_subrev_nc_u32_e32 v11, 28, v10
	v_dual_lshlrev_b32 v7, v11, v7 :: v_dual_sub_nc_u32 v10, 29, v10
	s_delay_alu instid0(VALU_DEP_1) | instskip(NEXT) | instid1(VALU_DEP_1)
	v_dual_lshlrev_b32 v5, 24, v5 :: v_dual_bitop2_b32 v7, 7, v7 bitop3:0x40
	v_dual_cndmask_b32 v10, v14, v10 :: v_dual_cndmask_b32 v7, v9, v7
	s_delay_alu instid0(VALU_DEP_2) | instskip(NEXT) | instid1(VALU_DEP_2)
	v_and_b32_e32 v5, 0x80000000, v5
	v_lshl_add_u32 v9, v10, 23, 0x3b800000
	s_delay_alu instid0(VALU_DEP_3) | instskip(NEXT) | instid1(VALU_DEP_1)
	v_lshlrev_b32_e32 v7, 20, v7
	v_or3_b32 v5, v5, v9, v7
	s_delay_alu instid0(VALU_DEP_1) | instskip(NEXT) | instid1(VALU_DEP_1)
	v_trunc_f32_e32 v5, v5
	v_mul_f32_e64 v7, 0x2f800000, |v5|
	s_delay_alu instid0(VALU_DEP_1) | instskip(NEXT) | instid1(VALU_DEP_1)
	v_floor_f32_e32 v7, v7
	v_fma_f32 v7, 0xcf800000, v7, |v5|
	v_ashrrev_i32_e32 v5, 31, v5
	s_delay_alu instid0(VALU_DEP_2) | instskip(NEXT) | instid1(VALU_DEP_1)
	v_cvt_u32_f32_e32 v7, v7
	v_xor_b32_e32 v7, v7, v5
	s_delay_alu instid0(VALU_DEP_1)
	v_sub_nc_u32_e32 v10, v7, v5
.LBB47_2442:
	s_or_b32 exec_lo, exec_lo, s13
.LBB47_2443:
	s_mov_b32 s13, -1
.LBB47_2444:
	s_mov_b32 s14, 0
.LBB47_2445:
	s_delay_alu instid0(SALU_CYCLE_1)
	s_and_b32 vcc_lo, exec_lo, s14
	s_cbranch_vccz .LBB47_2476
; %bb.2446:
	s_cmp_gt_i32 s11, 22
	s_cbranch_scc0 .LBB47_2454
; %bb.2447:
	s_cmp_lt_i32 s11, 24
	s_cbranch_scc1 .LBB47_2457
; %bb.2448:
	s_cmp_gt_i32 s11, 24
	s_cbranch_scc0 .LBB47_2458
; %bb.2449:
	global_load_u8 v5, v[12:13], off
	s_mov_b32 s13, 0
	s_mov_b32 s7, exec_lo
	s_wait_loadcnt 0x0
	v_cmpx_lt_i16_e32 0x7f, v5
	s_xor_b32 s7, exec_lo, s7
	s_cbranch_execz .LBB47_2470
; %bb.2450:
	v_cmp_ne_u16_e32 vcc_lo, 0x80, v5
	s_and_b32 s13, vcc_lo, exec_lo
	s_and_not1_saveexec_b32 s7, s7
	s_cbranch_execnz .LBB47_2471
.LBB47_2451:
	s_or_b32 exec_lo, exec_lo, s7
	v_mov_b32_e32 v10, 0
	s_and_saveexec_b32 s7, s13
	s_cbranch_execz .LBB47_2453
.LBB47_2452:
	v_and_b32_e32 v7, 0xffff, v5
	s_delay_alu instid0(VALU_DEP_1) | instskip(SKIP_1) | instid1(VALU_DEP_2)
	v_and_b32_e32 v9, 3, v7
	v_bfe_u32 v14, v7, 2, 5
	v_clz_i32_u32_e32 v10, v9
	s_delay_alu instid0(VALU_DEP_2) | instskip(NEXT) | instid1(VALU_DEP_2)
	v_cmp_eq_u32_e32 vcc_lo, 0, v14
	v_min_u32_e32 v10, 32, v10
	s_delay_alu instid0(VALU_DEP_1) | instskip(NEXT) | instid1(VALU_DEP_1)
	v_subrev_nc_u32_e32 v11, 29, v10
	v_dual_lshlrev_b32 v7, v11, v7 :: v_dual_sub_nc_u32 v10, 30, v10
	s_delay_alu instid0(VALU_DEP_1) | instskip(NEXT) | instid1(VALU_DEP_1)
	v_dual_lshlrev_b32 v5, 24, v5 :: v_dual_bitop2_b32 v7, 3, v7 bitop3:0x40
	v_dual_cndmask_b32 v10, v14, v10 :: v_dual_cndmask_b32 v7, v9, v7
	s_delay_alu instid0(VALU_DEP_2) | instskip(NEXT) | instid1(VALU_DEP_2)
	v_and_b32_e32 v5, 0x80000000, v5
	v_lshl_add_u32 v9, v10, 23, 0x37800000
	s_delay_alu instid0(VALU_DEP_3) | instskip(NEXT) | instid1(VALU_DEP_1)
	v_lshlrev_b32_e32 v7, 21, v7
	v_or3_b32 v5, v5, v9, v7
	s_delay_alu instid0(VALU_DEP_1) | instskip(NEXT) | instid1(VALU_DEP_1)
	v_trunc_f32_e32 v5, v5
	v_mul_f32_e64 v7, 0x2f800000, |v5|
	s_delay_alu instid0(VALU_DEP_1) | instskip(NEXT) | instid1(VALU_DEP_1)
	v_floor_f32_e32 v7, v7
	v_fma_f32 v7, 0xcf800000, v7, |v5|
	v_ashrrev_i32_e32 v5, 31, v5
	s_delay_alu instid0(VALU_DEP_2) | instskip(NEXT) | instid1(VALU_DEP_1)
	v_cvt_u32_f32_e32 v7, v7
	v_xor_b32_e32 v7, v7, v5
	s_delay_alu instid0(VALU_DEP_1)
	v_sub_nc_u32_e32 v10, v7, v5
.LBB47_2453:
	s_or_b32 exec_lo, exec_lo, s7
	s_mov_b32 s7, 0
	s_branch .LBB47_2459
.LBB47_2454:
	s_mov_b32 s7, -1
                                        ; implicit-def: $vgpr10
	s_branch .LBB47_2465
.LBB47_2455:
	s_and_not1_saveexec_b32 s13, s13
	s_cbranch_execz .LBB47_2440
.LBB47_2456:
	v_cmp_ne_u16_e32 vcc_lo, 0, v5
	s_and_not1_b32 s14, s14, exec_lo
	s_and_b32 s15, vcc_lo, exec_lo
	s_delay_alu instid0(SALU_CYCLE_1)
	s_or_b32 s14, s14, s15
	s_or_b32 exec_lo, exec_lo, s13
	v_mov_b32_e32 v10, 0
	s_and_saveexec_b32 s13, s14
	s_cbranch_execnz .LBB47_2441
	s_branch .LBB47_2442
.LBB47_2457:
	s_mov_b32 s7, -1
                                        ; implicit-def: $vgpr10
	s_branch .LBB47_2462
.LBB47_2458:
	s_mov_b32 s7, -1
                                        ; implicit-def: $vgpr10
.LBB47_2459:
	s_delay_alu instid0(SALU_CYCLE_1)
	s_and_b32 vcc_lo, exec_lo, s7
	s_cbranch_vccz .LBB47_2461
; %bb.2460:
	global_load_u8 v5, v[12:13], off
	s_wait_loadcnt 0x0
	v_lshlrev_b32_e32 v5, 24, v5
	s_delay_alu instid0(VALU_DEP_1) | instskip(NEXT) | instid1(VALU_DEP_1)
	v_and_b32_e32 v7, 0x7f000000, v5
	v_clz_i32_u32_e32 v9, v7
	v_add_nc_u32_e32 v11, 0x1000000, v7
	v_cmp_ne_u32_e32 vcc_lo, 0, v7
	s_delay_alu instid0(VALU_DEP_3) | instskip(NEXT) | instid1(VALU_DEP_1)
	v_min_u32_e32 v9, 32, v9
	v_sub_nc_u32_e64 v9, v9, 4 clamp
	s_delay_alu instid0(VALU_DEP_1) | instskip(NEXT) | instid1(VALU_DEP_1)
	v_dual_lshlrev_b32 v10, v9, v7 :: v_dual_lshlrev_b32 v9, 23, v9
	v_lshrrev_b32_e32 v10, 4, v10
	s_delay_alu instid0(VALU_DEP_1) | instskip(NEXT) | instid1(VALU_DEP_1)
	v_dual_sub_nc_u32 v9, v10, v9 :: v_dual_ashrrev_i32 v10, 8, v11
	v_add_nc_u32_e32 v9, 0x3c000000, v9
	s_delay_alu instid0(VALU_DEP_1) | instskip(NEXT) | instid1(VALU_DEP_1)
	v_and_or_b32 v9, 0x7f800000, v10, v9
	v_cndmask_b32_e32 v7, 0, v9, vcc_lo
	s_delay_alu instid0(VALU_DEP_1) | instskip(NEXT) | instid1(VALU_DEP_1)
	v_and_or_b32 v5, 0x80000000, v5, v7
	v_trunc_f32_e32 v5, v5
	s_delay_alu instid0(VALU_DEP_1) | instskip(NEXT) | instid1(VALU_DEP_1)
	v_mul_f32_e64 v7, 0x2f800000, |v5|
	v_floor_f32_e32 v7, v7
	s_delay_alu instid0(VALU_DEP_1) | instskip(SKIP_1) | instid1(VALU_DEP_2)
	v_fma_f32 v7, 0xcf800000, v7, |v5|
	v_ashrrev_i32_e32 v5, 31, v5
	v_cvt_u32_f32_e32 v7, v7
	s_delay_alu instid0(VALU_DEP_1) | instskip(NEXT) | instid1(VALU_DEP_1)
	v_xor_b32_e32 v7, v7, v5
	v_sub_nc_u32_e32 v10, v7, v5
.LBB47_2461:
	s_mov_b32 s7, 0
.LBB47_2462:
	s_delay_alu instid0(SALU_CYCLE_1)
	s_and_not1_b32 vcc_lo, exec_lo, s7
	s_cbranch_vccnz .LBB47_2464
; %bb.2463:
	global_load_u8 v5, v[12:13], off
	s_wait_loadcnt 0x0
	v_lshlrev_b32_e32 v7, 25, v5
	v_lshlrev_b16 v5, 8, v5
	s_delay_alu instid0(VALU_DEP_1) | instskip(SKIP_1) | instid1(VALU_DEP_2)
	v_and_or_b32 v10, 0x7f00, v5, 0.5
	v_bfe_i32 v5, v5, 0, 16
	v_dual_add_f32 v10, -0.5, v10 :: v_dual_lshrrev_b32 v9, 4, v7
	v_cmp_gt_u32_e32 vcc_lo, 0x8000000, v7
	s_delay_alu instid0(VALU_DEP_2) | instskip(NEXT) | instid1(VALU_DEP_1)
	v_or_b32_e32 v9, 0x70000000, v9
	v_mul_f32_e32 v9, 0x7800000, v9
	s_delay_alu instid0(VALU_DEP_1) | instskip(NEXT) | instid1(VALU_DEP_1)
	v_cndmask_b32_e32 v7, v9, v10, vcc_lo
	v_and_or_b32 v5, 0x80000000, v5, v7
	s_delay_alu instid0(VALU_DEP_1) | instskip(NEXT) | instid1(VALU_DEP_1)
	v_trunc_f32_e32 v5, v5
	v_mul_f32_e64 v7, 0x2f800000, |v5|
	s_delay_alu instid0(VALU_DEP_1) | instskip(NEXT) | instid1(VALU_DEP_1)
	v_floor_f32_e32 v7, v7
	v_fma_f32 v7, 0xcf800000, v7, |v5|
	v_ashrrev_i32_e32 v5, 31, v5
	s_delay_alu instid0(VALU_DEP_2) | instskip(NEXT) | instid1(VALU_DEP_1)
	v_cvt_u32_f32_e32 v7, v7
	v_xor_b32_e32 v7, v7, v5
	s_delay_alu instid0(VALU_DEP_1)
	v_sub_nc_u32_e32 v10, v7, v5
.LBB47_2464:
	s_mov_b32 s7, 0
	s_mov_b32 s13, -1
.LBB47_2465:
	s_and_not1_b32 vcc_lo, exec_lo, s7
	s_mov_b32 s7, 0
	s_cbranch_vccnz .LBB47_2476
; %bb.2466:
	s_cmp_gt_i32 s11, 14
	s_cbranch_scc0 .LBB47_2469
; %bb.2467:
	s_cmp_eq_u32 s11, 15
	s_cbranch_scc0 .LBB47_2472
; %bb.2468:
	global_load_u16 v5, v[12:13], off
	s_mov_b32 s6, 0
	s_mov_b32 s13, -1
	s_wait_loadcnt 0x0
	v_lshlrev_b32_e32 v5, 16, v5
	s_delay_alu instid0(VALU_DEP_1) | instskip(NEXT) | instid1(VALU_DEP_1)
	v_trunc_f32_e32 v5, v5
	v_mul_f32_e64 v7, 0x2f800000, |v5|
	s_delay_alu instid0(VALU_DEP_1) | instskip(NEXT) | instid1(VALU_DEP_1)
	v_floor_f32_e32 v7, v7
	v_fma_f32 v7, 0xcf800000, v7, |v5|
	v_ashrrev_i32_e32 v5, 31, v5
	s_delay_alu instid0(VALU_DEP_2) | instskip(NEXT) | instid1(VALU_DEP_1)
	v_cvt_u32_f32_e32 v7, v7
	v_xor_b32_e32 v7, v7, v5
	s_delay_alu instid0(VALU_DEP_1)
	v_sub_nc_u32_e32 v10, v7, v5
	s_branch .LBB47_2474
.LBB47_2469:
	s_mov_b32 s7, -1
	s_branch .LBB47_2473
.LBB47_2470:
	s_and_not1_saveexec_b32 s7, s7
	s_cbranch_execz .LBB47_2451
.LBB47_2471:
	v_cmp_ne_u16_e32 vcc_lo, 0, v5
	s_and_not1_b32 s13, s13, exec_lo
	s_and_b32 s14, vcc_lo, exec_lo
	s_delay_alu instid0(SALU_CYCLE_1)
	s_or_b32 s13, s13, s14
	s_or_b32 exec_lo, exec_lo, s7
	v_mov_b32_e32 v10, 0
	s_and_saveexec_b32 s7, s13
	s_cbranch_execnz .LBB47_2452
	s_branch .LBB47_2453
.LBB47_2472:
	s_mov_b32 s6, -1
.LBB47_2473:
                                        ; implicit-def: $vgpr10
.LBB47_2474:
	s_and_b32 vcc_lo, exec_lo, s7
	s_mov_b32 s7, 0
	s_cbranch_vccz .LBB47_2476
; %bb.2475:
	s_cmp_lg_u32 s11, 11
	s_mov_b32 s7, -1
	s_cselect_b32 s6, -1, 0
.LBB47_2476:
	s_delay_alu instid0(SALU_CYCLE_1)
	s_and_b32 vcc_lo, exec_lo, s6
	s_cbranch_vccnz .LBB47_2541
; %bb.2477:
	s_and_not1_b32 vcc_lo, exec_lo, s7
	s_cbranch_vccnz .LBB47_2479
.LBB47_2478:
	global_load_u8 v5, v[12:13], off
	s_mov_b32 s13, -1
	s_wait_loadcnt 0x0
	v_cmp_ne_u16_e32 vcc_lo, 0, v5
	v_cndmask_b32_e64 v10, 0, 1, vcc_lo
.LBB47_2479:
	s_mov_b32 s6, 0
.LBB47_2480:
	s_delay_alu instid0(SALU_CYCLE_1)
	s_and_b32 vcc_lo, exec_lo, s6
	s_cbranch_vccz .LBB47_2529
; %bb.2481:
	s_cmp_lt_i32 s11, 5
	s_cbranch_scc1 .LBB47_2486
; %bb.2482:
	s_cmp_lt_i32 s11, 8
	s_cbranch_scc1 .LBB47_2487
	;; [unrolled: 3-line block ×3, first 2 shown]
; %bb.2484:
	s_cmp_gt_i32 s11, 9
	s_cbranch_scc0 .LBB47_2489
; %bb.2485:
	s_wait_loadcnt 0x0
	global_load_b64 v[10:11], v[12:13], off
	s_mov_b32 s6, 0
	s_wait_loadcnt 0x0
	v_trunc_f64_e32 v[10:11], v[10:11]
	s_delay_alu instid0(VALU_DEP_1) | instskip(NEXT) | instid1(VALU_DEP_1)
	v_ldexp_f64 v[16:17], v[10:11], 0xffffffe0
	v_floor_f64_e32 v[16:17], v[16:17]
	s_delay_alu instid0(VALU_DEP_1) | instskip(NEXT) | instid1(VALU_DEP_1)
	v_fmamk_f64 v[10:11], v[16:17], 0xc1f00000, v[10:11]
	v_cvt_u32_f64_e32 v10, v[10:11]
	s_branch .LBB47_2490
.LBB47_2486:
	s_mov_b32 s6, -1
                                        ; implicit-def: $vgpr10
	s_branch .LBB47_2508
.LBB47_2487:
	s_mov_b32 s6, -1
                                        ; implicit-def: $vgpr10
	s_branch .LBB47_2496
.LBB47_2488:
	s_mov_b32 s6, -1
                                        ; implicit-def: $vgpr10
	s_branch .LBB47_2493
.LBB47_2489:
	s_mov_b32 s6, -1
                                        ; implicit-def: $vgpr10
.LBB47_2490:
	s_delay_alu instid0(SALU_CYCLE_1)
	s_and_not1_b32 vcc_lo, exec_lo, s6
	s_cbranch_vccnz .LBB47_2492
; %bb.2491:
	global_load_b32 v5, v[12:13], off
	s_wait_loadcnt 0x0
	v_trunc_f32_e32 v5, v5
	s_delay_alu instid0(VALU_DEP_1) | instskip(NEXT) | instid1(VALU_DEP_1)
	v_mul_f32_e64 v7, 0x2f800000, |v5|
	v_floor_f32_e32 v7, v7
	s_delay_alu instid0(VALU_DEP_1) | instskip(SKIP_1) | instid1(VALU_DEP_2)
	v_fma_f32 v7, 0xcf800000, v7, |v5|
	v_ashrrev_i32_e32 v5, 31, v5
	v_cvt_u32_f32_e32 v7, v7
	s_delay_alu instid0(VALU_DEP_1) | instskip(NEXT) | instid1(VALU_DEP_1)
	v_xor_b32_e32 v7, v7, v5
	v_sub_nc_u32_e32 v10, v7, v5
.LBB47_2492:
	s_mov_b32 s6, 0
.LBB47_2493:
	s_delay_alu instid0(SALU_CYCLE_1)
	s_and_not1_b32 vcc_lo, exec_lo, s6
	s_cbranch_vccnz .LBB47_2495
; %bb.2494:
	global_load_b32 v5, v[12:13], off
	s_wait_loadcnt 0x0
	v_cvt_f32_f16_e32 v5, v5
	s_delay_alu instid0(VALU_DEP_1)
	v_cvt_i32_f32_e32 v10, v5
.LBB47_2495:
	s_mov_b32 s6, 0
.LBB47_2496:
	s_delay_alu instid0(SALU_CYCLE_1)
	s_and_not1_b32 vcc_lo, exec_lo, s6
	s_cbranch_vccnz .LBB47_2507
; %bb.2497:
	s_cmp_lt_i32 s11, 6
	s_cbranch_scc1 .LBB47_2500
; %bb.2498:
	s_cmp_gt_i32 s11, 6
	s_cbranch_scc0 .LBB47_2501
; %bb.2499:
	s_wait_loadcnt 0x0
	global_load_b64 v[10:11], v[12:13], off
	s_mov_b32 s6, 0
	s_wait_loadcnt 0x0
	v_trunc_f64_e32 v[10:11], v[10:11]
	s_delay_alu instid0(VALU_DEP_1) | instskip(NEXT) | instid1(VALU_DEP_1)
	v_ldexp_f64 v[16:17], v[10:11], 0xffffffe0
	v_floor_f64_e32 v[16:17], v[16:17]
	s_delay_alu instid0(VALU_DEP_1) | instskip(NEXT) | instid1(VALU_DEP_1)
	v_fmamk_f64 v[10:11], v[16:17], 0xc1f00000, v[10:11]
	v_cvt_u32_f64_e32 v10, v[10:11]
	s_branch .LBB47_2502
.LBB47_2500:
	s_mov_b32 s6, -1
                                        ; implicit-def: $vgpr10
	s_branch .LBB47_2505
.LBB47_2501:
	s_mov_b32 s6, -1
                                        ; implicit-def: $vgpr10
.LBB47_2502:
	s_delay_alu instid0(SALU_CYCLE_1)
	s_and_not1_b32 vcc_lo, exec_lo, s6
	s_cbranch_vccnz .LBB47_2504
; %bb.2503:
	global_load_b32 v5, v[12:13], off
	s_wait_loadcnt 0x0
	v_trunc_f32_e32 v5, v5
	s_delay_alu instid0(VALU_DEP_1) | instskip(NEXT) | instid1(VALU_DEP_1)
	v_mul_f32_e64 v7, 0x2f800000, |v5|
	v_floor_f32_e32 v7, v7
	s_delay_alu instid0(VALU_DEP_1) | instskip(SKIP_1) | instid1(VALU_DEP_2)
	v_fma_f32 v7, 0xcf800000, v7, |v5|
	v_ashrrev_i32_e32 v5, 31, v5
	v_cvt_u32_f32_e32 v7, v7
	s_delay_alu instid0(VALU_DEP_1) | instskip(NEXT) | instid1(VALU_DEP_1)
	v_xor_b32_e32 v7, v7, v5
	v_sub_nc_u32_e32 v10, v7, v5
.LBB47_2504:
	s_mov_b32 s6, 0
.LBB47_2505:
	s_delay_alu instid0(SALU_CYCLE_1)
	s_and_not1_b32 vcc_lo, exec_lo, s6
	s_cbranch_vccnz .LBB47_2507
; %bb.2506:
	global_load_u16 v5, v[12:13], off
	s_wait_loadcnt 0x0
	v_cvt_f32_f16_e32 v5, v5
	s_delay_alu instid0(VALU_DEP_1)
	v_cvt_i32_f32_e32 v10, v5
.LBB47_2507:
	s_mov_b32 s6, 0
.LBB47_2508:
	s_delay_alu instid0(SALU_CYCLE_1)
	s_and_not1_b32 vcc_lo, exec_lo, s6
	s_cbranch_vccnz .LBB47_2528
; %bb.2509:
	s_cmp_lt_i32 s11, 2
	s_cbranch_scc1 .LBB47_2513
; %bb.2510:
	s_cmp_lt_i32 s11, 3
	s_cbranch_scc1 .LBB47_2514
; %bb.2511:
	s_cmp_gt_i32 s11, 3
	s_cbranch_scc0 .LBB47_2515
; %bb.2512:
	s_wait_loadcnt 0x0
	global_load_b64 v[10:11], v[12:13], off
	s_mov_b32 s6, 0
	s_branch .LBB47_2516
.LBB47_2513:
	s_mov_b32 s6, -1
                                        ; implicit-def: $vgpr10
	s_branch .LBB47_2522
.LBB47_2514:
	s_mov_b32 s6, -1
                                        ; implicit-def: $vgpr10
	s_branch .LBB47_2519
.LBB47_2515:
	s_mov_b32 s6, -1
                                        ; implicit-def: $vgpr10
.LBB47_2516:
	s_delay_alu instid0(SALU_CYCLE_1)
	s_and_not1_b32 vcc_lo, exec_lo, s6
	s_cbranch_vccnz .LBB47_2518
; %bb.2517:
	s_wait_loadcnt 0x0
	global_load_b32 v10, v[12:13], off
.LBB47_2518:
	s_mov_b32 s6, 0
.LBB47_2519:
	s_delay_alu instid0(SALU_CYCLE_1)
	s_and_not1_b32 vcc_lo, exec_lo, s6
	s_cbranch_vccnz .LBB47_2521
; %bb.2520:
	s_wait_loadcnt 0x0
	global_load_u16 v10, v[12:13], off
.LBB47_2521:
	s_mov_b32 s6, 0
.LBB47_2522:
	s_delay_alu instid0(SALU_CYCLE_1)
	s_and_not1_b32 vcc_lo, exec_lo, s6
	s_cbranch_vccnz .LBB47_2528
; %bb.2523:
	s_cmp_gt_i32 s11, 0
	s_mov_b32 s6, 0
	s_cbranch_scc0 .LBB47_2525
; %bb.2524:
	s_wait_loadcnt 0x0
	global_load_u8 v10, v[12:13], off
	s_branch .LBB47_2526
.LBB47_2525:
	s_mov_b32 s6, -1
                                        ; implicit-def: $vgpr10
.LBB47_2526:
	s_delay_alu instid0(SALU_CYCLE_1)
	s_and_not1_b32 vcc_lo, exec_lo, s6
	s_cbranch_vccnz .LBB47_2528
; %bb.2527:
	s_wait_loadcnt 0x0
	global_load_u8 v10, v[12:13], off
.LBB47_2528:
	s_mov_b32 s13, -1
.LBB47_2529:
	s_delay_alu instid0(SALU_CYCLE_1)
	s_and_not1_b32 vcc_lo, exec_lo, s13
	s_cbranch_vccnz .LBB47_2741
; %bb.2530:
	v_mov_b32_e32 v9, 0
	s_cmp_lt_i32 s12, 11
	s_delay_alu instid0(VALU_DEP_1)
	v_add_nc_u64_e32 v[8:9], s[0:1], v[8:9]
	s_cbranch_scc1 .LBB47_2537
; %bb.2531:
	s_cmp_gt_i32 s12, 25
	s_mov_b32 s1, 0
	s_cbranch_scc0 .LBB47_2538
; %bb.2532:
	s_cmp_gt_i32 s12, 28
	s_cbranch_scc0 .LBB47_2539
; %bb.2533:
	s_cmp_gt_i32 s12, 43
	;; [unrolled: 3-line block ×3, first 2 shown]
	s_cbranch_scc0 .LBB47_2542
; %bb.2535:
	s_cmp_eq_u32 s12, 46
	s_mov_b32 s7, 0
	s_cbranch_scc0 .LBB47_2543
; %bb.2536:
	global_load_b32 v5, v[8:9], off
	s_mov_b32 s0, 0
	s_mov_b32 s6, -1
	s_wait_loadcnt 0x0
	v_lshlrev_b32_e32 v5, 16, v5
	s_delay_alu instid0(VALU_DEP_1) | instskip(NEXT) | instid1(VALU_DEP_1)
	v_trunc_f32_e32 v5, v5
	v_mul_f32_e64 v7, 0x2f800000, |v5|
	s_delay_alu instid0(VALU_DEP_1) | instskip(NEXT) | instid1(VALU_DEP_1)
	v_floor_f32_e32 v7, v7
	v_fma_f32 v7, 0xcf800000, v7, |v5|
	v_ashrrev_i32_e32 v5, 31, v5
	s_delay_alu instid0(VALU_DEP_2) | instskip(NEXT) | instid1(VALU_DEP_1)
	v_cvt_u32_f32_e32 v7, v7
	v_xor_b32_e32 v7, v7, v5
	s_wait_xcnt 0x1
	s_delay_alu instid0(VALU_DEP_1)
	v_sub_nc_u32_e32 v12, v7, v5
	s_branch .LBB47_2545
.LBB47_2537:
	s_mov_b32 s0, -1
	s_mov_b32 s6, 0
                                        ; implicit-def: $vgpr12
	s_branch .LBB47_2607
.LBB47_2538:
	s_mov_b32 s7, -1
	s_mov_b32 s6, 0
	s_mov_b32 s0, 0
                                        ; implicit-def: $vgpr12
	s_branch .LBB47_2572
.LBB47_2539:
	s_mov_b32 s7, -1
	s_mov_b32 s6, 0
	s_mov_b32 s0, 0
                                        ; implicit-def: $vgpr12
	s_branch .LBB47_2555
.LBB47_2540:
	s_mov_b32 s7, -1
	s_mov_b32 s6, 0
	s_mov_b32 s0, 0
                                        ; implicit-def: $vgpr12
	s_branch .LBB47_2550
.LBB47_2541:
	s_or_b32 s10, s10, exec_lo
	s_trap 2
	s_cbranch_execz .LBB47_2478
	s_branch .LBB47_2479
.LBB47_2542:
	s_mov_b32 s7, -1
	s_mov_b32 s6, 0
	s_mov_b32 s0, 0
	s_branch .LBB47_2544
.LBB47_2543:
	s_mov_b32 s0, -1
	s_mov_b32 s6, 0
.LBB47_2544:
                                        ; implicit-def: $vgpr12
.LBB47_2545:
	s_and_b32 vcc_lo, exec_lo, s7
	s_cbranch_vccz .LBB47_2549
; %bb.2546:
	s_cmp_eq_u32 s12, 44
	s_cbranch_scc0 .LBB47_2548
; %bb.2547:
	global_load_u8 v5, v[8:9], off
	s_mov_b32 s0, 0
	s_mov_b32 s6, -1
	s_wait_loadcnt 0x0
	v_lshlrev_b32_e32 v7, 23, v5
	v_cmp_ne_u32_e32 vcc_lo, 0, v5
	s_delay_alu instid0(VALU_DEP_2) | instskip(NEXT) | instid1(VALU_DEP_1)
	v_trunc_f32_e32 v7, v7
	v_mul_f32_e64 v11, 0x2f800000, |v7|
	s_delay_alu instid0(VALU_DEP_1) | instskip(NEXT) | instid1(VALU_DEP_1)
	v_floor_f32_e32 v11, v11
	v_fma_f32 v11, 0xcf800000, v11, |v7|
	v_ashrrev_i32_e32 v7, 31, v7
	s_delay_alu instid0(VALU_DEP_2) | instskip(NEXT) | instid1(VALU_DEP_1)
	v_cvt_u32_f32_e32 v11, v11
	v_xor_b32_e32 v11, v11, v7
	s_delay_alu instid0(VALU_DEP_1) | instskip(SKIP_1) | instid1(VALU_DEP_1)
	v_sub_nc_u32_e32 v7, v11, v7
	s_wait_xcnt 0x1
	v_cndmask_b32_e32 v12, 0, v7, vcc_lo
	s_branch .LBB47_2549
.LBB47_2548:
	s_mov_b32 s0, -1
                                        ; implicit-def: $vgpr12
.LBB47_2549:
	s_mov_b32 s7, 0
.LBB47_2550:
	s_delay_alu instid0(SALU_CYCLE_1)
	s_and_b32 vcc_lo, exec_lo, s7
	s_cbranch_vccz .LBB47_2554
; %bb.2551:
	s_cmp_eq_u32 s12, 29
	s_cbranch_scc0 .LBB47_2553
; %bb.2552:
	global_load_b64 v[12:13], v[8:9], off
	s_mov_b32 s0, 0
	s_mov_b32 s6, -1
	s_branch .LBB47_2554
.LBB47_2553:
	s_mov_b32 s0, -1
                                        ; implicit-def: $vgpr12
.LBB47_2554:
	s_mov_b32 s7, 0
.LBB47_2555:
	s_delay_alu instid0(SALU_CYCLE_1)
	s_and_b32 vcc_lo, exec_lo, s7
	s_cbranch_vccz .LBB47_2571
; %bb.2556:
	s_cmp_lt_i32 s12, 27
	s_cbranch_scc1 .LBB47_2559
; %bb.2557:
	s_cmp_gt_i32 s12, 27
	s_cbranch_scc0 .LBB47_2560
; %bb.2558:
	s_wait_loadcnt 0x0
	global_load_b32 v12, v[8:9], off
	s_mov_b32 s6, 0
	s_branch .LBB47_2561
.LBB47_2559:
	s_mov_b32 s6, -1
                                        ; implicit-def: $vgpr12
	s_branch .LBB47_2564
.LBB47_2560:
	s_mov_b32 s6, -1
                                        ; implicit-def: $vgpr12
.LBB47_2561:
	s_delay_alu instid0(SALU_CYCLE_1)
	s_and_not1_b32 vcc_lo, exec_lo, s6
	s_cbranch_vccnz .LBB47_2563
; %bb.2562:
	s_wait_loadcnt 0x0
	global_load_u16 v12, v[8:9], off
.LBB47_2563:
	s_mov_b32 s6, 0
.LBB47_2564:
	s_delay_alu instid0(SALU_CYCLE_1)
	s_and_not1_b32 vcc_lo, exec_lo, s6
	s_cbranch_vccnz .LBB47_2570
; %bb.2565:
	global_load_u8 v5, v[8:9], off
	s_mov_b32 s7, 0
	s_mov_b32 s6, exec_lo
	s_wait_loadcnt 0x0
	v_cmpx_lt_i16_e32 0x7f, v5
	s_xor_b32 s6, exec_lo, s6
	s_cbranch_execz .LBB47_2582
; %bb.2566:
	v_cmp_ne_u16_e32 vcc_lo, 0x80, v5
	s_and_b32 s7, vcc_lo, exec_lo
	s_and_not1_saveexec_b32 s6, s6
	s_cbranch_execnz .LBB47_2583
.LBB47_2567:
	s_or_b32 exec_lo, exec_lo, s6
	v_mov_b32_e32 v12, 0
	s_and_saveexec_b32 s6, s7
	s_cbranch_execz .LBB47_2569
.LBB47_2568:
	v_and_b32_e32 v7, 0xffff, v5
	s_delay_alu instid0(VALU_DEP_1) | instskip(SKIP_1) | instid1(VALU_DEP_2)
	v_and_b32_e32 v11, 7, v7
	v_bfe_u32 v14, v7, 3, 4
	v_clz_i32_u32_e32 v12, v11
	s_delay_alu instid0(VALU_DEP_2) | instskip(NEXT) | instid1(VALU_DEP_2)
	v_cmp_eq_u32_e32 vcc_lo, 0, v14
	v_min_u32_e32 v12, 32, v12
	s_delay_alu instid0(VALU_DEP_1) | instskip(NEXT) | instid1(VALU_DEP_1)
	v_subrev_nc_u32_e32 v13, 28, v12
	v_dual_lshlrev_b32 v7, v13, v7 :: v_dual_sub_nc_u32 v12, 29, v12
	s_delay_alu instid0(VALU_DEP_1) | instskip(NEXT) | instid1(VALU_DEP_1)
	v_dual_lshlrev_b32 v5, 24, v5 :: v_dual_bitop2_b32 v7, 7, v7 bitop3:0x40
	v_dual_cndmask_b32 v12, v14, v12 :: v_dual_cndmask_b32 v7, v11, v7
	s_delay_alu instid0(VALU_DEP_2) | instskip(NEXT) | instid1(VALU_DEP_2)
	v_and_b32_e32 v5, 0x80000000, v5
	v_lshl_add_u32 v11, v12, 23, 0x3b800000
	s_delay_alu instid0(VALU_DEP_3) | instskip(NEXT) | instid1(VALU_DEP_1)
	v_lshlrev_b32_e32 v7, 20, v7
	v_or3_b32 v5, v5, v11, v7
	s_delay_alu instid0(VALU_DEP_1) | instskip(NEXT) | instid1(VALU_DEP_1)
	v_trunc_f32_e32 v5, v5
	v_mul_f32_e64 v7, 0x2f800000, |v5|
	s_delay_alu instid0(VALU_DEP_1) | instskip(NEXT) | instid1(VALU_DEP_1)
	v_floor_f32_e32 v7, v7
	v_fma_f32 v7, 0xcf800000, v7, |v5|
	v_ashrrev_i32_e32 v5, 31, v5
	s_delay_alu instid0(VALU_DEP_2) | instskip(NEXT) | instid1(VALU_DEP_1)
	v_cvt_u32_f32_e32 v7, v7
	v_xor_b32_e32 v7, v7, v5
	s_delay_alu instid0(VALU_DEP_1)
	v_sub_nc_u32_e32 v12, v7, v5
.LBB47_2569:
	s_or_b32 exec_lo, exec_lo, s6
.LBB47_2570:
	s_mov_b32 s6, -1
.LBB47_2571:
	s_mov_b32 s7, 0
.LBB47_2572:
	s_delay_alu instid0(SALU_CYCLE_1)
	s_and_b32 vcc_lo, exec_lo, s7
	s_cbranch_vccz .LBB47_2603
; %bb.2573:
	s_cmp_gt_i32 s12, 22
	s_cbranch_scc0 .LBB47_2581
; %bb.2574:
	s_cmp_lt_i32 s12, 24
	s_cbranch_scc1 .LBB47_2584
; %bb.2575:
	s_cmp_gt_i32 s12, 24
	s_cbranch_scc0 .LBB47_2585
; %bb.2576:
	global_load_u8 v5, v[8:9], off
	s_mov_b32 s6, 0
	s_mov_b32 s1, exec_lo
	s_wait_loadcnt 0x0
	v_cmpx_lt_i16_e32 0x7f, v5
	s_xor_b32 s1, exec_lo, s1
	s_cbranch_execz .LBB47_2597
; %bb.2577:
	v_cmp_ne_u16_e32 vcc_lo, 0x80, v5
	s_and_b32 s6, vcc_lo, exec_lo
	s_and_not1_saveexec_b32 s1, s1
	s_cbranch_execnz .LBB47_2598
.LBB47_2578:
	s_or_b32 exec_lo, exec_lo, s1
	v_mov_b32_e32 v12, 0
	s_and_saveexec_b32 s1, s6
	s_cbranch_execz .LBB47_2580
.LBB47_2579:
	v_and_b32_e32 v7, 0xffff, v5
	s_delay_alu instid0(VALU_DEP_1) | instskip(SKIP_1) | instid1(VALU_DEP_2)
	v_and_b32_e32 v11, 3, v7
	v_bfe_u32 v14, v7, 2, 5
	v_clz_i32_u32_e32 v12, v11
	s_delay_alu instid0(VALU_DEP_2) | instskip(NEXT) | instid1(VALU_DEP_2)
	v_cmp_eq_u32_e32 vcc_lo, 0, v14
	v_min_u32_e32 v12, 32, v12
	s_delay_alu instid0(VALU_DEP_1) | instskip(NEXT) | instid1(VALU_DEP_1)
	v_subrev_nc_u32_e32 v13, 29, v12
	v_dual_lshlrev_b32 v7, v13, v7 :: v_dual_sub_nc_u32 v12, 30, v12
	s_delay_alu instid0(VALU_DEP_1) | instskip(NEXT) | instid1(VALU_DEP_1)
	v_dual_lshlrev_b32 v5, 24, v5 :: v_dual_bitop2_b32 v7, 3, v7 bitop3:0x40
	v_dual_cndmask_b32 v12, v14, v12 :: v_dual_cndmask_b32 v7, v11, v7
	s_delay_alu instid0(VALU_DEP_2) | instskip(NEXT) | instid1(VALU_DEP_2)
	v_and_b32_e32 v5, 0x80000000, v5
	v_lshl_add_u32 v11, v12, 23, 0x37800000
	s_delay_alu instid0(VALU_DEP_3) | instskip(NEXT) | instid1(VALU_DEP_1)
	v_lshlrev_b32_e32 v7, 21, v7
	v_or3_b32 v5, v5, v11, v7
	s_delay_alu instid0(VALU_DEP_1) | instskip(NEXT) | instid1(VALU_DEP_1)
	v_trunc_f32_e32 v5, v5
	v_mul_f32_e64 v7, 0x2f800000, |v5|
	s_delay_alu instid0(VALU_DEP_1) | instskip(NEXT) | instid1(VALU_DEP_1)
	v_floor_f32_e32 v7, v7
	v_fma_f32 v7, 0xcf800000, v7, |v5|
	v_ashrrev_i32_e32 v5, 31, v5
	s_delay_alu instid0(VALU_DEP_2) | instskip(NEXT) | instid1(VALU_DEP_1)
	v_cvt_u32_f32_e32 v7, v7
	v_xor_b32_e32 v7, v7, v5
	s_delay_alu instid0(VALU_DEP_1)
	v_sub_nc_u32_e32 v12, v7, v5
.LBB47_2580:
	s_or_b32 exec_lo, exec_lo, s1
	s_mov_b32 s1, 0
	s_branch .LBB47_2586
.LBB47_2581:
	s_mov_b32 s1, -1
                                        ; implicit-def: $vgpr12
	s_branch .LBB47_2592
.LBB47_2582:
	s_and_not1_saveexec_b32 s6, s6
	s_cbranch_execz .LBB47_2567
.LBB47_2583:
	v_cmp_ne_u16_e32 vcc_lo, 0, v5
	s_and_not1_b32 s7, s7, exec_lo
	s_and_b32 s11, vcc_lo, exec_lo
	s_delay_alu instid0(SALU_CYCLE_1)
	s_or_b32 s7, s7, s11
	s_or_b32 exec_lo, exec_lo, s6
	v_mov_b32_e32 v12, 0
	s_and_saveexec_b32 s6, s7
	s_cbranch_execnz .LBB47_2568
	s_branch .LBB47_2569
.LBB47_2584:
	s_mov_b32 s1, -1
                                        ; implicit-def: $vgpr12
	s_branch .LBB47_2589
.LBB47_2585:
	s_mov_b32 s1, -1
                                        ; implicit-def: $vgpr12
.LBB47_2586:
	s_delay_alu instid0(SALU_CYCLE_1)
	s_and_b32 vcc_lo, exec_lo, s1
	s_cbranch_vccz .LBB47_2588
; %bb.2587:
	global_load_u8 v5, v[8:9], off
	s_wait_loadcnt 0x0
	v_lshlrev_b32_e32 v5, 24, v5
	s_delay_alu instid0(VALU_DEP_1) | instskip(NEXT) | instid1(VALU_DEP_1)
	v_and_b32_e32 v7, 0x7f000000, v5
	v_clz_i32_u32_e32 v11, v7
	s_wait_xcnt 0x1
	v_add_nc_u32_e32 v13, 0x1000000, v7
	v_cmp_ne_u32_e32 vcc_lo, 0, v7
	s_delay_alu instid0(VALU_DEP_3) | instskip(NEXT) | instid1(VALU_DEP_1)
	v_min_u32_e32 v11, 32, v11
	v_sub_nc_u32_e64 v11, v11, 4 clamp
	s_delay_alu instid0(VALU_DEP_1) | instskip(NEXT) | instid1(VALU_DEP_1)
	v_lshlrev_b32_e32 v12, v11, v7
	v_dual_lshlrev_b32 v11, 23, v11 :: v_dual_lshrrev_b32 v12, 4, v12
	s_delay_alu instid0(VALU_DEP_1) | instskip(NEXT) | instid1(VALU_DEP_1)
	v_dual_sub_nc_u32 v11, v12, v11 :: v_dual_ashrrev_i32 v12, 8, v13
	v_add_nc_u32_e32 v11, 0x3c000000, v11
	s_delay_alu instid0(VALU_DEP_1) | instskip(NEXT) | instid1(VALU_DEP_1)
	v_and_or_b32 v11, 0x7f800000, v12, v11
	v_cndmask_b32_e32 v7, 0, v11, vcc_lo
	s_delay_alu instid0(VALU_DEP_1) | instskip(NEXT) | instid1(VALU_DEP_1)
	v_and_or_b32 v5, 0x80000000, v5, v7
	v_trunc_f32_e32 v5, v5
	s_delay_alu instid0(VALU_DEP_1) | instskip(NEXT) | instid1(VALU_DEP_1)
	v_mul_f32_e64 v7, 0x2f800000, |v5|
	v_floor_f32_e32 v7, v7
	s_delay_alu instid0(VALU_DEP_1) | instskip(SKIP_1) | instid1(VALU_DEP_2)
	v_fma_f32 v7, 0xcf800000, v7, |v5|
	v_ashrrev_i32_e32 v5, 31, v5
	v_cvt_u32_f32_e32 v7, v7
	s_delay_alu instid0(VALU_DEP_1) | instskip(NEXT) | instid1(VALU_DEP_1)
	v_xor_b32_e32 v7, v7, v5
	v_sub_nc_u32_e32 v12, v7, v5
.LBB47_2588:
	s_mov_b32 s1, 0
.LBB47_2589:
	s_delay_alu instid0(SALU_CYCLE_1)
	s_and_not1_b32 vcc_lo, exec_lo, s1
	s_cbranch_vccnz .LBB47_2591
; %bb.2590:
	global_load_u8 v5, v[8:9], off
	s_wait_loadcnt 0x0
	v_lshlrev_b32_e32 v7, 25, v5
	v_lshlrev_b16 v5, 8, v5
	s_wait_xcnt 0x1
	s_delay_alu instid0(VALU_DEP_1) | instskip(SKIP_1) | instid1(VALU_DEP_2)
	v_and_or_b32 v12, 0x7f00, v5, 0.5
	v_bfe_i32 v5, v5, 0, 16
	v_dual_add_f32 v12, -0.5, v12 :: v_dual_lshrrev_b32 v11, 4, v7
	v_cmp_gt_u32_e32 vcc_lo, 0x8000000, v7
	s_delay_alu instid0(VALU_DEP_2) | instskip(NEXT) | instid1(VALU_DEP_1)
	v_or_b32_e32 v11, 0x70000000, v11
	v_mul_f32_e32 v11, 0x7800000, v11
	s_delay_alu instid0(VALU_DEP_1) | instskip(NEXT) | instid1(VALU_DEP_1)
	v_cndmask_b32_e32 v7, v11, v12, vcc_lo
	v_and_or_b32 v5, 0x80000000, v5, v7
	s_delay_alu instid0(VALU_DEP_1) | instskip(NEXT) | instid1(VALU_DEP_1)
	v_trunc_f32_e32 v5, v5
	v_mul_f32_e64 v7, 0x2f800000, |v5|
	s_delay_alu instid0(VALU_DEP_1) | instskip(NEXT) | instid1(VALU_DEP_1)
	v_floor_f32_e32 v7, v7
	v_fma_f32 v7, 0xcf800000, v7, |v5|
	v_ashrrev_i32_e32 v5, 31, v5
	s_delay_alu instid0(VALU_DEP_2) | instskip(NEXT) | instid1(VALU_DEP_1)
	v_cvt_u32_f32_e32 v7, v7
	v_xor_b32_e32 v7, v7, v5
	s_delay_alu instid0(VALU_DEP_1)
	v_sub_nc_u32_e32 v12, v7, v5
.LBB47_2591:
	s_mov_b32 s1, 0
	s_mov_b32 s6, -1
.LBB47_2592:
	s_and_not1_b32 vcc_lo, exec_lo, s1
	s_mov_b32 s1, 0
	s_cbranch_vccnz .LBB47_2603
; %bb.2593:
	s_cmp_gt_i32 s12, 14
	s_cbranch_scc0 .LBB47_2596
; %bb.2594:
	s_cmp_eq_u32 s12, 15
	s_cbranch_scc0 .LBB47_2599
; %bb.2595:
	global_load_u16 v5, v[8:9], off
	s_mov_b32 s0, 0
	s_mov_b32 s6, -1
	s_wait_loadcnt 0x0
	v_lshlrev_b32_e32 v5, 16, v5
	s_delay_alu instid0(VALU_DEP_1) | instskip(NEXT) | instid1(VALU_DEP_1)
	v_trunc_f32_e32 v5, v5
	v_mul_f32_e64 v7, 0x2f800000, |v5|
	s_delay_alu instid0(VALU_DEP_1) | instskip(NEXT) | instid1(VALU_DEP_1)
	v_floor_f32_e32 v7, v7
	v_fma_f32 v7, 0xcf800000, v7, |v5|
	v_ashrrev_i32_e32 v5, 31, v5
	s_delay_alu instid0(VALU_DEP_2) | instskip(NEXT) | instid1(VALU_DEP_1)
	v_cvt_u32_f32_e32 v7, v7
	v_xor_b32_e32 v7, v7, v5
	s_wait_xcnt 0x1
	s_delay_alu instid0(VALU_DEP_1)
	v_sub_nc_u32_e32 v12, v7, v5
	s_branch .LBB47_2601
.LBB47_2596:
	s_mov_b32 s1, -1
	s_branch .LBB47_2600
.LBB47_2597:
	s_and_not1_saveexec_b32 s1, s1
	s_cbranch_execz .LBB47_2578
.LBB47_2598:
	v_cmp_ne_u16_e32 vcc_lo, 0, v5
	s_and_not1_b32 s6, s6, exec_lo
	s_and_b32 s7, vcc_lo, exec_lo
	s_delay_alu instid0(SALU_CYCLE_1)
	s_or_b32 s6, s6, s7
	s_or_b32 exec_lo, exec_lo, s1
	v_mov_b32_e32 v12, 0
	s_and_saveexec_b32 s1, s6
	s_cbranch_execnz .LBB47_2579
	s_branch .LBB47_2580
.LBB47_2599:
	s_mov_b32 s0, -1
.LBB47_2600:
                                        ; implicit-def: $vgpr12
.LBB47_2601:
	s_and_b32 vcc_lo, exec_lo, s1
	s_mov_b32 s1, 0
	s_cbranch_vccz .LBB47_2603
; %bb.2602:
	s_cmp_lg_u32 s12, 11
	s_mov_b32 s1, -1
	s_cselect_b32 s0, -1, 0
.LBB47_2603:
	s_delay_alu instid0(SALU_CYCLE_1)
	s_and_b32 vcc_lo, exec_lo, s0
	s_cbranch_vccnz .LBB47_3143
; %bb.2604:
	s_and_not1_b32 vcc_lo, exec_lo, s1
	s_cbranch_vccnz .LBB47_2606
.LBB47_2605:
	global_load_u8 v5, v[8:9], off
	s_mov_b32 s6, -1
	s_wait_loadcnt 0x0
	v_cmp_ne_u16_e32 vcc_lo, 0, v5
	s_wait_xcnt 0x1
	v_cndmask_b32_e64 v12, 0, 1, vcc_lo
.LBB47_2606:
	s_mov_b32 s0, 0
.LBB47_2607:
	s_delay_alu instid0(SALU_CYCLE_1)
	s_and_b32 vcc_lo, exec_lo, s0
	s_cbranch_vccz .LBB47_2656
; %bb.2608:
	s_cmp_lt_i32 s12, 5
	s_cbranch_scc1 .LBB47_2613
; %bb.2609:
	s_cmp_lt_i32 s12, 8
	s_cbranch_scc1 .LBB47_2614
	;; [unrolled: 3-line block ×3, first 2 shown]
; %bb.2611:
	s_cmp_gt_i32 s12, 9
	s_cbranch_scc0 .LBB47_2616
; %bb.2612:
	s_wait_loadcnt 0x0
	global_load_b64 v[12:13], v[8:9], off
	s_mov_b32 s0, 0
	s_wait_loadcnt 0x0
	v_trunc_f64_e32 v[12:13], v[12:13]
	s_delay_alu instid0(VALU_DEP_1) | instskip(NEXT) | instid1(VALU_DEP_1)
	v_ldexp_f64 v[16:17], v[12:13], 0xffffffe0
	v_floor_f64_e32 v[16:17], v[16:17]
	s_delay_alu instid0(VALU_DEP_1) | instskip(NEXT) | instid1(VALU_DEP_1)
	v_fmamk_f64 v[12:13], v[16:17], 0xc1f00000, v[12:13]
	v_cvt_u32_f64_e32 v12, v[12:13]
	s_branch .LBB47_2617
.LBB47_2613:
	s_mov_b32 s0, -1
                                        ; implicit-def: $vgpr12
	s_branch .LBB47_2635
.LBB47_2614:
	s_mov_b32 s0, -1
                                        ; implicit-def: $vgpr12
	s_branch .LBB47_2623
.LBB47_2615:
	s_mov_b32 s0, -1
                                        ; implicit-def: $vgpr12
	s_branch .LBB47_2620
.LBB47_2616:
	s_mov_b32 s0, -1
                                        ; implicit-def: $vgpr12
.LBB47_2617:
	s_delay_alu instid0(SALU_CYCLE_1)
	s_and_not1_b32 vcc_lo, exec_lo, s0
	s_cbranch_vccnz .LBB47_2619
; %bb.2618:
	global_load_b32 v5, v[8:9], off
	s_wait_loadcnt 0x0
	v_trunc_f32_e32 v5, v5
	s_delay_alu instid0(VALU_DEP_1) | instskip(NEXT) | instid1(VALU_DEP_1)
	v_mul_f32_e64 v7, 0x2f800000, |v5|
	v_floor_f32_e32 v7, v7
	s_delay_alu instid0(VALU_DEP_1) | instskip(SKIP_1) | instid1(VALU_DEP_2)
	v_fma_f32 v7, 0xcf800000, v7, |v5|
	v_ashrrev_i32_e32 v5, 31, v5
	v_cvt_u32_f32_e32 v7, v7
	s_delay_alu instid0(VALU_DEP_1) | instskip(SKIP_1) | instid1(VALU_DEP_1)
	v_xor_b32_e32 v7, v7, v5
	s_wait_xcnt 0x1
	v_sub_nc_u32_e32 v12, v7, v5
.LBB47_2619:
	s_mov_b32 s0, 0
.LBB47_2620:
	s_delay_alu instid0(SALU_CYCLE_1)
	s_and_not1_b32 vcc_lo, exec_lo, s0
	s_cbranch_vccnz .LBB47_2622
; %bb.2621:
	global_load_b32 v5, v[8:9], off
	s_wait_loadcnt 0x0
	v_cvt_f32_f16_e32 v5, v5
	s_wait_xcnt 0x1
	s_delay_alu instid0(VALU_DEP_1)
	v_cvt_i32_f32_e32 v12, v5
.LBB47_2622:
	s_mov_b32 s0, 0
.LBB47_2623:
	s_delay_alu instid0(SALU_CYCLE_1)
	s_and_not1_b32 vcc_lo, exec_lo, s0
	s_cbranch_vccnz .LBB47_2634
; %bb.2624:
	s_cmp_lt_i32 s12, 6
	s_cbranch_scc1 .LBB47_2627
; %bb.2625:
	s_cmp_gt_i32 s12, 6
	s_cbranch_scc0 .LBB47_2628
; %bb.2626:
	s_wait_loadcnt 0x0
	global_load_b64 v[12:13], v[8:9], off
	s_mov_b32 s0, 0
	s_wait_loadcnt 0x0
	v_trunc_f64_e32 v[12:13], v[12:13]
	s_delay_alu instid0(VALU_DEP_1) | instskip(NEXT) | instid1(VALU_DEP_1)
	v_ldexp_f64 v[16:17], v[12:13], 0xffffffe0
	v_floor_f64_e32 v[16:17], v[16:17]
	s_delay_alu instid0(VALU_DEP_1) | instskip(NEXT) | instid1(VALU_DEP_1)
	v_fmamk_f64 v[12:13], v[16:17], 0xc1f00000, v[12:13]
	v_cvt_u32_f64_e32 v12, v[12:13]
	s_branch .LBB47_2629
.LBB47_2627:
	s_mov_b32 s0, -1
                                        ; implicit-def: $vgpr12
	s_branch .LBB47_2632
.LBB47_2628:
	s_mov_b32 s0, -1
                                        ; implicit-def: $vgpr12
.LBB47_2629:
	s_delay_alu instid0(SALU_CYCLE_1)
	s_and_not1_b32 vcc_lo, exec_lo, s0
	s_cbranch_vccnz .LBB47_2631
; %bb.2630:
	global_load_b32 v5, v[8:9], off
	s_wait_loadcnt 0x0
	v_trunc_f32_e32 v5, v5
	s_delay_alu instid0(VALU_DEP_1) | instskip(NEXT) | instid1(VALU_DEP_1)
	v_mul_f32_e64 v7, 0x2f800000, |v5|
	v_floor_f32_e32 v7, v7
	s_delay_alu instid0(VALU_DEP_1) | instskip(SKIP_1) | instid1(VALU_DEP_2)
	v_fma_f32 v7, 0xcf800000, v7, |v5|
	v_ashrrev_i32_e32 v5, 31, v5
	v_cvt_u32_f32_e32 v7, v7
	s_delay_alu instid0(VALU_DEP_1) | instskip(SKIP_1) | instid1(VALU_DEP_1)
	v_xor_b32_e32 v7, v7, v5
	s_wait_xcnt 0x1
	v_sub_nc_u32_e32 v12, v7, v5
.LBB47_2631:
	s_mov_b32 s0, 0
.LBB47_2632:
	s_delay_alu instid0(SALU_CYCLE_1)
	s_and_not1_b32 vcc_lo, exec_lo, s0
	s_cbranch_vccnz .LBB47_2634
; %bb.2633:
	global_load_u16 v5, v[8:9], off
	s_wait_loadcnt 0x0
	v_cvt_f32_f16_e32 v5, v5
	s_wait_xcnt 0x1
	s_delay_alu instid0(VALU_DEP_1)
	v_cvt_i32_f32_e32 v12, v5
.LBB47_2634:
	s_mov_b32 s0, 0
.LBB47_2635:
	s_delay_alu instid0(SALU_CYCLE_1)
	s_and_not1_b32 vcc_lo, exec_lo, s0
	s_cbranch_vccnz .LBB47_2655
; %bb.2636:
	s_cmp_lt_i32 s12, 2
	s_cbranch_scc1 .LBB47_2640
; %bb.2637:
	s_cmp_lt_i32 s12, 3
	s_cbranch_scc1 .LBB47_2641
; %bb.2638:
	s_cmp_gt_i32 s12, 3
	s_cbranch_scc0 .LBB47_2642
; %bb.2639:
	s_wait_loadcnt 0x0
	global_load_b64 v[12:13], v[8:9], off
	s_mov_b32 s0, 0
	s_branch .LBB47_2643
.LBB47_2640:
	s_mov_b32 s0, -1
                                        ; implicit-def: $vgpr12
	s_branch .LBB47_2649
.LBB47_2641:
	s_mov_b32 s0, -1
                                        ; implicit-def: $vgpr12
	s_branch .LBB47_2646
.LBB47_2642:
	s_mov_b32 s0, -1
                                        ; implicit-def: $vgpr12
.LBB47_2643:
	s_delay_alu instid0(SALU_CYCLE_1)
	s_and_not1_b32 vcc_lo, exec_lo, s0
	s_cbranch_vccnz .LBB47_2645
; %bb.2644:
	s_wait_loadcnt 0x0
	global_load_b32 v12, v[8:9], off
.LBB47_2645:
	s_mov_b32 s0, 0
.LBB47_2646:
	s_delay_alu instid0(SALU_CYCLE_1)
	s_and_not1_b32 vcc_lo, exec_lo, s0
	s_cbranch_vccnz .LBB47_2648
; %bb.2647:
	s_wait_loadcnt 0x0
	global_load_u16 v12, v[8:9], off
.LBB47_2648:
	s_mov_b32 s0, 0
.LBB47_2649:
	s_delay_alu instid0(SALU_CYCLE_1)
	s_and_not1_b32 vcc_lo, exec_lo, s0
	s_cbranch_vccnz .LBB47_2655
; %bb.2650:
	s_cmp_gt_i32 s12, 0
	s_mov_b32 s0, 0
	s_cbranch_scc0 .LBB47_2652
; %bb.2651:
	s_wait_loadcnt 0x0
	global_load_u8 v12, v[8:9], off
	s_branch .LBB47_2653
.LBB47_2652:
	s_mov_b32 s0, -1
                                        ; implicit-def: $vgpr12
.LBB47_2653:
	s_delay_alu instid0(SALU_CYCLE_1)
	s_and_not1_b32 vcc_lo, exec_lo, s0
	s_cbranch_vccnz .LBB47_2655
; %bb.2654:
	s_wait_loadcnt 0x0
	global_load_u8 v12, v[8:9], off
.LBB47_2655:
	s_mov_b32 s6, -1
.LBB47_2656:
	s_delay_alu instid0(SALU_CYCLE_1)
	s_and_not1_b32 vcc_lo, exec_lo, s6
	s_cbranch_vccnz .LBB47_2741
; %bb.2657:
	s_wait_loadcnt 0x0
	s_delay_alu instid0(VALU_DEP_3) | instskip(SKIP_1) | instid1(VALU_DEP_1)
	v_and_b32_e32 v5, 0xff, v10
	s_mov_b32 s1, 0
	v_cmp_ne_u16_e32 vcc_lo, 0, v5
	s_delay_alu instid0(VALU_DEP_3)
	v_mov_b32_e32 v5, v12
	s_wait_xcnt 0x0
	s_and_saveexec_b32 s0, vcc_lo
	s_cbranch_execz .LBB47_2661
; %bb.2658:
	v_dual_mov_b32 v8, v10 :: v_dual_mov_b32 v7, v12
.LBB47_2659:                            ; =>This Inner Loop Header: Depth=1
	s_delay_alu instid0(VALU_DEP_1) | instskip(NEXT) | instid1(VALU_DEP_2)
	v_cvt_f32_ubyte0_e32 v11, v7
	v_mov_b32_e32 v5, v8
	s_delay_alu instid0(VALU_DEP_1) | instskip(NEXT) | instid1(VALU_DEP_1)
	v_cvt_f32_ubyte0_e32 v8, v5
	v_rcp_iflag_f32_e32 v9, v8
	v_nop
	s_delay_alu instid0(TRANS32_DEP_1) | instskip(NEXT) | instid1(VALU_DEP_1)
	v_mul_f32_e32 v9, v11, v9
	v_trunc_f32_e32 v9, v9
	s_delay_alu instid0(VALU_DEP_1) | instskip(SKIP_1) | instid1(VALU_DEP_2)
	v_fma_f32 v11, -v9, v8, v11
	v_cvt_u32_f32_e32 v9, v9
	v_cmp_ge_f32_e64 vcc_lo, |v11|, v8
	s_delay_alu instid0(VALU_DEP_1) | instskip(NEXT) | instid1(VALU_DEP_1)
	v_add_co_ci_u32_e64 v8, null, 0, v9, vcc_lo
	v_mul_lo_u32 v8, v8, v5
	s_delay_alu instid0(VALU_DEP_1) | instskip(NEXT) | instid1(VALU_DEP_1)
	v_sub_nc_u32_e32 v7, v7, v8
	v_and_b32_e32 v8, 0xff, v7
	v_mov_b32_e32 v7, v5
	s_delay_alu instid0(VALU_DEP_2) | instskip(SKIP_1) | instid1(SALU_CYCLE_1)
	v_cmp_eq_u16_e32 vcc_lo, 0, v8
	s_or_b32 s1, vcc_lo, s1
	s_and_not1_b32 exec_lo, exec_lo, s1
	s_cbranch_execnz .LBB47_2659
; %bb.2660:
	s_or_b32 exec_lo, exec_lo, s1
.LBB47_2661:
	s_delay_alu instid0(SALU_CYCLE_1) | instskip(SKIP_3) | instid1(VALU_DEP_2)
	s_or_b32 exec_lo, exec_lo, s0
	v_and_b32_e32 v7, 0xff, v5
	v_mov_b32_e32 v8, 0
	s_mov_b32 s0, exec_lo
	v_cmpx_ne_u16_e32 0, v7
	s_cbranch_execz .LBB47_2663
; %bb.2662:
	v_cvt_f32_ubyte0_e32 v5, v5
	v_cvt_f32_ubyte0_e32 v8, v10
	s_delay_alu instid0(VALU_DEP_2) | instskip(SKIP_1) | instid1(TRANS32_DEP_1)
	v_rcp_iflag_f32_e32 v7, v5
	v_nop
	v_mul_f32_e32 v7, v8, v7
	s_delay_alu instid0(VALU_DEP_1) | instskip(NEXT) | instid1(VALU_DEP_1)
	v_trunc_f32_e32 v7, v7
	v_fma_f32 v8, -v7, v5, v8
	v_cvt_u32_f32_e32 v7, v7
	s_delay_alu instid0(VALU_DEP_2) | instskip(NEXT) | instid1(VALU_DEP_1)
	v_cmp_ge_f32_e64 vcc_lo, |v8|, v5
	v_add_co_ci_u32_e64 v5, null, 0, v7, vcc_lo
	s_delay_alu instid0(VALU_DEP_1)
	v_mul_lo_u16 v8, v5, v12
.LBB47_2663:
	s_or_b32 exec_lo, exec_lo, s0
	v_mov_b32_e32 v7, 0
	global_load_u8 v5, v7, s[2:3] offset:417
	s_wait_xcnt 0x0
	v_add_nc_u64_e32 v[6:7], s[4:5], v[6:7]
	s_wait_loadcnt 0x0
	v_and_b32_e32 v9, 0xffff, v5
	v_readfirstlane_b32 s1, v5
	s_delay_alu instid0(VALU_DEP_2)
	v_cmp_gt_i32_e32 vcc_lo, 11, v9
	s_cbranch_vccnz .LBB47_2786
; %bb.2664:
	s_and_b32 s2, 0xffff, s1
	s_mov_b32 s7, -1
	s_mov_b32 s3, 0
	s_cmp_gt_i32 s2, 25
	s_mov_b32 s6, 0
	s_mov_b32 s0, 0
	s_cbranch_scc0 .LBB47_2697
; %bb.2665:
	s_cmp_gt_i32 s2, 28
	s_cbranch_scc0 .LBB47_2680
; %bb.2666:
	s_cmp_gt_i32 s2, 43
	;; [unrolled: 3-line block ×3, first 2 shown]
	s_cbranch_scc0 .LBB47_2670
; %bb.2668:
	s_mov_b32 s0, -1
	s_mov_b32 s7, 0
	s_cmp_eq_u32 s2, 46
	s_cbranch_scc0 .LBB47_2670
; %bb.2669:
	v_cvt_f32_ubyte0_e32 v5, v1
	s_mov_b32 s0, 0
	s_mov_b32 s6, -1
	s_delay_alu instid0(VALU_DEP_1) | instskip(NEXT) | instid1(VALU_DEP_1)
	v_bfe_u32 v9, v5, 16, 1
	v_add3_u32 v5, v5, v9, 0x7fff
	s_delay_alu instid0(VALU_DEP_1)
	v_lshrrev_b32_e32 v5, 16, v5
	global_store_b32 v[6:7], v5, off
.LBB47_2670:
	s_and_b32 vcc_lo, exec_lo, s7
	s_cbranch_vccz .LBB47_2675
; %bb.2671:
	s_cmp_eq_u32 s2, 44
	s_mov_b32 s0, -1
	s_cbranch_scc0 .LBB47_2675
; %bb.2672:
	v_cvt_f32_ubyte0_e32 v10, v1
	v_mov_b32_e32 v9, 0xff
	s_mov_b32 s6, exec_lo
	s_wait_xcnt 0x0
	s_delay_alu instid0(VALU_DEP_2) | instskip(NEXT) | instid1(VALU_DEP_1)
	v_lshrrev_b32_e32 v5, 23, v10
	v_cmpx_ne_u32_e32 0xff, v5
; %bb.2673:
	v_and_b32_e32 v9, 0x400000, v10
	v_and_or_b32 v10, 0x3fffff, v10, v5
	s_delay_alu instid0(VALU_DEP_2) | instskip(NEXT) | instid1(VALU_DEP_2)
	v_cmp_ne_u32_e32 vcc_lo, 0, v9
	v_cmp_ne_u32_e64 s0, 0, v10
	s_and_b32 s0, vcc_lo, s0
	s_delay_alu instid0(SALU_CYCLE_1) | instskip(NEXT) | instid1(VALU_DEP_1)
	v_cndmask_b32_e64 v9, 0, 1, s0
	v_add_nc_u32_e32 v9, v5, v9
; %bb.2674:
	s_or_b32 exec_lo, exec_lo, s6
	s_mov_b32 s0, 0
	s_mov_b32 s6, -1
	global_store_b8 v[6:7], v9, off
.LBB47_2675:
	s_mov_b32 s7, 0
.LBB47_2676:
	s_delay_alu instid0(SALU_CYCLE_1)
	s_and_b32 vcc_lo, exec_lo, s7
	s_cbranch_vccz .LBB47_2679
; %bb.2677:
	s_cmp_eq_u32 s2, 29
	s_mov_b32 s0, -1
	s_cbranch_scc0 .LBB47_2679
; %bb.2678:
	v_and_b32_e32 v10, 0xff, v1
	v_mov_b32_e32 v11, 0
	s_mov_b32 s0, 0
	s_mov_b32 s6, -1
	global_store_b64 v[6:7], v[10:11], off
.LBB47_2679:
	s_mov_b32 s7, 0
.LBB47_2680:
	s_delay_alu instid0(SALU_CYCLE_1)
	s_and_b32 vcc_lo, exec_lo, s7
	s_cbranch_vccz .LBB47_2696
; %bb.2681:
	s_cmp_lt_i32 s2, 27
	s_mov_b32 s6, -1
	s_cbranch_scc1 .LBB47_2687
; %bb.2682:
	s_cmp_gt_i32 s2, 27
	s_cbranch_scc0 .LBB47_2684
; %bb.2683:
	s_wait_xcnt 0x0
	v_and_b32_e32 v5, 0xff, v1
	s_mov_b32 s6, 0
	global_store_b32 v[6:7], v5, off
.LBB47_2684:
	s_and_not1_b32 vcc_lo, exec_lo, s6
	s_cbranch_vccnz .LBB47_2686
; %bb.2685:
	s_wait_xcnt 0x0
	v_and_b32_e32 v5, 0xff, v1
	global_store_b16 v[6:7], v5, off
.LBB47_2686:
	s_mov_b32 s6, 0
.LBB47_2687:
	s_delay_alu instid0(SALU_CYCLE_1)
	s_and_not1_b32 vcc_lo, exec_lo, s6
	s_cbranch_vccnz .LBB47_2695
; %bb.2688:
	s_wait_xcnt 0x0
	v_cvt_f32_ubyte0_e32 v9, v1
	v_mov_b32_e32 v10, 0x80
	s_mov_b32 s6, exec_lo
	s_delay_alu instid0(VALU_DEP_2)
	v_cmpx_gt_u32_e32 0x43800000, v9
	s_cbranch_execz .LBB47_2694
; %bb.2689:
	s_mov_b32 s7, 0
	s_mov_b32 s11, exec_lo
                                        ; implicit-def: $vgpr5
	v_cmpx_lt_u32_e32 0x3bffffff, v9
	s_xor_b32 s11, exec_lo, s11
	s_cbranch_execz .LBB47_3144
; %bb.2690:
	v_bfe_u32 v5, v9, 20, 1
	s_mov_b32 s7, exec_lo
	s_delay_alu instid0(VALU_DEP_1) | instskip(NEXT) | instid1(VALU_DEP_1)
	v_add3_u32 v5, v9, v5, 0x487ffff
                                        ; implicit-def: $vgpr9
	v_lshrrev_b32_e32 v5, 20, v5
	s_and_not1_saveexec_b32 s11, s11
	s_cbranch_execnz .LBB47_3145
.LBB47_2691:
	s_or_b32 exec_lo, exec_lo, s11
	v_mov_b32_e32 v10, 0
	s_and_saveexec_b32 s11, s7
.LBB47_2692:
	v_mov_b32_e32 v10, v5
.LBB47_2693:
	s_or_b32 exec_lo, exec_lo, s11
.LBB47_2694:
	s_delay_alu instid0(SALU_CYCLE_1)
	s_or_b32 exec_lo, exec_lo, s6
	global_store_b8 v[6:7], v10, off
.LBB47_2695:
	s_mov_b32 s6, -1
.LBB47_2696:
	s_mov_b32 s7, 0
.LBB47_2697:
	s_delay_alu instid0(SALU_CYCLE_1)
	s_and_b32 vcc_lo, exec_lo, s7
	s_cbranch_vccz .LBB47_2737
; %bb.2698:
	s_cmp_gt_i32 s2, 22
	s_mov_b32 s3, -1
	s_cbranch_scc0 .LBB47_2730
; %bb.2699:
	s_cmp_lt_i32 s2, 24
	s_cbranch_scc1 .LBB47_2719
; %bb.2700:
	s_cmp_gt_i32 s2, 24
	s_cbranch_scc0 .LBB47_2708
; %bb.2701:
	s_wait_xcnt 0x0
	v_cvt_f32_ubyte0_e32 v9, v1
	v_mov_b32_e32 v10, 0x80
	s_mov_b32 s3, exec_lo
	s_delay_alu instid0(VALU_DEP_2)
	v_cmpx_gt_u32_e32 0x47800000, v9
	s_cbranch_execz .LBB47_2707
; %bb.2702:
	s_mov_b32 s6, 0
	s_mov_b32 s7, exec_lo
                                        ; implicit-def: $vgpr5
	v_cmpx_lt_u32_e32 0x37ffffff, v9
	s_xor_b32 s7, exec_lo, s7
	s_cbranch_execz .LBB47_3147
; %bb.2703:
	v_bfe_u32 v5, v9, 21, 1
	s_mov_b32 s6, exec_lo
	s_delay_alu instid0(VALU_DEP_1) | instskip(NEXT) | instid1(VALU_DEP_1)
	v_add3_u32 v5, v9, v5, 0x88fffff
                                        ; implicit-def: $vgpr9
	v_lshrrev_b32_e32 v5, 21, v5
	s_and_not1_saveexec_b32 s7, s7
	s_cbranch_execnz .LBB47_3148
.LBB47_2704:
	s_or_b32 exec_lo, exec_lo, s7
	v_mov_b32_e32 v10, 0
	s_and_saveexec_b32 s7, s6
.LBB47_2705:
	v_mov_b32_e32 v10, v5
.LBB47_2706:
	s_or_b32 exec_lo, exec_lo, s7
.LBB47_2707:
	s_delay_alu instid0(SALU_CYCLE_1)
	s_or_b32 exec_lo, exec_lo, s3
	s_mov_b32 s3, 0
	global_store_b8 v[6:7], v10, off
.LBB47_2708:
	s_and_b32 vcc_lo, exec_lo, s3
	s_cbranch_vccz .LBB47_2718
; %bb.2709:
	s_wait_xcnt 0x0
	v_cvt_f32_ubyte0_e32 v9, v1
	s_mov_b32 s3, exec_lo
                                        ; implicit-def: $vgpr5
	s_delay_alu instid0(VALU_DEP_1)
	v_cmpx_gt_u32_e32 0x43f00000, v9
	s_xor_b32 s3, exec_lo, s3
	s_cbranch_execz .LBB47_2715
; %bb.2710:
	s_mov_b32 s6, exec_lo
                                        ; implicit-def: $vgpr5
	v_cmpx_lt_u32_e32 0x3c7fffff, v9
	s_xor_b32 s6, exec_lo, s6
; %bb.2711:
	v_bfe_u32 v5, v9, 20, 1
	s_delay_alu instid0(VALU_DEP_1) | instskip(NEXT) | instid1(VALU_DEP_1)
	v_add3_u32 v5, v9, v5, 0x407ffff
	v_and_b32_e32 v9, 0xff00000, v5
	v_lshrrev_b32_e32 v5, 20, v5
	s_delay_alu instid0(VALU_DEP_2) | instskip(NEXT) | instid1(VALU_DEP_2)
	v_cmp_ne_u32_e32 vcc_lo, 0x7f00000, v9
                                        ; implicit-def: $vgpr9
	v_cndmask_b32_e32 v5, 0x7e, v5, vcc_lo
; %bb.2712:
	s_and_not1_saveexec_b32 s6, s6
; %bb.2713:
	v_add_f32_e32 v5, 0x46800000, v9
; %bb.2714:
	s_or_b32 exec_lo, exec_lo, s6
                                        ; implicit-def: $vgpr9
.LBB47_2715:
	s_and_not1_saveexec_b32 s3, s3
; %bb.2716:
	v_mov_b32_e32 v5, 0x7f
	v_cmp_lt_u32_e32 vcc_lo, 0x7f800000, v9
	s_delay_alu instid0(VALU_DEP_2)
	v_cndmask_b32_e32 v5, 0x7e, v5, vcc_lo
; %bb.2717:
	s_or_b32 exec_lo, exec_lo, s3
	global_store_b8 v[6:7], v5, off
.LBB47_2718:
	s_mov_b32 s3, 0
.LBB47_2719:
	s_delay_alu instid0(SALU_CYCLE_1)
	s_and_not1_b32 vcc_lo, exec_lo, s3
	s_cbranch_vccnz .LBB47_2729
; %bb.2720:
	s_wait_xcnt 0x0
	v_cvt_f32_ubyte0_e32 v9, v1
	s_mov_b32 s3, exec_lo
                                        ; implicit-def: $vgpr5
	s_delay_alu instid0(VALU_DEP_1)
	v_cmpx_gt_u32_e32 0x47800000, v9
	s_xor_b32 s3, exec_lo, s3
	s_cbranch_execz .LBB47_2726
; %bb.2721:
	s_mov_b32 s6, exec_lo
                                        ; implicit-def: $vgpr5
	v_cmpx_lt_u32_e32 0x387fffff, v9
	s_xor_b32 s6, exec_lo, s6
; %bb.2722:
	v_bfe_u32 v5, v9, 21, 1
	s_delay_alu instid0(VALU_DEP_1) | instskip(NEXT) | instid1(VALU_DEP_1)
	v_add3_u32 v5, v9, v5, 0x80fffff
                                        ; implicit-def: $vgpr9
	v_lshrrev_b32_e32 v5, 21, v5
; %bb.2723:
	s_and_not1_saveexec_b32 s6, s6
; %bb.2724:
	v_add_f32_e32 v5, 0x43000000, v9
; %bb.2725:
	s_or_b32 exec_lo, exec_lo, s6
                                        ; implicit-def: $vgpr9
.LBB47_2726:
	s_and_not1_saveexec_b32 s3, s3
; %bb.2727:
	v_mov_b32_e32 v5, 0x7f
	v_cmp_lt_u32_e32 vcc_lo, 0x7f800000, v9
	s_delay_alu instid0(VALU_DEP_2)
	v_cndmask_b32_e32 v5, 0x7c, v5, vcc_lo
; %bb.2728:
	s_or_b32 exec_lo, exec_lo, s3
	global_store_b8 v[6:7], v5, off
.LBB47_2729:
	s_mov_b32 s3, 0
	s_mov_b32 s6, -1
.LBB47_2730:
	s_and_not1_b32 vcc_lo, exec_lo, s3
	s_mov_b32 s3, 0
	s_cbranch_vccnz .LBB47_2737
; %bb.2731:
	s_cmp_gt_i32 s2, 14
	s_mov_b32 s3, -1
	s_cbranch_scc0 .LBB47_2735
; %bb.2732:
	s_cmp_eq_u32 s2, 15
	s_mov_b32 s0, -1
	s_cbranch_scc0 .LBB47_2734
; %bb.2733:
	s_wait_xcnt 0x0
	v_cvt_f32_ubyte0_e32 v5, v1
	s_mov_b32 s0, 0
	s_mov_b32 s6, -1
	s_delay_alu instid0(VALU_DEP_1) | instskip(NEXT) | instid1(VALU_DEP_1)
	v_bfe_u32 v9, v5, 16, 1
	v_add3_u32 v5, v5, v9, 0x7fff
	global_store_d16_hi_b16 v[6:7], v5, off
.LBB47_2734:
	s_mov_b32 s3, 0
.LBB47_2735:
	s_delay_alu instid0(SALU_CYCLE_1)
	s_and_b32 vcc_lo, exec_lo, s3
	s_mov_b32 s3, 0
	s_cbranch_vccz .LBB47_2737
; %bb.2736:
	s_cmp_lg_u32 s2, 11
	s_mov_b32 s3, -1
	s_cselect_b32 s0, -1, 0
.LBB47_2737:
	s_delay_alu instid0(SALU_CYCLE_1)
	s_and_b32 vcc_lo, exec_lo, s0
	s_cbranch_vccnz .LBB47_3146
; %bb.2738:
	s_and_not1_b32 vcc_lo, exec_lo, s3
	s_cbranch_vccnz .LBB47_2740
.LBB47_2739:
	s_wait_xcnt 0x0
	v_and_b32_e32 v5, 0xff, v1
	s_mov_b32 s6, -1
	s_delay_alu instid0(VALU_DEP_1)
	v_cmp_ne_u16_e32 vcc_lo, 0, v5
	v_cndmask_b32_e64 v5, 0, 1, vcc_lo
	global_store_b8 v[6:7], v5, off
.LBB47_2740:
	s_mov_b32 s0, 0
	s_branch .LBB47_2787
.LBB47_2741:
	s_mov_b32 s0, 0
	s_wait_xcnt 0x0
	s_mov_b32 s3, 0
                                        ; implicit-def: $vgpr2_vgpr3
                                        ; implicit-def: $sgpr1
                                        ; implicit-def: $vgpr8
.LBB47_2742:
	s_and_not1_b32 s2, s8, exec_lo
	s_and_b32 s4, s10, exec_lo
	s_and_b32 s0, s0, exec_lo
	;; [unrolled: 1-line block ×3, first 2 shown]
	s_or_b32 s8, s2, s4
.LBB47_2743:
	s_wait_xcnt 0x0
	s_or_b32 exec_lo, exec_lo, s9
	s_and_saveexec_b32 s2, s8
	s_cbranch_execz .LBB47_2746
; %bb.2744:
	; divergent unreachable
	s_or_b32 exec_lo, exec_lo, s2
	s_and_saveexec_b32 s2, s28
	s_delay_alu instid0(SALU_CYCLE_1)
	s_xor_b32 s2, exec_lo, s2
	s_cbranch_execnz .LBB47_2747
.LBB47_2745:
	s_or_b32 exec_lo, exec_lo, s2
	s_and_saveexec_b32 s2, s0
	s_cbranch_execnz .LBB47_2748
	s_branch .LBB47_2785
.LBB47_2746:
	s_or_b32 exec_lo, exec_lo, s2
	s_and_saveexec_b32 s2, s28
	s_delay_alu instid0(SALU_CYCLE_1)
	s_xor_b32 s2, exec_lo, s2
	s_cbranch_execz .LBB47_2745
.LBB47_2747:
	s_wait_loadcnt 0x0
	v_and_b32_e32 v0, 0xff, v8
	s_delay_alu instid0(VALU_DEP_1)
	v_cmp_ne_u16_e32 vcc_lo, 0, v0
	v_cndmask_b32_e64 v0, 0, 1, vcc_lo
	global_store_b8 v[2:3], v0, off
	s_wait_xcnt 0x0
	s_or_b32 exec_lo, exec_lo, s2
	s_and_saveexec_b32 s2, s0
	s_cbranch_execz .LBB47_2785
.LBB47_2748:
	s_sext_i32_i16 s2, s1
	s_mov_b32 s0, -1
	s_cmp_lt_i32 s2, 5
	s_cbranch_scc1 .LBB47_2769
; %bb.2749:
	s_cmp_lt_i32 s2, 8
	s_cbranch_scc1 .LBB47_2759
; %bb.2750:
	;; [unrolled: 3-line block ×3, first 2 shown]
	s_cmp_gt_i32 s2, 9
	s_cbranch_scc0 .LBB47_2753
; %bb.2752:
	s_wait_loadcnt 0x0
	v_and_b32_e32 v0, 0xff, v8
	v_mov_b32_e32 v6, 0
	s_mov_b32 s0, 0
	s_delay_alu instid0(VALU_DEP_2) | instskip(NEXT) | instid1(VALU_DEP_2)
	v_and_b32_e32 v0, 0xffff, v0
	v_mov_b32_e32 v7, v6
	s_delay_alu instid0(VALU_DEP_2)
	v_cvt_f64_u32_e32 v[4:5], v0
	global_store_b128 v[2:3], v[4:7], off
.LBB47_2753:
	s_and_not1_b32 vcc_lo, exec_lo, s0
	s_cbranch_vccnz .LBB47_2755
; %bb.2754:
	s_wait_loadcnt 0x0
	v_cvt_f32_ubyte0_e32 v0, v8
	v_mov_b32_e32 v1, 0
	global_store_b64 v[2:3], v[0:1], off
.LBB47_2755:
	s_mov_b32 s0, 0
.LBB47_2756:
	s_delay_alu instid0(SALU_CYCLE_1)
	s_and_not1_b32 vcc_lo, exec_lo, s0
	s_cbranch_vccnz .LBB47_2758
; %bb.2757:
	s_wait_loadcnt 0x0
	v_and_b32_e32 v0, 0xff, v8
	s_delay_alu instid0(VALU_DEP_1) | instskip(NEXT) | instid1(VALU_DEP_1)
	v_cvt_f16_u16_e32 v0, v0
	v_and_b32_e32 v0, 0xffff, v0
	global_store_b32 v[2:3], v0, off
.LBB47_2758:
	s_mov_b32 s0, 0
.LBB47_2759:
	s_delay_alu instid0(SALU_CYCLE_1)
	s_and_not1_b32 vcc_lo, exec_lo, s0
	s_cbranch_vccnz .LBB47_2768
; %bb.2760:
	s_sext_i32_i16 s2, s1
	s_mov_b32 s0, -1
	s_cmp_lt_i32 s2, 6
	s_cbranch_scc1 .LBB47_2766
; %bb.2761:
	s_cmp_gt_i32 s2, 6
	s_cbranch_scc0 .LBB47_2763
; %bb.2762:
	s_wait_loadcnt 0x0
	v_and_b32_e32 v0, 0xff, v8
	s_mov_b32 s0, 0
	s_delay_alu instid0(VALU_DEP_1) | instskip(NEXT) | instid1(VALU_DEP_1)
	v_and_b32_e32 v0, 0xffff, v0
	v_cvt_f64_u32_e32 v[0:1], v0
	global_store_b64 v[2:3], v[0:1], off
.LBB47_2763:
	s_and_not1_b32 vcc_lo, exec_lo, s0
	s_cbranch_vccnz .LBB47_2765
; %bb.2764:
	s_wait_loadcnt 0x0
	v_cvt_f32_ubyte0_e32 v0, v8
	global_store_b32 v[2:3], v0, off
.LBB47_2765:
	s_mov_b32 s0, 0
.LBB47_2766:
	s_delay_alu instid0(SALU_CYCLE_1)
	s_and_not1_b32 vcc_lo, exec_lo, s0
	s_cbranch_vccnz .LBB47_2768
; %bb.2767:
	s_wait_loadcnt 0x0
	v_and_b32_e32 v0, 0xff, v8
	s_delay_alu instid0(VALU_DEP_1)
	v_cvt_f16_u16_e32 v0, v0
	global_store_b16 v[2:3], v0, off
.LBB47_2768:
	s_mov_b32 s0, 0
.LBB47_2769:
	s_delay_alu instid0(SALU_CYCLE_1)
	s_and_not1_b32 vcc_lo, exec_lo, s0
	s_cbranch_vccnz .LBB47_2785
; %bb.2770:
	s_sext_i32_i16 s2, s1
	s_mov_b32 s0, -1
	s_cmp_lt_i32 s2, 2
	s_cbranch_scc1 .LBB47_2780
; %bb.2771:
	s_cmp_lt_i32 s2, 3
	s_cbranch_scc1 .LBB47_2777
; %bb.2772:
	s_cmp_gt_i32 s2, 3
	s_cbranch_scc0 .LBB47_2774
; %bb.2773:
	s_wait_loadcnt 0x0
	v_and_b32_e32 v0, 0xff, v8
	v_mov_b32_e32 v1, 0
	s_mov_b32 s0, 0
	global_store_b64 v[2:3], v[0:1], off
.LBB47_2774:
	s_and_not1_b32 vcc_lo, exec_lo, s0
	s_cbranch_vccnz .LBB47_2776
; %bb.2775:
	s_wait_loadcnt 0x0
	v_and_b32_e32 v0, 0xff, v8
	global_store_b32 v[2:3], v0, off
.LBB47_2776:
	s_mov_b32 s0, 0
.LBB47_2777:
	s_delay_alu instid0(SALU_CYCLE_1)
	s_and_not1_b32 vcc_lo, exec_lo, s0
	s_cbranch_vccnz .LBB47_2779
; %bb.2778:
	s_wait_loadcnt 0x0
	v_and_b32_e32 v0, 0xff, v8
	global_store_b16 v[2:3], v0, off
.LBB47_2779:
	s_mov_b32 s0, 0
.LBB47_2780:
	s_delay_alu instid0(SALU_CYCLE_1)
	s_and_not1_b32 vcc_lo, exec_lo, s0
	s_cbranch_vccnz .LBB47_2785
; %bb.2781:
	s_sext_i32_i16 s0, s1
	s_delay_alu instid0(SALU_CYCLE_1)
	s_cmp_gt_i32 s0, 0
	s_mov_b32 s0, -1
	s_cbranch_scc0 .LBB47_2783
; %bb.2782:
	s_mov_b32 s0, 0
	s_wait_loadcnt 0x0
	global_store_b8 v[2:3], v8, off
.LBB47_2783:
	s_and_not1_b32 vcc_lo, exec_lo, s0
	s_cbranch_vccnz .LBB47_2785
; %bb.2784:
	s_wait_loadcnt 0x0
	global_store_b8 v[2:3], v8, off
	s_endpgm
.LBB47_2785:
	s_endpgm
.LBB47_2786:
	s_mov_b32 s0, -1
	s_mov_b32 s6, 0
.LBB47_2787:
	s_and_b32 vcc_lo, exec_lo, s0
	s_cbranch_vccz .LBB47_2826
; %bb.2788:
	s_and_b32 s0, 0xffff, s1
	s_mov_b32 s2, -1
	s_cmp_lt_i32 s0, 5
	s_cbranch_scc1 .LBB47_2809
; %bb.2789:
	s_cmp_lt_i32 s0, 8
	s_cbranch_scc1 .LBB47_2799
; %bb.2790:
	;; [unrolled: 3-line block ×3, first 2 shown]
	s_cmp_gt_i32 s0, 9
	s_cbranch_scc0 .LBB47_2793
; %bb.2792:
	s_wait_xcnt 0x0
	v_and_b32_e32 v5, 0xff, v1
	v_mov_b32_e32 v12, 0
	s_mov_b32 s2, 0
	s_delay_alu instid0(VALU_DEP_2) | instskip(NEXT) | instid1(VALU_DEP_2)
	v_and_b32_e32 v5, 0xffff, v5
	v_mov_b32_e32 v13, v12
	s_delay_alu instid0(VALU_DEP_2)
	v_cvt_f64_u32_e32 v[10:11], v5
	global_store_b128 v[6:7], v[10:13], off
.LBB47_2793:
	s_and_not1_b32 vcc_lo, exec_lo, s2
	s_cbranch_vccnz .LBB47_2795
; %bb.2794:
	s_wait_xcnt 0x0
	v_cvt_f32_ubyte0_e32 v10, v1
	v_mov_b32_e32 v11, 0
	global_store_b64 v[6:7], v[10:11], off
.LBB47_2795:
	s_mov_b32 s2, 0
.LBB47_2796:
	s_delay_alu instid0(SALU_CYCLE_1)
	s_and_not1_b32 vcc_lo, exec_lo, s2
	s_cbranch_vccnz .LBB47_2798
; %bb.2797:
	s_wait_xcnt 0x0
	v_and_b32_e32 v5, 0xff, v1
	s_delay_alu instid0(VALU_DEP_1) | instskip(NEXT) | instid1(VALU_DEP_1)
	v_cvt_f16_u16_e32 v5, v5
	v_and_b32_e32 v5, 0xffff, v5
	global_store_b32 v[6:7], v5, off
.LBB47_2798:
	s_mov_b32 s2, 0
.LBB47_2799:
	s_delay_alu instid0(SALU_CYCLE_1)
	s_and_not1_b32 vcc_lo, exec_lo, s2
	s_cbranch_vccnz .LBB47_2808
; %bb.2800:
	s_cmp_lt_i32 s0, 6
	s_mov_b32 s2, -1
	s_cbranch_scc1 .LBB47_2806
; %bb.2801:
	s_cmp_gt_i32 s0, 6
	s_cbranch_scc0 .LBB47_2803
; %bb.2802:
	s_wait_xcnt 0x0
	v_and_b32_e32 v5, 0xff, v1
	s_mov_b32 s2, 0
	s_delay_alu instid0(VALU_DEP_1) | instskip(NEXT) | instid1(VALU_DEP_1)
	v_and_b32_e32 v5, 0xffff, v5
	v_cvt_f64_u32_e32 v[10:11], v5
	global_store_b64 v[6:7], v[10:11], off
.LBB47_2803:
	s_and_not1_b32 vcc_lo, exec_lo, s2
	s_cbranch_vccnz .LBB47_2805
; %bb.2804:
	s_wait_xcnt 0x0
	v_cvt_f32_ubyte0_e32 v5, v1
	global_store_b32 v[6:7], v5, off
.LBB47_2805:
	s_mov_b32 s2, 0
.LBB47_2806:
	s_delay_alu instid0(SALU_CYCLE_1)
	s_and_not1_b32 vcc_lo, exec_lo, s2
	s_cbranch_vccnz .LBB47_2808
; %bb.2807:
	s_wait_xcnt 0x0
	v_and_b32_e32 v5, 0xff, v1
	s_delay_alu instid0(VALU_DEP_1)
	v_cvt_f16_u16_e32 v5, v5
	global_store_b16 v[6:7], v5, off
.LBB47_2808:
	s_mov_b32 s2, 0
.LBB47_2809:
	s_delay_alu instid0(SALU_CYCLE_1)
	s_and_not1_b32 vcc_lo, exec_lo, s2
	s_cbranch_vccnz .LBB47_2825
; %bb.2810:
	s_cmp_lt_i32 s0, 2
	s_mov_b32 s2, -1
	s_cbranch_scc1 .LBB47_2820
; %bb.2811:
	s_cmp_lt_i32 s0, 3
	s_cbranch_scc1 .LBB47_2817
; %bb.2812:
	s_cmp_gt_i32 s0, 3
	s_cbranch_scc0 .LBB47_2814
; %bb.2813:
	s_wait_xcnt 0x0
	v_and_b32_e32 v10, 0xff, v1
	v_mov_b32_e32 v11, 0
	s_mov_b32 s2, 0
	global_store_b64 v[6:7], v[10:11], off
.LBB47_2814:
	s_and_not1_b32 vcc_lo, exec_lo, s2
	s_cbranch_vccnz .LBB47_2816
; %bb.2815:
	s_wait_xcnt 0x0
	v_and_b32_e32 v5, 0xff, v1
	global_store_b32 v[6:7], v5, off
.LBB47_2816:
	s_mov_b32 s2, 0
.LBB47_2817:
	s_delay_alu instid0(SALU_CYCLE_1)
	s_and_not1_b32 vcc_lo, exec_lo, s2
	s_cbranch_vccnz .LBB47_2819
; %bb.2818:
	s_wait_xcnt 0x0
	v_and_b32_e32 v5, 0xff, v1
	global_store_b16 v[6:7], v5, off
.LBB47_2819:
	s_mov_b32 s2, 0
.LBB47_2820:
	s_delay_alu instid0(SALU_CYCLE_1)
	s_and_not1_b32 vcc_lo, exec_lo, s2
	s_cbranch_vccnz .LBB47_2825
; %bb.2821:
	s_cmp_gt_i32 s0, 0
	s_mov_b32 s0, -1
	s_cbranch_scc0 .LBB47_2823
; %bb.2822:
	s_mov_b32 s0, 0
	global_store_b8 v[6:7], v1, off
.LBB47_2823:
	s_and_not1_b32 vcc_lo, exec_lo, s0
	s_cbranch_vccnz .LBB47_2825
; %bb.2824:
	global_store_b8 v[6:7], v1, off
.LBB47_2825:
	s_mov_b32 s6, -1
.LBB47_2826:
	s_delay_alu instid0(SALU_CYCLE_1)
	s_and_not1_b32 vcc_lo, exec_lo, s6
	s_cbranch_vccnz .LBB47_3141
; %bb.2827:
	s_wait_xcnt 0x0
	v_mov_b32_e32 v5, 0
	s_and_b32 s2, 0xffff, s1
	s_delay_alu instid0(SALU_CYCLE_1) | instskip(NEXT) | instid1(VALU_DEP_1)
	s_cmp_lt_i32 s2, 11
	v_add_nc_u64_e32 v[4:5], s[4:5], v[4:5]
	s_cbranch_scc1 .LBB47_2905
; %bb.2828:
	s_mov_b32 s7, -1
	s_mov_b32 s3, 0
	s_cmp_gt_i32 s2, 25
	s_mov_b32 s6, 0
	s_mov_b32 s0, 0
	s_cbranch_scc0 .LBB47_2861
; %bb.2829:
	s_cmp_gt_i32 s2, 28
	s_cbranch_scc0 .LBB47_2844
; %bb.2830:
	s_cmp_gt_i32 s2, 43
	;; [unrolled: 3-line block ×3, first 2 shown]
	s_cbranch_scc0 .LBB47_2834
; %bb.2832:
	s_mov_b32 s0, -1
	s_mov_b32 s7, 0
	s_cmp_eq_u32 s2, 46
	s_cbranch_scc0 .LBB47_2834
; %bb.2833:
	v_cvt_f32_ubyte0_e32 v1, v3
	s_mov_b32 s0, 0
	s_mov_b32 s6, -1
	s_delay_alu instid0(VALU_DEP_1) | instskip(NEXT) | instid1(VALU_DEP_1)
	v_bfe_u32 v6, v1, 16, 1
	v_add3_u32 v1, v1, v6, 0x7fff
	s_delay_alu instid0(VALU_DEP_1)
	v_lshrrev_b32_e32 v1, 16, v1
	global_store_b32 v[4:5], v1, off
.LBB47_2834:
	s_and_b32 vcc_lo, exec_lo, s7
	s_cbranch_vccz .LBB47_2839
; %bb.2835:
	s_cmp_eq_u32 s2, 44
	s_mov_b32 s0, -1
	s_cbranch_scc0 .LBB47_2839
; %bb.2836:
	v_cvt_f32_ubyte0_e32 v7, v3
	s_mov_b32 s6, exec_lo
	s_wait_xcnt 0x0
	s_delay_alu instid0(VALU_DEP_1) | instskip(NEXT) | instid1(VALU_DEP_1)
	v_dual_mov_b32 v6, 0xff :: v_dual_lshrrev_b32 v1, 23, v7
	v_cmpx_ne_u32_e32 0xff, v1
; %bb.2837:
	v_and_b32_e32 v6, 0x400000, v7
	v_and_or_b32 v7, 0x3fffff, v7, v1
	s_delay_alu instid0(VALU_DEP_2) | instskip(NEXT) | instid1(VALU_DEP_2)
	v_cmp_ne_u32_e32 vcc_lo, 0, v6
	v_cmp_ne_u32_e64 s0, 0, v7
	s_and_b32 s0, vcc_lo, s0
	s_delay_alu instid0(SALU_CYCLE_1) | instskip(NEXT) | instid1(VALU_DEP_1)
	v_cndmask_b32_e64 v6, 0, 1, s0
	v_add_nc_u32_e32 v6, v1, v6
; %bb.2838:
	s_or_b32 exec_lo, exec_lo, s6
	s_mov_b32 s0, 0
	s_mov_b32 s6, -1
	global_store_b8 v[4:5], v6, off
.LBB47_2839:
	s_mov_b32 s7, 0
.LBB47_2840:
	s_delay_alu instid0(SALU_CYCLE_1)
	s_and_b32 vcc_lo, exec_lo, s7
	s_cbranch_vccz .LBB47_2843
; %bb.2841:
	s_cmp_eq_u32 s2, 29
	s_mov_b32 s0, -1
	s_cbranch_scc0 .LBB47_2843
; %bb.2842:
	s_wait_xcnt 0x0
	v_and_b32_e32 v6, 0xff, v3
	v_mov_b32_e32 v7, 0
	s_mov_b32 s0, 0
	s_mov_b32 s6, -1
	global_store_b64 v[4:5], v[6:7], off
.LBB47_2843:
	s_mov_b32 s7, 0
.LBB47_2844:
	s_delay_alu instid0(SALU_CYCLE_1)
	s_and_b32 vcc_lo, exec_lo, s7
	s_cbranch_vccz .LBB47_2860
; %bb.2845:
	s_cmp_lt_i32 s2, 27
	s_mov_b32 s6, -1
	s_cbranch_scc1 .LBB47_2851
; %bb.2846:
	s_cmp_gt_i32 s2, 27
	s_cbranch_scc0 .LBB47_2848
; %bb.2847:
	s_wait_xcnt 0x0
	v_and_b32_e32 v1, 0xff, v3
	s_mov_b32 s6, 0
	global_store_b32 v[4:5], v1, off
.LBB47_2848:
	s_and_not1_b32 vcc_lo, exec_lo, s6
	s_cbranch_vccnz .LBB47_2850
; %bb.2849:
	s_wait_xcnt 0x0
	v_and_b32_e32 v1, 0xff, v3
	global_store_b16 v[4:5], v1, off
.LBB47_2850:
	s_mov_b32 s6, 0
.LBB47_2851:
	s_delay_alu instid0(SALU_CYCLE_1)
	s_and_not1_b32 vcc_lo, exec_lo, s6
	s_cbranch_vccnz .LBB47_2859
; %bb.2852:
	s_wait_xcnt 0x0
	v_cvt_f32_ubyte0_e32 v6, v3
	v_mov_b32_e32 v7, 0x80
	s_mov_b32 s6, exec_lo
	s_delay_alu instid0(VALU_DEP_2)
	v_cmpx_gt_u32_e32 0x43800000, v6
	s_cbranch_execz .LBB47_2858
; %bb.2853:
	s_mov_b32 s7, 0
	s_mov_b32 s11, exec_lo
                                        ; implicit-def: $vgpr1
	v_cmpx_lt_u32_e32 0x3bffffff, v6
	s_xor_b32 s11, exec_lo, s11
	s_cbranch_execz .LBB47_3149
; %bb.2854:
	v_bfe_u32 v1, v6, 20, 1
	s_mov_b32 s7, exec_lo
	s_delay_alu instid0(VALU_DEP_1) | instskip(NEXT) | instid1(VALU_DEP_1)
	v_add3_u32 v1, v6, v1, 0x487ffff
                                        ; implicit-def: $vgpr6
	v_lshrrev_b32_e32 v1, 20, v1
	s_and_not1_saveexec_b32 s11, s11
	s_cbranch_execnz .LBB47_3150
.LBB47_2855:
	s_or_b32 exec_lo, exec_lo, s11
	v_mov_b32_e32 v7, 0
	s_and_saveexec_b32 s11, s7
.LBB47_2856:
	v_mov_b32_e32 v7, v1
.LBB47_2857:
	s_or_b32 exec_lo, exec_lo, s11
.LBB47_2858:
	s_delay_alu instid0(SALU_CYCLE_1)
	s_or_b32 exec_lo, exec_lo, s6
	global_store_b8 v[4:5], v7, off
.LBB47_2859:
	s_mov_b32 s6, -1
.LBB47_2860:
	s_mov_b32 s7, 0
.LBB47_2861:
	s_delay_alu instid0(SALU_CYCLE_1)
	s_and_b32 vcc_lo, exec_lo, s7
	s_cbranch_vccz .LBB47_2901
; %bb.2862:
	s_cmp_gt_i32 s2, 22
	s_mov_b32 s3, -1
	s_cbranch_scc0 .LBB47_2894
; %bb.2863:
	s_cmp_lt_i32 s2, 24
	s_cbranch_scc1 .LBB47_2883
; %bb.2864:
	s_cmp_gt_i32 s2, 24
	s_cbranch_scc0 .LBB47_2872
; %bb.2865:
	s_wait_xcnt 0x0
	v_cvt_f32_ubyte0_e32 v6, v3
	v_mov_b32_e32 v7, 0x80
	s_mov_b32 s3, exec_lo
	s_delay_alu instid0(VALU_DEP_2)
	v_cmpx_gt_u32_e32 0x47800000, v6
	s_cbranch_execz .LBB47_2871
; %bb.2866:
	s_mov_b32 s6, 0
	s_mov_b32 s7, exec_lo
                                        ; implicit-def: $vgpr1
	v_cmpx_lt_u32_e32 0x37ffffff, v6
	s_xor_b32 s7, exec_lo, s7
	s_cbranch_execz .LBB47_3152
; %bb.2867:
	v_bfe_u32 v1, v6, 21, 1
	s_mov_b32 s6, exec_lo
	s_delay_alu instid0(VALU_DEP_1) | instskip(NEXT) | instid1(VALU_DEP_1)
	v_add3_u32 v1, v6, v1, 0x88fffff
                                        ; implicit-def: $vgpr6
	v_lshrrev_b32_e32 v1, 21, v1
	s_and_not1_saveexec_b32 s7, s7
	s_cbranch_execnz .LBB47_3153
.LBB47_2868:
	s_or_b32 exec_lo, exec_lo, s7
	v_mov_b32_e32 v7, 0
	s_and_saveexec_b32 s7, s6
.LBB47_2869:
	v_mov_b32_e32 v7, v1
.LBB47_2870:
	s_or_b32 exec_lo, exec_lo, s7
.LBB47_2871:
	s_delay_alu instid0(SALU_CYCLE_1)
	s_or_b32 exec_lo, exec_lo, s3
	s_mov_b32 s3, 0
	global_store_b8 v[4:5], v7, off
.LBB47_2872:
	s_and_b32 vcc_lo, exec_lo, s3
	s_cbranch_vccz .LBB47_2882
; %bb.2873:
	s_wait_xcnt 0x0
	v_cvt_f32_ubyte0_e32 v6, v3
	s_mov_b32 s3, exec_lo
                                        ; implicit-def: $vgpr1
	s_delay_alu instid0(VALU_DEP_1)
	v_cmpx_gt_u32_e32 0x43f00000, v6
	s_xor_b32 s3, exec_lo, s3
	s_cbranch_execz .LBB47_2879
; %bb.2874:
	s_mov_b32 s6, exec_lo
                                        ; implicit-def: $vgpr1
	v_cmpx_lt_u32_e32 0x3c7fffff, v6
	s_xor_b32 s6, exec_lo, s6
; %bb.2875:
	v_bfe_u32 v1, v6, 20, 1
	s_delay_alu instid0(VALU_DEP_1) | instskip(NEXT) | instid1(VALU_DEP_1)
	v_add3_u32 v1, v6, v1, 0x407ffff
	v_and_b32_e32 v6, 0xff00000, v1
	v_lshrrev_b32_e32 v1, 20, v1
	s_delay_alu instid0(VALU_DEP_2) | instskip(NEXT) | instid1(VALU_DEP_2)
	v_cmp_ne_u32_e32 vcc_lo, 0x7f00000, v6
                                        ; implicit-def: $vgpr6
	v_cndmask_b32_e32 v1, 0x7e, v1, vcc_lo
; %bb.2876:
	s_and_not1_saveexec_b32 s6, s6
; %bb.2877:
	v_add_f32_e32 v1, 0x46800000, v6
; %bb.2878:
	s_or_b32 exec_lo, exec_lo, s6
                                        ; implicit-def: $vgpr6
.LBB47_2879:
	s_and_not1_saveexec_b32 s3, s3
; %bb.2880:
	v_mov_b32_e32 v1, 0x7f
	v_cmp_lt_u32_e32 vcc_lo, 0x7f800000, v6
	s_delay_alu instid0(VALU_DEP_2)
	v_cndmask_b32_e32 v1, 0x7e, v1, vcc_lo
; %bb.2881:
	s_or_b32 exec_lo, exec_lo, s3
	global_store_b8 v[4:5], v1, off
.LBB47_2882:
	s_mov_b32 s3, 0
.LBB47_2883:
	s_delay_alu instid0(SALU_CYCLE_1)
	s_and_not1_b32 vcc_lo, exec_lo, s3
	s_cbranch_vccnz .LBB47_2893
; %bb.2884:
	s_wait_xcnt 0x0
	v_cvt_f32_ubyte0_e32 v6, v3
	s_mov_b32 s3, exec_lo
                                        ; implicit-def: $vgpr1
	s_delay_alu instid0(VALU_DEP_1)
	v_cmpx_gt_u32_e32 0x47800000, v6
	s_xor_b32 s3, exec_lo, s3
	s_cbranch_execz .LBB47_2890
; %bb.2885:
	s_mov_b32 s6, exec_lo
                                        ; implicit-def: $vgpr1
	v_cmpx_lt_u32_e32 0x387fffff, v6
	s_xor_b32 s6, exec_lo, s6
; %bb.2886:
	v_bfe_u32 v1, v6, 21, 1
	s_delay_alu instid0(VALU_DEP_1) | instskip(NEXT) | instid1(VALU_DEP_1)
	v_add3_u32 v1, v6, v1, 0x80fffff
                                        ; implicit-def: $vgpr6
	v_lshrrev_b32_e32 v1, 21, v1
; %bb.2887:
	s_and_not1_saveexec_b32 s6, s6
; %bb.2888:
	v_add_f32_e32 v1, 0x43000000, v6
; %bb.2889:
	s_or_b32 exec_lo, exec_lo, s6
                                        ; implicit-def: $vgpr6
.LBB47_2890:
	s_and_not1_saveexec_b32 s3, s3
; %bb.2891:
	v_mov_b32_e32 v1, 0x7f
	v_cmp_lt_u32_e32 vcc_lo, 0x7f800000, v6
	s_delay_alu instid0(VALU_DEP_2)
	v_cndmask_b32_e32 v1, 0x7c, v1, vcc_lo
; %bb.2892:
	s_or_b32 exec_lo, exec_lo, s3
	global_store_b8 v[4:5], v1, off
.LBB47_2893:
	s_mov_b32 s3, 0
	s_mov_b32 s6, -1
.LBB47_2894:
	s_and_not1_b32 vcc_lo, exec_lo, s3
	s_mov_b32 s3, 0
	s_cbranch_vccnz .LBB47_2901
; %bb.2895:
	s_cmp_gt_i32 s2, 14
	s_mov_b32 s3, -1
	s_cbranch_scc0 .LBB47_2899
; %bb.2896:
	s_cmp_eq_u32 s2, 15
	s_mov_b32 s0, -1
	s_cbranch_scc0 .LBB47_2898
; %bb.2897:
	s_wait_xcnt 0x0
	v_cvt_f32_ubyte0_e32 v1, v3
	s_mov_b32 s0, 0
	s_mov_b32 s6, -1
	s_delay_alu instid0(VALU_DEP_1) | instskip(NEXT) | instid1(VALU_DEP_1)
	v_bfe_u32 v6, v1, 16, 1
	v_add3_u32 v1, v1, v6, 0x7fff
	global_store_d16_hi_b16 v[4:5], v1, off
.LBB47_2898:
	s_mov_b32 s3, 0
.LBB47_2899:
	s_delay_alu instid0(SALU_CYCLE_1)
	s_and_b32 vcc_lo, exec_lo, s3
	s_mov_b32 s3, 0
	s_cbranch_vccz .LBB47_2901
; %bb.2900:
	s_cmp_lg_u32 s2, 11
	s_mov_b32 s3, -1
	s_cselect_b32 s0, -1, 0
.LBB47_2901:
	s_delay_alu instid0(SALU_CYCLE_1)
	s_and_b32 vcc_lo, exec_lo, s0
	s_cbranch_vccnz .LBB47_3151
; %bb.2902:
	s_and_not1_b32 vcc_lo, exec_lo, s3
	s_cbranch_vccnz .LBB47_2904
.LBB47_2903:
	s_wait_xcnt 0x0
	v_and_b32_e32 v1, 0xff, v3
	s_mov_b32 s6, -1
	s_delay_alu instid0(VALU_DEP_1)
	v_cmp_ne_u16_e32 vcc_lo, 0, v1
	v_cndmask_b32_e64 v1, 0, 1, vcc_lo
	global_store_b8 v[4:5], v1, off
.LBB47_2904:
	s_mov_b32 s0, 0
	s_branch .LBB47_2906
.LBB47_2905:
	s_mov_b32 s0, -1
	s_mov_b32 s6, 0
.LBB47_2906:
	s_and_b32 vcc_lo, exec_lo, s0
	s_cbranch_vccz .LBB47_2945
; %bb.2907:
	s_cmp_lt_i32 s2, 5
	s_mov_b32 s0, -1
	s_cbranch_scc1 .LBB47_2928
; %bb.2908:
	s_cmp_lt_i32 s2, 8
	s_cbranch_scc1 .LBB47_2918
; %bb.2909:
	s_cmp_lt_i32 s2, 9
	s_cbranch_scc1 .LBB47_2915
; %bb.2910:
	s_cmp_gt_i32 s2, 9
	s_cbranch_scc0 .LBB47_2912
; %bb.2911:
	s_wait_xcnt 0x0
	v_and_b32_e32 v1, 0xff, v3
	v_mov_b32_e32 v12, 0
	s_mov_b32 s0, 0
	s_delay_alu instid0(VALU_DEP_2) | instskip(NEXT) | instid1(VALU_DEP_2)
	v_and_b32_e32 v1, 0xffff, v1
	v_mov_b32_e32 v13, v12
	s_delay_alu instid0(VALU_DEP_2)
	v_cvt_f64_u32_e32 v[10:11], v1
	global_store_b128 v[4:5], v[10:13], off
.LBB47_2912:
	s_and_not1_b32 vcc_lo, exec_lo, s0
	s_cbranch_vccnz .LBB47_2914
; %bb.2913:
	s_wait_xcnt 0x0
	v_cvt_f32_ubyte0_e32 v6, v3
	v_mov_b32_e32 v7, 0
	global_store_b64 v[4:5], v[6:7], off
.LBB47_2914:
	s_mov_b32 s0, 0
.LBB47_2915:
	s_delay_alu instid0(SALU_CYCLE_1)
	s_and_not1_b32 vcc_lo, exec_lo, s0
	s_cbranch_vccnz .LBB47_2917
; %bb.2916:
	s_wait_xcnt 0x0
	v_and_b32_e32 v1, 0xff, v3
	s_delay_alu instid0(VALU_DEP_1) | instskip(NEXT) | instid1(VALU_DEP_1)
	v_cvt_f16_u16_e32 v1, v1
	v_and_b32_e32 v1, 0xffff, v1
	global_store_b32 v[4:5], v1, off
.LBB47_2917:
	s_mov_b32 s0, 0
.LBB47_2918:
	s_delay_alu instid0(SALU_CYCLE_1)
	s_and_not1_b32 vcc_lo, exec_lo, s0
	s_cbranch_vccnz .LBB47_2927
; %bb.2919:
	s_cmp_lt_i32 s2, 6
	s_mov_b32 s0, -1
	s_cbranch_scc1 .LBB47_2925
; %bb.2920:
	s_cmp_gt_i32 s2, 6
	s_cbranch_scc0 .LBB47_2922
; %bb.2921:
	s_wait_xcnt 0x0
	v_and_b32_e32 v1, 0xff, v3
	s_mov_b32 s0, 0
	s_delay_alu instid0(VALU_DEP_1) | instskip(NEXT) | instid1(VALU_DEP_1)
	v_and_b32_e32 v1, 0xffff, v1
	v_cvt_f64_u32_e32 v[6:7], v1
	global_store_b64 v[4:5], v[6:7], off
.LBB47_2922:
	s_and_not1_b32 vcc_lo, exec_lo, s0
	s_cbranch_vccnz .LBB47_2924
; %bb.2923:
	s_wait_xcnt 0x0
	v_cvt_f32_ubyte0_e32 v1, v3
	global_store_b32 v[4:5], v1, off
.LBB47_2924:
	s_mov_b32 s0, 0
.LBB47_2925:
	s_delay_alu instid0(SALU_CYCLE_1)
	s_and_not1_b32 vcc_lo, exec_lo, s0
	s_cbranch_vccnz .LBB47_2927
; %bb.2926:
	s_wait_xcnt 0x0
	v_and_b32_e32 v1, 0xff, v3
	s_delay_alu instid0(VALU_DEP_1)
	v_cvt_f16_u16_e32 v1, v1
	global_store_b16 v[4:5], v1, off
.LBB47_2927:
	s_mov_b32 s0, 0
.LBB47_2928:
	s_delay_alu instid0(SALU_CYCLE_1)
	s_and_not1_b32 vcc_lo, exec_lo, s0
	s_cbranch_vccnz .LBB47_2944
; %bb.2929:
	s_cmp_lt_i32 s2, 2
	s_mov_b32 s0, -1
	s_cbranch_scc1 .LBB47_2939
; %bb.2930:
	s_cmp_lt_i32 s2, 3
	s_cbranch_scc1 .LBB47_2936
; %bb.2931:
	s_cmp_gt_i32 s2, 3
	s_cbranch_scc0 .LBB47_2933
; %bb.2932:
	s_wait_xcnt 0x0
	v_and_b32_e32 v6, 0xff, v3
	v_mov_b32_e32 v7, 0
	s_mov_b32 s0, 0
	global_store_b64 v[4:5], v[6:7], off
.LBB47_2933:
	s_and_not1_b32 vcc_lo, exec_lo, s0
	s_cbranch_vccnz .LBB47_2935
; %bb.2934:
	s_wait_xcnt 0x0
	v_and_b32_e32 v1, 0xff, v3
	global_store_b32 v[4:5], v1, off
.LBB47_2935:
	s_mov_b32 s0, 0
.LBB47_2936:
	s_delay_alu instid0(SALU_CYCLE_1)
	s_and_not1_b32 vcc_lo, exec_lo, s0
	s_cbranch_vccnz .LBB47_2938
; %bb.2937:
	s_wait_xcnt 0x0
	v_and_b32_e32 v1, 0xff, v3
	global_store_b16 v[4:5], v1, off
.LBB47_2938:
	s_mov_b32 s0, 0
.LBB47_2939:
	s_delay_alu instid0(SALU_CYCLE_1)
	s_and_not1_b32 vcc_lo, exec_lo, s0
	s_cbranch_vccnz .LBB47_2944
; %bb.2940:
	s_cmp_gt_i32 s2, 0
	s_mov_b32 s0, -1
	s_cbranch_scc0 .LBB47_2942
; %bb.2941:
	s_mov_b32 s0, 0
	global_store_b8 v[4:5], v3, off
.LBB47_2942:
	s_and_not1_b32 vcc_lo, exec_lo, s0
	s_cbranch_vccnz .LBB47_2944
; %bb.2943:
	global_store_b8 v[4:5], v3, off
.LBB47_2944:
	s_mov_b32 s6, -1
.LBB47_2945:
	s_delay_alu instid0(SALU_CYCLE_1)
	s_and_not1_b32 vcc_lo, exec_lo, s6
	s_cbranch_vccnz .LBB47_3141
; %bb.2946:
	s_wait_xcnt 0x0
	v_mov_b32_e32 v3, 0
	s_cmp_lt_i32 s2, 11
	s_delay_alu instid0(VALU_DEP_1)
	v_add_nc_u64_e32 v[2:3], s[4:5], v[2:3]
	s_cbranch_scc1 .LBB47_3024
; %bb.2947:
	s_mov_b32 s7, -1
	s_mov_b32 s3, 0
	s_cmp_gt_i32 s2, 25
	s_mov_b32 s6, 0
	s_mov_b32 s0, 0
	s_cbranch_scc0 .LBB47_2980
; %bb.2948:
	s_cmp_gt_i32 s2, 28
	s_cbranch_scc0 .LBB47_2963
; %bb.2949:
	s_cmp_gt_i32 s2, 43
	s_cbranch_scc0 .LBB47_2959
; %bb.2950:
	s_cmp_gt_i32 s2, 45
	s_cbranch_scc0 .LBB47_2953
; %bb.2951:
	s_mov_b32 s0, -1
	s_mov_b32 s7, 0
	s_cmp_eq_u32 s2, 46
	s_cbranch_scc0 .LBB47_2953
; %bb.2952:
	v_cvt_f32_ubyte0_e32 v1, v15
	s_mov_b32 s0, 0
	s_mov_b32 s6, -1
	s_delay_alu instid0(VALU_DEP_1) | instskip(NEXT) | instid1(VALU_DEP_1)
	v_bfe_u32 v4, v1, 16, 1
	v_add3_u32 v1, v1, v4, 0x7fff
	s_delay_alu instid0(VALU_DEP_1)
	v_lshrrev_b32_e32 v1, 16, v1
	global_store_b32 v[2:3], v1, off
.LBB47_2953:
	s_and_b32 vcc_lo, exec_lo, s7
	s_cbranch_vccz .LBB47_2958
; %bb.2954:
	s_cmp_eq_u32 s2, 44
	s_mov_b32 s0, -1
	s_cbranch_scc0 .LBB47_2958
; %bb.2955:
	v_cvt_f32_ubyte0_e32 v5, v15
	s_mov_b32 s6, exec_lo
	s_wait_xcnt 0x0
	s_delay_alu instid0(VALU_DEP_1) | instskip(NEXT) | instid1(VALU_DEP_1)
	v_dual_mov_b32 v4, 0xff :: v_dual_lshrrev_b32 v1, 23, v5
	v_cmpx_ne_u32_e32 0xff, v1
; %bb.2956:
	v_and_b32_e32 v4, 0x400000, v5
	v_and_or_b32 v5, 0x3fffff, v5, v1
	s_delay_alu instid0(VALU_DEP_2) | instskip(NEXT) | instid1(VALU_DEP_2)
	v_cmp_ne_u32_e32 vcc_lo, 0, v4
	v_cmp_ne_u32_e64 s0, 0, v5
	s_and_b32 s0, vcc_lo, s0
	s_delay_alu instid0(SALU_CYCLE_1) | instskip(NEXT) | instid1(VALU_DEP_1)
	v_cndmask_b32_e64 v4, 0, 1, s0
	v_add_nc_u32_e32 v4, v1, v4
; %bb.2957:
	s_or_b32 exec_lo, exec_lo, s6
	s_mov_b32 s0, 0
	s_mov_b32 s6, -1
	global_store_b8 v[2:3], v4, off
.LBB47_2958:
	s_mov_b32 s7, 0
.LBB47_2959:
	s_delay_alu instid0(SALU_CYCLE_1)
	s_and_b32 vcc_lo, exec_lo, s7
	s_cbranch_vccz .LBB47_2962
; %bb.2960:
	s_cmp_eq_u32 s2, 29
	s_mov_b32 s0, -1
	s_cbranch_scc0 .LBB47_2962
; %bb.2961:
	s_wait_xcnt 0x0
	v_and_b32_e32 v4, 0xff, v15
	v_mov_b32_e32 v5, 0
	s_mov_b32 s0, 0
	s_mov_b32 s6, -1
	global_store_b64 v[2:3], v[4:5], off
.LBB47_2962:
	s_mov_b32 s7, 0
.LBB47_2963:
	s_delay_alu instid0(SALU_CYCLE_1)
	s_and_b32 vcc_lo, exec_lo, s7
	s_cbranch_vccz .LBB47_2979
; %bb.2964:
	s_cmp_lt_i32 s2, 27
	s_mov_b32 s6, -1
	s_cbranch_scc1 .LBB47_2970
; %bb.2965:
	s_cmp_gt_i32 s2, 27
	s_cbranch_scc0 .LBB47_2967
; %bb.2966:
	s_wait_xcnt 0x0
	v_and_b32_e32 v1, 0xff, v15
	s_mov_b32 s6, 0
	global_store_b32 v[2:3], v1, off
.LBB47_2967:
	s_and_not1_b32 vcc_lo, exec_lo, s6
	s_cbranch_vccnz .LBB47_2969
; %bb.2968:
	s_wait_xcnt 0x0
	v_and_b32_e32 v1, 0xff, v15
	global_store_b16 v[2:3], v1, off
.LBB47_2969:
	s_mov_b32 s6, 0
.LBB47_2970:
	s_delay_alu instid0(SALU_CYCLE_1)
	s_and_not1_b32 vcc_lo, exec_lo, s6
	s_cbranch_vccnz .LBB47_2978
; %bb.2971:
	s_wait_xcnt 0x0
	v_cvt_f32_ubyte0_e32 v4, v15
	v_mov_b32_e32 v5, 0x80
	s_mov_b32 s6, exec_lo
	s_delay_alu instid0(VALU_DEP_2)
	v_cmpx_gt_u32_e32 0x43800000, v4
	s_cbranch_execz .LBB47_2977
; %bb.2972:
	s_mov_b32 s7, 0
	s_mov_b32 s11, exec_lo
                                        ; implicit-def: $vgpr1
	v_cmpx_lt_u32_e32 0x3bffffff, v4
	s_xor_b32 s11, exec_lo, s11
	s_cbranch_execz .LBB47_3154
; %bb.2973:
	v_bfe_u32 v1, v4, 20, 1
	s_mov_b32 s7, exec_lo
	s_delay_alu instid0(VALU_DEP_1) | instskip(NEXT) | instid1(VALU_DEP_1)
	v_add3_u32 v1, v4, v1, 0x487ffff
                                        ; implicit-def: $vgpr4
	v_lshrrev_b32_e32 v1, 20, v1
	s_and_not1_saveexec_b32 s11, s11
	s_cbranch_execnz .LBB47_3155
.LBB47_2974:
	s_or_b32 exec_lo, exec_lo, s11
	v_mov_b32_e32 v5, 0
	s_and_saveexec_b32 s11, s7
.LBB47_2975:
	v_mov_b32_e32 v5, v1
.LBB47_2976:
	s_or_b32 exec_lo, exec_lo, s11
.LBB47_2977:
	s_delay_alu instid0(SALU_CYCLE_1)
	s_or_b32 exec_lo, exec_lo, s6
	global_store_b8 v[2:3], v5, off
.LBB47_2978:
	s_mov_b32 s6, -1
.LBB47_2979:
	s_mov_b32 s7, 0
.LBB47_2980:
	s_delay_alu instid0(SALU_CYCLE_1)
	s_and_b32 vcc_lo, exec_lo, s7
	s_cbranch_vccz .LBB47_3020
; %bb.2981:
	s_cmp_gt_i32 s2, 22
	s_mov_b32 s3, -1
	s_cbranch_scc0 .LBB47_3013
; %bb.2982:
	s_cmp_lt_i32 s2, 24
	s_cbranch_scc1 .LBB47_3002
; %bb.2983:
	s_cmp_gt_i32 s2, 24
	s_cbranch_scc0 .LBB47_2991
; %bb.2984:
	s_wait_xcnt 0x0
	v_cvt_f32_ubyte0_e32 v4, v15
	v_mov_b32_e32 v5, 0x80
	s_mov_b32 s3, exec_lo
	s_delay_alu instid0(VALU_DEP_2)
	v_cmpx_gt_u32_e32 0x47800000, v4
	s_cbranch_execz .LBB47_2990
; %bb.2985:
	s_mov_b32 s6, 0
	s_mov_b32 s7, exec_lo
                                        ; implicit-def: $vgpr1
	v_cmpx_lt_u32_e32 0x37ffffff, v4
	s_xor_b32 s7, exec_lo, s7
	s_cbranch_execz .LBB47_3157
; %bb.2986:
	v_bfe_u32 v1, v4, 21, 1
	s_mov_b32 s6, exec_lo
	s_delay_alu instid0(VALU_DEP_1) | instskip(NEXT) | instid1(VALU_DEP_1)
	v_add3_u32 v1, v4, v1, 0x88fffff
                                        ; implicit-def: $vgpr4
	v_lshrrev_b32_e32 v1, 21, v1
	s_and_not1_saveexec_b32 s7, s7
	s_cbranch_execnz .LBB47_3158
.LBB47_2987:
	s_or_b32 exec_lo, exec_lo, s7
	v_mov_b32_e32 v5, 0
	s_and_saveexec_b32 s7, s6
.LBB47_2988:
	v_mov_b32_e32 v5, v1
.LBB47_2989:
	s_or_b32 exec_lo, exec_lo, s7
.LBB47_2990:
	s_delay_alu instid0(SALU_CYCLE_1)
	s_or_b32 exec_lo, exec_lo, s3
	s_mov_b32 s3, 0
	global_store_b8 v[2:3], v5, off
.LBB47_2991:
	s_and_b32 vcc_lo, exec_lo, s3
	s_cbranch_vccz .LBB47_3001
; %bb.2992:
	s_wait_xcnt 0x0
	v_cvt_f32_ubyte0_e32 v4, v15
	s_mov_b32 s3, exec_lo
                                        ; implicit-def: $vgpr1
	s_delay_alu instid0(VALU_DEP_1)
	v_cmpx_gt_u32_e32 0x43f00000, v4
	s_xor_b32 s3, exec_lo, s3
	s_cbranch_execz .LBB47_2998
; %bb.2993:
	s_mov_b32 s6, exec_lo
                                        ; implicit-def: $vgpr1
	v_cmpx_lt_u32_e32 0x3c7fffff, v4
	s_xor_b32 s6, exec_lo, s6
; %bb.2994:
	v_bfe_u32 v1, v4, 20, 1
	s_delay_alu instid0(VALU_DEP_1) | instskip(NEXT) | instid1(VALU_DEP_1)
	v_add3_u32 v1, v4, v1, 0x407ffff
	v_and_b32_e32 v4, 0xff00000, v1
	v_lshrrev_b32_e32 v1, 20, v1
	s_delay_alu instid0(VALU_DEP_2) | instskip(NEXT) | instid1(VALU_DEP_2)
	v_cmp_ne_u32_e32 vcc_lo, 0x7f00000, v4
                                        ; implicit-def: $vgpr4
	v_cndmask_b32_e32 v1, 0x7e, v1, vcc_lo
; %bb.2995:
	s_and_not1_saveexec_b32 s6, s6
; %bb.2996:
	v_add_f32_e32 v1, 0x46800000, v4
; %bb.2997:
	s_or_b32 exec_lo, exec_lo, s6
                                        ; implicit-def: $vgpr4
.LBB47_2998:
	s_and_not1_saveexec_b32 s3, s3
; %bb.2999:
	v_mov_b32_e32 v1, 0x7f
	v_cmp_lt_u32_e32 vcc_lo, 0x7f800000, v4
	s_delay_alu instid0(VALU_DEP_2)
	v_cndmask_b32_e32 v1, 0x7e, v1, vcc_lo
; %bb.3000:
	s_or_b32 exec_lo, exec_lo, s3
	global_store_b8 v[2:3], v1, off
.LBB47_3001:
	s_mov_b32 s3, 0
.LBB47_3002:
	s_delay_alu instid0(SALU_CYCLE_1)
	s_and_not1_b32 vcc_lo, exec_lo, s3
	s_cbranch_vccnz .LBB47_3012
; %bb.3003:
	s_wait_xcnt 0x0
	v_cvt_f32_ubyte0_e32 v4, v15
	s_mov_b32 s3, exec_lo
                                        ; implicit-def: $vgpr1
	s_delay_alu instid0(VALU_DEP_1)
	v_cmpx_gt_u32_e32 0x47800000, v4
	s_xor_b32 s3, exec_lo, s3
	s_cbranch_execz .LBB47_3009
; %bb.3004:
	s_mov_b32 s6, exec_lo
                                        ; implicit-def: $vgpr1
	v_cmpx_lt_u32_e32 0x387fffff, v4
	s_xor_b32 s6, exec_lo, s6
; %bb.3005:
	v_bfe_u32 v1, v4, 21, 1
	s_delay_alu instid0(VALU_DEP_1) | instskip(NEXT) | instid1(VALU_DEP_1)
	v_add3_u32 v1, v4, v1, 0x80fffff
                                        ; implicit-def: $vgpr4
	v_lshrrev_b32_e32 v1, 21, v1
; %bb.3006:
	s_and_not1_saveexec_b32 s6, s6
; %bb.3007:
	v_add_f32_e32 v1, 0x43000000, v4
; %bb.3008:
	s_or_b32 exec_lo, exec_lo, s6
                                        ; implicit-def: $vgpr4
.LBB47_3009:
	s_and_not1_saveexec_b32 s3, s3
; %bb.3010:
	v_mov_b32_e32 v1, 0x7f
	v_cmp_lt_u32_e32 vcc_lo, 0x7f800000, v4
	s_delay_alu instid0(VALU_DEP_2)
	v_cndmask_b32_e32 v1, 0x7c, v1, vcc_lo
; %bb.3011:
	s_or_b32 exec_lo, exec_lo, s3
	global_store_b8 v[2:3], v1, off
.LBB47_3012:
	s_mov_b32 s3, 0
	s_mov_b32 s6, -1
.LBB47_3013:
	s_and_not1_b32 vcc_lo, exec_lo, s3
	s_mov_b32 s3, 0
	s_cbranch_vccnz .LBB47_3020
; %bb.3014:
	s_cmp_gt_i32 s2, 14
	s_mov_b32 s3, -1
	s_cbranch_scc0 .LBB47_3018
; %bb.3015:
	s_cmp_eq_u32 s2, 15
	s_mov_b32 s0, -1
	s_cbranch_scc0 .LBB47_3017
; %bb.3016:
	s_wait_xcnt 0x0
	v_cvt_f32_ubyte0_e32 v1, v15
	s_mov_b32 s0, 0
	s_mov_b32 s6, -1
	s_delay_alu instid0(VALU_DEP_1) | instskip(NEXT) | instid1(VALU_DEP_1)
	v_bfe_u32 v4, v1, 16, 1
	v_add3_u32 v1, v1, v4, 0x7fff
	global_store_d16_hi_b16 v[2:3], v1, off
.LBB47_3017:
	s_mov_b32 s3, 0
.LBB47_3018:
	s_delay_alu instid0(SALU_CYCLE_1)
	s_and_b32 vcc_lo, exec_lo, s3
	s_mov_b32 s3, 0
	s_cbranch_vccz .LBB47_3020
; %bb.3019:
	s_cmp_lg_u32 s2, 11
	s_mov_b32 s3, -1
	s_cselect_b32 s0, -1, 0
.LBB47_3020:
	s_delay_alu instid0(SALU_CYCLE_1)
	s_and_b32 vcc_lo, exec_lo, s0
	s_cbranch_vccnz .LBB47_3156
; %bb.3021:
	s_and_not1_b32 vcc_lo, exec_lo, s3
	s_cbranch_vccnz .LBB47_3023
.LBB47_3022:
	s_wait_xcnt 0x0
	v_and_b32_e32 v1, 0xff, v15
	s_mov_b32 s6, -1
	s_delay_alu instid0(VALU_DEP_1)
	v_cmp_ne_u16_e32 vcc_lo, 0, v1
	v_cndmask_b32_e64 v1, 0, 1, vcc_lo
	global_store_b8 v[2:3], v1, off
.LBB47_3023:
	s_mov_b32 s0, 0
	s_branch .LBB47_3025
.LBB47_3024:
	s_mov_b32 s0, -1
	s_mov_b32 s6, 0
.LBB47_3025:
	s_and_b32 vcc_lo, exec_lo, s0
	s_cbranch_vccz .LBB47_3064
; %bb.3026:
	s_cmp_lt_i32 s2, 5
	s_mov_b32 s0, -1
	s_cbranch_scc1 .LBB47_3047
; %bb.3027:
	s_cmp_lt_i32 s2, 8
	s_cbranch_scc1 .LBB47_3037
; %bb.3028:
	s_cmp_lt_i32 s2, 9
	s_cbranch_scc1 .LBB47_3034
; %bb.3029:
	s_cmp_gt_i32 s2, 9
	s_cbranch_scc0 .LBB47_3031
; %bb.3030:
	s_wait_xcnt 0x0
	v_and_b32_e32 v1, 0xff, v15
	v_mov_b32_e32 v6, 0
	s_mov_b32 s0, 0
	s_delay_alu instid0(VALU_DEP_2) | instskip(NEXT) | instid1(VALU_DEP_2)
	v_and_b32_e32 v1, 0xffff, v1
	v_mov_b32_e32 v7, v6
	s_delay_alu instid0(VALU_DEP_2)
	v_cvt_f64_u32_e32 v[4:5], v1
	global_store_b128 v[2:3], v[4:7], off
.LBB47_3031:
	s_and_not1_b32 vcc_lo, exec_lo, s0
	s_cbranch_vccnz .LBB47_3033
; %bb.3032:
	s_wait_xcnt 0x0
	v_cvt_f32_ubyte0_e32 v4, v15
	v_mov_b32_e32 v5, 0
	global_store_b64 v[2:3], v[4:5], off
.LBB47_3033:
	s_mov_b32 s0, 0
.LBB47_3034:
	s_delay_alu instid0(SALU_CYCLE_1)
	s_and_not1_b32 vcc_lo, exec_lo, s0
	s_cbranch_vccnz .LBB47_3036
; %bb.3035:
	s_wait_xcnt 0x0
	v_and_b32_e32 v1, 0xff, v15
	s_delay_alu instid0(VALU_DEP_1) | instskip(NEXT) | instid1(VALU_DEP_1)
	v_cvt_f16_u16_e32 v1, v1
	v_and_b32_e32 v1, 0xffff, v1
	global_store_b32 v[2:3], v1, off
.LBB47_3036:
	s_mov_b32 s0, 0
.LBB47_3037:
	s_delay_alu instid0(SALU_CYCLE_1)
	s_and_not1_b32 vcc_lo, exec_lo, s0
	s_cbranch_vccnz .LBB47_3046
; %bb.3038:
	s_cmp_lt_i32 s2, 6
	s_mov_b32 s0, -1
	s_cbranch_scc1 .LBB47_3044
; %bb.3039:
	s_cmp_gt_i32 s2, 6
	s_cbranch_scc0 .LBB47_3041
; %bb.3040:
	s_wait_xcnt 0x0
	v_and_b32_e32 v1, 0xff, v15
	s_mov_b32 s0, 0
	s_delay_alu instid0(VALU_DEP_1) | instskip(NEXT) | instid1(VALU_DEP_1)
	v_and_b32_e32 v1, 0xffff, v1
	v_cvt_f64_u32_e32 v[4:5], v1
	global_store_b64 v[2:3], v[4:5], off
.LBB47_3041:
	s_and_not1_b32 vcc_lo, exec_lo, s0
	s_cbranch_vccnz .LBB47_3043
; %bb.3042:
	s_wait_xcnt 0x0
	v_cvt_f32_ubyte0_e32 v1, v15
	global_store_b32 v[2:3], v1, off
.LBB47_3043:
	s_mov_b32 s0, 0
.LBB47_3044:
	s_delay_alu instid0(SALU_CYCLE_1)
	s_and_not1_b32 vcc_lo, exec_lo, s0
	s_cbranch_vccnz .LBB47_3046
; %bb.3045:
	s_wait_xcnt 0x0
	v_and_b32_e32 v1, 0xff, v15
	s_delay_alu instid0(VALU_DEP_1)
	v_cvt_f16_u16_e32 v1, v1
	global_store_b16 v[2:3], v1, off
.LBB47_3046:
	s_mov_b32 s0, 0
.LBB47_3047:
	s_delay_alu instid0(SALU_CYCLE_1)
	s_and_not1_b32 vcc_lo, exec_lo, s0
	s_cbranch_vccnz .LBB47_3063
; %bb.3048:
	s_cmp_lt_i32 s2, 2
	s_mov_b32 s0, -1
	s_cbranch_scc1 .LBB47_3058
; %bb.3049:
	s_cmp_lt_i32 s2, 3
	s_cbranch_scc1 .LBB47_3055
; %bb.3050:
	s_cmp_gt_i32 s2, 3
	s_cbranch_scc0 .LBB47_3052
; %bb.3051:
	s_wait_xcnt 0x0
	v_and_b32_e32 v4, 0xff, v15
	v_mov_b32_e32 v5, 0
	s_mov_b32 s0, 0
	global_store_b64 v[2:3], v[4:5], off
.LBB47_3052:
	s_and_not1_b32 vcc_lo, exec_lo, s0
	s_cbranch_vccnz .LBB47_3054
; %bb.3053:
	s_wait_xcnt 0x0
	v_and_b32_e32 v1, 0xff, v15
	global_store_b32 v[2:3], v1, off
.LBB47_3054:
	s_mov_b32 s0, 0
.LBB47_3055:
	s_delay_alu instid0(SALU_CYCLE_1)
	s_and_not1_b32 vcc_lo, exec_lo, s0
	s_cbranch_vccnz .LBB47_3057
; %bb.3056:
	s_wait_xcnt 0x0
	v_and_b32_e32 v1, 0xff, v15
	global_store_b16 v[2:3], v1, off
.LBB47_3057:
	s_mov_b32 s0, 0
.LBB47_3058:
	s_delay_alu instid0(SALU_CYCLE_1)
	s_and_not1_b32 vcc_lo, exec_lo, s0
	s_cbranch_vccnz .LBB47_3063
; %bb.3059:
	s_cmp_gt_i32 s2, 0
	s_mov_b32 s0, -1
	s_cbranch_scc0 .LBB47_3061
; %bb.3060:
	s_mov_b32 s0, 0
	global_store_b8 v[2:3], v15, off
.LBB47_3061:
	s_and_not1_b32 vcc_lo, exec_lo, s0
	s_cbranch_vccnz .LBB47_3063
; %bb.3062:
	global_store_b8 v[2:3], v15, off
.LBB47_3063:
	s_mov_b32 s6, -1
.LBB47_3064:
	s_delay_alu instid0(SALU_CYCLE_1)
	s_and_not1_b32 vcc_lo, exec_lo, s6
	s_cbranch_vccnz .LBB47_3141
; %bb.3065:
	s_wait_xcnt 0x0
	v_mov_b32_e32 v1, 0
	s_cmp_lt_i32 s2, 11
	s_delay_alu instid0(VALU_DEP_1)
	v_add_nc_u64_e32 v[2:3], s[4:5], v[0:1]
	s_cbranch_scc1 .LBB47_3142
; %bb.3066:
	s_mov_b32 s4, -1
	s_mov_b32 s3, 0
	s_cmp_gt_i32 s2, 25
	s_mov_b32 s0, 0
	s_cbranch_scc0 .LBB47_3099
; %bb.3067:
	s_cmp_gt_i32 s2, 28
	s_cbranch_scc0 .LBB47_3083
; %bb.3068:
	s_cmp_gt_i32 s2, 43
	;; [unrolled: 3-line block ×3, first 2 shown]
	s_cbranch_scc0 .LBB47_3073
; %bb.3070:
	s_cmp_eq_u32 s2, 46
	s_mov_b32 s0, -1
	s_cbranch_scc0 .LBB47_3072
; %bb.3071:
	v_cvt_f32_ubyte0_e32 v0, v8
	s_mov_b32 s0, 0
	s_delay_alu instid0(VALU_DEP_1) | instskip(NEXT) | instid1(VALU_DEP_1)
	v_bfe_u32 v1, v0, 16, 1
	v_add3_u32 v0, v0, v1, 0x7fff
	s_delay_alu instid0(VALU_DEP_1)
	v_lshrrev_b32_e32 v0, 16, v0
	global_store_b32 v[2:3], v0, off
.LBB47_3072:
	s_mov_b32 s4, 0
.LBB47_3073:
	s_delay_alu instid0(SALU_CYCLE_1)
	s_and_b32 vcc_lo, exec_lo, s4
	s_cbranch_vccz .LBB47_3078
; %bb.3074:
	s_cmp_eq_u32 s2, 44
	s_mov_b32 s0, -1
	s_cbranch_scc0 .LBB47_3078
; %bb.3075:
	v_cvt_f32_ubyte0_e32 v4, v8
	s_mov_b32 s4, exec_lo
	s_wait_xcnt 0x0
	s_delay_alu instid0(VALU_DEP_1) | instskip(NEXT) | instid1(VALU_DEP_1)
	v_dual_mov_b32 v1, 0xff :: v_dual_lshrrev_b32 v0, 23, v4
	v_cmpx_ne_u32_e32 0xff, v0
; %bb.3076:
	v_and_b32_e32 v1, 0x400000, v4
	v_and_or_b32 v4, 0x3fffff, v4, v0
	s_delay_alu instid0(VALU_DEP_2) | instskip(NEXT) | instid1(VALU_DEP_2)
	v_cmp_ne_u32_e32 vcc_lo, 0, v1
	v_cmp_ne_u32_e64 s0, 0, v4
	s_and_b32 s0, vcc_lo, s0
	s_delay_alu instid0(SALU_CYCLE_1) | instskip(NEXT) | instid1(VALU_DEP_1)
	v_cndmask_b32_e64 v1, 0, 1, s0
	v_add_nc_u32_e32 v1, v0, v1
; %bb.3077:
	s_or_b32 exec_lo, exec_lo, s4
	s_mov_b32 s0, 0
	global_store_b8 v[2:3], v1, off
.LBB47_3078:
	s_mov_b32 s4, 0
.LBB47_3079:
	s_delay_alu instid0(SALU_CYCLE_1)
	s_and_b32 vcc_lo, exec_lo, s4
	s_cbranch_vccz .LBB47_3082
; %bb.3080:
	s_cmp_eq_u32 s2, 29
	s_mov_b32 s0, -1
	s_cbranch_scc0 .LBB47_3082
; %bb.3081:
	s_wait_xcnt 0x0
	v_and_b32_e32 v0, 0xff, v8
	v_mov_b32_e32 v1, 0
	s_mov_b32 s0, 0
	global_store_b64 v[2:3], v[0:1], off
.LBB47_3082:
	s_mov_b32 s4, 0
.LBB47_3083:
	s_delay_alu instid0(SALU_CYCLE_1)
	s_and_b32 vcc_lo, exec_lo, s4
	s_cbranch_vccz .LBB47_3098
; %bb.3084:
	s_cmp_lt_i32 s2, 27
	s_mov_b32 s4, -1
	s_cbranch_scc1 .LBB47_3090
; %bb.3085:
	s_wait_xcnt 0x0
	v_and_b32_e32 v0, 0xff, v8
	s_cmp_gt_i32 s2, 27
	s_cbranch_scc0 .LBB47_3087
; %bb.3086:
	s_mov_b32 s4, 0
	global_store_b32 v[2:3], v0, off
.LBB47_3087:
	s_and_not1_b32 vcc_lo, exec_lo, s4
	s_cbranch_vccnz .LBB47_3089
; %bb.3088:
	global_store_b16 v[2:3], v0, off
.LBB47_3089:
	s_mov_b32 s4, 0
.LBB47_3090:
	s_delay_alu instid0(SALU_CYCLE_1)
	s_and_not1_b32 vcc_lo, exec_lo, s4
	s_cbranch_vccnz .LBB47_3098
; %bb.3091:
	s_wait_xcnt 0x0
	v_cvt_f32_ubyte0_e32 v1, v8
	v_mov_b32_e32 v4, 0x80
	s_mov_b32 s4, exec_lo
	s_delay_alu instid0(VALU_DEP_2)
	v_cmpx_gt_u32_e32 0x43800000, v1
	s_cbranch_execz .LBB47_3097
; %bb.3092:
	s_mov_b32 s5, 0
	s_mov_b32 s6, exec_lo
                                        ; implicit-def: $vgpr0
	v_cmpx_lt_u32_e32 0x3bffffff, v1
	s_xor_b32 s6, exec_lo, s6
	s_cbranch_execz .LBB47_3159
; %bb.3093:
	v_bfe_u32 v0, v1, 20, 1
	s_mov_b32 s5, exec_lo
	s_delay_alu instid0(VALU_DEP_1) | instskip(NEXT) | instid1(VALU_DEP_1)
	v_add3_u32 v0, v1, v0, 0x487ffff
                                        ; implicit-def: $vgpr1
	v_lshrrev_b32_e32 v0, 20, v0
	s_and_not1_saveexec_b32 s6, s6
	s_cbranch_execnz .LBB47_3160
.LBB47_3094:
	s_or_b32 exec_lo, exec_lo, s6
	v_mov_b32_e32 v4, 0
	s_and_saveexec_b32 s6, s5
.LBB47_3095:
	v_mov_b32_e32 v4, v0
.LBB47_3096:
	s_or_b32 exec_lo, exec_lo, s6
.LBB47_3097:
	s_delay_alu instid0(SALU_CYCLE_1)
	s_or_b32 exec_lo, exec_lo, s4
	global_store_b8 v[2:3], v4, off
.LBB47_3098:
	s_mov_b32 s4, 0
.LBB47_3099:
	s_delay_alu instid0(SALU_CYCLE_1)
	s_and_b32 vcc_lo, exec_lo, s4
	s_cbranch_vccz .LBB47_3139
; %bb.3100:
	s_cmp_gt_i32 s2, 22
	s_mov_b32 s3, -1
	s_cbranch_scc0 .LBB47_3132
; %bb.3101:
	s_cmp_lt_i32 s2, 24
	s_cbranch_scc1 .LBB47_3121
; %bb.3102:
	s_cmp_gt_i32 s2, 24
	s_cbranch_scc0 .LBB47_3110
; %bb.3103:
	s_wait_xcnt 0x0
	v_cvt_f32_ubyte0_e32 v1, v8
	v_mov_b32_e32 v4, 0x80
	s_mov_b32 s3, exec_lo
	s_delay_alu instid0(VALU_DEP_2)
	v_cmpx_gt_u32_e32 0x47800000, v1
	s_cbranch_execz .LBB47_3109
; %bb.3104:
	s_mov_b32 s4, 0
	s_mov_b32 s5, exec_lo
                                        ; implicit-def: $vgpr0
	v_cmpx_lt_u32_e32 0x37ffffff, v1
	s_xor_b32 s5, exec_lo, s5
	s_cbranch_execz .LBB47_3162
; %bb.3105:
	v_bfe_u32 v0, v1, 21, 1
	s_mov_b32 s4, exec_lo
	s_delay_alu instid0(VALU_DEP_1) | instskip(NEXT) | instid1(VALU_DEP_1)
	v_add3_u32 v0, v1, v0, 0x88fffff
                                        ; implicit-def: $vgpr1
	v_lshrrev_b32_e32 v0, 21, v0
	s_and_not1_saveexec_b32 s5, s5
	s_cbranch_execnz .LBB47_3163
.LBB47_3106:
	s_or_b32 exec_lo, exec_lo, s5
	v_mov_b32_e32 v4, 0
	s_and_saveexec_b32 s5, s4
.LBB47_3107:
	v_mov_b32_e32 v4, v0
.LBB47_3108:
	s_or_b32 exec_lo, exec_lo, s5
.LBB47_3109:
	s_delay_alu instid0(SALU_CYCLE_1)
	s_or_b32 exec_lo, exec_lo, s3
	s_mov_b32 s3, 0
	global_store_b8 v[2:3], v4, off
.LBB47_3110:
	s_and_b32 vcc_lo, exec_lo, s3
	s_cbranch_vccz .LBB47_3120
; %bb.3111:
	s_wait_xcnt 0x0
	v_cvt_f32_ubyte0_e32 v1, v8
	s_mov_b32 s3, exec_lo
                                        ; implicit-def: $vgpr0
	s_delay_alu instid0(VALU_DEP_1)
	v_cmpx_gt_u32_e32 0x43f00000, v1
	s_xor_b32 s3, exec_lo, s3
	s_cbranch_execz .LBB47_3117
; %bb.3112:
	s_mov_b32 s4, exec_lo
                                        ; implicit-def: $vgpr0
	v_cmpx_lt_u32_e32 0x3c7fffff, v1
	s_xor_b32 s4, exec_lo, s4
; %bb.3113:
	v_bfe_u32 v0, v1, 20, 1
	s_delay_alu instid0(VALU_DEP_1) | instskip(NEXT) | instid1(VALU_DEP_1)
	v_add3_u32 v0, v1, v0, 0x407ffff
	v_and_b32_e32 v1, 0xff00000, v0
	v_lshrrev_b32_e32 v0, 20, v0
	s_delay_alu instid0(VALU_DEP_2) | instskip(NEXT) | instid1(VALU_DEP_2)
	v_cmp_ne_u32_e32 vcc_lo, 0x7f00000, v1
                                        ; implicit-def: $vgpr1
	v_cndmask_b32_e32 v0, 0x7e, v0, vcc_lo
; %bb.3114:
	s_and_not1_saveexec_b32 s4, s4
; %bb.3115:
	v_add_f32_e32 v0, 0x46800000, v1
; %bb.3116:
	s_or_b32 exec_lo, exec_lo, s4
                                        ; implicit-def: $vgpr1
.LBB47_3117:
	s_and_not1_saveexec_b32 s3, s3
; %bb.3118:
	v_mov_b32_e32 v0, 0x7f
	v_cmp_lt_u32_e32 vcc_lo, 0x7f800000, v1
	s_delay_alu instid0(VALU_DEP_2)
	v_cndmask_b32_e32 v0, 0x7e, v0, vcc_lo
; %bb.3119:
	s_or_b32 exec_lo, exec_lo, s3
	global_store_b8 v[2:3], v0, off
.LBB47_3120:
	s_mov_b32 s3, 0
.LBB47_3121:
	s_delay_alu instid0(SALU_CYCLE_1)
	s_and_not1_b32 vcc_lo, exec_lo, s3
	s_cbranch_vccnz .LBB47_3131
; %bb.3122:
	s_wait_xcnt 0x0
	v_cvt_f32_ubyte0_e32 v1, v8
	s_mov_b32 s3, exec_lo
                                        ; implicit-def: $vgpr0
	s_delay_alu instid0(VALU_DEP_1)
	v_cmpx_gt_u32_e32 0x47800000, v1
	s_xor_b32 s3, exec_lo, s3
	s_cbranch_execz .LBB47_3128
; %bb.3123:
	s_mov_b32 s4, exec_lo
                                        ; implicit-def: $vgpr0
	v_cmpx_lt_u32_e32 0x387fffff, v1
	s_xor_b32 s4, exec_lo, s4
; %bb.3124:
	v_bfe_u32 v0, v1, 21, 1
	s_delay_alu instid0(VALU_DEP_1) | instskip(NEXT) | instid1(VALU_DEP_1)
	v_add3_u32 v0, v1, v0, 0x80fffff
                                        ; implicit-def: $vgpr1
	v_lshrrev_b32_e32 v0, 21, v0
; %bb.3125:
	s_and_not1_saveexec_b32 s4, s4
; %bb.3126:
	v_add_f32_e32 v0, 0x43000000, v1
; %bb.3127:
	s_or_b32 exec_lo, exec_lo, s4
                                        ; implicit-def: $vgpr1
.LBB47_3128:
	s_and_not1_saveexec_b32 s3, s3
; %bb.3129:
	v_mov_b32_e32 v0, 0x7f
	v_cmp_lt_u32_e32 vcc_lo, 0x7f800000, v1
	s_delay_alu instid0(VALU_DEP_2)
	v_cndmask_b32_e32 v0, 0x7c, v0, vcc_lo
; %bb.3130:
	s_or_b32 exec_lo, exec_lo, s3
	global_store_b8 v[2:3], v0, off
.LBB47_3131:
	s_mov_b32 s3, 0
.LBB47_3132:
	s_delay_alu instid0(SALU_CYCLE_1)
	s_and_not1_b32 vcc_lo, exec_lo, s3
	s_mov_b32 s3, 0
	s_cbranch_vccnz .LBB47_3139
; %bb.3133:
	s_cmp_gt_i32 s2, 14
	s_mov_b32 s3, -1
	s_cbranch_scc0 .LBB47_3137
; %bb.3134:
	s_cmp_eq_u32 s2, 15
	s_mov_b32 s0, -1
	s_cbranch_scc0 .LBB47_3136
; %bb.3135:
	s_wait_xcnt 0x0
	v_cvt_f32_ubyte0_e32 v0, v8
	s_mov_b32 s0, 0
	s_delay_alu instid0(VALU_DEP_1) | instskip(NEXT) | instid1(VALU_DEP_1)
	v_bfe_u32 v1, v0, 16, 1
	v_add3_u32 v0, v0, v1, 0x7fff
	global_store_d16_hi_b16 v[2:3], v0, off
.LBB47_3136:
	s_mov_b32 s3, 0
.LBB47_3137:
	s_delay_alu instid0(SALU_CYCLE_1)
	s_and_b32 vcc_lo, exec_lo, s3
	s_mov_b32 s3, 0
	s_cbranch_vccz .LBB47_3139
; %bb.3138:
	s_cmp_lg_u32 s2, 11
	s_mov_b32 s3, -1
	s_cselect_b32 s0, -1, 0
.LBB47_3139:
	s_delay_alu instid0(SALU_CYCLE_1)
	s_and_b32 vcc_lo, exec_lo, s0
	s_cbranch_vccnz .LBB47_3161
.LBB47_3140:
	s_mov_b32 s0, 0
	s_branch .LBB47_2742
.LBB47_3141:
	s_mov_b32 s0, 0
	s_mov_b32 s3, 0
                                        ; implicit-def: $vgpr2_vgpr3
                                        ; implicit-def: $sgpr1
	s_branch .LBB47_2742
.LBB47_3142:
	s_mov_b32 s3, 0
	s_mov_b32 s0, -1
	s_branch .LBB47_2742
.LBB47_3143:
	s_or_b32 s10, s10, exec_lo
	s_trap 2
	s_cbranch_execz .LBB47_2605
	s_branch .LBB47_2606
.LBB47_3144:
	s_and_not1_saveexec_b32 s11, s11
	s_cbranch_execz .LBB47_2691
.LBB47_3145:
	v_add_f32_e32 v5, 0x46000000, v9
	s_and_not1_b32 s7, s7, exec_lo
	s_delay_alu instid0(VALU_DEP_1) | instskip(NEXT) | instid1(VALU_DEP_1)
	v_and_b32_e32 v5, 0xff, v5
	v_cmp_ne_u32_e32 vcc_lo, 0, v5
	s_and_b32 s12, vcc_lo, exec_lo
	s_delay_alu instid0(SALU_CYCLE_1)
	s_or_b32 s7, s7, s12
	s_or_b32 exec_lo, exec_lo, s11
	v_mov_b32_e32 v10, 0
	s_and_saveexec_b32 s11, s7
	s_cbranch_execnz .LBB47_2692
	s_branch .LBB47_2693
.LBB47_3146:
	s_or_b32 s10, s10, exec_lo
	s_trap 2
	s_cbranch_execz .LBB47_2739
	s_branch .LBB47_2740
.LBB47_3147:
	s_and_not1_saveexec_b32 s7, s7
	s_cbranch_execz .LBB47_2704
.LBB47_3148:
	v_add_f32_e32 v5, 0x42800000, v9
	s_and_not1_b32 s6, s6, exec_lo
	s_delay_alu instid0(VALU_DEP_1) | instskip(NEXT) | instid1(VALU_DEP_1)
	v_and_b32_e32 v5, 0xff, v5
	v_cmp_ne_u32_e32 vcc_lo, 0, v5
	s_and_b32 s11, vcc_lo, exec_lo
	s_delay_alu instid0(SALU_CYCLE_1)
	s_or_b32 s6, s6, s11
	s_or_b32 exec_lo, exec_lo, s7
	v_mov_b32_e32 v10, 0
	s_and_saveexec_b32 s7, s6
	s_cbranch_execnz .LBB47_2705
	s_branch .LBB47_2706
.LBB47_3149:
	s_and_not1_saveexec_b32 s11, s11
	s_cbranch_execz .LBB47_2855
.LBB47_3150:
	v_add_f32_e32 v1, 0x46000000, v6
	s_and_not1_b32 s7, s7, exec_lo
	s_delay_alu instid0(VALU_DEP_1) | instskip(NEXT) | instid1(VALU_DEP_1)
	v_and_b32_e32 v1, 0xff, v1
	v_cmp_ne_u32_e32 vcc_lo, 0, v1
	s_and_b32 s12, vcc_lo, exec_lo
	s_delay_alu instid0(SALU_CYCLE_1)
	s_or_b32 s7, s7, s12
	s_or_b32 exec_lo, exec_lo, s11
	v_mov_b32_e32 v7, 0
	s_and_saveexec_b32 s11, s7
	s_cbranch_execnz .LBB47_2856
	s_branch .LBB47_2857
.LBB47_3151:
	s_or_b32 s10, s10, exec_lo
	s_trap 2
	s_cbranch_execz .LBB47_2903
	s_branch .LBB47_2904
.LBB47_3152:
	s_and_not1_saveexec_b32 s7, s7
	s_cbranch_execz .LBB47_2868
.LBB47_3153:
	v_add_f32_e32 v1, 0x42800000, v6
	s_and_not1_b32 s6, s6, exec_lo
	s_delay_alu instid0(VALU_DEP_1) | instskip(NEXT) | instid1(VALU_DEP_1)
	v_and_b32_e32 v1, 0xff, v1
	v_cmp_ne_u32_e32 vcc_lo, 0, v1
	s_and_b32 s11, vcc_lo, exec_lo
	s_delay_alu instid0(SALU_CYCLE_1)
	s_or_b32 s6, s6, s11
	s_or_b32 exec_lo, exec_lo, s7
	v_mov_b32_e32 v7, 0
	s_and_saveexec_b32 s7, s6
	s_cbranch_execnz .LBB47_2869
	s_branch .LBB47_2870
.LBB47_3154:
	s_and_not1_saveexec_b32 s11, s11
	s_cbranch_execz .LBB47_2974
.LBB47_3155:
	v_add_f32_e32 v1, 0x46000000, v4
	s_and_not1_b32 s7, s7, exec_lo
	s_delay_alu instid0(VALU_DEP_1) | instskip(NEXT) | instid1(VALU_DEP_1)
	v_and_b32_e32 v1, 0xff, v1
	v_cmp_ne_u32_e32 vcc_lo, 0, v1
	s_and_b32 s12, vcc_lo, exec_lo
	s_delay_alu instid0(SALU_CYCLE_1)
	s_or_b32 s7, s7, s12
	s_or_b32 exec_lo, exec_lo, s11
	v_mov_b32_e32 v5, 0
	s_and_saveexec_b32 s11, s7
	s_cbranch_execnz .LBB47_2975
	s_branch .LBB47_2976
.LBB47_3156:
	s_or_b32 s10, s10, exec_lo
	s_trap 2
	s_cbranch_execz .LBB47_3022
	s_branch .LBB47_3023
.LBB47_3157:
	s_and_not1_saveexec_b32 s7, s7
	s_cbranch_execz .LBB47_2987
.LBB47_3158:
	v_add_f32_e32 v1, 0x42800000, v4
	s_and_not1_b32 s6, s6, exec_lo
	s_delay_alu instid0(VALU_DEP_1) | instskip(NEXT) | instid1(VALU_DEP_1)
	v_and_b32_e32 v1, 0xff, v1
	v_cmp_ne_u32_e32 vcc_lo, 0, v1
	s_and_b32 s11, vcc_lo, exec_lo
	s_delay_alu instid0(SALU_CYCLE_1)
	s_or_b32 s6, s6, s11
	s_or_b32 exec_lo, exec_lo, s7
	v_mov_b32_e32 v5, 0
	s_and_saveexec_b32 s7, s6
	s_cbranch_execnz .LBB47_2988
	s_branch .LBB47_2989
.LBB47_3159:
	s_and_not1_saveexec_b32 s6, s6
	s_cbranch_execz .LBB47_3094
.LBB47_3160:
	v_add_f32_e32 v0, 0x46000000, v1
	s_and_not1_b32 s5, s5, exec_lo
	s_delay_alu instid0(VALU_DEP_1) | instskip(NEXT) | instid1(VALU_DEP_1)
	v_and_b32_e32 v0, 0xff, v0
	v_cmp_ne_u32_e32 vcc_lo, 0, v0
	s_and_b32 s7, vcc_lo, exec_lo
	s_delay_alu instid0(SALU_CYCLE_1)
	s_or_b32 s5, s5, s7
	s_or_b32 exec_lo, exec_lo, s6
	v_mov_b32_e32 v4, 0
	s_and_saveexec_b32 s6, s5
	s_cbranch_execnz .LBB47_3095
	s_branch .LBB47_3096
.LBB47_3161:
	s_mov_b32 s3, 0
	s_or_b32 s10, s10, exec_lo
	s_trap 2
	s_branch .LBB47_3140
.LBB47_3162:
	s_and_not1_saveexec_b32 s5, s5
	s_cbranch_execz .LBB47_3106
.LBB47_3163:
	v_add_f32_e32 v0, 0x42800000, v1
	s_and_not1_b32 s4, s4, exec_lo
	s_delay_alu instid0(VALU_DEP_1) | instskip(NEXT) | instid1(VALU_DEP_1)
	v_and_b32_e32 v0, 0xff, v0
	v_cmp_ne_u32_e32 vcc_lo, 0, v0
	s_and_b32 s6, vcc_lo, exec_lo
	s_delay_alu instid0(SALU_CYCLE_1)
	s_or_b32 s4, s4, s6
	s_or_b32 exec_lo, exec_lo, s5
	v_mov_b32_e32 v4, 0
	s_and_saveexec_b32 s5, s4
	s_cbranch_execnz .LBB47_3107
	s_branch .LBB47_3108
	.section	.rodata,"a",@progbits
	.p2align	6, 0x0
	.amdhsa_kernel _ZN2at6native32elementwise_kernel_manual_unrollILi128ELi4EZNS0_15gpu_kernel_implIZZZNS0_15lcm_kernel_cudaERNS_18TensorIteratorBaseEENKUlvE_clEvENKUlvE_clEvEUlhhE_EEvS4_RKT_EUlibE0_EEviT1_
		.amdhsa_group_segment_fixed_size 0
		.amdhsa_private_segment_fixed_size 0
		.amdhsa_kernarg_size 432
		.amdhsa_user_sgpr_count 2
		.amdhsa_user_sgpr_dispatch_ptr 0
		.amdhsa_user_sgpr_queue_ptr 0
		.amdhsa_user_sgpr_kernarg_segment_ptr 1
		.amdhsa_user_sgpr_dispatch_id 0
		.amdhsa_user_sgpr_kernarg_preload_length 0
		.amdhsa_user_sgpr_kernarg_preload_offset 0
		.amdhsa_user_sgpr_private_segment_size 0
		.amdhsa_wavefront_size32 1
		.amdhsa_uses_dynamic_stack 0
		.amdhsa_enable_private_segment 0
		.amdhsa_system_sgpr_workgroup_id_x 1
		.amdhsa_system_sgpr_workgroup_id_y 0
		.amdhsa_system_sgpr_workgroup_id_z 0
		.amdhsa_system_sgpr_workgroup_info 0
		.amdhsa_system_vgpr_workitem_id 0
		.amdhsa_next_free_vgpr 28
		.amdhsa_next_free_sgpr 60
		.amdhsa_named_barrier_count 0
		.amdhsa_reserve_vcc 1
		.amdhsa_float_round_mode_32 0
		.amdhsa_float_round_mode_16_64 0
		.amdhsa_float_denorm_mode_32 3
		.amdhsa_float_denorm_mode_16_64 3
		.amdhsa_fp16_overflow 0
		.amdhsa_memory_ordered 1
		.amdhsa_forward_progress 1
		.amdhsa_inst_pref_size 255
		.amdhsa_round_robin_scheduling 0
		.amdhsa_exception_fp_ieee_invalid_op 0
		.amdhsa_exception_fp_denorm_src 0
		.amdhsa_exception_fp_ieee_div_zero 0
		.amdhsa_exception_fp_ieee_overflow 0
		.amdhsa_exception_fp_ieee_underflow 0
		.amdhsa_exception_fp_ieee_inexact 0
		.amdhsa_exception_int_div_zero 0
	.end_amdhsa_kernel
	.section	.text._ZN2at6native32elementwise_kernel_manual_unrollILi128ELi4EZNS0_15gpu_kernel_implIZZZNS0_15lcm_kernel_cudaERNS_18TensorIteratorBaseEENKUlvE_clEvENKUlvE_clEvEUlhhE_EEvS4_RKT_EUlibE0_EEviT1_,"axG",@progbits,_ZN2at6native32elementwise_kernel_manual_unrollILi128ELi4EZNS0_15gpu_kernel_implIZZZNS0_15lcm_kernel_cudaERNS_18TensorIteratorBaseEENKUlvE_clEvENKUlvE_clEvEUlhhE_EEvS4_RKT_EUlibE0_EEviT1_,comdat
.Lfunc_end47:
	.size	_ZN2at6native32elementwise_kernel_manual_unrollILi128ELi4EZNS0_15gpu_kernel_implIZZZNS0_15lcm_kernel_cudaERNS_18TensorIteratorBaseEENKUlvE_clEvENKUlvE_clEvEUlhhE_EEvS4_RKT_EUlibE0_EEviT1_, .Lfunc_end47-_ZN2at6native32elementwise_kernel_manual_unrollILi128ELi4EZNS0_15gpu_kernel_implIZZZNS0_15lcm_kernel_cudaERNS_18TensorIteratorBaseEENKUlvE_clEvENKUlvE_clEvEUlhhE_EEvS4_RKT_EUlibE0_EEviT1_
                                        ; -- End function
	.set _ZN2at6native32elementwise_kernel_manual_unrollILi128ELi4EZNS0_15gpu_kernel_implIZZZNS0_15lcm_kernel_cudaERNS_18TensorIteratorBaseEENKUlvE_clEvENKUlvE_clEvEUlhhE_EEvS4_RKT_EUlibE0_EEviT1_.num_vgpr, 28
	.set _ZN2at6native32elementwise_kernel_manual_unrollILi128ELi4EZNS0_15gpu_kernel_implIZZZNS0_15lcm_kernel_cudaERNS_18TensorIteratorBaseEENKUlvE_clEvENKUlvE_clEvEUlhhE_EEvS4_RKT_EUlibE0_EEviT1_.num_agpr, 0
	.set _ZN2at6native32elementwise_kernel_manual_unrollILi128ELi4EZNS0_15gpu_kernel_implIZZZNS0_15lcm_kernel_cudaERNS_18TensorIteratorBaseEENKUlvE_clEvENKUlvE_clEvEUlhhE_EEvS4_RKT_EUlibE0_EEviT1_.numbered_sgpr, 60
	.set _ZN2at6native32elementwise_kernel_manual_unrollILi128ELi4EZNS0_15gpu_kernel_implIZZZNS0_15lcm_kernel_cudaERNS_18TensorIteratorBaseEENKUlvE_clEvENKUlvE_clEvEUlhhE_EEvS4_RKT_EUlibE0_EEviT1_.num_named_barrier, 0
	.set _ZN2at6native32elementwise_kernel_manual_unrollILi128ELi4EZNS0_15gpu_kernel_implIZZZNS0_15lcm_kernel_cudaERNS_18TensorIteratorBaseEENKUlvE_clEvENKUlvE_clEvEUlhhE_EEvS4_RKT_EUlibE0_EEviT1_.private_seg_size, 0
	.set _ZN2at6native32elementwise_kernel_manual_unrollILi128ELi4EZNS0_15gpu_kernel_implIZZZNS0_15lcm_kernel_cudaERNS_18TensorIteratorBaseEENKUlvE_clEvENKUlvE_clEvEUlhhE_EEvS4_RKT_EUlibE0_EEviT1_.uses_vcc, 1
	.set _ZN2at6native32elementwise_kernel_manual_unrollILi128ELi4EZNS0_15gpu_kernel_implIZZZNS0_15lcm_kernel_cudaERNS_18TensorIteratorBaseEENKUlvE_clEvENKUlvE_clEvEUlhhE_EEvS4_RKT_EUlibE0_EEviT1_.uses_flat_scratch, 0
	.set _ZN2at6native32elementwise_kernel_manual_unrollILi128ELi4EZNS0_15gpu_kernel_implIZZZNS0_15lcm_kernel_cudaERNS_18TensorIteratorBaseEENKUlvE_clEvENKUlvE_clEvEUlhhE_EEvS4_RKT_EUlibE0_EEviT1_.has_dyn_sized_stack, 0
	.set _ZN2at6native32elementwise_kernel_manual_unrollILi128ELi4EZNS0_15gpu_kernel_implIZZZNS0_15lcm_kernel_cudaERNS_18TensorIteratorBaseEENKUlvE_clEvENKUlvE_clEvEUlhhE_EEvS4_RKT_EUlibE0_EEviT1_.has_recursion, 0
	.set _ZN2at6native32elementwise_kernel_manual_unrollILi128ELi4EZNS0_15gpu_kernel_implIZZZNS0_15lcm_kernel_cudaERNS_18TensorIteratorBaseEENKUlvE_clEvENKUlvE_clEvEUlhhE_EEvS4_RKT_EUlibE0_EEviT1_.has_indirect_call, 0
	.section	.AMDGPU.csdata,"",@progbits
; Kernel info:
; codeLenInByte = 67436
; TotalNumSgprs: 62
; NumVgprs: 28
; ScratchSize: 0
; MemoryBound: 1
; FloatMode: 240
; IeeeMode: 1
; LDSByteSize: 0 bytes/workgroup (compile time only)
; SGPRBlocks: 0
; VGPRBlocks: 1
; NumSGPRsForWavesPerEU: 62
; NumVGPRsForWavesPerEU: 28
; NamedBarCnt: 0
; Occupancy: 16
; WaveLimiterHint : 1
; COMPUTE_PGM_RSRC2:SCRATCH_EN: 0
; COMPUTE_PGM_RSRC2:USER_SGPR: 2
; COMPUTE_PGM_RSRC2:TRAP_HANDLER: 0
; COMPUTE_PGM_RSRC2:TGID_X_EN: 1
; COMPUTE_PGM_RSRC2:TGID_Y_EN: 0
; COMPUTE_PGM_RSRC2:TGID_Z_EN: 0
; COMPUTE_PGM_RSRC2:TIDIG_COMP_CNT: 0
	.section	.text._ZN2at6native29vectorized_elementwise_kernelILi16EZZZNS0_15lcm_kernel_cudaERNS_18TensorIteratorBaseEENKUlvE_clEvENKUlvE0_clEvEUlaaE_St5arrayIPcLm3EEEEviT0_T1_,"axG",@progbits,_ZN2at6native29vectorized_elementwise_kernelILi16EZZZNS0_15lcm_kernel_cudaERNS_18TensorIteratorBaseEENKUlvE_clEvENKUlvE0_clEvEUlaaE_St5arrayIPcLm3EEEEviT0_T1_,comdat
	.globl	_ZN2at6native29vectorized_elementwise_kernelILi16EZZZNS0_15lcm_kernel_cudaERNS_18TensorIteratorBaseEENKUlvE_clEvENKUlvE0_clEvEUlaaE_St5arrayIPcLm3EEEEviT0_T1_ ; -- Begin function _ZN2at6native29vectorized_elementwise_kernelILi16EZZZNS0_15lcm_kernel_cudaERNS_18TensorIteratorBaseEENKUlvE_clEvENKUlvE0_clEvEUlaaE_St5arrayIPcLm3EEEEviT0_T1_
	.p2align	8
	.type	_ZN2at6native29vectorized_elementwise_kernelILi16EZZZNS0_15lcm_kernel_cudaERNS_18TensorIteratorBaseEENKUlvE_clEvENKUlvE0_clEvEUlaaE_St5arrayIPcLm3EEEEviT0_T1_,@function
_ZN2at6native29vectorized_elementwise_kernelILi16EZZZNS0_15lcm_kernel_cudaERNS_18TensorIteratorBaseEENKUlvE_clEvENKUlvE0_clEvEUlaaE_St5arrayIPcLm3EEEEviT0_T1_: ; @_ZN2at6native29vectorized_elementwise_kernelILi16EZZZNS0_15lcm_kernel_cudaERNS_18TensorIteratorBaseEENKUlvE_clEvENKUlvE0_clEvEUlaaE_St5arrayIPcLm3EEEEviT0_T1_
; %bb.0:
	s_clause 0x2
	s_load_b32 s3, s[0:1], 0x0
	s_load_b128 s[4:7], s[0:1], 0x8
	s_load_b64 s[8:9], s[0:1], 0x18
	s_wait_xcnt 0x0
	s_bfe_u32 s0, ttmp6, 0x4000c
	s_and_b32 s1, ttmp6, 15
	s_add_co_i32 s0, s0, 1
	s_getreg_b32 s2, hwreg(HW_REG_IB_STS2, 6, 4)
	s_mul_i32 s0, ttmp9, s0
	s_delay_alu instid0(SALU_CYCLE_1) | instskip(SKIP_2) | instid1(SALU_CYCLE_1)
	s_add_co_i32 s1, s1, s0
	s_cmp_eq_u32 s2, 0
	s_cselect_b32 s0, ttmp9, s1
	s_lshl_b32 s2, s0, 12
	s_mov_b32 s0, -1
	s_wait_kmcnt 0x0
	s_sub_co_i32 s1, s3, s2
	s_delay_alu instid0(SALU_CYCLE_1)
	s_cmp_gt_i32 s1, 0xfff
	s_cbranch_scc0 .LBB48_98
; %bb.1:
	s_ashr_i32 s3, s2, 31
	s_mov_b32 s0, exec_lo
	s_add_nc_u64 s[10:11], s[8:9], s[2:3]
	global_load_b128 v[6:9], v0, s[10:11] scale_offset
	s_wait_xcnt 0x0
	s_add_nc_u64 s[10:11], s[6:7], s[2:3]
	global_load_b128 v[2:5], v0, s[10:11] scale_offset
	s_wait_loadcnt 0x1
	v_bfe_i32 v10, v6, 0, 8
	s_wait_loadcnt 0x0
	v_and_b32_e32 v1, 0xff, v2
	s_delay_alu instid0(VALU_DEP_2) | instskip(NEXT) | instid1(VALU_DEP_1)
	v_sub_nc_u16 v11, 0, v10
	v_max_i16 v12, v10, v11
	v_bfe_i32 v11, v2, 0, 8
	s_delay_alu instid0(VALU_DEP_4)
	v_cmpx_ne_u16_e32 0, v1
	s_cbranch_execz .LBB48_5
; %bb.2:
	s_delay_alu instid0(VALU_DEP_2) | instskip(SKIP_1) | instid1(VALU_DEP_1)
	v_sub_nc_u16 v1, 0, v11
	s_mov_b32 s10, 0
	v_max_i16 v13, v11, v1
	v_and_b32_e32 v1, 0xff, v12
	s_delay_alu instid0(VALU_DEP_2)
	v_and_b32_e32 v13, 0xffff, v13
.LBB48_3:                               ; =>This Inner Loop Header: Depth=1
	s_delay_alu instid0(VALU_DEP_2) | instskip(NEXT) | instid1(VALU_DEP_2)
	v_bfe_i32 v15, v1, 0, 8
	v_mov_b32_e32 v12, v13
	s_delay_alu instid0(VALU_DEP_2) | instskip(NEXT) | instid1(VALU_DEP_2)
	v_cvt_f32_i32_e32 v17, v15
	v_bfe_i32 v13, v12, 0, 8
	s_delay_alu instid0(VALU_DEP_1) | instskip(SKIP_1) | instid1(VALU_DEP_2)
	v_cvt_f32_i32_e32 v14, v13
	v_xor_b32_e32 v13, v15, v13
	v_rcp_iflag_f32_e32 v16, v14
	v_nop
	s_delay_alu instid0(TRANS32_DEP_1) | instskip(NEXT) | instid1(VALU_DEP_1)
	v_dual_ashrrev_i32 v13, 30, v13 :: v_dual_mul_f32 v15, v17, v16
	v_trunc_f32_e32 v15, v15
	s_delay_alu instid0(VALU_DEP_1) | instskip(SKIP_1) | instid1(VALU_DEP_2)
	v_dual_fma_f32 v16, -v15, v14, v17 :: v_dual_bitop2_b32 v13, 1, v13 bitop3:0x54
	v_cvt_i32_f32_e32 v15, v15
	v_cmp_ge_f32_e64 vcc_lo, |v16|, |v14|
	s_delay_alu instid0(VALU_DEP_3) | instskip(NEXT) | instid1(VALU_DEP_1)
	v_cndmask_b32_e32 v13, 0, v13, vcc_lo
	v_add_nc_u32_e32 v13, v15, v13
	s_delay_alu instid0(VALU_DEP_1) | instskip(NEXT) | instid1(VALU_DEP_1)
	v_mul_lo_u32 v13, v13, v12
	v_sub_nc_u32_e32 v1, v1, v13
	s_delay_alu instid0(VALU_DEP_1) | instskip(SKIP_1) | instid1(VALU_DEP_2)
	v_bfe_i32 v13, v1, 0, 8
	v_mov_b32_e32 v1, v12
	v_cmp_eq_u16_e32 vcc_lo, 0, v13
	v_and_b32_e32 v13, 0xffff, v13
	s_or_b32 s10, vcc_lo, s10
	s_delay_alu instid0(SALU_CYCLE_1)
	s_and_not1_b32 exec_lo, exec_lo, s10
	s_cbranch_execnz .LBB48_3
; %bb.4:
	s_or_b32 exec_lo, exec_lo, s10
.LBB48_5:
	s_delay_alu instid0(SALU_CYCLE_1) | instskip(SKIP_3) | instid1(VALU_DEP_2)
	s_or_b32 exec_lo, exec_lo, s0
	v_and_b32_e32 v13, 0xff, v12
	v_mov_b32_e32 v1, 0
	s_mov_b32 s0, exec_lo
	v_cmpx_ne_u16_e32 0, v13
	s_cbranch_execz .LBB48_7
; %bb.6:
	v_bfe_i32 v1, v12, 0, 8
	v_cvt_f32_i32_e32 v14, v11
	s_delay_alu instid0(VALU_DEP_2) | instskip(SKIP_1) | instid1(VALU_DEP_2)
	v_cvt_f32_i32_e32 v12, v1
	v_xor_b32_e32 v1, v11, v1
	v_rcp_iflag_f32_e32 v13, v12
	v_nop
	s_delay_alu instid0(TRANS32_DEP_1) | instskip(NEXT) | instid1(VALU_DEP_1)
	v_mul_f32_e32 v13, v14, v13
	v_trunc_f32_e32 v11, v13
	s_delay_alu instid0(VALU_DEP_1) | instskip(SKIP_1) | instid1(VALU_DEP_2)
	v_dual_fma_f32 v13, -v11, v12, v14 :: v_dual_ashrrev_i32 v1, 30, v1
	v_cvt_i32_f32_e32 v11, v11
	v_cmp_ge_f32_e64 vcc_lo, |v13|, |v12|
	s_delay_alu instid0(VALU_DEP_3) | instskip(NEXT) | instid1(VALU_DEP_1)
	v_or_b32_e32 v1, 1, v1
	v_cndmask_b32_e32 v1, 0, v1, vcc_lo
	s_delay_alu instid0(VALU_DEP_1) | instskip(NEXT) | instid1(VALU_DEP_1)
	v_add_nc_u32_e32 v1, v11, v1
	v_bfe_i32 v1, v1, 0, 8
	s_delay_alu instid0(VALU_DEP_1) | instskip(NEXT) | instid1(VALU_DEP_1)
	v_mul_i32_i24_e32 v1, v1, v10
	v_sub_nc_u32_e32 v10, 0, v1
	s_delay_alu instid0(VALU_DEP_1)
	v_max_i32_e32 v1, v1, v10
.LBB48_7:
	s_or_b32 exec_lo, exec_lo, s0
	v_lshrrev_b32_e32 v10, 8, v6
	v_lshrrev_b32_e32 v12, 8, v2
	s_mov_b32 s10, 0
	s_mov_b32 s0, exec_lo
	s_delay_alu instid0(VALU_DEP_2) | instskip(NEXT) | instid1(VALU_DEP_2)
	v_bfe_i32 v11, v10, 0, 8
	v_and_b32_e32 v10, 0xff, v12
	v_bfe_i32 v12, v12, 0, 8
	s_delay_alu instid0(VALU_DEP_3) | instskip(NEXT) | instid1(VALU_DEP_1)
	v_sub_nc_u16 v13, 0, v11
	v_max_i16 v13, v11, v13
	s_delay_alu instid0(VALU_DEP_4)
	v_cmpx_ne_u16_e32 0, v10
	s_cbranch_execz .LBB48_11
; %bb.8:
	v_sub_nc_u16 v10, 0, v12
	s_delay_alu instid0(VALU_DEP_1) | instskip(SKIP_1) | instid1(VALU_DEP_2)
	v_max_i16 v14, v12, v10
	v_and_b32_e32 v10, 0xff, v13
	v_and_b32_e32 v14, 0xffff, v14
.LBB48_9:                               ; =>This Inner Loop Header: Depth=1
	s_delay_alu instid0(VALU_DEP_2) | instskip(NEXT) | instid1(VALU_DEP_2)
	v_bfe_i32 v16, v10, 0, 8
	v_mov_b32_e32 v13, v14
	s_delay_alu instid0(VALU_DEP_2) | instskip(NEXT) | instid1(VALU_DEP_2)
	v_cvt_f32_i32_e32 v18, v16
	v_bfe_i32 v14, v13, 0, 8
	s_delay_alu instid0(VALU_DEP_1) | instskip(SKIP_1) | instid1(VALU_DEP_2)
	v_cvt_f32_i32_e32 v15, v14
	v_xor_b32_e32 v14, v16, v14
	v_rcp_iflag_f32_e32 v17, v15
	v_nop
	s_delay_alu instid0(TRANS32_DEP_1) | instskip(NEXT) | instid1(VALU_DEP_1)
	v_dual_ashrrev_i32 v14, 30, v14 :: v_dual_mul_f32 v16, v18, v17
	v_trunc_f32_e32 v16, v16
	s_delay_alu instid0(VALU_DEP_1) | instskip(SKIP_1) | instid1(VALU_DEP_2)
	v_dual_fma_f32 v17, -v16, v15, v18 :: v_dual_bitop2_b32 v14, 1, v14 bitop3:0x54
	v_cvt_i32_f32_e32 v16, v16
	v_cmp_ge_f32_e64 vcc_lo, |v17|, |v15|
	s_delay_alu instid0(VALU_DEP_3) | instskip(NEXT) | instid1(VALU_DEP_1)
	v_cndmask_b32_e32 v14, 0, v14, vcc_lo
	v_add_nc_u32_e32 v14, v16, v14
	s_delay_alu instid0(VALU_DEP_1) | instskip(NEXT) | instid1(VALU_DEP_1)
	v_mul_lo_u32 v14, v14, v13
	v_sub_nc_u32_e32 v10, v10, v14
	s_delay_alu instid0(VALU_DEP_1) | instskip(SKIP_1) | instid1(VALU_DEP_2)
	v_bfe_i32 v14, v10, 0, 8
	v_mov_b32_e32 v10, v13
	v_cmp_eq_u16_e32 vcc_lo, 0, v14
	v_and_b32_e32 v14, 0xffff, v14
	s_or_b32 s10, vcc_lo, s10
	s_delay_alu instid0(SALU_CYCLE_1)
	s_and_not1_b32 exec_lo, exec_lo, s10
	s_cbranch_execnz .LBB48_9
; %bb.10:
	s_or_b32 exec_lo, exec_lo, s10
.LBB48_11:
	s_delay_alu instid0(SALU_CYCLE_1) | instskip(NEXT) | instid1(VALU_DEP_2)
	s_or_b32 exec_lo, exec_lo, s0
	v_and_b32_e32 v14, 0xff, v13
	v_mov_b32_e32 v10, 0
	s_mov_b32 s0, exec_lo
	s_delay_alu instid0(VALU_DEP_2)
	v_cmpx_ne_u16_e32 0, v14
	s_cbranch_execz .LBB48_13
; %bb.12:
	v_bfe_i32 v10, v13, 0, 8
	v_cvt_f32_i32_e32 v15, v12
	s_delay_alu instid0(VALU_DEP_2) | instskip(SKIP_1) | instid1(VALU_DEP_2)
	v_cvt_f32_i32_e32 v13, v10
	v_xor_b32_e32 v10, v12, v10
	v_rcp_iflag_f32_e32 v14, v13
	v_nop
	s_delay_alu instid0(TRANS32_DEP_1) | instskip(NEXT) | instid1(VALU_DEP_1)
	v_mul_f32_e32 v14, v15, v14
	v_trunc_f32_e32 v12, v14
	s_delay_alu instid0(VALU_DEP_1) | instskip(SKIP_1) | instid1(VALU_DEP_2)
	v_dual_fma_f32 v14, -v12, v13, v15 :: v_dual_ashrrev_i32 v10, 30, v10
	v_cvt_i32_f32_e32 v12, v12
	v_cmp_ge_f32_e64 vcc_lo, |v14|, |v13|
	s_delay_alu instid0(VALU_DEP_3) | instskip(NEXT) | instid1(VALU_DEP_1)
	v_or_b32_e32 v10, 1, v10
	v_cndmask_b32_e32 v10, 0, v10, vcc_lo
	s_delay_alu instid0(VALU_DEP_1) | instskip(NEXT) | instid1(VALU_DEP_1)
	v_add_nc_u32_e32 v10, v12, v10
	v_bfe_i32 v10, v10, 0, 8
	s_delay_alu instid0(VALU_DEP_1) | instskip(NEXT) | instid1(VALU_DEP_1)
	v_mul_i32_i24_e32 v10, v10, v11
	v_sub_nc_u32_e32 v11, 0, v10
	s_delay_alu instid0(VALU_DEP_1)
	v_max_i32_e32 v10, v10, v11
.LBB48_13:
	s_or_b32 exec_lo, exec_lo, s0
	v_lshrrev_b32_e32 v11, 16, v6
	v_lshrrev_b32_e32 v13, 16, v2
	s_mov_b32 s10, 0
	s_mov_b32 s0, exec_lo
	s_delay_alu instid0(VALU_DEP_2) | instskip(NEXT) | instid1(VALU_DEP_2)
	v_bfe_i32 v12, v11, 0, 8
	v_and_b32_e32 v11, 0xff, v13
	v_bfe_i32 v13, v13, 0, 8
	s_delay_alu instid0(VALU_DEP_3) | instskip(NEXT) | instid1(VALU_DEP_1)
	v_sub_nc_u16 v14, 0, v12
	v_max_i16 v14, v12, v14
	s_delay_alu instid0(VALU_DEP_4)
	v_cmpx_ne_u16_e32 0, v11
	s_cbranch_execz .LBB48_17
; %bb.14:
	v_sub_nc_u16 v11, 0, v13
	s_delay_alu instid0(VALU_DEP_1) | instskip(SKIP_1) | instid1(VALU_DEP_2)
	v_max_i16 v15, v13, v11
	v_and_b32_e32 v11, 0xff, v14
	v_and_b32_e32 v15, 0xffff, v15
.LBB48_15:                              ; =>This Inner Loop Header: Depth=1
	s_delay_alu instid0(VALU_DEP_2) | instskip(NEXT) | instid1(VALU_DEP_2)
	v_bfe_i32 v17, v11, 0, 8
	v_mov_b32_e32 v14, v15
	s_delay_alu instid0(VALU_DEP_2) | instskip(NEXT) | instid1(VALU_DEP_2)
	v_cvt_f32_i32_e32 v19, v17
	v_bfe_i32 v15, v14, 0, 8
	s_delay_alu instid0(VALU_DEP_1) | instskip(SKIP_1) | instid1(VALU_DEP_2)
	v_cvt_f32_i32_e32 v16, v15
	v_xor_b32_e32 v15, v17, v15
	v_rcp_iflag_f32_e32 v18, v16
	v_nop
	s_delay_alu instid0(TRANS32_DEP_1) | instskip(NEXT) | instid1(VALU_DEP_1)
	v_dual_ashrrev_i32 v15, 30, v15 :: v_dual_mul_f32 v17, v19, v18
	v_trunc_f32_e32 v17, v17
	s_delay_alu instid0(VALU_DEP_1) | instskip(SKIP_1) | instid1(VALU_DEP_2)
	v_dual_fma_f32 v18, -v17, v16, v19 :: v_dual_bitop2_b32 v15, 1, v15 bitop3:0x54
	v_cvt_i32_f32_e32 v17, v17
	v_cmp_ge_f32_e64 vcc_lo, |v18|, |v16|
	s_delay_alu instid0(VALU_DEP_3) | instskip(NEXT) | instid1(VALU_DEP_1)
	v_cndmask_b32_e32 v15, 0, v15, vcc_lo
	v_add_nc_u32_e32 v15, v17, v15
	s_delay_alu instid0(VALU_DEP_1) | instskip(NEXT) | instid1(VALU_DEP_1)
	v_mul_lo_u32 v15, v15, v14
	v_sub_nc_u32_e32 v11, v11, v15
	s_delay_alu instid0(VALU_DEP_1) | instskip(SKIP_1) | instid1(VALU_DEP_2)
	v_bfe_i32 v15, v11, 0, 8
	v_mov_b32_e32 v11, v14
	v_cmp_eq_u16_e32 vcc_lo, 0, v15
	v_and_b32_e32 v15, 0xffff, v15
	s_or_b32 s10, vcc_lo, s10
	s_delay_alu instid0(SALU_CYCLE_1)
	s_and_not1_b32 exec_lo, exec_lo, s10
	s_cbranch_execnz .LBB48_15
; %bb.16:
	s_or_b32 exec_lo, exec_lo, s10
.LBB48_17:
	s_delay_alu instid0(SALU_CYCLE_1) | instskip(NEXT) | instid1(VALU_DEP_2)
	s_or_b32 exec_lo, exec_lo, s0
	v_and_b32_e32 v15, 0xff, v14
	v_mov_b32_e32 v11, 0
	s_mov_b32 s0, exec_lo
	s_delay_alu instid0(VALU_DEP_2)
	v_cmpx_ne_u16_e32 0, v15
	s_cbranch_execz .LBB48_19
; %bb.18:
	v_bfe_i32 v11, v14, 0, 8
	v_cvt_f32_i32_e32 v16, v13
	s_delay_alu instid0(VALU_DEP_2) | instskip(SKIP_1) | instid1(VALU_DEP_2)
	v_cvt_f32_i32_e32 v14, v11
	v_xor_b32_e32 v11, v13, v11
	v_rcp_iflag_f32_e32 v15, v14
	v_nop
	s_delay_alu instid0(TRANS32_DEP_1) | instskip(NEXT) | instid1(VALU_DEP_1)
	v_mul_f32_e32 v15, v16, v15
	v_trunc_f32_e32 v13, v15
	s_delay_alu instid0(VALU_DEP_1) | instskip(SKIP_1) | instid1(VALU_DEP_2)
	v_dual_fma_f32 v15, -v13, v14, v16 :: v_dual_ashrrev_i32 v11, 30, v11
	v_cvt_i32_f32_e32 v13, v13
	v_cmp_ge_f32_e64 vcc_lo, |v15|, |v14|
	s_delay_alu instid0(VALU_DEP_3) | instskip(NEXT) | instid1(VALU_DEP_1)
	v_or_b32_e32 v11, 1, v11
	v_cndmask_b32_e32 v11, 0, v11, vcc_lo
	s_delay_alu instid0(VALU_DEP_1) | instskip(NEXT) | instid1(VALU_DEP_1)
	v_add_nc_u32_e32 v11, v13, v11
	v_bfe_i32 v11, v11, 0, 8
	s_delay_alu instid0(VALU_DEP_1) | instskip(NEXT) | instid1(VALU_DEP_1)
	v_mul_i32_i24_e32 v11, v11, v12
	v_sub_nc_u32_e32 v12, 0, v11
	s_delay_alu instid0(VALU_DEP_1)
	v_max_i32_e32 v11, v11, v12
.LBB48_19:
	s_or_b32 exec_lo, exec_lo, s0
	v_lshrrev_b64 v[12:13], 24, v[6:7]
	v_lshrrev_b64 v[14:15], 24, v[2:3]
	s_mov_b32 s10, 0
	s_mov_b32 s0, exec_lo
	s_delay_alu instid0(VALU_DEP_2) | instskip(NEXT) | instid1(VALU_DEP_2)
	v_bfe_i32 v6, v12, 0, 8
	v_and_b32_e32 v2, 0xff, v14
	s_delay_alu instid0(VALU_DEP_2) | instskip(NEXT) | instid1(VALU_DEP_1)
	v_sub_nc_u16 v12, 0, v6
	v_max_i16 v13, v6, v12
	v_bfe_i32 v12, v14, 0, 8
	s_delay_alu instid0(VALU_DEP_4)
	v_cmpx_ne_u16_e32 0, v2
	s_cbranch_execz .LBB48_23
; %bb.20:
	s_delay_alu instid0(VALU_DEP_2) | instskip(NEXT) | instid1(VALU_DEP_1)
	v_sub_nc_u16 v2, 0, v12
	v_max_i16 v14, v12, v2
	v_and_b32_e32 v2, 0xff, v13
	s_delay_alu instid0(VALU_DEP_2)
	v_and_b32_e32 v14, 0xffff, v14
.LBB48_21:                              ; =>This Inner Loop Header: Depth=1
	s_delay_alu instid0(VALU_DEP_2) | instskip(NEXT) | instid1(VALU_DEP_2)
	v_bfe_i32 v16, v2, 0, 8
	v_mov_b32_e32 v13, v14
	s_delay_alu instid0(VALU_DEP_2) | instskip(NEXT) | instid1(VALU_DEP_2)
	v_cvt_f32_i32_e32 v18, v16
	v_bfe_i32 v14, v13, 0, 8
	s_delay_alu instid0(VALU_DEP_1) | instskip(SKIP_1) | instid1(VALU_DEP_2)
	v_cvt_f32_i32_e32 v15, v14
	v_xor_b32_e32 v14, v16, v14
	v_rcp_iflag_f32_e32 v17, v15
	v_nop
	s_delay_alu instid0(TRANS32_DEP_1) | instskip(NEXT) | instid1(VALU_DEP_1)
	v_dual_ashrrev_i32 v14, 30, v14 :: v_dual_mul_f32 v16, v18, v17
	v_trunc_f32_e32 v16, v16
	s_delay_alu instid0(VALU_DEP_1) | instskip(SKIP_1) | instid1(VALU_DEP_2)
	v_dual_fma_f32 v17, -v16, v15, v18 :: v_dual_bitop2_b32 v14, 1, v14 bitop3:0x54
	v_cvt_i32_f32_e32 v16, v16
	v_cmp_ge_f32_e64 vcc_lo, |v17|, |v15|
	s_delay_alu instid0(VALU_DEP_3) | instskip(NEXT) | instid1(VALU_DEP_1)
	v_cndmask_b32_e32 v14, 0, v14, vcc_lo
	v_add_nc_u32_e32 v14, v16, v14
	s_delay_alu instid0(VALU_DEP_1) | instskip(NEXT) | instid1(VALU_DEP_1)
	v_mul_lo_u32 v14, v14, v13
	v_sub_nc_u32_e32 v2, v2, v14
	s_delay_alu instid0(VALU_DEP_1) | instskip(SKIP_1) | instid1(VALU_DEP_2)
	v_bfe_i32 v14, v2, 0, 8
	v_mov_b32_e32 v2, v13
	v_cmp_eq_u16_e32 vcc_lo, 0, v14
	v_and_b32_e32 v14, 0xffff, v14
	s_or_b32 s10, vcc_lo, s10
	s_delay_alu instid0(SALU_CYCLE_1)
	s_and_not1_b32 exec_lo, exec_lo, s10
	s_cbranch_execnz .LBB48_21
; %bb.22:
	s_or_b32 exec_lo, exec_lo, s10
.LBB48_23:
	s_delay_alu instid0(SALU_CYCLE_1) | instskip(SKIP_3) | instid1(VALU_DEP_2)
	s_or_b32 exec_lo, exec_lo, s0
	v_and_b32_e32 v14, 0xff, v13
	v_mov_b32_e32 v2, 0
	s_mov_b32 s0, exec_lo
	v_cmpx_ne_u16_e32 0, v14
	s_cbranch_execz .LBB48_25
; %bb.24:
	v_bfe_i32 v2, v13, 0, 8
	v_cvt_f32_i32_e32 v15, v12
	s_delay_alu instid0(VALU_DEP_2) | instskip(SKIP_1) | instid1(VALU_DEP_2)
	v_cvt_f32_i32_e32 v13, v2
	v_xor_b32_e32 v2, v12, v2
	v_rcp_iflag_f32_e32 v14, v13
	v_nop
	s_delay_alu instid0(TRANS32_DEP_1) | instskip(NEXT) | instid1(VALU_DEP_1)
	v_mul_f32_e32 v14, v15, v14
	v_trunc_f32_e32 v12, v14
	s_delay_alu instid0(VALU_DEP_1) | instskip(SKIP_1) | instid1(VALU_DEP_2)
	v_dual_fma_f32 v14, -v12, v13, v15 :: v_dual_ashrrev_i32 v2, 30, v2
	v_cvt_i32_f32_e32 v12, v12
	v_cmp_ge_f32_e64 vcc_lo, |v14|, |v13|
	s_delay_alu instid0(VALU_DEP_3) | instskip(NEXT) | instid1(VALU_DEP_1)
	v_or_b32_e32 v2, 1, v2
	v_cndmask_b32_e32 v2, 0, v2, vcc_lo
	s_delay_alu instid0(VALU_DEP_1) | instskip(NEXT) | instid1(VALU_DEP_1)
	v_add_nc_u32_e32 v2, v12, v2
	v_bfe_i32 v2, v2, 0, 8
	s_delay_alu instid0(VALU_DEP_1) | instskip(NEXT) | instid1(VALU_DEP_1)
	v_mul_i32_i24_e32 v2, v2, v6
	v_sub_nc_u32_e32 v6, 0, v2
	s_delay_alu instid0(VALU_DEP_1)
	v_max_i32_e32 v2, v2, v6
.LBB48_25:
	s_or_b32 exec_lo, exec_lo, s0
	v_bfe_i32 v12, v7, 0, 8
	v_and_b32_e32 v6, 0xff, v3
	s_mov_b32 s10, 0
	s_mov_b32 s0, exec_lo
	s_delay_alu instid0(VALU_DEP_2) | instskip(NEXT) | instid1(VALU_DEP_1)
	v_sub_nc_u16 v13, 0, v12
	v_max_i16 v14, v12, v13
	v_bfe_i32 v13, v3, 0, 8
	v_cmpx_ne_u16_e32 0, v6
	s_cbranch_execz .LBB48_29
; %bb.26:
	s_delay_alu instid0(VALU_DEP_2) | instskip(NEXT) | instid1(VALU_DEP_1)
	v_sub_nc_u16 v6, 0, v13
	v_max_i16 v15, v13, v6
	v_and_b32_e32 v6, 0xff, v14
	s_delay_alu instid0(VALU_DEP_2)
	v_and_b32_e32 v15, 0xffff, v15
.LBB48_27:                              ; =>This Inner Loop Header: Depth=1
	s_delay_alu instid0(VALU_DEP_2) | instskip(NEXT) | instid1(VALU_DEP_2)
	v_bfe_i32 v17, v6, 0, 8
	v_mov_b32_e32 v14, v15
	s_delay_alu instid0(VALU_DEP_2) | instskip(NEXT) | instid1(VALU_DEP_2)
	v_cvt_f32_i32_e32 v19, v17
	v_bfe_i32 v15, v14, 0, 8
	s_delay_alu instid0(VALU_DEP_1) | instskip(SKIP_1) | instid1(VALU_DEP_2)
	v_cvt_f32_i32_e32 v16, v15
	v_xor_b32_e32 v15, v17, v15
	v_rcp_iflag_f32_e32 v18, v16
	v_nop
	s_delay_alu instid0(TRANS32_DEP_1) | instskip(NEXT) | instid1(VALU_DEP_1)
	v_dual_ashrrev_i32 v15, 30, v15 :: v_dual_mul_f32 v17, v19, v18
	v_trunc_f32_e32 v17, v17
	s_delay_alu instid0(VALU_DEP_1) | instskip(SKIP_1) | instid1(VALU_DEP_2)
	v_dual_fma_f32 v18, -v17, v16, v19 :: v_dual_bitop2_b32 v15, 1, v15 bitop3:0x54
	v_cvt_i32_f32_e32 v17, v17
	v_cmp_ge_f32_e64 vcc_lo, |v18|, |v16|
	s_delay_alu instid0(VALU_DEP_3) | instskip(NEXT) | instid1(VALU_DEP_1)
	v_cndmask_b32_e32 v15, 0, v15, vcc_lo
	v_add_nc_u32_e32 v15, v17, v15
	s_delay_alu instid0(VALU_DEP_1) | instskip(NEXT) | instid1(VALU_DEP_1)
	v_mul_lo_u32 v15, v15, v14
	v_sub_nc_u32_e32 v6, v6, v15
	s_delay_alu instid0(VALU_DEP_1) | instskip(SKIP_1) | instid1(VALU_DEP_2)
	v_bfe_i32 v15, v6, 0, 8
	v_mov_b32_e32 v6, v14
	v_cmp_eq_u16_e32 vcc_lo, 0, v15
	v_and_b32_e32 v15, 0xffff, v15
	s_or_b32 s10, vcc_lo, s10
	s_delay_alu instid0(SALU_CYCLE_1)
	s_and_not1_b32 exec_lo, exec_lo, s10
	s_cbranch_execnz .LBB48_27
; %bb.28:
	s_or_b32 exec_lo, exec_lo, s10
.LBB48_29:
	s_delay_alu instid0(SALU_CYCLE_1) | instskip(SKIP_3) | instid1(VALU_DEP_2)
	s_or_b32 exec_lo, exec_lo, s0
	v_and_b32_e32 v15, 0xff, v14
	v_mov_b32_e32 v6, 0
	s_mov_b32 s0, exec_lo
	v_cmpx_ne_u16_e32 0, v15
	s_cbranch_execz .LBB48_31
; %bb.30:
	v_bfe_i32 v6, v14, 0, 8
	v_cvt_f32_i32_e32 v16, v13
	s_delay_alu instid0(VALU_DEP_2) | instskip(SKIP_1) | instid1(VALU_DEP_2)
	v_cvt_f32_i32_e32 v14, v6
	v_xor_b32_e32 v6, v13, v6
	v_rcp_iflag_f32_e32 v15, v14
	s_delay_alu instid0(VALU_DEP_1)
	v_ashrrev_i32_e32 v6, 30, v6
	s_delay_alu instid0(TRANS32_DEP_1) | instid1(VALU_DEP_1)
	v_dual_mul_f32 v15, v16, v15 :: v_dual_bitop2_b32 v6, 1, v6 bitop3:0x54
	s_delay_alu instid0(VALU_DEP_1) | instskip(NEXT) | instid1(VALU_DEP_1)
	v_trunc_f32_e32 v13, v15
	v_fma_f32 v15, -v13, v14, v16
	v_cvt_i32_f32_e32 v13, v13
	s_delay_alu instid0(VALU_DEP_2) | instskip(SKIP_1) | instid1(VALU_DEP_1)
	v_cmp_ge_f32_e64 vcc_lo, |v15|, |v14|
	v_cndmask_b32_e32 v6, 0, v6, vcc_lo
	v_add_nc_u32_e32 v6, v13, v6
	s_delay_alu instid0(VALU_DEP_1) | instskip(NEXT) | instid1(VALU_DEP_1)
	v_bfe_i32 v6, v6, 0, 8
	v_mul_i32_i24_e32 v6, v6, v12
	s_delay_alu instid0(VALU_DEP_1) | instskip(NEXT) | instid1(VALU_DEP_1)
	v_sub_nc_u32_e32 v12, 0, v6
	v_max_i32_e32 v6, v6, v12
.LBB48_31:
	s_or_b32 exec_lo, exec_lo, s0
	v_lshrrev_b32_e32 v12, 8, v7
	v_lshrrev_b32_e32 v14, 8, v3
	s_mov_b32 s10, 0
	s_mov_b32 s0, exec_lo
	s_delay_alu instid0(VALU_DEP_2) | instskip(NEXT) | instid1(VALU_DEP_2)
	v_bfe_i32 v13, v12, 0, 8
	v_and_b32_e32 v12, 0xff, v14
	v_bfe_i32 v14, v14, 0, 8
	s_delay_alu instid0(VALU_DEP_3) | instskip(NEXT) | instid1(VALU_DEP_1)
	v_sub_nc_u16 v15, 0, v13
	v_max_i16 v15, v13, v15
	s_delay_alu instid0(VALU_DEP_4)
	v_cmpx_ne_u16_e32 0, v12
	s_cbranch_execz .LBB48_35
; %bb.32:
	v_sub_nc_u16 v12, 0, v14
	s_delay_alu instid0(VALU_DEP_1) | instskip(SKIP_1) | instid1(VALU_DEP_2)
	v_max_i16 v16, v14, v12
	v_and_b32_e32 v12, 0xff, v15
	v_and_b32_e32 v16, 0xffff, v16
.LBB48_33:                              ; =>This Inner Loop Header: Depth=1
	s_delay_alu instid0(VALU_DEP_2) | instskip(NEXT) | instid1(VALU_DEP_2)
	v_bfe_i32 v18, v12, 0, 8
	v_mov_b32_e32 v15, v16
	s_delay_alu instid0(VALU_DEP_2) | instskip(NEXT) | instid1(VALU_DEP_2)
	v_cvt_f32_i32_e32 v20, v18
	v_bfe_i32 v16, v15, 0, 8
	s_delay_alu instid0(VALU_DEP_1) | instskip(SKIP_1) | instid1(VALU_DEP_2)
	v_cvt_f32_i32_e32 v17, v16
	v_xor_b32_e32 v16, v18, v16
	v_rcp_iflag_f32_e32 v19, v17
	v_nop
	s_delay_alu instid0(TRANS32_DEP_1) | instskip(NEXT) | instid1(VALU_DEP_1)
	v_dual_ashrrev_i32 v16, 30, v16 :: v_dual_mul_f32 v18, v20, v19
	v_trunc_f32_e32 v18, v18
	s_delay_alu instid0(VALU_DEP_1) | instskip(SKIP_1) | instid1(VALU_DEP_2)
	v_dual_fma_f32 v19, -v18, v17, v20 :: v_dual_bitop2_b32 v16, 1, v16 bitop3:0x54
	v_cvt_i32_f32_e32 v18, v18
	v_cmp_ge_f32_e64 vcc_lo, |v19|, |v17|
	s_delay_alu instid0(VALU_DEP_3) | instskip(NEXT) | instid1(VALU_DEP_1)
	v_cndmask_b32_e32 v16, 0, v16, vcc_lo
	v_add_nc_u32_e32 v16, v18, v16
	s_delay_alu instid0(VALU_DEP_1) | instskip(NEXT) | instid1(VALU_DEP_1)
	v_mul_lo_u32 v16, v16, v15
	v_sub_nc_u32_e32 v12, v12, v16
	s_delay_alu instid0(VALU_DEP_1) | instskip(SKIP_1) | instid1(VALU_DEP_2)
	v_bfe_i32 v16, v12, 0, 8
	v_mov_b32_e32 v12, v15
	v_cmp_eq_u16_e32 vcc_lo, 0, v16
	v_and_b32_e32 v16, 0xffff, v16
	s_or_b32 s10, vcc_lo, s10
	s_delay_alu instid0(SALU_CYCLE_1)
	s_and_not1_b32 exec_lo, exec_lo, s10
	s_cbranch_execnz .LBB48_33
; %bb.34:
	s_or_b32 exec_lo, exec_lo, s10
.LBB48_35:
	s_delay_alu instid0(SALU_CYCLE_1) | instskip(NEXT) | instid1(VALU_DEP_2)
	s_or_b32 exec_lo, exec_lo, s0
	v_and_b32_e32 v16, 0xff, v15
	v_mov_b32_e32 v12, 0
	s_mov_b32 s0, exec_lo
	s_delay_alu instid0(VALU_DEP_2)
	v_cmpx_ne_u16_e32 0, v16
	s_cbranch_execz .LBB48_37
; %bb.36:
	v_bfe_i32 v12, v15, 0, 8
	v_cvt_f32_i32_e32 v17, v14
	s_delay_alu instid0(VALU_DEP_2) | instskip(SKIP_1) | instid1(VALU_DEP_2)
	v_cvt_f32_i32_e32 v15, v12
	v_xor_b32_e32 v12, v14, v12
	v_rcp_iflag_f32_e32 v16, v15
	v_nop
	s_delay_alu instid0(TRANS32_DEP_1) | instskip(NEXT) | instid1(VALU_DEP_1)
	v_mul_f32_e32 v16, v17, v16
	v_trunc_f32_e32 v14, v16
	s_delay_alu instid0(VALU_DEP_1) | instskip(SKIP_1) | instid1(VALU_DEP_2)
	v_dual_fma_f32 v16, -v14, v15, v17 :: v_dual_ashrrev_i32 v12, 30, v12
	v_cvt_i32_f32_e32 v14, v14
	v_cmp_ge_f32_e64 vcc_lo, |v16|, |v15|
	s_delay_alu instid0(VALU_DEP_3) | instskip(NEXT) | instid1(VALU_DEP_1)
	v_or_b32_e32 v12, 1, v12
	v_cndmask_b32_e32 v12, 0, v12, vcc_lo
	s_delay_alu instid0(VALU_DEP_1) | instskip(NEXT) | instid1(VALU_DEP_1)
	v_add_nc_u32_e32 v12, v14, v12
	v_bfe_i32 v12, v12, 0, 8
	s_delay_alu instid0(VALU_DEP_1) | instskip(NEXT) | instid1(VALU_DEP_1)
	v_mul_i32_i24_e32 v12, v12, v13
	v_sub_nc_u32_e32 v13, 0, v12
	s_delay_alu instid0(VALU_DEP_1)
	v_max_i32_e32 v12, v12, v13
.LBB48_37:
	s_or_b32 exec_lo, exec_lo, s0
	v_lshrrev_b32_e32 v13, 16, v7
	v_lshrrev_b32_e32 v15, 16, v3
	s_mov_b32 s10, 0
	s_mov_b32 s0, exec_lo
	s_delay_alu instid0(VALU_DEP_2) | instskip(NEXT) | instid1(VALU_DEP_2)
	v_bfe_i32 v14, v13, 0, 8
	v_and_b32_e32 v13, 0xff, v15
	v_bfe_i32 v15, v15, 0, 8
	s_delay_alu instid0(VALU_DEP_3) | instskip(NEXT) | instid1(VALU_DEP_1)
	v_sub_nc_u16 v16, 0, v14
	v_max_i16 v16, v14, v16
	s_delay_alu instid0(VALU_DEP_4)
	v_cmpx_ne_u16_e32 0, v13
	s_cbranch_execz .LBB48_41
; %bb.38:
	v_sub_nc_u16 v13, 0, v15
	s_delay_alu instid0(VALU_DEP_1) | instskip(SKIP_1) | instid1(VALU_DEP_2)
	v_max_i16 v17, v15, v13
	v_and_b32_e32 v13, 0xff, v16
	v_and_b32_e32 v17, 0xffff, v17
.LBB48_39:                              ; =>This Inner Loop Header: Depth=1
	s_delay_alu instid0(VALU_DEP_2) | instskip(NEXT) | instid1(VALU_DEP_2)
	v_bfe_i32 v19, v13, 0, 8
	v_mov_b32_e32 v16, v17
	s_delay_alu instid0(VALU_DEP_2) | instskip(NEXT) | instid1(VALU_DEP_2)
	v_cvt_f32_i32_e32 v21, v19
	v_bfe_i32 v17, v16, 0, 8
	s_delay_alu instid0(VALU_DEP_1) | instskip(SKIP_1) | instid1(VALU_DEP_2)
	v_cvt_f32_i32_e32 v18, v17
	v_xor_b32_e32 v17, v19, v17
	v_rcp_iflag_f32_e32 v20, v18
	v_nop
	s_delay_alu instid0(TRANS32_DEP_1) | instskip(NEXT) | instid1(VALU_DEP_1)
	v_dual_ashrrev_i32 v17, 30, v17 :: v_dual_mul_f32 v19, v21, v20
	v_trunc_f32_e32 v19, v19
	s_delay_alu instid0(VALU_DEP_1) | instskip(SKIP_1) | instid1(VALU_DEP_2)
	v_dual_fma_f32 v20, -v19, v18, v21 :: v_dual_bitop2_b32 v17, 1, v17 bitop3:0x54
	v_cvt_i32_f32_e32 v19, v19
	v_cmp_ge_f32_e64 vcc_lo, |v20|, |v18|
	s_delay_alu instid0(VALU_DEP_3) | instskip(NEXT) | instid1(VALU_DEP_1)
	v_cndmask_b32_e32 v17, 0, v17, vcc_lo
	v_add_nc_u32_e32 v17, v19, v17
	s_delay_alu instid0(VALU_DEP_1) | instskip(NEXT) | instid1(VALU_DEP_1)
	v_mul_lo_u32 v17, v17, v16
	v_sub_nc_u32_e32 v13, v13, v17
	s_delay_alu instid0(VALU_DEP_1) | instskip(SKIP_1) | instid1(VALU_DEP_2)
	v_bfe_i32 v17, v13, 0, 8
	v_mov_b32_e32 v13, v16
	v_cmp_eq_u16_e32 vcc_lo, 0, v17
	v_and_b32_e32 v17, 0xffff, v17
	s_or_b32 s10, vcc_lo, s10
	s_delay_alu instid0(SALU_CYCLE_1)
	s_and_not1_b32 exec_lo, exec_lo, s10
	s_cbranch_execnz .LBB48_39
; %bb.40:
	s_or_b32 exec_lo, exec_lo, s10
.LBB48_41:
	s_delay_alu instid0(SALU_CYCLE_1) | instskip(NEXT) | instid1(VALU_DEP_2)
	s_or_b32 exec_lo, exec_lo, s0
	v_and_b32_e32 v17, 0xff, v16
	v_mov_b32_e32 v13, 0
	s_mov_b32 s0, exec_lo
	s_delay_alu instid0(VALU_DEP_2)
	v_cmpx_ne_u16_e32 0, v17
	s_cbranch_execz .LBB48_43
; %bb.42:
	v_bfe_i32 v13, v16, 0, 8
	v_cvt_f32_i32_e32 v18, v15
	s_delay_alu instid0(VALU_DEP_2) | instskip(SKIP_1) | instid1(VALU_DEP_2)
	v_cvt_f32_i32_e32 v16, v13
	v_xor_b32_e32 v13, v15, v13
	v_rcp_iflag_f32_e32 v17, v16
	v_nop
	s_delay_alu instid0(TRANS32_DEP_1) | instskip(NEXT) | instid1(VALU_DEP_1)
	v_mul_f32_e32 v17, v18, v17
	v_trunc_f32_e32 v15, v17
	s_delay_alu instid0(VALU_DEP_1) | instskip(SKIP_1) | instid1(VALU_DEP_2)
	v_dual_fma_f32 v17, -v15, v16, v18 :: v_dual_ashrrev_i32 v13, 30, v13
	v_cvt_i32_f32_e32 v15, v15
	v_cmp_ge_f32_e64 vcc_lo, |v17|, |v16|
	s_delay_alu instid0(VALU_DEP_3) | instskip(NEXT) | instid1(VALU_DEP_1)
	v_or_b32_e32 v13, 1, v13
	v_cndmask_b32_e32 v13, 0, v13, vcc_lo
	s_delay_alu instid0(VALU_DEP_1) | instskip(NEXT) | instid1(VALU_DEP_1)
	v_add_nc_u32_e32 v13, v15, v13
	v_bfe_i32 v13, v13, 0, 8
	s_delay_alu instid0(VALU_DEP_1) | instskip(NEXT) | instid1(VALU_DEP_1)
	v_mul_i32_i24_e32 v13, v13, v14
	v_sub_nc_u32_e32 v14, 0, v13
	s_delay_alu instid0(VALU_DEP_1)
	v_max_i32_e32 v13, v13, v14
.LBB48_43:
	s_or_b32 exec_lo, exec_lo, s0
	v_lshrrev_b32_e32 v7, 24, v7
	v_lshrrev_b32_e32 v3, 24, v3
	s_mov_b32 s10, 0
	s_mov_b32 s0, exec_lo
	s_delay_alu instid0(VALU_DEP_2) | instskip(NEXT) | instid1(VALU_DEP_1)
	v_bfe_i32 v7, v7, 0, 8
	v_sub_nc_u16 v14, 0, v7
	s_delay_alu instid0(VALU_DEP_1)
	v_max_i16 v15, v7, v14
	v_bfe_i32 v14, v3, 0, 8
	v_cmpx_ne_u16_e32 0, v3
	s_cbranch_execz .LBB48_47
; %bb.44:
	s_delay_alu instid0(VALU_DEP_2) | instskip(NEXT) | instid1(VALU_DEP_1)
	v_sub_nc_u16 v3, 0, v14
	v_max_i16 v16, v14, v3
	v_and_b32_e32 v3, 0xff, v15
	s_delay_alu instid0(VALU_DEP_2)
	v_and_b32_e32 v16, 0xffff, v16
.LBB48_45:                              ; =>This Inner Loop Header: Depth=1
	s_delay_alu instid0(VALU_DEP_2) | instskip(NEXT) | instid1(VALU_DEP_2)
	v_bfe_i32 v18, v3, 0, 8
	v_mov_b32_e32 v15, v16
	s_delay_alu instid0(VALU_DEP_2) | instskip(NEXT) | instid1(VALU_DEP_2)
	v_cvt_f32_i32_e32 v20, v18
	v_bfe_i32 v16, v15, 0, 8
	s_delay_alu instid0(VALU_DEP_1) | instskip(SKIP_1) | instid1(VALU_DEP_2)
	v_cvt_f32_i32_e32 v17, v16
	v_xor_b32_e32 v16, v18, v16
	v_rcp_iflag_f32_e32 v19, v17
	v_nop
	s_delay_alu instid0(TRANS32_DEP_1) | instskip(NEXT) | instid1(VALU_DEP_1)
	v_dual_ashrrev_i32 v16, 30, v16 :: v_dual_mul_f32 v18, v20, v19
	v_trunc_f32_e32 v18, v18
	s_delay_alu instid0(VALU_DEP_1) | instskip(SKIP_1) | instid1(VALU_DEP_2)
	v_dual_fma_f32 v19, -v18, v17, v20 :: v_dual_bitop2_b32 v16, 1, v16 bitop3:0x54
	v_cvt_i32_f32_e32 v18, v18
	v_cmp_ge_f32_e64 vcc_lo, |v19|, |v17|
	s_delay_alu instid0(VALU_DEP_3) | instskip(NEXT) | instid1(VALU_DEP_1)
	v_cndmask_b32_e32 v16, 0, v16, vcc_lo
	v_add_nc_u32_e32 v16, v18, v16
	s_delay_alu instid0(VALU_DEP_1) | instskip(NEXT) | instid1(VALU_DEP_1)
	v_mul_lo_u32 v16, v16, v15
	v_sub_nc_u32_e32 v3, v3, v16
	s_delay_alu instid0(VALU_DEP_1) | instskip(SKIP_1) | instid1(VALU_DEP_2)
	v_bfe_i32 v16, v3, 0, 8
	v_mov_b32_e32 v3, v15
	v_cmp_eq_u16_e32 vcc_lo, 0, v16
	v_and_b32_e32 v16, 0xffff, v16
	s_or_b32 s10, vcc_lo, s10
	s_delay_alu instid0(SALU_CYCLE_1)
	s_and_not1_b32 exec_lo, exec_lo, s10
	s_cbranch_execnz .LBB48_45
; %bb.46:
	s_or_b32 exec_lo, exec_lo, s10
.LBB48_47:
	s_delay_alu instid0(SALU_CYCLE_1) | instskip(SKIP_3) | instid1(VALU_DEP_2)
	s_or_b32 exec_lo, exec_lo, s0
	v_and_b32_e32 v16, 0xff, v15
	v_mov_b32_e32 v3, 0
	s_mov_b32 s0, exec_lo
	v_cmpx_ne_u16_e32 0, v16
	s_cbranch_execz .LBB48_49
; %bb.48:
	v_bfe_i32 v3, v15, 0, 8
	v_cvt_f32_i32_e32 v17, v14
	s_delay_alu instid0(VALU_DEP_2) | instskip(SKIP_1) | instid1(VALU_DEP_2)
	v_cvt_f32_i32_e32 v15, v3
	v_xor_b32_e32 v3, v14, v3
	v_rcp_iflag_f32_e32 v16, v15
	s_delay_alu instid0(VALU_DEP_1)
	v_ashrrev_i32_e32 v3, 30, v3
	s_delay_alu instid0(TRANS32_DEP_1) | instid1(VALU_DEP_1)
	v_dual_mul_f32 v16, v17, v16 :: v_dual_bitop2_b32 v3, 1, v3 bitop3:0x54
	s_delay_alu instid0(VALU_DEP_1) | instskip(NEXT) | instid1(VALU_DEP_1)
	v_trunc_f32_e32 v14, v16
	v_fma_f32 v16, -v14, v15, v17
	v_cvt_i32_f32_e32 v14, v14
	s_delay_alu instid0(VALU_DEP_2) | instskip(SKIP_1) | instid1(VALU_DEP_1)
	v_cmp_ge_f32_e64 vcc_lo, |v16|, |v15|
	v_cndmask_b32_e32 v3, 0, v3, vcc_lo
	v_add_nc_u32_e32 v3, v14, v3
	s_delay_alu instid0(VALU_DEP_1) | instskip(NEXT) | instid1(VALU_DEP_1)
	v_bfe_i32 v3, v3, 0, 8
	v_mul_i32_i24_e32 v3, v3, v7
	s_delay_alu instid0(VALU_DEP_1) | instskip(NEXT) | instid1(VALU_DEP_1)
	v_sub_nc_u32_e32 v7, 0, v3
	v_max_i32_e32 v3, v3, v7
.LBB48_49:
	s_or_b32 exec_lo, exec_lo, s0
	v_bfe_i32 v14, v8, 0, 8
	v_and_b32_e32 v7, 0xff, v4
	s_mov_b32 s10, 0
	s_mov_b32 s0, exec_lo
	s_delay_alu instid0(VALU_DEP_2) | instskip(NEXT) | instid1(VALU_DEP_1)
	v_sub_nc_u16 v15, 0, v14
	v_max_i16 v16, v14, v15
	v_bfe_i32 v15, v4, 0, 8
	v_cmpx_ne_u16_e32 0, v7
	s_cbranch_execz .LBB48_53
; %bb.50:
	s_delay_alu instid0(VALU_DEP_2) | instskip(NEXT) | instid1(VALU_DEP_1)
	v_sub_nc_u16 v7, 0, v15
	v_max_i16 v17, v15, v7
	v_and_b32_e32 v7, 0xff, v16
	s_delay_alu instid0(VALU_DEP_2)
	v_and_b32_e32 v17, 0xffff, v17
.LBB48_51:                              ; =>This Inner Loop Header: Depth=1
	s_delay_alu instid0(VALU_DEP_2) | instskip(NEXT) | instid1(VALU_DEP_2)
	v_bfe_i32 v19, v7, 0, 8
	v_mov_b32_e32 v16, v17
	s_delay_alu instid0(VALU_DEP_2) | instskip(NEXT) | instid1(VALU_DEP_2)
	v_cvt_f32_i32_e32 v21, v19
	v_bfe_i32 v17, v16, 0, 8
	s_delay_alu instid0(VALU_DEP_1) | instskip(SKIP_1) | instid1(VALU_DEP_2)
	v_cvt_f32_i32_e32 v18, v17
	v_xor_b32_e32 v17, v19, v17
	v_rcp_iflag_f32_e32 v20, v18
	v_nop
	s_delay_alu instid0(TRANS32_DEP_1) | instskip(NEXT) | instid1(VALU_DEP_1)
	v_dual_ashrrev_i32 v17, 30, v17 :: v_dual_mul_f32 v19, v21, v20
	v_trunc_f32_e32 v19, v19
	s_delay_alu instid0(VALU_DEP_1) | instskip(SKIP_1) | instid1(VALU_DEP_2)
	v_dual_fma_f32 v20, -v19, v18, v21 :: v_dual_bitop2_b32 v17, 1, v17 bitop3:0x54
	v_cvt_i32_f32_e32 v19, v19
	v_cmp_ge_f32_e64 vcc_lo, |v20|, |v18|
	s_delay_alu instid0(VALU_DEP_3) | instskip(NEXT) | instid1(VALU_DEP_1)
	v_cndmask_b32_e32 v17, 0, v17, vcc_lo
	v_add_nc_u32_e32 v17, v19, v17
	s_delay_alu instid0(VALU_DEP_1) | instskip(NEXT) | instid1(VALU_DEP_1)
	v_mul_lo_u32 v17, v17, v16
	v_sub_nc_u32_e32 v7, v7, v17
	s_delay_alu instid0(VALU_DEP_1) | instskip(SKIP_1) | instid1(VALU_DEP_2)
	v_bfe_i32 v17, v7, 0, 8
	v_mov_b32_e32 v7, v16
	v_cmp_eq_u16_e32 vcc_lo, 0, v17
	v_and_b32_e32 v17, 0xffff, v17
	s_or_b32 s10, vcc_lo, s10
	s_delay_alu instid0(SALU_CYCLE_1)
	s_and_not1_b32 exec_lo, exec_lo, s10
	s_cbranch_execnz .LBB48_51
; %bb.52:
	s_or_b32 exec_lo, exec_lo, s10
.LBB48_53:
	s_delay_alu instid0(SALU_CYCLE_1) | instskip(SKIP_3) | instid1(VALU_DEP_2)
	s_or_b32 exec_lo, exec_lo, s0
	v_and_b32_e32 v17, 0xff, v16
	v_mov_b32_e32 v7, 0
	s_mov_b32 s0, exec_lo
	v_cmpx_ne_u16_e32 0, v17
	s_cbranch_execz .LBB48_55
; %bb.54:
	v_bfe_i32 v7, v16, 0, 8
	v_cvt_f32_i32_e32 v18, v15
	s_delay_alu instid0(VALU_DEP_2) | instskip(SKIP_1) | instid1(VALU_DEP_2)
	v_cvt_f32_i32_e32 v16, v7
	v_xor_b32_e32 v7, v15, v7
	v_rcp_iflag_f32_e32 v17, v16
	v_nop
	s_delay_alu instid0(TRANS32_DEP_1) | instskip(NEXT) | instid1(VALU_DEP_1)
	v_mul_f32_e32 v17, v18, v17
	v_trunc_f32_e32 v15, v17
	s_delay_alu instid0(VALU_DEP_1) | instskip(NEXT) | instid1(VALU_DEP_1)
	v_dual_ashrrev_i32 v7, 30, v7 :: v_dual_fma_f32 v17, -v15, v16, v18
	v_or_b32_e32 v7, 1, v7
	v_cvt_i32_f32_e32 v15, v15
	s_delay_alu instid0(VALU_DEP_3) | instskip(NEXT) | instid1(VALU_DEP_3)
	v_cmp_ge_f32_e64 vcc_lo, |v17|, |v16|
	v_cndmask_b32_e32 v7, 0, v7, vcc_lo
	s_delay_alu instid0(VALU_DEP_1) | instskip(NEXT) | instid1(VALU_DEP_1)
	v_add_nc_u32_e32 v7, v15, v7
	v_bfe_i32 v7, v7, 0, 8
	s_delay_alu instid0(VALU_DEP_1) | instskip(NEXT) | instid1(VALU_DEP_1)
	v_mul_i32_i24_e32 v7, v7, v14
	v_sub_nc_u32_e32 v14, 0, v7
	s_delay_alu instid0(VALU_DEP_1)
	v_max_i32_e32 v7, v7, v14
.LBB48_55:
	s_or_b32 exec_lo, exec_lo, s0
	v_lshrrev_b32_e32 v14, 8, v8
	v_lshrrev_b32_e32 v16, 8, v4
	s_mov_b32 s10, 0
	s_mov_b32 s0, exec_lo
	s_delay_alu instid0(VALU_DEP_2) | instskip(NEXT) | instid1(VALU_DEP_2)
	v_bfe_i32 v15, v14, 0, 8
	v_and_b32_e32 v14, 0xff, v16
	v_bfe_i32 v16, v16, 0, 8
	s_delay_alu instid0(VALU_DEP_3) | instskip(NEXT) | instid1(VALU_DEP_1)
	v_sub_nc_u16 v17, 0, v15
	v_max_i16 v17, v15, v17
	s_delay_alu instid0(VALU_DEP_4)
	v_cmpx_ne_u16_e32 0, v14
	s_cbranch_execz .LBB48_59
; %bb.56:
	v_sub_nc_u16 v14, 0, v16
	s_delay_alu instid0(VALU_DEP_1) | instskip(SKIP_1) | instid1(VALU_DEP_2)
	v_max_i16 v18, v16, v14
	v_and_b32_e32 v14, 0xff, v17
	v_and_b32_e32 v18, 0xffff, v18
.LBB48_57:                              ; =>This Inner Loop Header: Depth=1
	s_delay_alu instid0(VALU_DEP_2) | instskip(NEXT) | instid1(VALU_DEP_2)
	v_bfe_i32 v20, v14, 0, 8
	v_mov_b32_e32 v17, v18
	s_delay_alu instid0(VALU_DEP_2) | instskip(NEXT) | instid1(VALU_DEP_2)
	v_cvt_f32_i32_e32 v22, v20
	v_bfe_i32 v18, v17, 0, 8
	s_delay_alu instid0(VALU_DEP_1) | instskip(SKIP_1) | instid1(VALU_DEP_2)
	v_cvt_f32_i32_e32 v19, v18
	v_xor_b32_e32 v18, v20, v18
	v_rcp_iflag_f32_e32 v21, v19
	v_nop
	s_delay_alu instid0(TRANS32_DEP_1) | instskip(NEXT) | instid1(VALU_DEP_1)
	v_dual_ashrrev_i32 v18, 30, v18 :: v_dual_mul_f32 v20, v22, v21
	v_trunc_f32_e32 v20, v20
	s_delay_alu instid0(VALU_DEP_1) | instskip(SKIP_1) | instid1(VALU_DEP_2)
	v_dual_fma_f32 v21, -v20, v19, v22 :: v_dual_bitop2_b32 v18, 1, v18 bitop3:0x54
	v_cvt_i32_f32_e32 v20, v20
	v_cmp_ge_f32_e64 vcc_lo, |v21|, |v19|
	s_delay_alu instid0(VALU_DEP_3) | instskip(NEXT) | instid1(VALU_DEP_1)
	v_cndmask_b32_e32 v18, 0, v18, vcc_lo
	v_add_nc_u32_e32 v18, v20, v18
	s_delay_alu instid0(VALU_DEP_1) | instskip(NEXT) | instid1(VALU_DEP_1)
	v_mul_lo_u32 v18, v18, v17
	v_sub_nc_u32_e32 v14, v14, v18
	s_delay_alu instid0(VALU_DEP_1) | instskip(SKIP_1) | instid1(VALU_DEP_2)
	v_bfe_i32 v18, v14, 0, 8
	v_mov_b32_e32 v14, v17
	v_cmp_eq_u16_e32 vcc_lo, 0, v18
	v_and_b32_e32 v18, 0xffff, v18
	s_or_b32 s10, vcc_lo, s10
	s_delay_alu instid0(SALU_CYCLE_1)
	s_and_not1_b32 exec_lo, exec_lo, s10
	s_cbranch_execnz .LBB48_57
; %bb.58:
	s_or_b32 exec_lo, exec_lo, s10
.LBB48_59:
	s_delay_alu instid0(SALU_CYCLE_1) | instskip(NEXT) | instid1(VALU_DEP_2)
	s_or_b32 exec_lo, exec_lo, s0
	v_and_b32_e32 v18, 0xff, v17
	v_mov_b32_e32 v14, 0
	s_mov_b32 s0, exec_lo
	s_delay_alu instid0(VALU_DEP_2)
	v_cmpx_ne_u16_e32 0, v18
	s_cbranch_execz .LBB48_61
; %bb.60:
	v_bfe_i32 v14, v17, 0, 8
	v_cvt_f32_i32_e32 v19, v16
	s_delay_alu instid0(VALU_DEP_2) | instskip(SKIP_1) | instid1(VALU_DEP_2)
	v_cvt_f32_i32_e32 v17, v14
	v_xor_b32_e32 v14, v16, v14
	v_rcp_iflag_f32_e32 v18, v17
	v_nop
	s_delay_alu instid0(TRANS32_DEP_1) | instskip(NEXT) | instid1(VALU_DEP_1)
	v_mul_f32_e32 v18, v19, v18
	v_trunc_f32_e32 v16, v18
	s_delay_alu instid0(VALU_DEP_1) | instskip(SKIP_1) | instid1(VALU_DEP_2)
	v_dual_fma_f32 v18, -v16, v17, v19 :: v_dual_ashrrev_i32 v14, 30, v14
	v_cvt_i32_f32_e32 v16, v16
	v_cmp_ge_f32_e64 vcc_lo, |v18|, |v17|
	s_delay_alu instid0(VALU_DEP_3) | instskip(NEXT) | instid1(VALU_DEP_1)
	v_or_b32_e32 v14, 1, v14
	v_cndmask_b32_e32 v14, 0, v14, vcc_lo
	s_delay_alu instid0(VALU_DEP_1) | instskip(NEXT) | instid1(VALU_DEP_1)
	v_add_nc_u32_e32 v14, v16, v14
	v_bfe_i32 v14, v14, 0, 8
	s_delay_alu instid0(VALU_DEP_1) | instskip(NEXT) | instid1(VALU_DEP_1)
	v_mul_i32_i24_e32 v14, v14, v15
	v_sub_nc_u32_e32 v15, 0, v14
	s_delay_alu instid0(VALU_DEP_1)
	v_max_i32_e32 v14, v14, v15
.LBB48_61:
	s_or_b32 exec_lo, exec_lo, s0
	v_lshrrev_b32_e32 v15, 16, v8
	v_lshrrev_b32_e32 v17, 16, v4
	s_mov_b32 s10, 0
	s_mov_b32 s0, exec_lo
	s_delay_alu instid0(VALU_DEP_2) | instskip(NEXT) | instid1(VALU_DEP_2)
	v_bfe_i32 v16, v15, 0, 8
	v_and_b32_e32 v15, 0xff, v17
	v_bfe_i32 v17, v17, 0, 8
	s_delay_alu instid0(VALU_DEP_3) | instskip(NEXT) | instid1(VALU_DEP_1)
	v_sub_nc_u16 v18, 0, v16
	v_max_i16 v18, v16, v18
	s_delay_alu instid0(VALU_DEP_4)
	v_cmpx_ne_u16_e32 0, v15
	s_cbranch_execz .LBB48_65
; %bb.62:
	v_sub_nc_u16 v15, 0, v17
	s_delay_alu instid0(VALU_DEP_1) | instskip(SKIP_1) | instid1(VALU_DEP_2)
	v_max_i16 v19, v17, v15
	v_and_b32_e32 v15, 0xff, v18
	v_and_b32_e32 v19, 0xffff, v19
.LBB48_63:                              ; =>This Inner Loop Header: Depth=1
	s_delay_alu instid0(VALU_DEP_2) | instskip(NEXT) | instid1(VALU_DEP_2)
	v_bfe_i32 v21, v15, 0, 8
	v_mov_b32_e32 v18, v19
	s_delay_alu instid0(VALU_DEP_2) | instskip(NEXT) | instid1(VALU_DEP_2)
	v_cvt_f32_i32_e32 v23, v21
	v_bfe_i32 v19, v18, 0, 8
	s_delay_alu instid0(VALU_DEP_1) | instskip(SKIP_1) | instid1(VALU_DEP_2)
	v_cvt_f32_i32_e32 v20, v19
	v_xor_b32_e32 v19, v21, v19
	v_rcp_iflag_f32_e32 v22, v20
	v_nop
	s_delay_alu instid0(TRANS32_DEP_1) | instskip(NEXT) | instid1(VALU_DEP_1)
	v_dual_ashrrev_i32 v19, 30, v19 :: v_dual_mul_f32 v21, v23, v22
	v_trunc_f32_e32 v21, v21
	s_delay_alu instid0(VALU_DEP_1) | instskip(SKIP_1) | instid1(VALU_DEP_2)
	v_dual_fma_f32 v22, -v21, v20, v23 :: v_dual_bitop2_b32 v19, 1, v19 bitop3:0x54
	v_cvt_i32_f32_e32 v21, v21
	v_cmp_ge_f32_e64 vcc_lo, |v22|, |v20|
	s_delay_alu instid0(VALU_DEP_3) | instskip(NEXT) | instid1(VALU_DEP_1)
	v_cndmask_b32_e32 v19, 0, v19, vcc_lo
	v_add_nc_u32_e32 v19, v21, v19
	s_delay_alu instid0(VALU_DEP_1) | instskip(NEXT) | instid1(VALU_DEP_1)
	v_mul_lo_u32 v19, v19, v18
	v_sub_nc_u32_e32 v15, v15, v19
	s_delay_alu instid0(VALU_DEP_1) | instskip(SKIP_1) | instid1(VALU_DEP_2)
	v_bfe_i32 v19, v15, 0, 8
	v_mov_b32_e32 v15, v18
	v_cmp_eq_u16_e32 vcc_lo, 0, v19
	v_and_b32_e32 v19, 0xffff, v19
	s_or_b32 s10, vcc_lo, s10
	s_delay_alu instid0(SALU_CYCLE_1)
	s_and_not1_b32 exec_lo, exec_lo, s10
	s_cbranch_execnz .LBB48_63
; %bb.64:
	s_or_b32 exec_lo, exec_lo, s10
.LBB48_65:
	s_delay_alu instid0(SALU_CYCLE_1) | instskip(NEXT) | instid1(VALU_DEP_2)
	s_or_b32 exec_lo, exec_lo, s0
	v_and_b32_e32 v19, 0xff, v18
	v_mov_b32_e32 v15, 0
	s_mov_b32 s0, exec_lo
	s_delay_alu instid0(VALU_DEP_2)
	v_cmpx_ne_u16_e32 0, v19
	s_cbranch_execz .LBB48_67
; %bb.66:
	v_bfe_i32 v15, v18, 0, 8
	v_cvt_f32_i32_e32 v20, v17
	s_delay_alu instid0(VALU_DEP_2) | instskip(SKIP_1) | instid1(VALU_DEP_2)
	v_cvt_f32_i32_e32 v18, v15
	v_xor_b32_e32 v15, v17, v15
	v_rcp_iflag_f32_e32 v19, v18
	v_nop
	s_delay_alu instid0(TRANS32_DEP_1) | instskip(NEXT) | instid1(VALU_DEP_1)
	v_mul_f32_e32 v19, v20, v19
	v_trunc_f32_e32 v17, v19
	s_delay_alu instid0(VALU_DEP_1) | instskip(SKIP_1) | instid1(VALU_DEP_2)
	v_dual_fma_f32 v19, -v17, v18, v20 :: v_dual_ashrrev_i32 v15, 30, v15
	v_cvt_i32_f32_e32 v17, v17
	v_cmp_ge_f32_e64 vcc_lo, |v19|, |v18|
	s_delay_alu instid0(VALU_DEP_3) | instskip(NEXT) | instid1(VALU_DEP_1)
	v_or_b32_e32 v15, 1, v15
	v_cndmask_b32_e32 v15, 0, v15, vcc_lo
	s_delay_alu instid0(VALU_DEP_1) | instskip(NEXT) | instid1(VALU_DEP_1)
	v_add_nc_u32_e32 v15, v17, v15
	v_bfe_i32 v15, v15, 0, 8
	s_delay_alu instid0(VALU_DEP_1) | instskip(NEXT) | instid1(VALU_DEP_1)
	v_mul_i32_i24_e32 v15, v15, v16
	v_sub_nc_u32_e32 v16, 0, v15
	s_delay_alu instid0(VALU_DEP_1)
	v_max_i32_e32 v15, v15, v16
.LBB48_67:
	s_or_b32 exec_lo, exec_lo, s0
	v_lshrrev_b64 v[16:17], 24, v[8:9]
	v_lshrrev_b64 v[18:19], 24, v[4:5]
	s_mov_b32 s10, 0
	s_mov_b32 s0, exec_lo
	s_delay_alu instid0(VALU_DEP_2) | instskip(NEXT) | instid1(VALU_DEP_2)
	v_bfe_i32 v8, v16, 0, 8
	v_and_b32_e32 v4, 0xff, v18
	s_delay_alu instid0(VALU_DEP_2) | instskip(NEXT) | instid1(VALU_DEP_1)
	v_sub_nc_u16 v16, 0, v8
	v_max_i16 v17, v8, v16
	v_bfe_i32 v16, v18, 0, 8
	s_delay_alu instid0(VALU_DEP_4)
	v_cmpx_ne_u16_e32 0, v4
	s_cbranch_execz .LBB48_71
; %bb.68:
	s_delay_alu instid0(VALU_DEP_2) | instskip(NEXT) | instid1(VALU_DEP_1)
	v_sub_nc_u16 v4, 0, v16
	v_max_i16 v18, v16, v4
	v_and_b32_e32 v4, 0xff, v17
	s_delay_alu instid0(VALU_DEP_2)
	v_and_b32_e32 v18, 0xffff, v18
.LBB48_69:                              ; =>This Inner Loop Header: Depth=1
	s_delay_alu instid0(VALU_DEP_2) | instskip(NEXT) | instid1(VALU_DEP_2)
	v_bfe_i32 v20, v4, 0, 8
	v_mov_b32_e32 v17, v18
	s_delay_alu instid0(VALU_DEP_2) | instskip(NEXT) | instid1(VALU_DEP_2)
	v_cvt_f32_i32_e32 v22, v20
	v_bfe_i32 v18, v17, 0, 8
	s_delay_alu instid0(VALU_DEP_1) | instskip(SKIP_1) | instid1(VALU_DEP_2)
	v_cvt_f32_i32_e32 v19, v18
	v_xor_b32_e32 v18, v20, v18
	v_rcp_iflag_f32_e32 v21, v19
	v_nop
	s_delay_alu instid0(TRANS32_DEP_1) | instskip(NEXT) | instid1(VALU_DEP_1)
	v_dual_ashrrev_i32 v18, 30, v18 :: v_dual_mul_f32 v20, v22, v21
	v_trunc_f32_e32 v20, v20
	s_delay_alu instid0(VALU_DEP_1) | instskip(SKIP_1) | instid1(VALU_DEP_2)
	v_dual_fma_f32 v21, -v20, v19, v22 :: v_dual_bitop2_b32 v18, 1, v18 bitop3:0x54
	v_cvt_i32_f32_e32 v20, v20
	v_cmp_ge_f32_e64 vcc_lo, |v21|, |v19|
	s_delay_alu instid0(VALU_DEP_3) | instskip(NEXT) | instid1(VALU_DEP_1)
	v_cndmask_b32_e32 v18, 0, v18, vcc_lo
	v_add_nc_u32_e32 v18, v20, v18
	s_delay_alu instid0(VALU_DEP_1) | instskip(NEXT) | instid1(VALU_DEP_1)
	v_mul_lo_u32 v18, v18, v17
	v_sub_nc_u32_e32 v4, v4, v18
	s_delay_alu instid0(VALU_DEP_1) | instskip(SKIP_1) | instid1(VALU_DEP_2)
	v_bfe_i32 v18, v4, 0, 8
	v_mov_b32_e32 v4, v17
	v_cmp_eq_u16_e32 vcc_lo, 0, v18
	v_and_b32_e32 v18, 0xffff, v18
	s_or_b32 s10, vcc_lo, s10
	s_delay_alu instid0(SALU_CYCLE_1)
	s_and_not1_b32 exec_lo, exec_lo, s10
	s_cbranch_execnz .LBB48_69
; %bb.70:
	s_or_b32 exec_lo, exec_lo, s10
.LBB48_71:
	s_delay_alu instid0(SALU_CYCLE_1) | instskip(SKIP_3) | instid1(VALU_DEP_2)
	s_or_b32 exec_lo, exec_lo, s0
	v_and_b32_e32 v18, 0xff, v17
	v_mov_b32_e32 v4, 0
	s_mov_b32 s0, exec_lo
	v_cmpx_ne_u16_e32 0, v18
	s_cbranch_execz .LBB48_73
; %bb.72:
	v_bfe_i32 v4, v17, 0, 8
	v_cvt_f32_i32_e32 v19, v16
	s_delay_alu instid0(VALU_DEP_2) | instskip(SKIP_1) | instid1(VALU_DEP_2)
	v_cvt_f32_i32_e32 v17, v4
	v_xor_b32_e32 v4, v16, v4
	v_rcp_iflag_f32_e32 v18, v17
	v_nop
	s_delay_alu instid0(TRANS32_DEP_1) | instskip(NEXT) | instid1(VALU_DEP_1)
	v_mul_f32_e32 v18, v19, v18
	v_trunc_f32_e32 v16, v18
	s_delay_alu instid0(VALU_DEP_1) | instskip(NEXT) | instid1(VALU_DEP_1)
	v_dual_ashrrev_i32 v4, 30, v4 :: v_dual_fma_f32 v18, -v16, v17, v19
	v_or_b32_e32 v4, 1, v4
	v_cvt_i32_f32_e32 v16, v16
	s_delay_alu instid0(VALU_DEP_3) | instskip(NEXT) | instid1(VALU_DEP_3)
	v_cmp_ge_f32_e64 vcc_lo, |v18|, |v17|
	v_cndmask_b32_e32 v4, 0, v4, vcc_lo
	s_delay_alu instid0(VALU_DEP_1) | instskip(NEXT) | instid1(VALU_DEP_1)
	v_add_nc_u32_e32 v4, v16, v4
	v_bfe_i32 v4, v4, 0, 8
	s_delay_alu instid0(VALU_DEP_1) | instskip(NEXT) | instid1(VALU_DEP_1)
	v_mul_i32_i24_e32 v4, v4, v8
	v_sub_nc_u32_e32 v8, 0, v4
	s_delay_alu instid0(VALU_DEP_1)
	v_max_i32_e32 v4, v4, v8
.LBB48_73:
	s_or_b32 exec_lo, exec_lo, s0
	v_bfe_i32 v16, v9, 0, 8
	v_and_b32_e32 v8, 0xff, v5
	s_mov_b32 s10, 0
	s_mov_b32 s0, exec_lo
	s_delay_alu instid0(VALU_DEP_2) | instskip(NEXT) | instid1(VALU_DEP_1)
	v_sub_nc_u16 v17, 0, v16
	v_max_i16 v18, v16, v17
	v_bfe_i32 v17, v5, 0, 8
	v_cmpx_ne_u16_e32 0, v8
	s_cbranch_execz .LBB48_77
; %bb.74:
	s_delay_alu instid0(VALU_DEP_2) | instskip(NEXT) | instid1(VALU_DEP_1)
	v_sub_nc_u16 v8, 0, v17
	v_max_i16 v19, v17, v8
	v_and_b32_e32 v8, 0xff, v18
	s_delay_alu instid0(VALU_DEP_2)
	v_and_b32_e32 v19, 0xffff, v19
.LBB48_75:                              ; =>This Inner Loop Header: Depth=1
	s_delay_alu instid0(VALU_DEP_2) | instskip(NEXT) | instid1(VALU_DEP_2)
	v_bfe_i32 v21, v8, 0, 8
	v_mov_b32_e32 v18, v19
	s_delay_alu instid0(VALU_DEP_2) | instskip(NEXT) | instid1(VALU_DEP_2)
	v_cvt_f32_i32_e32 v23, v21
	v_bfe_i32 v19, v18, 0, 8
	s_delay_alu instid0(VALU_DEP_1) | instskip(SKIP_1) | instid1(VALU_DEP_2)
	v_cvt_f32_i32_e32 v20, v19
	v_xor_b32_e32 v19, v21, v19
	v_rcp_iflag_f32_e32 v22, v20
	v_nop
	s_delay_alu instid0(TRANS32_DEP_1) | instskip(NEXT) | instid1(VALU_DEP_1)
	v_dual_ashrrev_i32 v19, 30, v19 :: v_dual_mul_f32 v21, v23, v22
	v_trunc_f32_e32 v21, v21
	s_delay_alu instid0(VALU_DEP_1) | instskip(SKIP_1) | instid1(VALU_DEP_2)
	v_dual_fma_f32 v22, -v21, v20, v23 :: v_dual_bitop2_b32 v19, 1, v19 bitop3:0x54
	v_cvt_i32_f32_e32 v21, v21
	v_cmp_ge_f32_e64 vcc_lo, |v22|, |v20|
	s_delay_alu instid0(VALU_DEP_3) | instskip(NEXT) | instid1(VALU_DEP_1)
	v_cndmask_b32_e32 v19, 0, v19, vcc_lo
	v_add_nc_u32_e32 v19, v21, v19
	s_delay_alu instid0(VALU_DEP_1) | instskip(NEXT) | instid1(VALU_DEP_1)
	v_mul_lo_u32 v19, v19, v18
	v_sub_nc_u32_e32 v8, v8, v19
	s_delay_alu instid0(VALU_DEP_1) | instskip(SKIP_1) | instid1(VALU_DEP_2)
	v_bfe_i32 v19, v8, 0, 8
	v_mov_b32_e32 v8, v18
	v_cmp_eq_u16_e32 vcc_lo, 0, v19
	v_and_b32_e32 v19, 0xffff, v19
	s_or_b32 s10, vcc_lo, s10
	s_delay_alu instid0(SALU_CYCLE_1)
	s_and_not1_b32 exec_lo, exec_lo, s10
	s_cbranch_execnz .LBB48_75
; %bb.76:
	s_or_b32 exec_lo, exec_lo, s10
.LBB48_77:
	s_delay_alu instid0(SALU_CYCLE_1) | instskip(SKIP_3) | instid1(VALU_DEP_2)
	s_or_b32 exec_lo, exec_lo, s0
	v_and_b32_e32 v19, 0xff, v18
	v_mov_b32_e32 v8, 0
	s_mov_b32 s0, exec_lo
	v_cmpx_ne_u16_e32 0, v19
	s_cbranch_execz .LBB48_79
; %bb.78:
	v_bfe_i32 v8, v18, 0, 8
	v_cvt_f32_i32_e32 v20, v17
	s_delay_alu instid0(VALU_DEP_2) | instskip(SKIP_1) | instid1(VALU_DEP_2)
	v_cvt_f32_i32_e32 v18, v8
	v_xor_b32_e32 v8, v17, v8
	v_rcp_iflag_f32_e32 v19, v18
	v_nop
	s_delay_alu instid0(TRANS32_DEP_1) | instskip(NEXT) | instid1(VALU_DEP_1)
	v_mul_f32_e32 v19, v20, v19
	v_trunc_f32_e32 v17, v19
	s_delay_alu instid0(VALU_DEP_1) | instskip(NEXT) | instid1(VALU_DEP_1)
	v_dual_ashrrev_i32 v8, 30, v8 :: v_dual_fma_f32 v19, -v17, v18, v20
	v_or_b32_e32 v8, 1, v8
	v_cvt_i32_f32_e32 v17, v17
	s_delay_alu instid0(VALU_DEP_3) | instskip(NEXT) | instid1(VALU_DEP_3)
	v_cmp_ge_f32_e64 vcc_lo, |v19|, |v18|
	v_cndmask_b32_e32 v8, 0, v8, vcc_lo
	s_delay_alu instid0(VALU_DEP_1) | instskip(NEXT) | instid1(VALU_DEP_1)
	v_add_nc_u32_e32 v8, v17, v8
	v_bfe_i32 v8, v8, 0, 8
	s_delay_alu instid0(VALU_DEP_1) | instskip(NEXT) | instid1(VALU_DEP_1)
	v_mul_i32_i24_e32 v8, v8, v16
	v_sub_nc_u32_e32 v16, 0, v8
	s_delay_alu instid0(VALU_DEP_1)
	v_max_i32_e32 v8, v8, v16
.LBB48_79:
	s_or_b32 exec_lo, exec_lo, s0
	v_lshrrev_b32_e32 v16, 8, v9
	v_lshrrev_b32_e32 v18, 8, v5
	s_mov_b32 s10, 0
	s_mov_b32 s0, exec_lo
	s_delay_alu instid0(VALU_DEP_2) | instskip(NEXT) | instid1(VALU_DEP_2)
	v_bfe_i32 v17, v16, 0, 8
	v_and_b32_e32 v16, 0xff, v18
	v_bfe_i32 v18, v18, 0, 8
	s_delay_alu instid0(VALU_DEP_3) | instskip(NEXT) | instid1(VALU_DEP_1)
	v_sub_nc_u16 v19, 0, v17
	v_max_i16 v19, v17, v19
	s_delay_alu instid0(VALU_DEP_4)
	v_cmpx_ne_u16_e32 0, v16
	s_cbranch_execz .LBB48_83
; %bb.80:
	v_sub_nc_u16 v16, 0, v18
	s_delay_alu instid0(VALU_DEP_1) | instskip(SKIP_1) | instid1(VALU_DEP_2)
	v_max_i16 v20, v18, v16
	v_and_b32_e32 v16, 0xff, v19
	v_and_b32_e32 v20, 0xffff, v20
.LBB48_81:                              ; =>This Inner Loop Header: Depth=1
	s_delay_alu instid0(VALU_DEP_2) | instskip(NEXT) | instid1(VALU_DEP_2)
	v_bfe_i32 v22, v16, 0, 8
	v_mov_b32_e32 v19, v20
	s_delay_alu instid0(VALU_DEP_2) | instskip(NEXT) | instid1(VALU_DEP_2)
	v_cvt_f32_i32_e32 v24, v22
	v_bfe_i32 v20, v19, 0, 8
	s_delay_alu instid0(VALU_DEP_1) | instskip(SKIP_1) | instid1(VALU_DEP_2)
	v_cvt_f32_i32_e32 v21, v20
	v_xor_b32_e32 v20, v22, v20
	v_rcp_iflag_f32_e32 v23, v21
	v_nop
	s_delay_alu instid0(TRANS32_DEP_1) | instskip(NEXT) | instid1(VALU_DEP_1)
	v_dual_ashrrev_i32 v20, 30, v20 :: v_dual_mul_f32 v22, v24, v23
	v_trunc_f32_e32 v22, v22
	s_delay_alu instid0(VALU_DEP_1) | instskip(SKIP_1) | instid1(VALU_DEP_2)
	v_dual_fma_f32 v23, -v22, v21, v24 :: v_dual_bitop2_b32 v20, 1, v20 bitop3:0x54
	v_cvt_i32_f32_e32 v22, v22
	v_cmp_ge_f32_e64 vcc_lo, |v23|, |v21|
	s_delay_alu instid0(VALU_DEP_3) | instskip(NEXT) | instid1(VALU_DEP_1)
	v_cndmask_b32_e32 v20, 0, v20, vcc_lo
	v_add_nc_u32_e32 v20, v22, v20
	s_delay_alu instid0(VALU_DEP_1) | instskip(NEXT) | instid1(VALU_DEP_1)
	v_mul_lo_u32 v20, v20, v19
	v_sub_nc_u32_e32 v16, v16, v20
	s_delay_alu instid0(VALU_DEP_1) | instskip(SKIP_1) | instid1(VALU_DEP_2)
	v_bfe_i32 v20, v16, 0, 8
	v_mov_b32_e32 v16, v19
	v_cmp_eq_u16_e32 vcc_lo, 0, v20
	v_and_b32_e32 v20, 0xffff, v20
	s_or_b32 s10, vcc_lo, s10
	s_delay_alu instid0(SALU_CYCLE_1)
	s_and_not1_b32 exec_lo, exec_lo, s10
	s_cbranch_execnz .LBB48_81
; %bb.82:
	s_or_b32 exec_lo, exec_lo, s10
.LBB48_83:
	s_delay_alu instid0(SALU_CYCLE_1) | instskip(NEXT) | instid1(VALU_DEP_2)
	s_or_b32 exec_lo, exec_lo, s0
	v_and_b32_e32 v20, 0xff, v19
	v_mov_b32_e32 v16, 0
	s_mov_b32 s0, exec_lo
	s_delay_alu instid0(VALU_DEP_2)
	v_cmpx_ne_u16_e32 0, v20
	s_cbranch_execz .LBB48_85
; %bb.84:
	v_bfe_i32 v16, v19, 0, 8
	v_cvt_f32_i32_e32 v21, v18
	s_delay_alu instid0(VALU_DEP_2) | instskip(SKIP_1) | instid1(VALU_DEP_2)
	v_cvt_f32_i32_e32 v19, v16
	v_xor_b32_e32 v16, v18, v16
	v_rcp_iflag_f32_e32 v20, v19
	v_nop
	s_delay_alu instid0(TRANS32_DEP_1) | instskip(NEXT) | instid1(VALU_DEP_1)
	v_mul_f32_e32 v20, v21, v20
	v_trunc_f32_e32 v18, v20
	s_delay_alu instid0(VALU_DEP_1) | instskip(SKIP_1) | instid1(VALU_DEP_2)
	v_dual_fma_f32 v20, -v18, v19, v21 :: v_dual_ashrrev_i32 v16, 30, v16
	v_cvt_i32_f32_e32 v18, v18
	v_cmp_ge_f32_e64 vcc_lo, |v20|, |v19|
	s_delay_alu instid0(VALU_DEP_3) | instskip(NEXT) | instid1(VALU_DEP_1)
	v_or_b32_e32 v16, 1, v16
	v_cndmask_b32_e32 v16, 0, v16, vcc_lo
	s_delay_alu instid0(VALU_DEP_1) | instskip(NEXT) | instid1(VALU_DEP_1)
	v_add_nc_u32_e32 v16, v18, v16
	v_bfe_i32 v16, v16, 0, 8
	s_delay_alu instid0(VALU_DEP_1) | instskip(NEXT) | instid1(VALU_DEP_1)
	v_mul_i32_i24_e32 v16, v16, v17
	v_sub_nc_u32_e32 v17, 0, v16
	s_delay_alu instid0(VALU_DEP_1)
	v_max_i32_e32 v16, v16, v17
.LBB48_85:
	s_or_b32 exec_lo, exec_lo, s0
	v_lshrrev_b32_e32 v17, 16, v9
	v_lshrrev_b32_e32 v19, 16, v5
	s_mov_b32 s10, 0
	s_mov_b32 s0, exec_lo
	s_delay_alu instid0(VALU_DEP_2) | instskip(NEXT) | instid1(VALU_DEP_2)
	v_bfe_i32 v18, v17, 0, 8
	v_and_b32_e32 v17, 0xff, v19
	v_bfe_i32 v19, v19, 0, 8
	s_delay_alu instid0(VALU_DEP_3) | instskip(NEXT) | instid1(VALU_DEP_1)
	v_sub_nc_u16 v20, 0, v18
	v_max_i16 v20, v18, v20
	s_delay_alu instid0(VALU_DEP_4)
	v_cmpx_ne_u16_e32 0, v17
	s_cbranch_execz .LBB48_89
; %bb.86:
	v_sub_nc_u16 v17, 0, v19
	s_delay_alu instid0(VALU_DEP_1) | instskip(SKIP_1) | instid1(VALU_DEP_2)
	v_max_i16 v21, v19, v17
	v_and_b32_e32 v17, 0xff, v20
	v_and_b32_e32 v21, 0xffff, v21
.LBB48_87:                              ; =>This Inner Loop Header: Depth=1
	s_delay_alu instid0(VALU_DEP_2) | instskip(NEXT) | instid1(VALU_DEP_2)
	v_bfe_i32 v23, v17, 0, 8
	v_mov_b32_e32 v20, v21
	s_delay_alu instid0(VALU_DEP_2) | instskip(NEXT) | instid1(VALU_DEP_2)
	v_cvt_f32_i32_e32 v25, v23
	v_bfe_i32 v21, v20, 0, 8
	s_delay_alu instid0(VALU_DEP_1) | instskip(SKIP_1) | instid1(VALU_DEP_2)
	v_cvt_f32_i32_e32 v22, v21
	v_xor_b32_e32 v21, v23, v21
	v_rcp_iflag_f32_e32 v24, v22
	v_nop
	s_delay_alu instid0(TRANS32_DEP_1) | instskip(NEXT) | instid1(VALU_DEP_1)
	v_dual_ashrrev_i32 v21, 30, v21 :: v_dual_mul_f32 v23, v25, v24
	v_trunc_f32_e32 v23, v23
	s_delay_alu instid0(VALU_DEP_1) | instskip(SKIP_1) | instid1(VALU_DEP_2)
	v_dual_fma_f32 v24, -v23, v22, v25 :: v_dual_bitop2_b32 v21, 1, v21 bitop3:0x54
	v_cvt_i32_f32_e32 v23, v23
	v_cmp_ge_f32_e64 vcc_lo, |v24|, |v22|
	s_delay_alu instid0(VALU_DEP_3) | instskip(NEXT) | instid1(VALU_DEP_1)
	v_cndmask_b32_e32 v21, 0, v21, vcc_lo
	v_add_nc_u32_e32 v21, v23, v21
	s_delay_alu instid0(VALU_DEP_1) | instskip(NEXT) | instid1(VALU_DEP_1)
	v_mul_lo_u32 v21, v21, v20
	v_sub_nc_u32_e32 v17, v17, v21
	s_delay_alu instid0(VALU_DEP_1) | instskip(SKIP_1) | instid1(VALU_DEP_2)
	v_bfe_i32 v21, v17, 0, 8
	v_mov_b32_e32 v17, v20
	v_cmp_eq_u16_e32 vcc_lo, 0, v21
	v_and_b32_e32 v21, 0xffff, v21
	s_or_b32 s10, vcc_lo, s10
	s_delay_alu instid0(SALU_CYCLE_1)
	s_and_not1_b32 exec_lo, exec_lo, s10
	s_cbranch_execnz .LBB48_87
; %bb.88:
	s_or_b32 exec_lo, exec_lo, s10
.LBB48_89:
	s_delay_alu instid0(SALU_CYCLE_1) | instskip(NEXT) | instid1(VALU_DEP_2)
	s_or_b32 exec_lo, exec_lo, s0
	v_and_b32_e32 v21, 0xff, v20
	v_mov_b32_e32 v17, 0
	s_mov_b32 s0, exec_lo
	s_delay_alu instid0(VALU_DEP_2)
	v_cmpx_ne_u16_e32 0, v21
	s_cbranch_execz .LBB48_91
; %bb.90:
	v_bfe_i32 v17, v20, 0, 8
	v_cvt_f32_i32_e32 v22, v19
	s_delay_alu instid0(VALU_DEP_2) | instskip(SKIP_1) | instid1(VALU_DEP_2)
	v_cvt_f32_i32_e32 v20, v17
	v_xor_b32_e32 v17, v19, v17
	v_rcp_iflag_f32_e32 v21, v20
	v_nop
	s_delay_alu instid0(TRANS32_DEP_1) | instskip(NEXT) | instid1(VALU_DEP_1)
	v_mul_f32_e32 v21, v22, v21
	v_trunc_f32_e32 v19, v21
	s_delay_alu instid0(VALU_DEP_1) | instskip(SKIP_1) | instid1(VALU_DEP_2)
	v_dual_fma_f32 v21, -v19, v20, v22 :: v_dual_ashrrev_i32 v17, 30, v17
	v_cvt_i32_f32_e32 v19, v19
	v_cmp_ge_f32_e64 vcc_lo, |v21|, |v20|
	s_delay_alu instid0(VALU_DEP_3) | instskip(NEXT) | instid1(VALU_DEP_1)
	v_or_b32_e32 v17, 1, v17
	v_cndmask_b32_e32 v17, 0, v17, vcc_lo
	s_delay_alu instid0(VALU_DEP_1) | instskip(NEXT) | instid1(VALU_DEP_1)
	v_add_nc_u32_e32 v17, v19, v17
	v_bfe_i32 v17, v17, 0, 8
	s_delay_alu instid0(VALU_DEP_1) | instskip(NEXT) | instid1(VALU_DEP_1)
	v_mul_i32_i24_e32 v17, v17, v18
	v_sub_nc_u32_e32 v18, 0, v17
	s_delay_alu instid0(VALU_DEP_1)
	v_max_i32_e32 v17, v17, v18
.LBB48_91:
	s_or_b32 exec_lo, exec_lo, s0
	v_lshrrev_b32_e32 v9, 24, v9
	v_lshrrev_b32_e32 v5, 24, v5
	s_mov_b32 s10, 0
	s_delay_alu instid0(VALU_DEP_2) | instskip(NEXT) | instid1(VALU_DEP_2)
	v_bfe_i32 v9, v9, 0, 8
	v_cmp_ne_u16_e32 vcc_lo, 0, v5
	v_bfe_i32 v5, v5, 0, 8
	s_delay_alu instid0(VALU_DEP_3) | instskip(NEXT) | instid1(VALU_DEP_1)
	v_sub_nc_u16 v18, 0, v9
	v_max_i16 v18, v9, v18
	s_and_saveexec_b32 s0, vcc_lo
	s_cbranch_execz .LBB48_95
; %bb.92:
	v_sub_nc_u16 v19, 0, v5
	s_delay_alu instid0(VALU_DEP_1) | instskip(SKIP_1) | instid1(VALU_DEP_2)
	v_max_i16 v20, v5, v19
	v_and_b32_e32 v19, 0xff, v18
	v_and_b32_e32 v20, 0xffff, v20
.LBB48_93:                              ; =>This Inner Loop Header: Depth=1
	s_delay_alu instid0(VALU_DEP_2) | instskip(NEXT) | instid1(VALU_DEP_2)
	v_bfe_i32 v22, v19, 0, 8
	v_mov_b32_e32 v18, v20
	s_delay_alu instid0(VALU_DEP_2) | instskip(NEXT) | instid1(VALU_DEP_2)
	v_cvt_f32_i32_e32 v24, v22
	v_bfe_i32 v20, v18, 0, 8
	s_delay_alu instid0(VALU_DEP_1) | instskip(SKIP_1) | instid1(VALU_DEP_2)
	v_cvt_f32_i32_e32 v21, v20
	v_xor_b32_e32 v20, v22, v20
	v_rcp_iflag_f32_e32 v23, v21
	v_nop
	s_delay_alu instid0(TRANS32_DEP_1) | instskip(NEXT) | instid1(VALU_DEP_1)
	v_dual_ashrrev_i32 v20, 30, v20 :: v_dual_mul_f32 v22, v24, v23
	v_trunc_f32_e32 v22, v22
	s_delay_alu instid0(VALU_DEP_1) | instskip(SKIP_1) | instid1(VALU_DEP_2)
	v_dual_fma_f32 v23, -v22, v21, v24 :: v_dual_bitop2_b32 v20, 1, v20 bitop3:0x54
	v_cvt_i32_f32_e32 v22, v22
	v_cmp_ge_f32_e64 vcc_lo, |v23|, |v21|
	s_delay_alu instid0(VALU_DEP_3) | instskip(NEXT) | instid1(VALU_DEP_1)
	v_cndmask_b32_e32 v20, 0, v20, vcc_lo
	v_add_nc_u32_e32 v20, v22, v20
	s_delay_alu instid0(VALU_DEP_1) | instskip(NEXT) | instid1(VALU_DEP_1)
	v_mul_lo_u32 v20, v20, v18
	v_sub_nc_u32_e32 v19, v19, v20
	s_delay_alu instid0(VALU_DEP_1) | instskip(SKIP_1) | instid1(VALU_DEP_2)
	v_bfe_i32 v20, v19, 0, 8
	v_mov_b32_e32 v19, v18
	v_cmp_eq_u16_e32 vcc_lo, 0, v20
	v_and_b32_e32 v20, 0xffff, v20
	s_or_b32 s10, vcc_lo, s10
	s_delay_alu instid0(SALU_CYCLE_1)
	s_and_not1_b32 exec_lo, exec_lo, s10
	s_cbranch_execnz .LBB48_93
; %bb.94:
	s_or_b32 exec_lo, exec_lo, s10
.LBB48_95:
	s_delay_alu instid0(SALU_CYCLE_1) | instskip(NEXT) | instid1(VALU_DEP_1)
	s_or_b32 exec_lo, exec_lo, s0
	v_and_b32_e32 v20, 0xff, v18
	v_mov_b32_e32 v19, 0
	s_mov_b32 s0, exec_lo
	s_delay_alu instid0(VALU_DEP_2)
	v_cmpx_ne_u16_e32 0, v20
	s_cbranch_execz .LBB48_97
; %bb.96:
	v_bfe_i32 v18, v18, 0, 8
	v_cvt_f32_i32_e32 v21, v5
	s_delay_alu instid0(VALU_DEP_2) | instskip(SKIP_1) | instid1(VALU_DEP_2)
	v_cvt_f32_i32_e32 v19, v18
	v_xor_b32_e32 v5, v5, v18
	v_rcp_iflag_f32_e32 v20, v19
	s_delay_alu instid0(VALU_DEP_1)
	v_ashrrev_i32_e32 v5, 30, v5
	s_delay_alu instid0(TRANS32_DEP_1) | instid1(VALU_DEP_1)
	v_dual_mul_f32 v20, v21, v20 :: v_dual_bitop2_b32 v5, 1, v5 bitop3:0x54
	s_delay_alu instid0(VALU_DEP_1) | instskip(NEXT) | instid1(VALU_DEP_1)
	v_trunc_f32_e32 v18, v20
	v_fma_f32 v20, -v18, v19, v21
	v_cvt_i32_f32_e32 v18, v18
	s_delay_alu instid0(VALU_DEP_2) | instskip(SKIP_1) | instid1(VALU_DEP_1)
	v_cmp_ge_f32_e64 vcc_lo, |v20|, |v19|
	v_cndmask_b32_e32 v5, 0, v5, vcc_lo
	v_add_nc_u32_e32 v5, v18, v5
	s_delay_alu instid0(VALU_DEP_1) | instskip(NEXT) | instid1(VALU_DEP_1)
	v_bfe_i32 v5, v5, 0, 8
	v_mul_i32_i24_e32 v5, v5, v9
	s_delay_alu instid0(VALU_DEP_1) | instskip(NEXT) | instid1(VALU_DEP_1)
	v_sub_nc_u32_e32 v9, 0, v5
	v_max_i32_e32 v19, v5, v9
.LBB48_97:
	s_or_b32 exec_lo, exec_lo, s0
	v_perm_b32 v5, v8, v16, 0xc0c0004
	s_delay_alu instid0(VALU_DEP_2)
	v_perm_b32 v8, v17, v19, 0xc0c0004
	v_perm_b32 v7, v7, v14, 0xc0c0004
	;; [unrolled: 1-line block ×7, first 2 shown]
	v_lshl_or_b32 v5, v8, 16, v5
	v_lshl_or_b32 v4, v4, 16, v7
	;; [unrolled: 1-line block ×3, first 2 shown]
	s_add_nc_u64 s[10:11], s[4:5], s[2:3]
	v_lshl_or_b32 v2, v2, 16, v1
	s_mov_b32 s0, 0
	global_store_b128 v0, v[2:5], s[10:11] scale_offset
.LBB48_98:
	s_and_b32 vcc_lo, exec_lo, s0
	s_cbranch_vccz .LBB48_269
; %bb.99:
	v_cmp_gt_i32_e32 vcc_lo, s1, v0
	s_wait_xcnt 0x0
	v_dual_mov_b32 v2, 0 :: v_dual_bitop2_b32 v10, s2, v0 bitop3:0x54
	v_or_b32_e32 v11, 0x100, v0
	v_dual_mov_b32 v13, 0 :: v_dual_mov_b32 v12, 0
	v_dual_mov_b32 v15, 0 :: v_dual_mov_b32 v14, 0
	;; [unrolled: 1-line block ×16, first 2 shown]
	s_and_saveexec_b32 s3, vcc_lo
	s_cbranch_execz .LBB48_131
; %bb.100:
	s_clause 0x1
	global_load_u8 v40, v10, s[6:7]
	global_load_u8 v41, v10, s[8:9]
	v_or_b32_e32 v1, 0x100, v0
	v_dual_mov_b32 v39, 0 :: v_dual_mov_b32 v38, 0
	v_dual_mov_b32 v5, 0 :: v_dual_mov_b32 v37, 0
	s_delay_alu instid0(VALU_DEP_3)
	v_cmp_gt_u32_e64 s0, s1, v1
	v_dual_mov_b32 v6, 0 :: v_dual_mov_b32 v36, 0
	v_dual_mov_b32 v35, 0 :: v_dual_mov_b32 v34, 0
	;; [unrolled: 1-line block ×13, first 2 shown]
	s_wait_xcnt 0x0
	s_and_saveexec_b32 s10, s0
	s_cbranch_execz .LBB48_130
; %bb.101:
	v_dual_mov_b32 v5, 0 :: v_dual_add_nc_u32 v4, s2, v0
	v_or_b32_e32 v1, 0x200, v0
	v_dual_mov_b32 v37, 0 :: v_dual_mov_b32 v6, 0
	s_clause 0x1
	global_load_u8 v38, v4, s[6:7] offset:256
	global_load_u8 v39, v4, s[8:9] offset:256
	v_dual_mov_b32 v36, 0 :: v_dual_mov_b32 v35, 0
	v_cmp_gt_u32_e64 s0, s1, v1
	v_dual_mov_b32 v34, 0 :: v_dual_mov_b32 v33, 0
	v_dual_mov_b32 v32, 0 :: v_dual_mov_b32 v31, 0
	;; [unrolled: 1-line block ×11, first 2 shown]
	v_mov_b32_e32 v13, 0
	s_wait_xcnt 0x0
	s_and_saveexec_b32 s11, s0
	s_cbranch_execz .LBB48_129
; %bb.102:
	v_add_nc_u64_e32 v[6:7], s[6:7], v[4:5]
	v_add_nc_u64_e32 v[8:9], s[8:9], v[4:5]
	v_or_b32_e32 v3, 0x300, v0
	v_dual_mov_b32 v36, 0 :: v_dual_mov_b32 v35, 0
	v_dual_mov_b32 v34, 0 :: v_dual_mov_b32 v33, 0
	global_load_u8 v37, v[6:7], off offset:512
	global_load_u8 v1, v[8:9], off offset:512
	v_cmp_gt_u32_e64 s0, s1, v3
	v_dual_mov_b32 v32, 0 :: v_dual_mov_b32 v31, 0
	v_dual_mov_b32 v30, 0 :: v_dual_mov_b32 v29, 0
	;; [unrolled: 1-line block ×10, first 2 shown]
	v_mov_b32_e32 v13, 0
	s_wait_xcnt 0x0
	s_and_saveexec_b32 s6, s0
	s_cbranch_execz .LBB48_128
; %bb.103:
	global_load_u8 v36, v[6:7], off offset:768
	global_load_u8 v5, v[8:9], off offset:768
	v_or_b32_e32 v3, 0x400, v0
	v_dual_mov_b32 v35, 0 :: v_dual_mov_b32 v34, 0
	v_dual_mov_b32 v33, 0 :: v_dual_mov_b32 v32, 0
	s_delay_alu instid0(VALU_DEP_3)
	v_cmp_gt_u32_e64 s0, s1, v3
	v_dual_mov_b32 v31, 0 :: v_dual_mov_b32 v30, 0
	v_dual_mov_b32 v29, 0 :: v_dual_mov_b32 v28, 0
	;; [unrolled: 1-line block ×10, first 2 shown]
	s_wait_xcnt 0x0
	s_and_saveexec_b32 s7, s0
	s_cbranch_execz .LBB48_127
; %bb.104:
	global_load_u8 v34, v[6:7], off offset:1024
	global_load_u8 v35, v[8:9], off offset:1024
	v_or_b32_e32 v3, 0x500, v0
	v_dual_mov_b32 v33, 0 :: v_dual_mov_b32 v32, 0
	v_dual_mov_b32 v31, 0 :: v_dual_mov_b32 v30, 0
	s_delay_alu instid0(VALU_DEP_3)
	v_cmp_gt_u32_e64 s0, s1, v3
	v_dual_mov_b32 v29, 0 :: v_dual_mov_b32 v28, 0
	v_dual_mov_b32 v27, 0 :: v_dual_mov_b32 v26, 0
	;; [unrolled: 1-line block ×9, first 2 shown]
	s_wait_xcnt 0x0
	s_and_saveexec_b32 s8, s0
	s_cbranch_execz .LBB48_126
; %bb.105:
	global_load_u8 v32, v[6:7], off offset:1280
	global_load_u8 v33, v[8:9], off offset:1280
	v_or_b32_e32 v3, 0x600, v0
	v_dual_mov_b32 v31, 0 :: v_dual_mov_b32 v30, 0
	v_dual_mov_b32 v29, 0 :: v_dual_mov_b32 v28, 0
	s_delay_alu instid0(VALU_DEP_3)
	v_cmp_gt_u32_e64 s0, s1, v3
	v_dual_mov_b32 v27, 0 :: v_dual_mov_b32 v26, 0
	v_dual_mov_b32 v24, 0 :: v_dual_mov_b32 v25, 0
	v_dual_mov_b32 v22, 0 :: v_dual_mov_b32 v23, 0
	v_dual_mov_b32 v20, 0 :: v_dual_mov_b32 v21, 0
	v_dual_mov_b32 v18, 0 :: v_dual_mov_b32 v19, 0
	v_dual_mov_b32 v16, 0 :: v_dual_mov_b32 v17, 0
	v_dual_mov_b32 v14, 0 :: v_dual_mov_b32 v15, 0
	v_dual_mov_b32 v12, 0 :: v_dual_mov_b32 v13, 0
	s_wait_xcnt 0x0
	s_and_saveexec_b32 s9, s0
	s_cbranch_execz .LBB48_125
; %bb.106:
	global_load_u8 v30, v[6:7], off offset:1536
	global_load_u8 v31, v[8:9], off offset:1536
	v_or_b32_e32 v3, 0x700, v0
	v_dual_mov_b32 v29, 0 :: v_dual_mov_b32 v28, 0
	v_dual_mov_b32 v27, 0 :: v_dual_mov_b32 v26, 0
	;; [unrolled: 1-line block ×9, first 2 shown]
	s_mov_b32 s12, exec_lo
	s_wait_xcnt 0x0
	v_cmpx_gt_u32_e64 s1, v3
	s_cbranch_execz .LBB48_124
; %bb.107:
	global_load_u8 v28, v[6:7], off offset:1792
	global_load_u8 v29, v[8:9], off offset:1792
	v_or_b32_e32 v3, 0x800, v0
	v_dual_mov_b32 v27, 0 :: v_dual_mov_b32 v26, 0
	v_dual_mov_b32 v24, 0 :: v_dual_mov_b32 v25, 0
	;; [unrolled: 1-line block ×8, first 2 shown]
	s_mov_b32 s13, exec_lo
	s_wait_xcnt 0x0
	v_cmpx_gt_u32_e64 s1, v3
	s_cbranch_execz .LBB48_123
; %bb.108:
	global_load_u8 v26, v[6:7], off offset:2048
	global_load_u8 v27, v[8:9], off offset:2048
	v_or_b32_e32 v3, 0x900, v0
	v_dual_mov_b32 v24, 0 :: v_dual_mov_b32 v25, 0
	v_dual_mov_b32 v22, 0 :: v_dual_mov_b32 v23, 0
	;; [unrolled: 1-line block ×7, first 2 shown]
	s_mov_b32 s14, exec_lo
	s_wait_xcnt 0x0
	v_cmpx_gt_u32_e64 s1, v3
	s_cbranch_execz .LBB48_122
; %bb.109:
	global_load_u8 v25, v[6:7], off offset:2304
	global_load_u8 v24, v[8:9], off offset:2304
	v_or_b32_e32 v3, 0xa00, v0
	v_dual_mov_b32 v22, 0 :: v_dual_mov_b32 v23, 0
	v_dual_mov_b32 v20, 0 :: v_dual_mov_b32 v21, 0
	;; [unrolled: 1-line block ×6, first 2 shown]
	s_mov_b32 s15, exec_lo
	s_wait_xcnt 0x0
	v_cmpx_gt_u32_e64 s1, v3
	s_cbranch_execz .LBB48_121
; %bb.110:
	global_load_u8 v23, v[6:7], off offset:2560
	global_load_u8 v22, v[8:9], off offset:2560
	v_or_b32_e32 v3, 0xb00, v0
	v_dual_mov_b32 v20, 0 :: v_dual_mov_b32 v21, 0
	v_dual_mov_b32 v18, 0 :: v_dual_mov_b32 v19, 0
	;; [unrolled: 1-line block ×5, first 2 shown]
	s_mov_b32 s16, exec_lo
	s_wait_xcnt 0x0
	v_cmpx_gt_u32_e64 s1, v3
	s_cbranch_execz .LBB48_120
; %bb.111:
	global_load_u8 v21, v[6:7], off offset:2816
	global_load_u8 v20, v[8:9], off offset:2816
	v_or_b32_e32 v3, 0xc00, v0
	v_dual_mov_b32 v18, 0 :: v_dual_mov_b32 v19, 0
	v_dual_mov_b32 v16, 0 :: v_dual_mov_b32 v17, 0
	v_dual_mov_b32 v14, 0 :: v_dual_mov_b32 v15, 0
	v_dual_mov_b32 v12, 0 :: v_dual_mov_b32 v13, 0
	s_mov_b32 s17, exec_lo
	s_wait_xcnt 0x0
	v_cmpx_gt_u32_e64 s1, v3
	s_cbranch_execz .LBB48_119
; %bb.112:
	global_load_u8 v19, v[6:7], off offset:3072
	global_load_u8 v18, v[8:9], off offset:3072
	v_or_b32_e32 v3, 0xd00, v0
	v_dual_mov_b32 v16, 0 :: v_dual_mov_b32 v17, 0
	v_dual_mov_b32 v14, 0 :: v_dual_mov_b32 v15, 0
	;; [unrolled: 1-line block ×3, first 2 shown]
	s_mov_b32 s18, exec_lo
	s_wait_xcnt 0x0
	v_cmpx_gt_u32_e64 s1, v3
	s_cbranch_execz .LBB48_118
; %bb.113:
	global_load_u8 v17, v[6:7], off offset:3328
	global_load_u8 v16, v[8:9], off offset:3328
	v_or_b32_e32 v3, 0xe00, v0
	v_dual_mov_b32 v14, 0 :: v_dual_mov_b32 v15, 0
	v_dual_mov_b32 v12, 0 :: v_dual_mov_b32 v13, 0
	s_mov_b32 s19, exec_lo
	s_wait_xcnt 0x0
	v_cmpx_gt_u32_e64 s1, v3
	s_cbranch_execz .LBB48_117
; %bb.114:
	global_load_u8 v15, v[6:7], off offset:3584
	global_load_u8 v14, v[8:9], off offset:3584
	v_or_b32_e32 v3, 0xf00, v0
	v_dual_mov_b32 v12, 0 :: v_dual_mov_b32 v13, 0
	s_mov_b32 s20, exec_lo
	s_wait_xcnt 0x0
	s_delay_alu instid0(VALU_DEP_2)
	v_cmpx_gt_u32_e64 s1, v3
	s_cbranch_execz .LBB48_116
; %bb.115:
	global_load_u8 v13, v[6:7], off offset:3840
	global_load_u8 v12, v[8:9], off offset:3840
.LBB48_116:
	s_wait_xcnt 0x0
	s_or_b32 exec_lo, exec_lo, s20
.LBB48_117:
	s_delay_alu instid0(SALU_CYCLE_1)
	s_or_b32 exec_lo, exec_lo, s19
.LBB48_118:
	s_delay_alu instid0(SALU_CYCLE_1)
	s_or_b32 exec_lo, exec_lo, s18
.LBB48_119:
	s_delay_alu instid0(SALU_CYCLE_1)
	s_or_b32 exec_lo, exec_lo, s17
.LBB48_120:
	s_delay_alu instid0(SALU_CYCLE_1)
	s_or_b32 exec_lo, exec_lo, s16
.LBB48_121:
	s_delay_alu instid0(SALU_CYCLE_1)
	s_or_b32 exec_lo, exec_lo, s15
.LBB48_122:
	s_delay_alu instid0(SALU_CYCLE_1)
	s_or_b32 exec_lo, exec_lo, s14
.LBB48_123:
	s_delay_alu instid0(SALU_CYCLE_1)
	s_or_b32 exec_lo, exec_lo, s13
.LBB48_124:
	s_delay_alu instid0(SALU_CYCLE_1)
	s_or_b32 exec_lo, exec_lo, s12
.LBB48_125:
	s_delay_alu instid0(SALU_CYCLE_1)
	s_or_b32 exec_lo, exec_lo, s9
.LBB48_126:
	s_delay_alu instid0(SALU_CYCLE_1)
	s_or_b32 exec_lo, exec_lo, s8
.LBB48_127:
	s_delay_alu instid0(SALU_CYCLE_1)
	s_or_b32 exec_lo, exec_lo, s7
.LBB48_128:
	s_delay_alu instid0(SALU_CYCLE_1)
	s_or_b32 exec_lo, exec_lo, s6
	s_wait_loadcnt 0x0
	v_dual_mov_b32 v6, v5 :: v_dual_mov_b32 v5, v1
.LBB48_129:
	s_or_b32 exec_lo, exec_lo, s11
.LBB48_130:
	s_delay_alu instid0(SALU_CYCLE_1)
	s_or_b32 exec_lo, exec_lo, s10
.LBB48_131:
	s_delay_alu instid0(SALU_CYCLE_1)
	s_or_b32 exec_lo, exec_lo, s3
	v_dual_mov_b32 v1, v2 :: v_dual_mov_b32 v4, v2
	v_mov_b32_e32 v3, v2
	s_and_saveexec_b32 s3, vcc_lo
	s_cbranch_execz .LBB48_139
; %bb.132:
	s_wait_loadcnt 0x0
	v_bfe_i32 v2, v41, 0, 8
	v_and_b32_e32 v1, 0xff, v40
	s_mov_b32 s6, exec_lo
	s_delay_alu instid0(VALU_DEP_2) | instskip(NEXT) | instid1(VALU_DEP_1)
	v_sub_nc_u16 v3, 0, v2
	v_max_i16 v4, v2, v3
	v_bfe_i32 v3, v40, 0, 8
	v_cmpx_ne_u16_e32 0, v1
	s_cbranch_execz .LBB48_136
; %bb.133:
	s_delay_alu instid0(VALU_DEP_2) | instskip(SKIP_1) | instid1(VALU_DEP_1)
	v_sub_nc_u16 v1, 0, v3
	s_mov_b32 s7, 0
	v_max_i16 v7, v3, v1
	v_and_b32_e32 v1, 0xff, v4
	s_delay_alu instid0(VALU_DEP_2)
	v_and_b32_e32 v7, 0xffff, v7
.LBB48_134:                             ; =>This Inner Loop Header: Depth=1
	s_delay_alu instid0(VALU_DEP_2) | instskip(NEXT) | instid1(VALU_DEP_2)
	v_bfe_i32 v9, v1, 0, 8
	v_mov_b32_e32 v4, v7
	s_delay_alu instid0(VALU_DEP_2) | instskip(NEXT) | instid1(VALU_DEP_2)
	v_cvt_f32_i32_e32 v41, v9
	v_bfe_i32 v7, v4, 0, 8
	s_delay_alu instid0(VALU_DEP_1) | instskip(SKIP_1) | instid1(VALU_DEP_2)
	v_cvt_f32_i32_e32 v8, v7
	v_xor_b32_e32 v7, v9, v7
	v_rcp_iflag_f32_e32 v40, v8
	v_nop
	s_delay_alu instid0(TRANS32_DEP_1) | instskip(NEXT) | instid1(VALU_DEP_1)
	v_dual_ashrrev_i32 v7, 30, v7 :: v_dual_mul_f32 v9, v41, v40
	v_trunc_f32_e32 v9, v9
	s_delay_alu instid0(VALU_DEP_1) | instskip(SKIP_1) | instid1(VALU_DEP_2)
	v_dual_fma_f32 v40, -v9, v8, v41 :: v_dual_bitop2_b32 v7, 1, v7 bitop3:0x54
	v_cvt_i32_f32_e32 v9, v9
	v_cmp_ge_f32_e64 s0, |v40|, |v8|
	s_delay_alu instid0(VALU_DEP_1) | instskip(NEXT) | instid1(VALU_DEP_1)
	v_cndmask_b32_e64 v7, 0, v7, s0
	v_add_nc_u32_e32 v7, v9, v7
	s_delay_alu instid0(VALU_DEP_1) | instskip(NEXT) | instid1(VALU_DEP_1)
	v_mul_lo_u32 v7, v7, v4
	v_sub_nc_u32_e32 v1, v1, v7
	s_delay_alu instid0(VALU_DEP_1) | instskip(SKIP_1) | instid1(VALU_DEP_2)
	v_bfe_i32 v7, v1, 0, 8
	v_mov_b32_e32 v1, v4
	v_cmp_eq_u16_e64 s0, 0, v7
	v_and_b32_e32 v7, 0xffff, v7
	s_or_b32 s7, s0, s7
	s_delay_alu instid0(SALU_CYCLE_1)
	s_and_not1_b32 exec_lo, exec_lo, s7
	s_cbranch_execnz .LBB48_134
; %bb.135:
	s_or_b32 exec_lo, exec_lo, s7
.LBB48_136:
	s_delay_alu instid0(SALU_CYCLE_1) | instskip(SKIP_2) | instid1(VALU_DEP_2)
	s_or_b32 exec_lo, exec_lo, s6
	v_and_b32_e32 v7, 0xff, v4
	v_mov_b32_e32 v1, 0
	v_cmp_ne_u16_e64 s0, 0, v7
	v_mov_b32_e32 v7, 0
	s_and_saveexec_b32 s6, s0
	s_cbranch_execz .LBB48_138
; %bb.137:
	v_bfe_i32 v4, v4, 0, 8
	v_cvt_f32_i32_e32 v9, v3
	s_delay_alu instid0(VALU_DEP_2) | instskip(SKIP_1) | instid1(VALU_DEP_2)
	v_cvt_f32_i32_e32 v7, v4
	v_xor_b32_e32 v3, v3, v4
	v_rcp_iflag_f32_e32 v8, v7
	s_delay_alu instid0(VALU_DEP_1)
	v_ashrrev_i32_e32 v3, 30, v3
	s_delay_alu instid0(TRANS32_DEP_1) | instid1(VALU_DEP_1)
	v_dual_mul_f32 v8, v9, v8 :: v_dual_bitop2_b32 v3, 1, v3 bitop3:0x54
	s_delay_alu instid0(VALU_DEP_1) | instskip(NEXT) | instid1(VALU_DEP_1)
	v_trunc_f32_e32 v4, v8
	v_fma_f32 v8, -v4, v7, v9
	v_cvt_i32_f32_e32 v4, v4
	s_delay_alu instid0(VALU_DEP_2) | instskip(NEXT) | instid1(VALU_DEP_1)
	v_cmp_ge_f32_e64 s0, |v8|, |v7|
	v_cndmask_b32_e64 v3, 0, v3, s0
	s_delay_alu instid0(VALU_DEP_1) | instskip(NEXT) | instid1(VALU_DEP_1)
	v_add_nc_u32_e32 v3, v4, v3
	v_bfe_i32 v3, v3, 0, 8
	s_delay_alu instid0(VALU_DEP_1) | instskip(NEXT) | instid1(VALU_DEP_1)
	v_mul_i32_i24_e32 v2, v3, v2
	v_sub_nc_u32_e32 v3, 0, v2
	s_delay_alu instid0(VALU_DEP_1)
	v_max_i32_e32 v7, v2, v3
.LBB48_138:
	s_or_b32 exec_lo, exec_lo, s6
	s_delay_alu instid0(VALU_DEP_1) | instskip(SKIP_1) | instid1(VALU_DEP_2)
	v_and_b32_e32 v2, 0xff, v7
	v_dual_mov_b32 v4, v1 :: v_dual_mov_b32 v3, v1
	v_and_b32_e32 v2, 0xffff, v2
.LBB48_139:
	s_or_b32 exec_lo, exec_lo, s3
	s_delay_alu instid0(SALU_CYCLE_1)
	s_mov_b32 s3, exec_lo
	v_cmpx_gt_i32_e64 s1, v11
	s_cbranch_execz .LBB48_147
; %bb.140:
	s_wait_loadcnt 0x0
	v_bfe_i32 v7, v39, 0, 8
	v_and_b32_e32 v8, 0xff, v38
	s_mov_b32 s7, 0
	s_delay_alu instid0(VALU_DEP_2) | instskip(NEXT) | instid1(VALU_DEP_2)
	v_sub_nc_u16 v9, 0, v7
	v_cmp_ne_u16_e64 s0, 0, v8
	v_bfe_i32 v8, v38, 0, 8
	s_delay_alu instid0(VALU_DEP_3)
	v_max_i16 v9, v7, v9
	s_and_saveexec_b32 s6, s0
	s_cbranch_execz .LBB48_144
; %bb.141:
	s_delay_alu instid0(VALU_DEP_2) | instskip(NEXT) | instid1(VALU_DEP_1)
	v_sub_nc_u16 v38, 0, v8
	v_max_i16 v39, v8, v38
	v_and_b32_e32 v38, 0xff, v9
	s_delay_alu instid0(VALU_DEP_2)
	v_and_b32_e32 v39, 0xffff, v39
.LBB48_142:                             ; =>This Inner Loop Header: Depth=1
	s_delay_alu instid0(VALU_DEP_2) | instskip(NEXT) | instid1(VALU_DEP_2)
	v_bfe_i32 v41, v38, 0, 8
	v_mov_b32_e32 v9, v39
	s_delay_alu instid0(VALU_DEP_2) | instskip(NEXT) | instid1(VALU_DEP_2)
	v_cvt_f32_i32_e32 v43, v41
	v_bfe_i32 v39, v9, 0, 8
	s_delay_alu instid0(VALU_DEP_1) | instskip(SKIP_1) | instid1(VALU_DEP_2)
	v_cvt_f32_i32_e32 v40, v39
	v_xor_b32_e32 v39, v41, v39
	v_rcp_iflag_f32_e32 v42, v40
	v_nop
	s_delay_alu instid0(TRANS32_DEP_1) | instskip(NEXT) | instid1(VALU_DEP_1)
	v_dual_ashrrev_i32 v39, 30, v39 :: v_dual_mul_f32 v41, v43, v42
	v_trunc_f32_e32 v41, v41
	s_delay_alu instid0(VALU_DEP_1) | instskip(SKIP_1) | instid1(VALU_DEP_2)
	v_dual_fma_f32 v42, -v41, v40, v43 :: v_dual_bitop2_b32 v39, 1, v39 bitop3:0x54
	v_cvt_i32_f32_e32 v41, v41
	v_cmp_ge_f32_e64 s0, |v42|, |v40|
	s_delay_alu instid0(VALU_DEP_1) | instskip(NEXT) | instid1(VALU_DEP_1)
	v_cndmask_b32_e64 v39, 0, v39, s0
	v_add_nc_u32_e32 v39, v41, v39
	s_delay_alu instid0(VALU_DEP_1) | instskip(NEXT) | instid1(VALU_DEP_1)
	v_mul_lo_u32 v39, v39, v9
	v_sub_nc_u32_e32 v38, v38, v39
	s_delay_alu instid0(VALU_DEP_1) | instskip(SKIP_1) | instid1(VALU_DEP_2)
	v_bfe_i32 v39, v38, 0, 8
	v_mov_b32_e32 v38, v9
	v_cmp_eq_u16_e64 s0, 0, v39
	v_and_b32_e32 v39, 0xffff, v39
	s_or_b32 s7, s0, s7
	s_delay_alu instid0(SALU_CYCLE_1)
	s_and_not1_b32 exec_lo, exec_lo, s7
	s_cbranch_execnz .LBB48_142
; %bb.143:
	s_or_b32 exec_lo, exec_lo, s7
.LBB48_144:
	s_delay_alu instid0(SALU_CYCLE_1) | instskip(NEXT) | instid1(VALU_DEP_1)
	s_or_b32 exec_lo, exec_lo, s6
	v_and_b32_e32 v39, 0xff, v9
	v_mov_b32_e32 v38, 0
	s_mov_b32 s6, exec_lo
	s_delay_alu instid0(VALU_DEP_2)
	v_cmpx_ne_u16_e32 0, v39
	s_cbranch_execz .LBB48_146
; %bb.145:
	v_bfe_i32 v9, v9, 0, 8
	v_cvt_f32_i32_e32 v40, v8
	s_delay_alu instid0(VALU_DEP_2) | instskip(SKIP_1) | instid1(VALU_DEP_2)
	v_cvt_f32_i32_e32 v38, v9
	v_xor_b32_e32 v8, v8, v9
	v_rcp_iflag_f32_e32 v39, v38
	s_delay_alu instid0(VALU_DEP_1)
	v_ashrrev_i32_e32 v8, 30, v8
	s_delay_alu instid0(TRANS32_DEP_1) | instid1(VALU_DEP_1)
	v_dual_mul_f32 v39, v40, v39 :: v_dual_bitop2_b32 v8, 1, v8 bitop3:0x54
	s_delay_alu instid0(VALU_DEP_1) | instskip(NEXT) | instid1(VALU_DEP_1)
	v_trunc_f32_e32 v9, v39
	v_fma_f32 v39, -v9, v38, v40
	v_cvt_i32_f32_e32 v9, v9
	s_delay_alu instid0(VALU_DEP_2) | instskip(NEXT) | instid1(VALU_DEP_1)
	v_cmp_ge_f32_e64 s0, |v39|, |v38|
	v_cndmask_b32_e64 v8, 0, v8, s0
	s_delay_alu instid0(VALU_DEP_1) | instskip(NEXT) | instid1(VALU_DEP_1)
	v_add_nc_u32_e32 v8, v9, v8
	v_bfe_i32 v8, v8, 0, 8
	s_delay_alu instid0(VALU_DEP_1) | instskip(NEXT) | instid1(VALU_DEP_1)
	v_mul_i32_i24_e32 v7, v8, v7
	v_sub_nc_u32_e32 v8, 0, v7
	s_delay_alu instid0(VALU_DEP_1)
	v_max_i32_e32 v38, v7, v8
.LBB48_146:
	s_or_b32 exec_lo, exec_lo, s6
	s_delay_alu instid0(VALU_DEP_1)
	v_perm_b32 v2, v2, v38, 0x7060004
.LBB48_147:
	s_or_b32 exec_lo, exec_lo, s3
	v_or_b32_e32 v7, 0x200, v0
	s_mov_b32 s3, exec_lo
	s_delay_alu instid0(VALU_DEP_1)
	v_cmpx_gt_i32_e64 s1, v7
	s_cbranch_execz .LBB48_155
; %bb.148:
	v_bfe_i32 v5, v5, 0, 8
	v_and_b32_e32 v7, 0xff, v37
	s_mov_b32 s7, 0
	s_delay_alu instid0(VALU_DEP_2) | instskip(NEXT) | instid1(VALU_DEP_2)
	v_sub_nc_u16 v8, 0, v5
	v_cmp_ne_u16_e64 s0, 0, v7
	v_bfe_i32 v7, v37, 0, 8
	s_delay_alu instid0(VALU_DEP_3)
	v_max_i16 v8, v5, v8
	s_and_saveexec_b32 s6, s0
	s_cbranch_execz .LBB48_152
; %bb.149:
	s_delay_alu instid0(VALU_DEP_2) | instskip(NEXT) | instid1(VALU_DEP_1)
	v_sub_nc_u16 v9, 0, v7
	v_max_i16 v37, v7, v9
	v_and_b32_e32 v9, 0xff, v8
	s_delay_alu instid0(VALU_DEP_2)
	v_and_b32_e32 v37, 0xffff, v37
.LBB48_150:                             ; =>This Inner Loop Header: Depth=1
	s_wait_loadcnt 0x0
	s_delay_alu instid0(VALU_DEP_2) | instskip(NEXT) | instid1(VALU_DEP_2)
	v_bfe_i32 v39, v9, 0, 8
	v_mov_b32_e32 v8, v37
	s_delay_alu instid0(VALU_DEP_2) | instskip(NEXT) | instid1(VALU_DEP_2)
	v_cvt_f32_i32_e32 v41, v39
	v_bfe_i32 v37, v8, 0, 8
	s_delay_alu instid0(VALU_DEP_1) | instskip(SKIP_1) | instid1(VALU_DEP_2)
	v_cvt_f32_i32_e32 v38, v37
	v_xor_b32_e32 v37, v39, v37
	v_rcp_iflag_f32_e32 v40, v38
	v_nop
	s_delay_alu instid0(TRANS32_DEP_1) | instskip(NEXT) | instid1(VALU_DEP_1)
	v_dual_ashrrev_i32 v37, 30, v37 :: v_dual_mul_f32 v39, v41, v40
	v_trunc_f32_e32 v39, v39
	s_delay_alu instid0(VALU_DEP_1) | instskip(SKIP_1) | instid1(VALU_DEP_2)
	v_dual_fma_f32 v40, -v39, v38, v41 :: v_dual_bitop2_b32 v37, 1, v37 bitop3:0x54
	v_cvt_i32_f32_e32 v39, v39
	v_cmp_ge_f32_e64 s0, |v40|, |v38|
	s_delay_alu instid0(VALU_DEP_1) | instskip(NEXT) | instid1(VALU_DEP_1)
	v_cndmask_b32_e64 v37, 0, v37, s0
	v_add_nc_u32_e32 v37, v39, v37
	s_delay_alu instid0(VALU_DEP_1) | instskip(NEXT) | instid1(VALU_DEP_1)
	v_mul_lo_u32 v37, v37, v8
	v_sub_nc_u32_e32 v9, v9, v37
	s_delay_alu instid0(VALU_DEP_1) | instskip(SKIP_1) | instid1(VALU_DEP_2)
	v_bfe_i32 v37, v9, 0, 8
	v_mov_b32_e32 v9, v8
	v_cmp_eq_u16_e64 s0, 0, v37
	v_and_b32_e32 v37, 0xffff, v37
	s_or_b32 s7, s0, s7
	s_delay_alu instid0(SALU_CYCLE_1)
	s_and_not1_b32 exec_lo, exec_lo, s7
	s_cbranch_execnz .LBB48_150
; %bb.151:
	s_or_b32 exec_lo, exec_lo, s7
.LBB48_152:
	s_delay_alu instid0(SALU_CYCLE_1) | instskip(NEXT) | instid1(VALU_DEP_1)
	s_or_b32 exec_lo, exec_lo, s6
	v_and_b32_e32 v37, 0xff, v8
	v_mov_b32_e32 v9, 0
	s_mov_b32 s6, exec_lo
	s_delay_alu instid0(VALU_DEP_2)
	v_cmpx_ne_u16_e32 0, v37
	s_cbranch_execz .LBB48_154
; %bb.153:
	v_bfe_i32 v8, v8, 0, 8
	s_wait_loadcnt 0x1
	v_cvt_f32_i32_e32 v38, v7
	s_delay_alu instid0(VALU_DEP_2) | instskip(SKIP_1) | instid1(VALU_DEP_2)
	v_cvt_f32_i32_e32 v9, v8
	v_xor_b32_e32 v7, v7, v8
	v_rcp_iflag_f32_e32 v37, v9
	v_nop
	s_delay_alu instid0(TRANS32_DEP_1) | instskip(NEXT) | instid1(VALU_DEP_1)
	v_mul_f32_e32 v37, v38, v37
	v_trunc_f32_e32 v8, v37
	s_delay_alu instid0(VALU_DEP_1) | instskip(NEXT) | instid1(VALU_DEP_1)
	v_dual_ashrrev_i32 v7, 30, v7 :: v_dual_fma_f32 v37, -v8, v9, v38
	v_or_b32_e32 v7, 1, v7
	v_cvt_i32_f32_e32 v8, v8
	s_delay_alu instid0(VALU_DEP_3) | instskip(NEXT) | instid1(VALU_DEP_1)
	v_cmp_ge_f32_e64 s0, |v37|, |v9|
	v_cndmask_b32_e64 v7, 0, v7, s0
	s_delay_alu instid0(VALU_DEP_1) | instskip(NEXT) | instid1(VALU_DEP_1)
	v_add_nc_u32_e32 v7, v8, v7
	v_bfe_i32 v7, v7, 0, 8
	s_delay_alu instid0(VALU_DEP_1) | instskip(NEXT) | instid1(VALU_DEP_1)
	v_mul_i32_i24_e32 v5, v7, v5
	v_sub_nc_u32_e32 v7, 0, v5
	s_delay_alu instid0(VALU_DEP_1)
	v_max_i32_e32 v9, v5, v7
.LBB48_154:
	s_or_b32 exec_lo, exec_lo, s6
	s_delay_alu instid0(VALU_DEP_1)
	v_perm_b32 v2, v2, v9, 0x7000504
.LBB48_155:
	s_or_b32 exec_lo, exec_lo, s3
	v_or_b32_e32 v5, 0x300, v0
	s_mov_b32 s3, exec_lo
	s_delay_alu instid0(VALU_DEP_1)
	v_cmpx_gt_i32_e64 s1, v5
	s_cbranch_execz .LBB48_163
; %bb.156:
	v_bfe_i32 v5, v6, 0, 8
	v_and_b32_e32 v6, 0xff, v36
	s_mov_b32 s7, 0
	s_delay_alu instid0(VALU_DEP_2) | instskip(NEXT) | instid1(VALU_DEP_2)
	v_sub_nc_u16 v7, 0, v5
	v_cmp_ne_u16_e64 s0, 0, v6
	v_bfe_i32 v6, v36, 0, 8
	s_delay_alu instid0(VALU_DEP_3)
	v_max_i16 v7, v5, v7
	s_and_saveexec_b32 s6, s0
	s_cbranch_execz .LBB48_160
; %bb.157:
	s_delay_alu instid0(VALU_DEP_2) | instskip(NEXT) | instid1(VALU_DEP_1)
	v_sub_nc_u16 v8, 0, v6
	v_max_i16 v9, v6, v8
	v_and_b32_e32 v8, 0xff, v7
	s_delay_alu instid0(VALU_DEP_2)
	v_and_b32_e32 v9, 0xffff, v9
.LBB48_158:                             ; =>This Inner Loop Header: Depth=1
	s_delay_alu instid0(VALU_DEP_2) | instskip(SKIP_1) | instid1(VALU_DEP_1)
	v_bfe_i32 v37, v8, 0, 8
	s_wait_loadcnt 0x0
	v_cvt_f32_i32_e32 v39, v37
	s_delay_alu instid0(VALU_DEP_3) | instskip(NEXT) | instid1(VALU_DEP_1)
	v_mov_b32_e32 v7, v9
	v_bfe_i32 v9, v7, 0, 8
	s_delay_alu instid0(VALU_DEP_1) | instskip(SKIP_1) | instid1(VALU_DEP_2)
	v_cvt_f32_i32_e32 v36, v9
	v_xor_b32_e32 v9, v37, v9
	v_rcp_iflag_f32_e32 v38, v36
	v_nop
	s_delay_alu instid0(TRANS32_DEP_1) | instskip(NEXT) | instid1(VALU_DEP_1)
	v_mul_f32_e32 v37, v39, v38
	v_trunc_f32_e32 v37, v37
	s_delay_alu instid0(VALU_DEP_1) | instskip(SKIP_1) | instid1(VALU_DEP_2)
	v_dual_fma_f32 v38, -v37, v36, v39 :: v_dual_ashrrev_i32 v9, 30, v9
	v_cvt_i32_f32_e32 v37, v37
	v_cmp_ge_f32_e64 s0, |v38|, |v36|
	s_delay_alu instid0(VALU_DEP_3) | instskip(NEXT) | instid1(VALU_DEP_1)
	v_or_b32_e32 v9, 1, v9
	v_cndmask_b32_e64 v9, 0, v9, s0
	s_delay_alu instid0(VALU_DEP_1) | instskip(NEXT) | instid1(VALU_DEP_1)
	v_add_nc_u32_e32 v9, v37, v9
	v_mul_lo_u32 v9, v9, v7
	s_delay_alu instid0(VALU_DEP_1) | instskip(NEXT) | instid1(VALU_DEP_1)
	v_sub_nc_u32_e32 v8, v8, v9
	v_bfe_i32 v9, v8, 0, 8
	v_mov_b32_e32 v8, v7
	s_delay_alu instid0(VALU_DEP_2) | instskip(SKIP_2) | instid1(SALU_CYCLE_1)
	v_cmp_eq_u16_e64 s0, 0, v9
	v_and_b32_e32 v9, 0xffff, v9
	s_or_b32 s7, s0, s7
	s_and_not1_b32 exec_lo, exec_lo, s7
	s_cbranch_execnz .LBB48_158
; %bb.159:
	s_or_b32 exec_lo, exec_lo, s7
.LBB48_160:
	s_delay_alu instid0(SALU_CYCLE_1) | instskip(NEXT) | instid1(VALU_DEP_1)
	s_or_b32 exec_lo, exec_lo, s6
	v_and_b32_e32 v9, 0xff, v7
	v_mov_b32_e32 v8, 0
	s_mov_b32 s6, exec_lo
	s_delay_alu instid0(VALU_DEP_2)
	v_cmpx_ne_u16_e32 0, v9
	s_cbranch_execz .LBB48_162
; %bb.161:
	v_bfe_i32 v7, v7, 0, 8
	v_cvt_f32_i32_e32 v36, v6
	s_delay_alu instid0(VALU_DEP_2) | instskip(SKIP_1) | instid1(VALU_DEP_2)
	v_cvt_f32_i32_e32 v8, v7
	v_xor_b32_e32 v6, v6, v7
	v_rcp_iflag_f32_e32 v9, v8
	v_nop
	s_delay_alu instid0(TRANS32_DEP_1) | instskip(NEXT) | instid1(VALU_DEP_1)
	v_mul_f32_e32 v9, v36, v9
	v_trunc_f32_e32 v7, v9
	s_delay_alu instid0(VALU_DEP_1) | instskip(NEXT) | instid1(VALU_DEP_1)
	v_dual_ashrrev_i32 v6, 30, v6 :: v_dual_fma_f32 v9, -v7, v8, v36
	v_or_b32_e32 v6, 1, v6
	v_cvt_i32_f32_e32 v7, v7
	s_delay_alu instid0(VALU_DEP_3) | instskip(NEXT) | instid1(VALU_DEP_1)
	v_cmp_ge_f32_e64 s0, |v9|, |v8|
	v_cndmask_b32_e64 v6, 0, v6, s0
	s_delay_alu instid0(VALU_DEP_1) | instskip(NEXT) | instid1(VALU_DEP_1)
	v_add_nc_u32_e32 v6, v7, v6
	v_bfe_i32 v6, v6, 0, 8
	s_delay_alu instid0(VALU_DEP_1) | instskip(NEXT) | instid1(VALU_DEP_1)
	v_mul_i32_i24_e32 v5, v6, v5
	v_sub_nc_u32_e32 v6, 0, v5
	s_delay_alu instid0(VALU_DEP_1)
	v_max_i32_e32 v8, v5, v6
.LBB48_162:
	s_or_b32 exec_lo, exec_lo, s6
	s_delay_alu instid0(VALU_DEP_1)
	v_perm_b32 v2, v2, v8, 0x60504
.LBB48_163:
	s_or_b32 exec_lo, exec_lo, s3
	v_or_b32_e32 v5, 0x400, v0
	s_mov_b32 s3, exec_lo
	s_delay_alu instid0(VALU_DEP_1)
	v_cmpx_gt_i32_e64 s1, v5
	s_cbranch_execz .LBB48_171
; %bb.164:
	v_bfe_i32 v5, v35, 0, 8
	v_and_b32_e32 v6, 0xff, v34
	s_mov_b32 s7, 0
	s_delay_alu instid0(VALU_DEP_2) | instskip(NEXT) | instid1(VALU_DEP_2)
	v_sub_nc_u16 v7, 0, v5
	v_cmp_ne_u16_e64 s0, 0, v6
	v_bfe_i32 v6, v34, 0, 8
	s_delay_alu instid0(VALU_DEP_3)
	v_max_i16 v7, v5, v7
	s_and_saveexec_b32 s6, s0
	s_cbranch_execz .LBB48_168
; %bb.165:
	s_delay_alu instid0(VALU_DEP_2) | instskip(NEXT) | instid1(VALU_DEP_1)
	v_sub_nc_u16 v8, 0, v6
	v_max_i16 v9, v6, v8
	v_and_b32_e32 v8, 0xff, v7
	s_delay_alu instid0(VALU_DEP_2)
	v_and_b32_e32 v9, 0xffff, v9
.LBB48_166:                             ; =>This Inner Loop Header: Depth=1
	s_delay_alu instid0(VALU_DEP_2) | instskip(NEXT) | instid1(VALU_DEP_2)
	v_bfe_i32 v35, v8, 0, 8
	v_mov_b32_e32 v7, v9
	s_delay_alu instid0(VALU_DEP_2) | instskip(NEXT) | instid1(VALU_DEP_2)
	v_cvt_f32_i32_e32 v37, v35
	v_bfe_i32 v9, v7, 0, 8
	s_delay_alu instid0(VALU_DEP_1) | instskip(SKIP_1) | instid1(VALU_DEP_2)
	v_cvt_f32_i32_e32 v34, v9
	v_xor_b32_e32 v9, v35, v9
	v_rcp_iflag_f32_e32 v36, v34
	v_nop
	s_delay_alu instid0(TRANS32_DEP_1) | instskip(NEXT) | instid1(VALU_DEP_1)
	v_dual_ashrrev_i32 v9, 30, v9 :: v_dual_mul_f32 v35, v37, v36
	v_trunc_f32_e32 v35, v35
	s_delay_alu instid0(VALU_DEP_1) | instskip(SKIP_1) | instid1(VALU_DEP_2)
	v_dual_fma_f32 v36, -v35, v34, v37 :: v_dual_bitop2_b32 v9, 1, v9 bitop3:0x54
	v_cvt_i32_f32_e32 v35, v35
	v_cmp_ge_f32_e64 s0, |v36|, |v34|
	s_delay_alu instid0(VALU_DEP_1) | instskip(NEXT) | instid1(VALU_DEP_1)
	v_cndmask_b32_e64 v9, 0, v9, s0
	v_add_nc_u32_e32 v9, v35, v9
	s_delay_alu instid0(VALU_DEP_1) | instskip(NEXT) | instid1(VALU_DEP_1)
	v_mul_lo_u32 v9, v9, v7
	v_sub_nc_u32_e32 v8, v8, v9
	s_delay_alu instid0(VALU_DEP_1) | instskip(SKIP_1) | instid1(VALU_DEP_2)
	v_bfe_i32 v9, v8, 0, 8
	v_mov_b32_e32 v8, v7
	v_cmp_eq_u16_e64 s0, 0, v9
	v_and_b32_e32 v9, 0xffff, v9
	s_or_b32 s7, s0, s7
	s_delay_alu instid0(SALU_CYCLE_1)
	s_and_not1_b32 exec_lo, exec_lo, s7
	s_cbranch_execnz .LBB48_166
; %bb.167:
	s_or_b32 exec_lo, exec_lo, s7
.LBB48_168:
	s_delay_alu instid0(SALU_CYCLE_1) | instskip(NEXT) | instid1(VALU_DEP_1)
	s_or_b32 exec_lo, exec_lo, s6
	v_and_b32_e32 v9, 0xff, v7
	v_mov_b32_e32 v8, 0
	s_mov_b32 s6, exec_lo
	s_delay_alu instid0(VALU_DEP_2)
	v_cmpx_ne_u16_e32 0, v9
	s_cbranch_execz .LBB48_170
; %bb.169:
	v_bfe_i32 v7, v7, 0, 8
	v_cvt_f32_i32_e32 v34, v6
	s_delay_alu instid0(VALU_DEP_2) | instskip(SKIP_1) | instid1(VALU_DEP_2)
	v_cvt_f32_i32_e32 v8, v7
	v_xor_b32_e32 v6, v6, v7
	v_rcp_iflag_f32_e32 v9, v8
	s_delay_alu instid0(VALU_DEP_1)
	v_ashrrev_i32_e32 v6, 30, v6
	s_delay_alu instid0(TRANS32_DEP_1) | instid1(VALU_DEP_1)
	v_dual_mul_f32 v9, v34, v9 :: v_dual_bitop2_b32 v6, 1, v6 bitop3:0x54
	s_delay_alu instid0(VALU_DEP_1) | instskip(NEXT) | instid1(VALU_DEP_1)
	v_trunc_f32_e32 v7, v9
	v_fma_f32 v9, -v7, v8, v34
	v_cvt_i32_f32_e32 v7, v7
	s_delay_alu instid0(VALU_DEP_2) | instskip(NEXT) | instid1(VALU_DEP_1)
	v_cmp_ge_f32_e64 s0, |v9|, |v8|
	v_cndmask_b32_e64 v6, 0, v6, s0
	s_delay_alu instid0(VALU_DEP_1) | instskip(NEXT) | instid1(VALU_DEP_1)
	v_add_nc_u32_e32 v6, v7, v6
	v_bfe_i32 v6, v6, 0, 8
	s_delay_alu instid0(VALU_DEP_1) | instskip(NEXT) | instid1(VALU_DEP_1)
	v_mul_i32_i24_e32 v5, v6, v5
	v_sub_nc_u32_e32 v6, 0, v5
	s_delay_alu instid0(VALU_DEP_1)
	v_max_i32_e32 v8, v5, v6
.LBB48_170:
	s_or_b32 exec_lo, exec_lo, s6
	s_delay_alu instid0(VALU_DEP_1)
	v_perm_b32 v1, v8, v1, 0x3020104
.LBB48_171:
	s_or_b32 exec_lo, exec_lo, s3
	v_or_b32_e32 v5, 0x500, v0
	s_mov_b32 s3, exec_lo
	s_delay_alu instid0(VALU_DEP_1)
	v_cmpx_gt_i32_e64 s1, v5
	s_cbranch_execz .LBB48_179
; %bb.172:
	v_bfe_i32 v5, v33, 0, 8
	v_and_b32_e32 v6, 0xff, v32
	s_mov_b32 s7, 0
	s_delay_alu instid0(VALU_DEP_2) | instskip(NEXT) | instid1(VALU_DEP_2)
	v_sub_nc_u16 v7, 0, v5
	v_cmp_ne_u16_e64 s0, 0, v6
	v_bfe_i32 v6, v32, 0, 8
	s_delay_alu instid0(VALU_DEP_3)
	v_max_i16 v7, v5, v7
	s_and_saveexec_b32 s6, s0
	s_cbranch_execz .LBB48_176
; %bb.173:
	s_delay_alu instid0(VALU_DEP_2) | instskip(NEXT) | instid1(VALU_DEP_1)
	v_sub_nc_u16 v8, 0, v6
	v_max_i16 v9, v6, v8
	v_and_b32_e32 v8, 0xff, v7
	s_delay_alu instid0(VALU_DEP_2)
	v_and_b32_e32 v9, 0xffff, v9
.LBB48_174:                             ; =>This Inner Loop Header: Depth=1
	s_delay_alu instid0(VALU_DEP_2) | instskip(NEXT) | instid1(VALU_DEP_1)
	v_bfe_i32 v33, v8, 0, 8
	v_cvt_f32_i32_e32 v35, v33
	s_delay_alu instid0(VALU_DEP_3) | instskip(NEXT) | instid1(VALU_DEP_1)
	v_mov_b32_e32 v7, v9
	v_bfe_i32 v9, v7, 0, 8
	s_delay_alu instid0(VALU_DEP_1) | instskip(SKIP_1) | instid1(VALU_DEP_2)
	v_cvt_f32_i32_e32 v32, v9
	v_xor_b32_e32 v9, v33, v9
	v_rcp_iflag_f32_e32 v34, v32
	v_nop
	s_delay_alu instid0(TRANS32_DEP_1) | instskip(NEXT) | instid1(VALU_DEP_1)
	v_mul_f32_e32 v33, v35, v34
	v_trunc_f32_e32 v33, v33
	s_delay_alu instid0(VALU_DEP_1) | instskip(SKIP_1) | instid1(VALU_DEP_2)
	v_dual_fma_f32 v34, -v33, v32, v35 :: v_dual_ashrrev_i32 v9, 30, v9
	v_cvt_i32_f32_e32 v33, v33
	v_cmp_ge_f32_e64 s0, |v34|, |v32|
	s_delay_alu instid0(VALU_DEP_3) | instskip(NEXT) | instid1(VALU_DEP_1)
	v_or_b32_e32 v9, 1, v9
	v_cndmask_b32_e64 v9, 0, v9, s0
	s_delay_alu instid0(VALU_DEP_1) | instskip(NEXT) | instid1(VALU_DEP_1)
	v_add_nc_u32_e32 v9, v33, v9
	v_mul_lo_u32 v9, v9, v7
	s_delay_alu instid0(VALU_DEP_1) | instskip(NEXT) | instid1(VALU_DEP_1)
	v_sub_nc_u32_e32 v8, v8, v9
	v_bfe_i32 v9, v8, 0, 8
	v_mov_b32_e32 v8, v7
	s_delay_alu instid0(VALU_DEP_2) | instskip(SKIP_2) | instid1(SALU_CYCLE_1)
	v_cmp_eq_u16_e64 s0, 0, v9
	v_and_b32_e32 v9, 0xffff, v9
	s_or_b32 s7, s0, s7
	s_and_not1_b32 exec_lo, exec_lo, s7
	s_cbranch_execnz .LBB48_174
; %bb.175:
	s_or_b32 exec_lo, exec_lo, s7
.LBB48_176:
	s_delay_alu instid0(SALU_CYCLE_1) | instskip(NEXT) | instid1(VALU_DEP_1)
	s_or_b32 exec_lo, exec_lo, s6
	v_and_b32_e32 v9, 0xff, v7
	v_mov_b32_e32 v8, 0
	s_mov_b32 s6, exec_lo
	s_delay_alu instid0(VALU_DEP_2)
	v_cmpx_ne_u16_e32 0, v9
	s_cbranch_execz .LBB48_178
; %bb.177:
	v_bfe_i32 v7, v7, 0, 8
	v_cvt_f32_i32_e32 v32, v6
	s_delay_alu instid0(VALU_DEP_2) | instskip(SKIP_1) | instid1(VALU_DEP_2)
	v_cvt_f32_i32_e32 v8, v7
	v_xor_b32_e32 v6, v6, v7
	v_rcp_iflag_f32_e32 v9, v8
	v_nop
	s_delay_alu instid0(TRANS32_DEP_1) | instskip(NEXT) | instid1(VALU_DEP_1)
	v_mul_f32_e32 v9, v32, v9
	v_trunc_f32_e32 v7, v9
	s_delay_alu instid0(VALU_DEP_1) | instskip(NEXT) | instid1(VALU_DEP_1)
	v_dual_ashrrev_i32 v6, 30, v6 :: v_dual_fma_f32 v9, -v7, v8, v32
	v_or_b32_e32 v6, 1, v6
	v_cvt_i32_f32_e32 v7, v7
	s_delay_alu instid0(VALU_DEP_3) | instskip(NEXT) | instid1(VALU_DEP_1)
	v_cmp_ge_f32_e64 s0, |v9|, |v8|
	v_cndmask_b32_e64 v6, 0, v6, s0
	s_delay_alu instid0(VALU_DEP_1) | instskip(NEXT) | instid1(VALU_DEP_1)
	v_add_nc_u32_e32 v6, v7, v6
	v_bfe_i32 v6, v6, 0, 8
	s_delay_alu instid0(VALU_DEP_1) | instskip(NEXT) | instid1(VALU_DEP_1)
	v_mul_i32_i24_e32 v5, v6, v5
	v_sub_nc_u32_e32 v6, 0, v5
	s_delay_alu instid0(VALU_DEP_1)
	v_max_i32_e32 v8, v5, v6
.LBB48_178:
	s_or_b32 exec_lo, exec_lo, s6
	s_delay_alu instid0(VALU_DEP_1)
	v_perm_b32 v1, v1, v8, 0x7060004
.LBB48_179:
	s_or_b32 exec_lo, exec_lo, s3
	v_or_b32_e32 v5, 0x600, v0
	s_mov_b32 s3, exec_lo
	s_delay_alu instid0(VALU_DEP_1)
	v_cmpx_gt_i32_e64 s1, v5
	s_cbranch_execz .LBB48_187
; %bb.180:
	v_bfe_i32 v5, v31, 0, 8
	v_and_b32_e32 v6, 0xff, v30
	s_mov_b32 s7, 0
	s_delay_alu instid0(VALU_DEP_2) | instskip(NEXT) | instid1(VALU_DEP_2)
	v_sub_nc_u16 v7, 0, v5
	v_cmp_ne_u16_e64 s0, 0, v6
	v_bfe_i32 v6, v30, 0, 8
	s_delay_alu instid0(VALU_DEP_3)
	v_max_i16 v7, v5, v7
	s_and_saveexec_b32 s6, s0
	s_cbranch_execz .LBB48_184
; %bb.181:
	s_delay_alu instid0(VALU_DEP_2) | instskip(NEXT) | instid1(VALU_DEP_1)
	v_sub_nc_u16 v8, 0, v6
	v_max_i16 v9, v6, v8
	v_and_b32_e32 v8, 0xff, v7
	s_delay_alu instid0(VALU_DEP_2)
	v_and_b32_e32 v9, 0xffff, v9
.LBB48_182:                             ; =>This Inner Loop Header: Depth=1
	s_delay_alu instid0(VALU_DEP_2) | instskip(NEXT) | instid1(VALU_DEP_2)
	v_bfe_i32 v31, v8, 0, 8
	v_mov_b32_e32 v7, v9
	s_delay_alu instid0(VALU_DEP_2) | instskip(NEXT) | instid1(VALU_DEP_2)
	v_cvt_f32_i32_e32 v33, v31
	v_bfe_i32 v9, v7, 0, 8
	s_delay_alu instid0(VALU_DEP_1) | instskip(SKIP_1) | instid1(VALU_DEP_2)
	v_cvt_f32_i32_e32 v30, v9
	v_xor_b32_e32 v9, v31, v9
	v_rcp_iflag_f32_e32 v32, v30
	v_nop
	s_delay_alu instid0(TRANS32_DEP_1) | instskip(NEXT) | instid1(VALU_DEP_1)
	v_dual_ashrrev_i32 v9, 30, v9 :: v_dual_mul_f32 v31, v33, v32
	v_trunc_f32_e32 v31, v31
	s_delay_alu instid0(VALU_DEP_1) | instskip(SKIP_1) | instid1(VALU_DEP_2)
	v_dual_fma_f32 v32, -v31, v30, v33 :: v_dual_bitop2_b32 v9, 1, v9 bitop3:0x54
	v_cvt_i32_f32_e32 v31, v31
	v_cmp_ge_f32_e64 s0, |v32|, |v30|
	s_delay_alu instid0(VALU_DEP_1) | instskip(NEXT) | instid1(VALU_DEP_1)
	v_cndmask_b32_e64 v9, 0, v9, s0
	v_add_nc_u32_e32 v9, v31, v9
	s_delay_alu instid0(VALU_DEP_1) | instskip(NEXT) | instid1(VALU_DEP_1)
	v_mul_lo_u32 v9, v9, v7
	v_sub_nc_u32_e32 v8, v8, v9
	s_delay_alu instid0(VALU_DEP_1) | instskip(SKIP_1) | instid1(VALU_DEP_2)
	v_bfe_i32 v9, v8, 0, 8
	v_mov_b32_e32 v8, v7
	v_cmp_eq_u16_e64 s0, 0, v9
	v_and_b32_e32 v9, 0xffff, v9
	s_or_b32 s7, s0, s7
	s_delay_alu instid0(SALU_CYCLE_1)
	s_and_not1_b32 exec_lo, exec_lo, s7
	s_cbranch_execnz .LBB48_182
; %bb.183:
	s_or_b32 exec_lo, exec_lo, s7
.LBB48_184:
	s_delay_alu instid0(SALU_CYCLE_1) | instskip(NEXT) | instid1(VALU_DEP_1)
	s_or_b32 exec_lo, exec_lo, s6
	v_and_b32_e32 v9, 0xff, v7
	v_mov_b32_e32 v8, 0
	s_mov_b32 s6, exec_lo
	s_delay_alu instid0(VALU_DEP_2)
	v_cmpx_ne_u16_e32 0, v9
	s_cbranch_execz .LBB48_186
; %bb.185:
	v_bfe_i32 v7, v7, 0, 8
	v_cvt_f32_i32_e32 v30, v6
	s_delay_alu instid0(VALU_DEP_2) | instskip(SKIP_1) | instid1(VALU_DEP_2)
	v_cvt_f32_i32_e32 v8, v7
	v_xor_b32_e32 v6, v6, v7
	v_rcp_iflag_f32_e32 v9, v8
	s_delay_alu instid0(VALU_DEP_1)
	v_ashrrev_i32_e32 v6, 30, v6
	s_delay_alu instid0(TRANS32_DEP_1) | instid1(VALU_DEP_1)
	v_dual_mul_f32 v9, v30, v9 :: v_dual_bitop2_b32 v6, 1, v6 bitop3:0x54
	s_delay_alu instid0(VALU_DEP_1) | instskip(NEXT) | instid1(VALU_DEP_1)
	v_trunc_f32_e32 v7, v9
	v_fma_f32 v9, -v7, v8, v30
	v_cvt_i32_f32_e32 v7, v7
	s_delay_alu instid0(VALU_DEP_2) | instskip(NEXT) | instid1(VALU_DEP_1)
	v_cmp_ge_f32_e64 s0, |v9|, |v8|
	v_cndmask_b32_e64 v6, 0, v6, s0
	s_delay_alu instid0(VALU_DEP_1) | instskip(NEXT) | instid1(VALU_DEP_1)
	v_add_nc_u32_e32 v6, v7, v6
	v_bfe_i32 v6, v6, 0, 8
	s_delay_alu instid0(VALU_DEP_1) | instskip(NEXT) | instid1(VALU_DEP_1)
	v_mul_i32_i24_e32 v5, v6, v5
	v_sub_nc_u32_e32 v6, 0, v5
	s_delay_alu instid0(VALU_DEP_1)
	v_max_i32_e32 v8, v5, v6
.LBB48_186:
	s_or_b32 exec_lo, exec_lo, s6
	s_delay_alu instid0(VALU_DEP_1)
	v_perm_b32 v1, v1, v8, 0x7000504
.LBB48_187:
	s_or_b32 exec_lo, exec_lo, s3
	v_or_b32_e32 v5, 0x700, v0
	s_mov_b32 s3, exec_lo
	s_delay_alu instid0(VALU_DEP_1)
	v_cmpx_gt_i32_e64 s1, v5
	s_cbranch_execz .LBB48_195
; %bb.188:
	v_bfe_i32 v5, v29, 0, 8
	v_and_b32_e32 v6, 0xff, v28
	s_mov_b32 s7, 0
	s_delay_alu instid0(VALU_DEP_2) | instskip(NEXT) | instid1(VALU_DEP_2)
	v_sub_nc_u16 v7, 0, v5
	v_cmp_ne_u16_e64 s0, 0, v6
	v_bfe_i32 v6, v28, 0, 8
	s_delay_alu instid0(VALU_DEP_3)
	v_max_i16 v7, v5, v7
	s_and_saveexec_b32 s6, s0
	s_cbranch_execz .LBB48_192
; %bb.189:
	s_delay_alu instid0(VALU_DEP_2) | instskip(NEXT) | instid1(VALU_DEP_1)
	v_sub_nc_u16 v8, 0, v6
	v_max_i16 v9, v6, v8
	v_and_b32_e32 v8, 0xff, v7
	s_delay_alu instid0(VALU_DEP_2)
	v_and_b32_e32 v9, 0xffff, v9
.LBB48_190:                             ; =>This Inner Loop Header: Depth=1
	s_delay_alu instid0(VALU_DEP_2) | instskip(NEXT) | instid1(VALU_DEP_1)
	v_bfe_i32 v29, v8, 0, 8
	v_cvt_f32_i32_e32 v31, v29
	s_delay_alu instid0(VALU_DEP_3) | instskip(NEXT) | instid1(VALU_DEP_1)
	v_mov_b32_e32 v7, v9
	v_bfe_i32 v9, v7, 0, 8
	s_delay_alu instid0(VALU_DEP_1) | instskip(SKIP_1) | instid1(VALU_DEP_2)
	v_cvt_f32_i32_e32 v28, v9
	v_xor_b32_e32 v9, v29, v9
	v_rcp_iflag_f32_e32 v30, v28
	v_nop
	s_delay_alu instid0(TRANS32_DEP_1) | instskip(NEXT) | instid1(VALU_DEP_1)
	v_mul_f32_e32 v29, v31, v30
	v_trunc_f32_e32 v29, v29
	s_delay_alu instid0(VALU_DEP_1) | instskip(SKIP_1) | instid1(VALU_DEP_2)
	v_dual_fma_f32 v30, -v29, v28, v31 :: v_dual_ashrrev_i32 v9, 30, v9
	v_cvt_i32_f32_e32 v29, v29
	v_cmp_ge_f32_e64 s0, |v30|, |v28|
	s_delay_alu instid0(VALU_DEP_3) | instskip(NEXT) | instid1(VALU_DEP_1)
	v_or_b32_e32 v9, 1, v9
	v_cndmask_b32_e64 v9, 0, v9, s0
	s_delay_alu instid0(VALU_DEP_1) | instskip(NEXT) | instid1(VALU_DEP_1)
	v_add_nc_u32_e32 v9, v29, v9
	v_mul_lo_u32 v9, v9, v7
	s_delay_alu instid0(VALU_DEP_1) | instskip(NEXT) | instid1(VALU_DEP_1)
	v_sub_nc_u32_e32 v8, v8, v9
	v_bfe_i32 v9, v8, 0, 8
	v_mov_b32_e32 v8, v7
	s_delay_alu instid0(VALU_DEP_2) | instskip(SKIP_2) | instid1(SALU_CYCLE_1)
	v_cmp_eq_u16_e64 s0, 0, v9
	v_and_b32_e32 v9, 0xffff, v9
	s_or_b32 s7, s0, s7
	s_and_not1_b32 exec_lo, exec_lo, s7
	s_cbranch_execnz .LBB48_190
; %bb.191:
	s_or_b32 exec_lo, exec_lo, s7
.LBB48_192:
	s_delay_alu instid0(SALU_CYCLE_1) | instskip(NEXT) | instid1(VALU_DEP_1)
	s_or_b32 exec_lo, exec_lo, s6
	v_and_b32_e32 v9, 0xff, v7
	v_mov_b32_e32 v8, 0
	s_mov_b32 s6, exec_lo
	s_delay_alu instid0(VALU_DEP_2)
	v_cmpx_ne_u16_e32 0, v9
	s_cbranch_execz .LBB48_194
; %bb.193:
	v_bfe_i32 v7, v7, 0, 8
	v_cvt_f32_i32_e32 v28, v6
	s_delay_alu instid0(VALU_DEP_2) | instskip(SKIP_1) | instid1(VALU_DEP_2)
	v_cvt_f32_i32_e32 v8, v7
	v_xor_b32_e32 v6, v6, v7
	v_rcp_iflag_f32_e32 v9, v8
	v_nop
	s_delay_alu instid0(TRANS32_DEP_1) | instskip(NEXT) | instid1(VALU_DEP_1)
	v_mul_f32_e32 v9, v28, v9
	v_trunc_f32_e32 v7, v9
	s_delay_alu instid0(VALU_DEP_1) | instskip(NEXT) | instid1(VALU_DEP_1)
	v_dual_ashrrev_i32 v6, 30, v6 :: v_dual_fma_f32 v9, -v7, v8, v28
	v_or_b32_e32 v6, 1, v6
	v_cvt_i32_f32_e32 v7, v7
	s_delay_alu instid0(VALU_DEP_3) | instskip(NEXT) | instid1(VALU_DEP_1)
	v_cmp_ge_f32_e64 s0, |v9|, |v8|
	v_cndmask_b32_e64 v6, 0, v6, s0
	s_delay_alu instid0(VALU_DEP_1) | instskip(NEXT) | instid1(VALU_DEP_1)
	v_add_nc_u32_e32 v6, v7, v6
	v_bfe_i32 v6, v6, 0, 8
	s_delay_alu instid0(VALU_DEP_1) | instskip(NEXT) | instid1(VALU_DEP_1)
	v_mul_i32_i24_e32 v5, v6, v5
	v_sub_nc_u32_e32 v6, 0, v5
	s_delay_alu instid0(VALU_DEP_1)
	v_max_i32_e32 v8, v5, v6
.LBB48_194:
	s_or_b32 exec_lo, exec_lo, s6
	s_delay_alu instid0(VALU_DEP_1)
	v_perm_b32 v1, v1, v8, 0x60504
.LBB48_195:
	s_or_b32 exec_lo, exec_lo, s3
	v_or_b32_e32 v5, 0x800, v0
	s_mov_b32 s3, exec_lo
	s_delay_alu instid0(VALU_DEP_1)
	v_cmpx_gt_i32_e64 s1, v5
	s_cbranch_execz .LBB48_203
; %bb.196:
	v_bfe_i32 v5, v27, 0, 8
	v_and_b32_e32 v6, 0xff, v26
	s_mov_b32 s7, 0
	s_delay_alu instid0(VALU_DEP_2) | instskip(NEXT) | instid1(VALU_DEP_2)
	v_sub_nc_u16 v7, 0, v5
	v_cmp_ne_u16_e64 s0, 0, v6
	v_bfe_i32 v6, v26, 0, 8
	s_delay_alu instid0(VALU_DEP_3)
	v_max_i16 v7, v5, v7
	s_and_saveexec_b32 s6, s0
	s_cbranch_execz .LBB48_200
; %bb.197:
	s_delay_alu instid0(VALU_DEP_2) | instskip(NEXT) | instid1(VALU_DEP_1)
	v_sub_nc_u16 v8, 0, v6
	v_max_i16 v9, v6, v8
	v_and_b32_e32 v8, 0xff, v7
	s_delay_alu instid0(VALU_DEP_2)
	v_and_b32_e32 v9, 0xffff, v9
.LBB48_198:                             ; =>This Inner Loop Header: Depth=1
	s_delay_alu instid0(VALU_DEP_2) | instskip(NEXT) | instid1(VALU_DEP_2)
	v_bfe_i32 v27, v8, 0, 8
	v_mov_b32_e32 v7, v9
	s_delay_alu instid0(VALU_DEP_2) | instskip(NEXT) | instid1(VALU_DEP_2)
	v_cvt_f32_i32_e32 v29, v27
	v_bfe_i32 v9, v7, 0, 8
	s_delay_alu instid0(VALU_DEP_1) | instskip(SKIP_1) | instid1(VALU_DEP_2)
	v_cvt_f32_i32_e32 v26, v9
	v_xor_b32_e32 v9, v27, v9
	v_rcp_iflag_f32_e32 v28, v26
	v_nop
	s_delay_alu instid0(TRANS32_DEP_1) | instskip(NEXT) | instid1(VALU_DEP_1)
	v_dual_ashrrev_i32 v9, 30, v9 :: v_dual_mul_f32 v27, v29, v28
	v_trunc_f32_e32 v27, v27
	s_delay_alu instid0(VALU_DEP_1) | instskip(SKIP_1) | instid1(VALU_DEP_2)
	v_dual_fma_f32 v28, -v27, v26, v29 :: v_dual_bitop2_b32 v9, 1, v9 bitop3:0x54
	v_cvt_i32_f32_e32 v27, v27
	v_cmp_ge_f32_e64 s0, |v28|, |v26|
	s_delay_alu instid0(VALU_DEP_1) | instskip(NEXT) | instid1(VALU_DEP_1)
	v_cndmask_b32_e64 v9, 0, v9, s0
	v_add_nc_u32_e32 v9, v27, v9
	s_delay_alu instid0(VALU_DEP_1) | instskip(NEXT) | instid1(VALU_DEP_1)
	v_mul_lo_u32 v9, v9, v7
	v_sub_nc_u32_e32 v8, v8, v9
	s_delay_alu instid0(VALU_DEP_1) | instskip(SKIP_1) | instid1(VALU_DEP_2)
	v_bfe_i32 v9, v8, 0, 8
	v_mov_b32_e32 v8, v7
	v_cmp_eq_u16_e64 s0, 0, v9
	v_and_b32_e32 v9, 0xffff, v9
	s_or_b32 s7, s0, s7
	s_delay_alu instid0(SALU_CYCLE_1)
	s_and_not1_b32 exec_lo, exec_lo, s7
	s_cbranch_execnz .LBB48_198
; %bb.199:
	s_or_b32 exec_lo, exec_lo, s7
.LBB48_200:
	s_delay_alu instid0(SALU_CYCLE_1) | instskip(NEXT) | instid1(VALU_DEP_1)
	s_or_b32 exec_lo, exec_lo, s6
	v_and_b32_e32 v9, 0xff, v7
	v_mov_b32_e32 v8, 0
	s_mov_b32 s6, exec_lo
	s_delay_alu instid0(VALU_DEP_2)
	v_cmpx_ne_u16_e32 0, v9
	s_cbranch_execz .LBB48_202
; %bb.201:
	v_bfe_i32 v7, v7, 0, 8
	v_cvt_f32_i32_e32 v26, v6
	s_delay_alu instid0(VALU_DEP_2) | instskip(SKIP_1) | instid1(VALU_DEP_2)
	v_cvt_f32_i32_e32 v8, v7
	v_xor_b32_e32 v6, v6, v7
	v_rcp_iflag_f32_e32 v9, v8
	s_delay_alu instid0(VALU_DEP_1)
	v_ashrrev_i32_e32 v6, 30, v6
	s_delay_alu instid0(TRANS32_DEP_1) | instid1(VALU_DEP_1)
	v_dual_mul_f32 v9, v26, v9 :: v_dual_bitop2_b32 v6, 1, v6 bitop3:0x54
	s_delay_alu instid0(VALU_DEP_1) | instskip(NEXT) | instid1(VALU_DEP_1)
	v_trunc_f32_e32 v7, v9
	v_fma_f32 v9, -v7, v8, v26
	v_cvt_i32_f32_e32 v7, v7
	s_delay_alu instid0(VALU_DEP_2) | instskip(NEXT) | instid1(VALU_DEP_1)
	v_cmp_ge_f32_e64 s0, |v9|, |v8|
	v_cndmask_b32_e64 v6, 0, v6, s0
	s_delay_alu instid0(VALU_DEP_1) | instskip(NEXT) | instid1(VALU_DEP_1)
	v_add_nc_u32_e32 v6, v7, v6
	v_bfe_i32 v6, v6, 0, 8
	s_delay_alu instid0(VALU_DEP_1) | instskip(NEXT) | instid1(VALU_DEP_1)
	v_mul_i32_i24_e32 v5, v6, v5
	v_sub_nc_u32_e32 v6, 0, v5
	s_delay_alu instid0(VALU_DEP_1)
	v_max_i32_e32 v8, v5, v6
.LBB48_202:
	s_or_b32 exec_lo, exec_lo, s6
	s_delay_alu instid0(VALU_DEP_1)
	v_perm_b32 v4, v8, v4, 0x3020104
.LBB48_203:
	s_or_b32 exec_lo, exec_lo, s3
	v_or_b32_e32 v5, 0x900, v0
	s_mov_b32 s3, exec_lo
	s_delay_alu instid0(VALU_DEP_1)
	v_cmpx_gt_i32_e64 s1, v5
	s_cbranch_execz .LBB48_211
; %bb.204:
	v_bfe_i32 v5, v24, 0, 8
	v_and_b32_e32 v6, 0xff, v25
	s_mov_b32 s7, 0
	s_delay_alu instid0(VALU_DEP_2) | instskip(NEXT) | instid1(VALU_DEP_2)
	v_sub_nc_u16 v7, 0, v5
	v_cmp_ne_u16_e64 s0, 0, v6
	v_bfe_i32 v6, v25, 0, 8
	s_delay_alu instid0(VALU_DEP_3)
	v_max_i16 v7, v5, v7
	s_and_saveexec_b32 s6, s0
	s_cbranch_execz .LBB48_208
; %bb.205:
	s_delay_alu instid0(VALU_DEP_2) | instskip(NEXT) | instid1(VALU_DEP_1)
	v_sub_nc_u16 v8, 0, v6
	v_max_i16 v9, v6, v8
	v_and_b32_e32 v8, 0xff, v7
	s_delay_alu instid0(VALU_DEP_2)
	v_and_b32_e32 v9, 0xffff, v9
.LBB48_206:                             ; =>This Inner Loop Header: Depth=1
	s_delay_alu instid0(VALU_DEP_2) | instskip(NEXT) | instid1(VALU_DEP_1)
	v_bfe_i32 v25, v8, 0, 8
	v_cvt_f32_i32_e32 v27, v25
	s_delay_alu instid0(VALU_DEP_3) | instskip(NEXT) | instid1(VALU_DEP_1)
	v_mov_b32_e32 v7, v9
	v_bfe_i32 v9, v7, 0, 8
	s_delay_alu instid0(VALU_DEP_1) | instskip(SKIP_1) | instid1(VALU_DEP_2)
	v_cvt_f32_i32_e32 v24, v9
	v_xor_b32_e32 v9, v25, v9
	v_rcp_iflag_f32_e32 v26, v24
	v_nop
	s_delay_alu instid0(TRANS32_DEP_1) | instskip(NEXT) | instid1(VALU_DEP_1)
	v_mul_f32_e32 v25, v27, v26
	v_trunc_f32_e32 v25, v25
	s_delay_alu instid0(VALU_DEP_1) | instskip(SKIP_1) | instid1(VALU_DEP_2)
	v_dual_fma_f32 v26, -v25, v24, v27 :: v_dual_ashrrev_i32 v9, 30, v9
	v_cvt_i32_f32_e32 v25, v25
	v_cmp_ge_f32_e64 s0, |v26|, |v24|
	s_delay_alu instid0(VALU_DEP_3) | instskip(NEXT) | instid1(VALU_DEP_1)
	v_or_b32_e32 v9, 1, v9
	v_cndmask_b32_e64 v9, 0, v9, s0
	s_delay_alu instid0(VALU_DEP_1) | instskip(NEXT) | instid1(VALU_DEP_1)
	v_add_nc_u32_e32 v9, v25, v9
	v_mul_lo_u32 v9, v9, v7
	s_delay_alu instid0(VALU_DEP_1) | instskip(NEXT) | instid1(VALU_DEP_1)
	v_sub_nc_u32_e32 v8, v8, v9
	v_bfe_i32 v9, v8, 0, 8
	v_mov_b32_e32 v8, v7
	s_delay_alu instid0(VALU_DEP_2) | instskip(SKIP_2) | instid1(SALU_CYCLE_1)
	v_cmp_eq_u16_e64 s0, 0, v9
	v_and_b32_e32 v9, 0xffff, v9
	s_or_b32 s7, s0, s7
	s_and_not1_b32 exec_lo, exec_lo, s7
	s_cbranch_execnz .LBB48_206
; %bb.207:
	s_or_b32 exec_lo, exec_lo, s7
.LBB48_208:
	s_delay_alu instid0(SALU_CYCLE_1) | instskip(NEXT) | instid1(VALU_DEP_1)
	s_or_b32 exec_lo, exec_lo, s6
	v_and_b32_e32 v9, 0xff, v7
	v_mov_b32_e32 v8, 0
	s_mov_b32 s6, exec_lo
	s_delay_alu instid0(VALU_DEP_2)
	v_cmpx_ne_u16_e32 0, v9
	s_cbranch_execz .LBB48_210
; %bb.209:
	v_bfe_i32 v7, v7, 0, 8
	v_cvt_f32_i32_e32 v24, v6
	s_delay_alu instid0(VALU_DEP_2) | instskip(SKIP_1) | instid1(VALU_DEP_2)
	v_cvt_f32_i32_e32 v8, v7
	v_xor_b32_e32 v6, v6, v7
	v_rcp_iflag_f32_e32 v9, v8
	v_nop
	s_delay_alu instid0(TRANS32_DEP_1) | instskip(NEXT) | instid1(VALU_DEP_1)
	v_mul_f32_e32 v9, v24, v9
	v_trunc_f32_e32 v7, v9
	s_delay_alu instid0(VALU_DEP_1) | instskip(NEXT) | instid1(VALU_DEP_1)
	v_dual_ashrrev_i32 v6, 30, v6 :: v_dual_fma_f32 v9, -v7, v8, v24
	v_or_b32_e32 v6, 1, v6
	v_cvt_i32_f32_e32 v7, v7
	s_delay_alu instid0(VALU_DEP_3) | instskip(NEXT) | instid1(VALU_DEP_1)
	v_cmp_ge_f32_e64 s0, |v9|, |v8|
	v_cndmask_b32_e64 v6, 0, v6, s0
	s_delay_alu instid0(VALU_DEP_1) | instskip(NEXT) | instid1(VALU_DEP_1)
	v_add_nc_u32_e32 v6, v7, v6
	v_bfe_i32 v6, v6, 0, 8
	s_delay_alu instid0(VALU_DEP_1) | instskip(NEXT) | instid1(VALU_DEP_1)
	v_mul_i32_i24_e32 v5, v6, v5
	v_sub_nc_u32_e32 v6, 0, v5
	s_delay_alu instid0(VALU_DEP_1)
	v_max_i32_e32 v8, v5, v6
.LBB48_210:
	s_or_b32 exec_lo, exec_lo, s6
	s_delay_alu instid0(VALU_DEP_1)
	v_perm_b32 v4, v4, v8, 0x7060004
.LBB48_211:
	s_or_b32 exec_lo, exec_lo, s3
	v_or_b32_e32 v5, 0xa00, v0
	s_mov_b32 s3, exec_lo
	s_delay_alu instid0(VALU_DEP_1)
	v_cmpx_gt_i32_e64 s1, v5
	s_cbranch_execz .LBB48_219
; %bb.212:
	v_bfe_i32 v5, v22, 0, 8
	v_and_b32_e32 v6, 0xff, v23
	s_mov_b32 s7, 0
	s_delay_alu instid0(VALU_DEP_2) | instskip(NEXT) | instid1(VALU_DEP_2)
	v_sub_nc_u16 v7, 0, v5
	v_cmp_ne_u16_e64 s0, 0, v6
	v_bfe_i32 v6, v23, 0, 8
	s_delay_alu instid0(VALU_DEP_3)
	v_max_i16 v7, v5, v7
	s_and_saveexec_b32 s6, s0
	s_cbranch_execz .LBB48_216
; %bb.213:
	s_delay_alu instid0(VALU_DEP_2) | instskip(NEXT) | instid1(VALU_DEP_1)
	v_sub_nc_u16 v8, 0, v6
	v_max_i16 v9, v6, v8
	v_and_b32_e32 v8, 0xff, v7
	s_delay_alu instid0(VALU_DEP_2)
	v_and_b32_e32 v9, 0xffff, v9
.LBB48_214:                             ; =>This Inner Loop Header: Depth=1
	s_delay_alu instid0(VALU_DEP_2) | instskip(NEXT) | instid1(VALU_DEP_2)
	v_bfe_i32 v23, v8, 0, 8
	v_mov_b32_e32 v7, v9
	s_delay_alu instid0(VALU_DEP_2) | instskip(NEXT) | instid1(VALU_DEP_2)
	v_cvt_f32_i32_e32 v25, v23
	v_bfe_i32 v9, v7, 0, 8
	s_delay_alu instid0(VALU_DEP_1) | instskip(SKIP_1) | instid1(VALU_DEP_2)
	v_cvt_f32_i32_e32 v22, v9
	v_xor_b32_e32 v9, v23, v9
	v_rcp_iflag_f32_e32 v24, v22
	v_nop
	s_delay_alu instid0(TRANS32_DEP_1) | instskip(NEXT) | instid1(VALU_DEP_1)
	v_dual_ashrrev_i32 v9, 30, v9 :: v_dual_mul_f32 v23, v25, v24
	v_trunc_f32_e32 v23, v23
	s_delay_alu instid0(VALU_DEP_1) | instskip(SKIP_1) | instid1(VALU_DEP_2)
	v_dual_fma_f32 v24, -v23, v22, v25 :: v_dual_bitop2_b32 v9, 1, v9 bitop3:0x54
	v_cvt_i32_f32_e32 v23, v23
	v_cmp_ge_f32_e64 s0, |v24|, |v22|
	s_delay_alu instid0(VALU_DEP_1) | instskip(NEXT) | instid1(VALU_DEP_1)
	v_cndmask_b32_e64 v9, 0, v9, s0
	v_add_nc_u32_e32 v9, v23, v9
	s_delay_alu instid0(VALU_DEP_1) | instskip(NEXT) | instid1(VALU_DEP_1)
	v_mul_lo_u32 v9, v9, v7
	v_sub_nc_u32_e32 v8, v8, v9
	s_delay_alu instid0(VALU_DEP_1) | instskip(SKIP_1) | instid1(VALU_DEP_2)
	v_bfe_i32 v9, v8, 0, 8
	v_mov_b32_e32 v8, v7
	v_cmp_eq_u16_e64 s0, 0, v9
	v_and_b32_e32 v9, 0xffff, v9
	s_or_b32 s7, s0, s7
	s_delay_alu instid0(SALU_CYCLE_1)
	s_and_not1_b32 exec_lo, exec_lo, s7
	s_cbranch_execnz .LBB48_214
; %bb.215:
	s_or_b32 exec_lo, exec_lo, s7
.LBB48_216:
	s_delay_alu instid0(SALU_CYCLE_1) | instskip(NEXT) | instid1(VALU_DEP_1)
	s_or_b32 exec_lo, exec_lo, s6
	v_and_b32_e32 v9, 0xff, v7
	v_mov_b32_e32 v8, 0
	s_mov_b32 s6, exec_lo
	s_delay_alu instid0(VALU_DEP_2)
	v_cmpx_ne_u16_e32 0, v9
	s_cbranch_execz .LBB48_218
; %bb.217:
	v_bfe_i32 v7, v7, 0, 8
	v_cvt_f32_i32_e32 v22, v6
	s_delay_alu instid0(VALU_DEP_2) | instskip(SKIP_1) | instid1(VALU_DEP_2)
	v_cvt_f32_i32_e32 v8, v7
	v_xor_b32_e32 v6, v6, v7
	v_rcp_iflag_f32_e32 v9, v8
	s_delay_alu instid0(VALU_DEP_1)
	v_ashrrev_i32_e32 v6, 30, v6
	s_delay_alu instid0(TRANS32_DEP_1) | instid1(VALU_DEP_1)
	v_dual_mul_f32 v9, v22, v9 :: v_dual_bitop2_b32 v6, 1, v6 bitop3:0x54
	s_delay_alu instid0(VALU_DEP_1) | instskip(NEXT) | instid1(VALU_DEP_1)
	v_trunc_f32_e32 v7, v9
	v_fma_f32 v9, -v7, v8, v22
	v_cvt_i32_f32_e32 v7, v7
	s_delay_alu instid0(VALU_DEP_2) | instskip(NEXT) | instid1(VALU_DEP_1)
	v_cmp_ge_f32_e64 s0, |v9|, |v8|
	v_cndmask_b32_e64 v6, 0, v6, s0
	s_delay_alu instid0(VALU_DEP_1) | instskip(NEXT) | instid1(VALU_DEP_1)
	v_add_nc_u32_e32 v6, v7, v6
	v_bfe_i32 v6, v6, 0, 8
	s_delay_alu instid0(VALU_DEP_1) | instskip(NEXT) | instid1(VALU_DEP_1)
	v_mul_i32_i24_e32 v5, v6, v5
	v_sub_nc_u32_e32 v6, 0, v5
	s_delay_alu instid0(VALU_DEP_1)
	v_max_i32_e32 v8, v5, v6
.LBB48_218:
	s_or_b32 exec_lo, exec_lo, s6
	s_delay_alu instid0(VALU_DEP_1)
	v_perm_b32 v4, v4, v8, 0x7000504
.LBB48_219:
	s_or_b32 exec_lo, exec_lo, s3
	v_or_b32_e32 v5, 0xb00, v0
	s_mov_b32 s3, exec_lo
	s_delay_alu instid0(VALU_DEP_1)
	v_cmpx_gt_i32_e64 s1, v5
	s_cbranch_execz .LBB48_227
; %bb.220:
	v_bfe_i32 v5, v20, 0, 8
	v_and_b32_e32 v6, 0xff, v21
	s_mov_b32 s7, 0
	s_delay_alu instid0(VALU_DEP_2) | instskip(NEXT) | instid1(VALU_DEP_2)
	v_sub_nc_u16 v7, 0, v5
	v_cmp_ne_u16_e64 s0, 0, v6
	v_bfe_i32 v6, v21, 0, 8
	s_delay_alu instid0(VALU_DEP_3)
	v_max_i16 v7, v5, v7
	s_and_saveexec_b32 s6, s0
	s_cbranch_execz .LBB48_224
; %bb.221:
	s_delay_alu instid0(VALU_DEP_2) | instskip(NEXT) | instid1(VALU_DEP_1)
	v_sub_nc_u16 v8, 0, v6
	v_max_i16 v9, v6, v8
	v_and_b32_e32 v8, 0xff, v7
	s_delay_alu instid0(VALU_DEP_2)
	v_and_b32_e32 v9, 0xffff, v9
.LBB48_222:                             ; =>This Inner Loop Header: Depth=1
	s_delay_alu instid0(VALU_DEP_2) | instskip(NEXT) | instid1(VALU_DEP_1)
	v_bfe_i32 v21, v8, 0, 8
	v_cvt_f32_i32_e32 v23, v21
	s_delay_alu instid0(VALU_DEP_3) | instskip(NEXT) | instid1(VALU_DEP_1)
	v_mov_b32_e32 v7, v9
	v_bfe_i32 v9, v7, 0, 8
	s_delay_alu instid0(VALU_DEP_1) | instskip(SKIP_1) | instid1(VALU_DEP_2)
	v_cvt_f32_i32_e32 v20, v9
	v_xor_b32_e32 v9, v21, v9
	v_rcp_iflag_f32_e32 v22, v20
	v_nop
	s_delay_alu instid0(TRANS32_DEP_1) | instskip(NEXT) | instid1(VALU_DEP_1)
	v_mul_f32_e32 v21, v23, v22
	v_trunc_f32_e32 v21, v21
	s_delay_alu instid0(VALU_DEP_1) | instskip(SKIP_1) | instid1(VALU_DEP_2)
	v_dual_fma_f32 v22, -v21, v20, v23 :: v_dual_ashrrev_i32 v9, 30, v9
	v_cvt_i32_f32_e32 v21, v21
	v_cmp_ge_f32_e64 s0, |v22|, |v20|
	s_delay_alu instid0(VALU_DEP_3) | instskip(NEXT) | instid1(VALU_DEP_1)
	v_or_b32_e32 v9, 1, v9
	v_cndmask_b32_e64 v9, 0, v9, s0
	s_delay_alu instid0(VALU_DEP_1) | instskip(NEXT) | instid1(VALU_DEP_1)
	v_add_nc_u32_e32 v9, v21, v9
	v_mul_lo_u32 v9, v9, v7
	s_delay_alu instid0(VALU_DEP_1) | instskip(NEXT) | instid1(VALU_DEP_1)
	v_sub_nc_u32_e32 v8, v8, v9
	v_bfe_i32 v9, v8, 0, 8
	v_mov_b32_e32 v8, v7
	s_delay_alu instid0(VALU_DEP_2) | instskip(SKIP_2) | instid1(SALU_CYCLE_1)
	v_cmp_eq_u16_e64 s0, 0, v9
	v_and_b32_e32 v9, 0xffff, v9
	s_or_b32 s7, s0, s7
	s_and_not1_b32 exec_lo, exec_lo, s7
	s_cbranch_execnz .LBB48_222
; %bb.223:
	s_or_b32 exec_lo, exec_lo, s7
.LBB48_224:
	s_delay_alu instid0(SALU_CYCLE_1) | instskip(NEXT) | instid1(VALU_DEP_1)
	s_or_b32 exec_lo, exec_lo, s6
	v_and_b32_e32 v9, 0xff, v7
	v_mov_b32_e32 v8, 0
	s_mov_b32 s6, exec_lo
	s_delay_alu instid0(VALU_DEP_2)
	v_cmpx_ne_u16_e32 0, v9
	s_cbranch_execz .LBB48_226
; %bb.225:
	v_bfe_i32 v7, v7, 0, 8
	v_cvt_f32_i32_e32 v20, v6
	s_delay_alu instid0(VALU_DEP_2) | instskip(SKIP_1) | instid1(VALU_DEP_2)
	v_cvt_f32_i32_e32 v8, v7
	v_xor_b32_e32 v6, v6, v7
	v_rcp_iflag_f32_e32 v9, v8
	v_nop
	s_delay_alu instid0(TRANS32_DEP_1) | instskip(NEXT) | instid1(VALU_DEP_1)
	v_mul_f32_e32 v9, v20, v9
	v_trunc_f32_e32 v7, v9
	s_delay_alu instid0(VALU_DEP_1) | instskip(NEXT) | instid1(VALU_DEP_1)
	v_dual_ashrrev_i32 v6, 30, v6 :: v_dual_fma_f32 v9, -v7, v8, v20
	v_or_b32_e32 v6, 1, v6
	v_cvt_i32_f32_e32 v7, v7
	s_delay_alu instid0(VALU_DEP_3) | instskip(NEXT) | instid1(VALU_DEP_1)
	v_cmp_ge_f32_e64 s0, |v9|, |v8|
	v_cndmask_b32_e64 v6, 0, v6, s0
	s_delay_alu instid0(VALU_DEP_1) | instskip(NEXT) | instid1(VALU_DEP_1)
	v_add_nc_u32_e32 v6, v7, v6
	v_bfe_i32 v6, v6, 0, 8
	s_delay_alu instid0(VALU_DEP_1) | instskip(NEXT) | instid1(VALU_DEP_1)
	v_mul_i32_i24_e32 v5, v6, v5
	v_sub_nc_u32_e32 v6, 0, v5
	s_delay_alu instid0(VALU_DEP_1)
	v_max_i32_e32 v8, v5, v6
.LBB48_226:
	s_or_b32 exec_lo, exec_lo, s6
	s_delay_alu instid0(VALU_DEP_1)
	v_perm_b32 v4, v4, v8, 0x60504
.LBB48_227:
	s_or_b32 exec_lo, exec_lo, s3
	v_or_b32_e32 v5, 0xc00, v0
	s_mov_b32 s3, exec_lo
	s_delay_alu instid0(VALU_DEP_1)
	v_cmpx_gt_i32_e64 s1, v5
	s_cbranch_execz .LBB48_235
; %bb.228:
	v_bfe_i32 v5, v18, 0, 8
	v_and_b32_e32 v6, 0xff, v19
	s_mov_b32 s7, 0
	s_delay_alu instid0(VALU_DEP_2) | instskip(NEXT) | instid1(VALU_DEP_2)
	v_sub_nc_u16 v7, 0, v5
	v_cmp_ne_u16_e64 s0, 0, v6
	v_bfe_i32 v6, v19, 0, 8
	s_delay_alu instid0(VALU_DEP_3)
	v_max_i16 v7, v5, v7
	s_and_saveexec_b32 s6, s0
	s_cbranch_execz .LBB48_232
; %bb.229:
	s_delay_alu instid0(VALU_DEP_2) | instskip(NEXT) | instid1(VALU_DEP_1)
	v_sub_nc_u16 v8, 0, v6
	v_max_i16 v9, v6, v8
	v_and_b32_e32 v8, 0xff, v7
	s_delay_alu instid0(VALU_DEP_2)
	v_and_b32_e32 v9, 0xffff, v9
.LBB48_230:                             ; =>This Inner Loop Header: Depth=1
	s_delay_alu instid0(VALU_DEP_2) | instskip(NEXT) | instid1(VALU_DEP_2)
	v_bfe_i32 v19, v8, 0, 8
	v_mov_b32_e32 v7, v9
	s_delay_alu instid0(VALU_DEP_2) | instskip(NEXT) | instid1(VALU_DEP_2)
	v_cvt_f32_i32_e32 v21, v19
	v_bfe_i32 v9, v7, 0, 8
	s_delay_alu instid0(VALU_DEP_1) | instskip(SKIP_1) | instid1(VALU_DEP_2)
	v_cvt_f32_i32_e32 v18, v9
	v_xor_b32_e32 v9, v19, v9
	v_rcp_iflag_f32_e32 v20, v18
	v_nop
	s_delay_alu instid0(TRANS32_DEP_1) | instskip(NEXT) | instid1(VALU_DEP_1)
	v_dual_ashrrev_i32 v9, 30, v9 :: v_dual_mul_f32 v19, v21, v20
	v_trunc_f32_e32 v19, v19
	s_delay_alu instid0(VALU_DEP_1) | instskip(SKIP_1) | instid1(VALU_DEP_2)
	v_dual_fma_f32 v20, -v19, v18, v21 :: v_dual_bitop2_b32 v9, 1, v9 bitop3:0x54
	v_cvt_i32_f32_e32 v19, v19
	v_cmp_ge_f32_e64 s0, |v20|, |v18|
	s_delay_alu instid0(VALU_DEP_1) | instskip(NEXT) | instid1(VALU_DEP_1)
	v_cndmask_b32_e64 v9, 0, v9, s0
	v_add_nc_u32_e32 v9, v19, v9
	s_delay_alu instid0(VALU_DEP_1) | instskip(NEXT) | instid1(VALU_DEP_1)
	v_mul_lo_u32 v9, v9, v7
	v_sub_nc_u32_e32 v8, v8, v9
	s_delay_alu instid0(VALU_DEP_1) | instskip(SKIP_1) | instid1(VALU_DEP_2)
	v_bfe_i32 v9, v8, 0, 8
	v_mov_b32_e32 v8, v7
	v_cmp_eq_u16_e64 s0, 0, v9
	v_and_b32_e32 v9, 0xffff, v9
	s_or_b32 s7, s0, s7
	s_delay_alu instid0(SALU_CYCLE_1)
	s_and_not1_b32 exec_lo, exec_lo, s7
	s_cbranch_execnz .LBB48_230
; %bb.231:
	s_or_b32 exec_lo, exec_lo, s7
.LBB48_232:
	s_delay_alu instid0(SALU_CYCLE_1) | instskip(NEXT) | instid1(VALU_DEP_1)
	s_or_b32 exec_lo, exec_lo, s6
	v_and_b32_e32 v9, 0xff, v7
	v_mov_b32_e32 v8, 0
	s_mov_b32 s6, exec_lo
	s_delay_alu instid0(VALU_DEP_2)
	v_cmpx_ne_u16_e32 0, v9
	s_cbranch_execz .LBB48_234
; %bb.233:
	v_bfe_i32 v7, v7, 0, 8
	v_cvt_f32_i32_e32 v18, v6
	s_delay_alu instid0(VALU_DEP_2) | instskip(SKIP_1) | instid1(VALU_DEP_2)
	v_cvt_f32_i32_e32 v8, v7
	v_xor_b32_e32 v6, v6, v7
	v_rcp_iflag_f32_e32 v9, v8
	s_delay_alu instid0(VALU_DEP_1)
	v_ashrrev_i32_e32 v6, 30, v6
	s_delay_alu instid0(TRANS32_DEP_1) | instid1(VALU_DEP_1)
	v_dual_mul_f32 v9, v18, v9 :: v_dual_bitop2_b32 v6, 1, v6 bitop3:0x54
	s_delay_alu instid0(VALU_DEP_1) | instskip(NEXT) | instid1(VALU_DEP_1)
	v_trunc_f32_e32 v7, v9
	v_fma_f32 v9, -v7, v8, v18
	v_cvt_i32_f32_e32 v7, v7
	s_delay_alu instid0(VALU_DEP_2) | instskip(NEXT) | instid1(VALU_DEP_1)
	v_cmp_ge_f32_e64 s0, |v9|, |v8|
	v_cndmask_b32_e64 v6, 0, v6, s0
	s_delay_alu instid0(VALU_DEP_1) | instskip(NEXT) | instid1(VALU_DEP_1)
	v_add_nc_u32_e32 v6, v7, v6
	v_bfe_i32 v6, v6, 0, 8
	s_delay_alu instid0(VALU_DEP_1) | instskip(NEXT) | instid1(VALU_DEP_1)
	v_mul_i32_i24_e32 v5, v6, v5
	v_sub_nc_u32_e32 v6, 0, v5
	s_delay_alu instid0(VALU_DEP_1)
	v_max_i32_e32 v8, v5, v6
.LBB48_234:
	s_or_b32 exec_lo, exec_lo, s6
	s_delay_alu instid0(VALU_DEP_1)
	v_perm_b32 v3, v8, v3, 0x3020104
.LBB48_235:
	s_or_b32 exec_lo, exec_lo, s3
	v_or_b32_e32 v5, 0xd00, v0
	s_mov_b32 s3, exec_lo
	s_delay_alu instid0(VALU_DEP_1)
	v_cmpx_gt_i32_e64 s1, v5
	s_cbranch_execz .LBB48_243
; %bb.236:
	v_bfe_i32 v5, v16, 0, 8
	v_and_b32_e32 v6, 0xff, v17
	s_mov_b32 s7, 0
	s_delay_alu instid0(VALU_DEP_2) | instskip(NEXT) | instid1(VALU_DEP_2)
	v_sub_nc_u16 v7, 0, v5
	v_cmp_ne_u16_e64 s0, 0, v6
	v_bfe_i32 v6, v17, 0, 8
	s_delay_alu instid0(VALU_DEP_3)
	v_max_i16 v7, v5, v7
	s_and_saveexec_b32 s6, s0
	s_cbranch_execz .LBB48_240
; %bb.237:
	s_delay_alu instid0(VALU_DEP_2) | instskip(NEXT) | instid1(VALU_DEP_1)
	v_sub_nc_u16 v8, 0, v6
	v_max_i16 v9, v6, v8
	v_and_b32_e32 v8, 0xff, v7
	s_delay_alu instid0(VALU_DEP_2)
	v_and_b32_e32 v9, 0xffff, v9
.LBB48_238:                             ; =>This Inner Loop Header: Depth=1
	s_delay_alu instid0(VALU_DEP_2) | instskip(NEXT) | instid1(VALU_DEP_1)
	v_bfe_i32 v17, v8, 0, 8
	v_cvt_f32_i32_e32 v19, v17
	s_delay_alu instid0(VALU_DEP_3) | instskip(NEXT) | instid1(VALU_DEP_1)
	v_mov_b32_e32 v7, v9
	v_bfe_i32 v9, v7, 0, 8
	s_delay_alu instid0(VALU_DEP_1) | instskip(SKIP_1) | instid1(VALU_DEP_2)
	v_cvt_f32_i32_e32 v16, v9
	v_xor_b32_e32 v9, v17, v9
	v_rcp_iflag_f32_e32 v18, v16
	v_nop
	s_delay_alu instid0(TRANS32_DEP_1) | instskip(NEXT) | instid1(VALU_DEP_1)
	v_mul_f32_e32 v17, v19, v18
	v_trunc_f32_e32 v17, v17
	s_delay_alu instid0(VALU_DEP_1) | instskip(SKIP_1) | instid1(VALU_DEP_2)
	v_dual_fma_f32 v18, -v17, v16, v19 :: v_dual_ashrrev_i32 v9, 30, v9
	v_cvt_i32_f32_e32 v17, v17
	v_cmp_ge_f32_e64 s0, |v18|, |v16|
	s_delay_alu instid0(VALU_DEP_3) | instskip(NEXT) | instid1(VALU_DEP_1)
	v_or_b32_e32 v9, 1, v9
	v_cndmask_b32_e64 v9, 0, v9, s0
	s_delay_alu instid0(VALU_DEP_1) | instskip(NEXT) | instid1(VALU_DEP_1)
	v_add_nc_u32_e32 v9, v17, v9
	v_mul_lo_u32 v9, v9, v7
	s_delay_alu instid0(VALU_DEP_1) | instskip(NEXT) | instid1(VALU_DEP_1)
	v_sub_nc_u32_e32 v8, v8, v9
	v_bfe_i32 v9, v8, 0, 8
	v_mov_b32_e32 v8, v7
	s_delay_alu instid0(VALU_DEP_2) | instskip(SKIP_2) | instid1(SALU_CYCLE_1)
	v_cmp_eq_u16_e64 s0, 0, v9
	v_and_b32_e32 v9, 0xffff, v9
	s_or_b32 s7, s0, s7
	s_and_not1_b32 exec_lo, exec_lo, s7
	s_cbranch_execnz .LBB48_238
; %bb.239:
	s_or_b32 exec_lo, exec_lo, s7
.LBB48_240:
	s_delay_alu instid0(SALU_CYCLE_1) | instskip(NEXT) | instid1(VALU_DEP_1)
	s_or_b32 exec_lo, exec_lo, s6
	v_and_b32_e32 v9, 0xff, v7
	v_mov_b32_e32 v8, 0
	s_mov_b32 s6, exec_lo
	s_delay_alu instid0(VALU_DEP_2)
	v_cmpx_ne_u16_e32 0, v9
	s_cbranch_execz .LBB48_242
; %bb.241:
	v_bfe_i32 v7, v7, 0, 8
	v_cvt_f32_i32_e32 v16, v6
	s_delay_alu instid0(VALU_DEP_2) | instskip(SKIP_1) | instid1(VALU_DEP_2)
	v_cvt_f32_i32_e32 v8, v7
	v_xor_b32_e32 v6, v6, v7
	v_rcp_iflag_f32_e32 v9, v8
	v_nop
	s_delay_alu instid0(TRANS32_DEP_1) | instskip(NEXT) | instid1(VALU_DEP_1)
	v_mul_f32_e32 v9, v16, v9
	v_trunc_f32_e32 v7, v9
	s_delay_alu instid0(VALU_DEP_1) | instskip(NEXT) | instid1(VALU_DEP_1)
	v_dual_ashrrev_i32 v6, 30, v6 :: v_dual_fma_f32 v9, -v7, v8, v16
	v_or_b32_e32 v6, 1, v6
	v_cvt_i32_f32_e32 v7, v7
	s_delay_alu instid0(VALU_DEP_3) | instskip(NEXT) | instid1(VALU_DEP_1)
	v_cmp_ge_f32_e64 s0, |v9|, |v8|
	v_cndmask_b32_e64 v6, 0, v6, s0
	s_delay_alu instid0(VALU_DEP_1) | instskip(NEXT) | instid1(VALU_DEP_1)
	v_add_nc_u32_e32 v6, v7, v6
	v_bfe_i32 v6, v6, 0, 8
	s_delay_alu instid0(VALU_DEP_1) | instskip(NEXT) | instid1(VALU_DEP_1)
	v_mul_i32_i24_e32 v5, v6, v5
	v_sub_nc_u32_e32 v6, 0, v5
	s_delay_alu instid0(VALU_DEP_1)
	v_max_i32_e32 v8, v5, v6
.LBB48_242:
	s_or_b32 exec_lo, exec_lo, s6
	s_delay_alu instid0(VALU_DEP_1)
	v_perm_b32 v3, v3, v8, 0x7060004
.LBB48_243:
	s_or_b32 exec_lo, exec_lo, s3
	v_or_b32_e32 v5, 0xe00, v0
	s_mov_b32 s3, exec_lo
	s_delay_alu instid0(VALU_DEP_1)
	v_cmpx_gt_i32_e64 s1, v5
	s_cbranch_execz .LBB48_251
; %bb.244:
	v_bfe_i32 v5, v14, 0, 8
	v_and_b32_e32 v6, 0xff, v15
	s_mov_b32 s7, 0
	s_delay_alu instid0(VALU_DEP_2) | instskip(NEXT) | instid1(VALU_DEP_2)
	v_sub_nc_u16 v7, 0, v5
	v_cmp_ne_u16_e64 s0, 0, v6
	v_bfe_i32 v6, v15, 0, 8
	s_delay_alu instid0(VALU_DEP_3)
	v_max_i16 v7, v5, v7
	s_and_saveexec_b32 s6, s0
	s_cbranch_execz .LBB48_248
; %bb.245:
	s_delay_alu instid0(VALU_DEP_2) | instskip(NEXT) | instid1(VALU_DEP_1)
	v_sub_nc_u16 v8, 0, v6
	v_max_i16 v9, v6, v8
	v_and_b32_e32 v8, 0xff, v7
	s_delay_alu instid0(VALU_DEP_2)
	v_and_b32_e32 v9, 0xffff, v9
.LBB48_246:                             ; =>This Inner Loop Header: Depth=1
	s_delay_alu instid0(VALU_DEP_2) | instskip(NEXT) | instid1(VALU_DEP_2)
	v_bfe_i32 v15, v8, 0, 8
	v_mov_b32_e32 v7, v9
	s_delay_alu instid0(VALU_DEP_2) | instskip(NEXT) | instid1(VALU_DEP_2)
	v_cvt_f32_i32_e32 v17, v15
	v_bfe_i32 v9, v7, 0, 8
	s_delay_alu instid0(VALU_DEP_1) | instskip(SKIP_1) | instid1(VALU_DEP_2)
	v_cvt_f32_i32_e32 v14, v9
	v_xor_b32_e32 v9, v15, v9
	v_rcp_iflag_f32_e32 v16, v14
	v_nop
	s_delay_alu instid0(TRANS32_DEP_1) | instskip(NEXT) | instid1(VALU_DEP_1)
	v_dual_ashrrev_i32 v9, 30, v9 :: v_dual_mul_f32 v15, v17, v16
	v_trunc_f32_e32 v15, v15
	s_delay_alu instid0(VALU_DEP_1) | instskip(SKIP_1) | instid1(VALU_DEP_2)
	v_dual_fma_f32 v16, -v15, v14, v17 :: v_dual_bitop2_b32 v9, 1, v9 bitop3:0x54
	v_cvt_i32_f32_e32 v15, v15
	v_cmp_ge_f32_e64 s0, |v16|, |v14|
	s_delay_alu instid0(VALU_DEP_1) | instskip(NEXT) | instid1(VALU_DEP_1)
	v_cndmask_b32_e64 v9, 0, v9, s0
	v_add_nc_u32_e32 v9, v15, v9
	s_delay_alu instid0(VALU_DEP_1) | instskip(NEXT) | instid1(VALU_DEP_1)
	v_mul_lo_u32 v9, v9, v7
	v_sub_nc_u32_e32 v8, v8, v9
	s_delay_alu instid0(VALU_DEP_1) | instskip(SKIP_1) | instid1(VALU_DEP_2)
	v_bfe_i32 v9, v8, 0, 8
	v_mov_b32_e32 v8, v7
	v_cmp_eq_u16_e64 s0, 0, v9
	v_and_b32_e32 v9, 0xffff, v9
	s_or_b32 s7, s0, s7
	s_delay_alu instid0(SALU_CYCLE_1)
	s_and_not1_b32 exec_lo, exec_lo, s7
	s_cbranch_execnz .LBB48_246
; %bb.247:
	s_or_b32 exec_lo, exec_lo, s7
.LBB48_248:
	s_delay_alu instid0(SALU_CYCLE_1) | instskip(NEXT) | instid1(VALU_DEP_1)
	s_or_b32 exec_lo, exec_lo, s6
	v_and_b32_e32 v9, 0xff, v7
	v_mov_b32_e32 v8, 0
	s_mov_b32 s6, exec_lo
	s_delay_alu instid0(VALU_DEP_2)
	v_cmpx_ne_u16_e32 0, v9
	s_cbranch_execz .LBB48_250
; %bb.249:
	v_bfe_i32 v7, v7, 0, 8
	v_cvt_f32_i32_e32 v14, v6
	s_delay_alu instid0(VALU_DEP_2) | instskip(SKIP_1) | instid1(VALU_DEP_2)
	v_cvt_f32_i32_e32 v8, v7
	v_xor_b32_e32 v6, v6, v7
	v_rcp_iflag_f32_e32 v9, v8
	s_delay_alu instid0(VALU_DEP_1)
	v_ashrrev_i32_e32 v6, 30, v6
	s_delay_alu instid0(TRANS32_DEP_1) | instid1(VALU_DEP_1)
	v_dual_mul_f32 v9, v14, v9 :: v_dual_bitop2_b32 v6, 1, v6 bitop3:0x54
	s_delay_alu instid0(VALU_DEP_1) | instskip(NEXT) | instid1(VALU_DEP_1)
	v_trunc_f32_e32 v7, v9
	v_fma_f32 v9, -v7, v8, v14
	v_cvt_i32_f32_e32 v7, v7
	s_delay_alu instid0(VALU_DEP_2) | instskip(NEXT) | instid1(VALU_DEP_1)
	v_cmp_ge_f32_e64 s0, |v9|, |v8|
	v_cndmask_b32_e64 v6, 0, v6, s0
	s_delay_alu instid0(VALU_DEP_1) | instskip(NEXT) | instid1(VALU_DEP_1)
	v_add_nc_u32_e32 v6, v7, v6
	v_bfe_i32 v6, v6, 0, 8
	s_delay_alu instid0(VALU_DEP_1) | instskip(NEXT) | instid1(VALU_DEP_1)
	v_mul_i32_i24_e32 v5, v6, v5
	v_sub_nc_u32_e32 v6, 0, v5
	s_delay_alu instid0(VALU_DEP_1)
	v_max_i32_e32 v8, v5, v6
.LBB48_250:
	s_or_b32 exec_lo, exec_lo, s6
	s_delay_alu instid0(VALU_DEP_1)
	v_perm_b32 v3, v3, v8, 0x7000504
.LBB48_251:
	s_or_b32 exec_lo, exec_lo, s3
	v_or_b32_e32 v5, 0xf00, v0
	s_mov_b32 s3, exec_lo
	s_delay_alu instid0(VALU_DEP_1)
	v_cmpx_gt_i32_e64 s1, v5
	s_cbranch_execnz .LBB48_270
; %bb.252:
	s_or_b32 exec_lo, exec_lo, s3
	s_and_saveexec_b32 s0, vcc_lo
	s_delay_alu instid0(SALU_CYCLE_1)
	s_xor_b32 s0, exec_lo, s0
	s_cbranch_execnz .LBB48_277
.LBB48_253:
	s_or_b32 exec_lo, exec_lo, s0
	s_delay_alu instid0(SALU_CYCLE_1)
	s_mov_b32 s0, exec_lo
	v_cmpx_gt_i32_e64 s1, v0
	s_cbranch_execnz .LBB48_278
.LBB48_254:
	s_or_b32 exec_lo, exec_lo, s0
	s_delay_alu instid0(SALU_CYCLE_1)
	s_mov_b32 s0, exec_lo
	v_cmpx_gt_i32_e64 s1, v0
	s_cbranch_execnz .LBB48_279
.LBB48_255:
	s_or_b32 exec_lo, exec_lo, s0
	s_delay_alu instid0(SALU_CYCLE_1)
	s_mov_b32 s0, exec_lo
	v_cmpx_gt_i32_e64 s1, v0
	s_cbranch_execnz .LBB48_280
.LBB48_256:
	s_or_b32 exec_lo, exec_lo, s0
	s_delay_alu instid0(SALU_CYCLE_1)
	s_mov_b32 s0, exec_lo
	v_cmpx_gt_i32_e64 s1, v0
	s_cbranch_execnz .LBB48_281
.LBB48_257:
	s_or_b32 exec_lo, exec_lo, s0
	s_delay_alu instid0(SALU_CYCLE_1)
	s_mov_b32 s0, exec_lo
	v_cmpx_gt_i32_e64 s1, v0
	s_cbranch_execnz .LBB48_282
.LBB48_258:
	s_or_b32 exec_lo, exec_lo, s0
	s_delay_alu instid0(SALU_CYCLE_1)
	s_mov_b32 s0, exec_lo
	v_cmpx_gt_i32_e64 s1, v0
	s_cbranch_execnz .LBB48_283
.LBB48_259:
	s_or_b32 exec_lo, exec_lo, s0
	s_delay_alu instid0(SALU_CYCLE_1)
	s_mov_b32 s0, exec_lo
	v_cmpx_gt_i32_e64 s1, v0
	s_cbranch_execnz .LBB48_284
.LBB48_260:
	s_or_b32 exec_lo, exec_lo, s0
	s_delay_alu instid0(SALU_CYCLE_1)
	s_mov_b32 s0, exec_lo
	v_cmpx_gt_i32_e64 s1, v0
	s_cbranch_execnz .LBB48_285
.LBB48_261:
	s_or_b32 exec_lo, exec_lo, s0
	s_delay_alu instid0(SALU_CYCLE_1)
	s_mov_b32 s0, exec_lo
	v_cmpx_gt_i32_e64 s1, v0
	s_cbranch_execnz .LBB48_286
.LBB48_262:
	s_or_b32 exec_lo, exec_lo, s0
	s_delay_alu instid0(SALU_CYCLE_1)
	s_mov_b32 s0, exec_lo
	v_cmpx_gt_i32_e64 s1, v0
	s_cbranch_execnz .LBB48_287
.LBB48_263:
	s_or_b32 exec_lo, exec_lo, s0
	s_delay_alu instid0(SALU_CYCLE_1)
	s_mov_b32 s0, exec_lo
	v_cmpx_gt_i32_e64 s1, v0
	s_cbranch_execnz .LBB48_288
.LBB48_264:
	s_or_b32 exec_lo, exec_lo, s0
	s_delay_alu instid0(SALU_CYCLE_1)
	s_mov_b32 s0, exec_lo
	v_cmpx_gt_i32_e64 s1, v0
	s_cbranch_execnz .LBB48_289
.LBB48_265:
	s_or_b32 exec_lo, exec_lo, s0
	s_delay_alu instid0(SALU_CYCLE_1)
	s_mov_b32 s0, exec_lo
	v_cmpx_gt_i32_e64 s1, v0
	s_cbranch_execnz .LBB48_290
.LBB48_266:
	s_or_b32 exec_lo, exec_lo, s0
	s_delay_alu instid0(SALU_CYCLE_1)
	s_mov_b32 s0, exec_lo
	v_cmpx_gt_i32_e64 s1, v0
	s_cbranch_execnz .LBB48_291
.LBB48_267:
	s_or_b32 exec_lo, exec_lo, s0
	s_delay_alu instid0(SALU_CYCLE_1)
	s_mov_b32 s0, exec_lo
	v_cmpx_gt_i32_e64 s1, v0
	s_cbranch_execz .LBB48_269
.LBB48_268:
	v_dual_lshrrev_b32 v1, 24, v3 :: v_dual_add_nc_u32 v0, s2, v0
	global_store_b8 v0, v1, s[4:5]
.LBB48_269:
	s_endpgm
.LBB48_270:
	v_bfe_i32 v5, v12, 0, 8
	v_and_b32_e32 v6, 0xff, v13
	s_mov_b32 s7, 0
	s_delay_alu instid0(VALU_DEP_2) | instskip(NEXT) | instid1(VALU_DEP_2)
	v_sub_nc_u16 v7, 0, v5
	v_cmp_ne_u16_e64 s0, 0, v6
	v_bfe_i32 v6, v13, 0, 8
	s_delay_alu instid0(VALU_DEP_3)
	v_max_i16 v7, v5, v7
	s_and_saveexec_b32 s6, s0
	s_cbranch_execz .LBB48_274
; %bb.271:
	s_delay_alu instid0(VALU_DEP_2) | instskip(NEXT) | instid1(VALU_DEP_1)
	v_sub_nc_u16 v8, 0, v6
	v_max_i16 v9, v6, v8
	v_and_b32_e32 v8, 0xff, v7
	s_delay_alu instid0(VALU_DEP_2)
	v_and_b32_e32 v9, 0xffff, v9
.LBB48_272:                             ; =>This Inner Loop Header: Depth=1
	s_delay_alu instid0(VALU_DEP_2) | instskip(NEXT) | instid1(VALU_DEP_1)
	v_bfe_i32 v13, v8, 0, 8
	v_cvt_f32_i32_e32 v15, v13
	s_delay_alu instid0(VALU_DEP_3) | instskip(NEXT) | instid1(VALU_DEP_1)
	v_mov_b32_e32 v7, v9
	v_bfe_i32 v9, v7, 0, 8
	s_delay_alu instid0(VALU_DEP_1) | instskip(SKIP_1) | instid1(VALU_DEP_2)
	v_cvt_f32_i32_e32 v12, v9
	v_xor_b32_e32 v9, v13, v9
	v_rcp_iflag_f32_e32 v14, v12
	v_nop
	s_delay_alu instid0(TRANS32_DEP_1) | instskip(NEXT) | instid1(VALU_DEP_1)
	v_mul_f32_e32 v13, v15, v14
	v_trunc_f32_e32 v13, v13
	s_delay_alu instid0(VALU_DEP_1) | instskip(SKIP_1) | instid1(VALU_DEP_2)
	v_dual_fma_f32 v14, -v13, v12, v15 :: v_dual_ashrrev_i32 v9, 30, v9
	v_cvt_i32_f32_e32 v13, v13
	v_cmp_ge_f32_e64 s0, |v14|, |v12|
	s_delay_alu instid0(VALU_DEP_3) | instskip(NEXT) | instid1(VALU_DEP_1)
	v_or_b32_e32 v9, 1, v9
	v_cndmask_b32_e64 v9, 0, v9, s0
	s_delay_alu instid0(VALU_DEP_1) | instskip(NEXT) | instid1(VALU_DEP_1)
	v_add_nc_u32_e32 v9, v13, v9
	v_mul_lo_u32 v9, v9, v7
	s_delay_alu instid0(VALU_DEP_1) | instskip(NEXT) | instid1(VALU_DEP_1)
	v_sub_nc_u32_e32 v8, v8, v9
	v_bfe_i32 v9, v8, 0, 8
	v_mov_b32_e32 v8, v7
	s_delay_alu instid0(VALU_DEP_2) | instskip(SKIP_2) | instid1(SALU_CYCLE_1)
	v_cmp_eq_u16_e64 s0, 0, v9
	v_and_b32_e32 v9, 0xffff, v9
	s_or_b32 s7, s0, s7
	s_and_not1_b32 exec_lo, exec_lo, s7
	s_cbranch_execnz .LBB48_272
; %bb.273:
	s_or_b32 exec_lo, exec_lo, s7
.LBB48_274:
	s_delay_alu instid0(SALU_CYCLE_1) | instskip(NEXT) | instid1(VALU_DEP_1)
	s_or_b32 exec_lo, exec_lo, s6
	v_and_b32_e32 v9, 0xff, v7
	v_mov_b32_e32 v8, 0
	s_mov_b32 s6, exec_lo
	s_delay_alu instid0(VALU_DEP_2)
	v_cmpx_ne_u16_e32 0, v9
	s_cbranch_execz .LBB48_276
; %bb.275:
	v_bfe_i32 v7, v7, 0, 8
	v_cvt_f32_i32_e32 v12, v6
	s_delay_alu instid0(VALU_DEP_2) | instskip(SKIP_1) | instid1(VALU_DEP_2)
	v_cvt_f32_i32_e32 v8, v7
	v_xor_b32_e32 v6, v6, v7
	v_rcp_iflag_f32_e32 v9, v8
	v_nop
	s_delay_alu instid0(TRANS32_DEP_1) | instskip(NEXT) | instid1(VALU_DEP_1)
	v_mul_f32_e32 v9, v12, v9
	v_trunc_f32_e32 v7, v9
	s_delay_alu instid0(VALU_DEP_1) | instskip(NEXT) | instid1(VALU_DEP_1)
	v_dual_ashrrev_i32 v6, 30, v6 :: v_dual_fma_f32 v9, -v7, v8, v12
	v_or_b32_e32 v6, 1, v6
	v_cvt_i32_f32_e32 v7, v7
	s_delay_alu instid0(VALU_DEP_3) | instskip(NEXT) | instid1(VALU_DEP_1)
	v_cmp_ge_f32_e64 s0, |v9|, |v8|
	v_cndmask_b32_e64 v6, 0, v6, s0
	s_delay_alu instid0(VALU_DEP_1) | instskip(NEXT) | instid1(VALU_DEP_1)
	v_add_nc_u32_e32 v6, v7, v6
	v_bfe_i32 v6, v6, 0, 8
	s_delay_alu instid0(VALU_DEP_1) | instskip(NEXT) | instid1(VALU_DEP_1)
	v_mul_i32_i24_e32 v5, v6, v5
	v_sub_nc_u32_e32 v6, 0, v5
	s_delay_alu instid0(VALU_DEP_1)
	v_max_i32_e32 v8, v5, v6
.LBB48_276:
	s_or_b32 exec_lo, exec_lo, s6
	s_delay_alu instid0(VALU_DEP_1) | instskip(SKIP_2) | instid1(SALU_CYCLE_1)
	v_perm_b32 v3, v3, v8, 0x60504
	s_or_b32 exec_lo, exec_lo, s3
	s_and_saveexec_b32 s0, vcc_lo
	s_xor_b32 s0, exec_lo, s0
	s_cbranch_execz .LBB48_253
.LBB48_277:
	v_mov_b32_e32 v0, v11
	global_store_b8 v10, v2, s[4:5]
	s_wait_xcnt 0x0
	s_or_b32 exec_lo, exec_lo, s0
	s_delay_alu instid0(SALU_CYCLE_1)
	s_mov_b32 s0, exec_lo
	v_cmpx_gt_i32_e64 s1, v0
	s_cbranch_execz .LBB48_254
.LBB48_278:
	v_dual_lshrrev_b32 v5, 8, v2 :: v_dual_add_nc_u32 v6, s2, v0
	v_add_nc_u32_e32 v0, 0x100, v0
	global_store_b8 v6, v5, s[4:5]
	s_wait_xcnt 0x0
	s_or_b32 exec_lo, exec_lo, s0
	s_delay_alu instid0(SALU_CYCLE_1)
	s_mov_b32 s0, exec_lo
	v_cmpx_gt_i32_e64 s1, v0
	s_cbranch_execz .LBB48_255
.LBB48_279:
	v_add_nc_u32_e32 v5, s2, v0
	v_add_nc_u32_e32 v0, 0x100, v0
	global_store_d16_hi_b8 v5, v2, s[4:5]
	s_wait_xcnt 0x0
	s_or_b32 exec_lo, exec_lo, s0
	s_delay_alu instid0(SALU_CYCLE_1)
	s_mov_b32 s0, exec_lo
	v_cmpx_gt_i32_e64 s1, v0
	s_cbranch_execz .LBB48_256
.LBB48_280:
	v_dual_lshrrev_b32 v2, 24, v2 :: v_dual_add_nc_u32 v5, s2, v0
	v_add_nc_u32_e32 v0, 0x100, v0
	global_store_b8 v5, v2, s[4:5]
	s_wait_xcnt 0x0
	s_or_b32 exec_lo, exec_lo, s0
	s_delay_alu instid0(SALU_CYCLE_1)
	s_mov_b32 s0, exec_lo
	v_cmpx_gt_i32_e64 s1, v0
	s_cbranch_execz .LBB48_257
.LBB48_281:
	v_add_nc_u32_e32 v2, s2, v0
	v_add_nc_u32_e32 v0, 0x100, v0
	global_store_b8 v2, v1, s[4:5]
	s_wait_xcnt 0x0
	s_or_b32 exec_lo, exec_lo, s0
	s_delay_alu instid0(SALU_CYCLE_1)
	s_mov_b32 s0, exec_lo
	v_cmpx_gt_i32_e64 s1, v0
	s_cbranch_execz .LBB48_258
.LBB48_282:
	v_dual_lshrrev_b32 v2, 8, v1 :: v_dual_add_nc_u32 v5, s2, v0
	v_add_nc_u32_e32 v0, 0x100, v0
	global_store_b8 v5, v2, s[4:5]
	s_wait_xcnt 0x0
	s_or_b32 exec_lo, exec_lo, s0
	s_delay_alu instid0(SALU_CYCLE_1)
	s_mov_b32 s0, exec_lo
	v_cmpx_gt_i32_e64 s1, v0
	s_cbranch_execz .LBB48_259
.LBB48_283:
	v_add_nc_u32_e32 v2, s2, v0
	v_add_nc_u32_e32 v0, 0x100, v0
	global_store_d16_hi_b8 v2, v1, s[4:5]
	s_wait_xcnt 0x0
	s_or_b32 exec_lo, exec_lo, s0
	s_delay_alu instid0(SALU_CYCLE_1)
	s_mov_b32 s0, exec_lo
	v_cmpx_gt_i32_e64 s1, v0
	s_cbranch_execz .LBB48_260
.LBB48_284:
	v_dual_lshrrev_b32 v1, 24, v1 :: v_dual_add_nc_u32 v2, s2, v0
	v_add_nc_u32_e32 v0, 0x100, v0
	global_store_b8 v2, v1, s[4:5]
	s_wait_xcnt 0x0
	s_or_b32 exec_lo, exec_lo, s0
	s_delay_alu instid0(SALU_CYCLE_1)
	s_mov_b32 s0, exec_lo
	v_cmpx_gt_i32_e64 s1, v0
	s_cbranch_execz .LBB48_261
.LBB48_285:
	v_add_nc_u32_e32 v1, s2, v0
	v_add_nc_u32_e32 v0, 0x100, v0
	global_store_b8 v1, v4, s[4:5]
	s_wait_xcnt 0x0
	s_or_b32 exec_lo, exec_lo, s0
	s_delay_alu instid0(SALU_CYCLE_1)
	s_mov_b32 s0, exec_lo
	v_cmpx_gt_i32_e64 s1, v0
	s_cbranch_execz .LBB48_262
.LBB48_286:
	v_lshrrev_b32_e32 v1, 8, v4
	v_add_nc_u32_e32 v2, s2, v0
	v_add_nc_u32_e32 v0, 0x100, v0
	global_store_b8 v2, v1, s[4:5]
	s_wait_xcnt 0x0
	s_or_b32 exec_lo, exec_lo, s0
	s_delay_alu instid0(SALU_CYCLE_1)
	s_mov_b32 s0, exec_lo
	v_cmpx_gt_i32_e64 s1, v0
	s_cbranch_execz .LBB48_263
.LBB48_287:
	v_add_nc_u32_e32 v1, s2, v0
	v_add_nc_u32_e32 v0, 0x100, v0
	global_store_d16_hi_b8 v1, v4, s[4:5]
	s_wait_xcnt 0x0
	s_or_b32 exec_lo, exec_lo, s0
	s_delay_alu instid0(SALU_CYCLE_1)
	s_mov_b32 s0, exec_lo
	v_cmpx_gt_i32_e64 s1, v0
	s_cbranch_execz .LBB48_264
.LBB48_288:
	v_lshrrev_b32_e32 v1, 24, v4
	v_add_nc_u32_e32 v2, s2, v0
	v_add_nc_u32_e32 v0, 0x100, v0
	global_store_b8 v2, v1, s[4:5]
	s_wait_xcnt 0x0
	s_or_b32 exec_lo, exec_lo, s0
	s_delay_alu instid0(SALU_CYCLE_1)
	s_mov_b32 s0, exec_lo
	v_cmpx_gt_i32_e64 s1, v0
	s_cbranch_execz .LBB48_265
.LBB48_289:
	v_add_nc_u32_e32 v1, s2, v0
	v_add_nc_u32_e32 v0, 0x100, v0
	global_store_b8 v1, v3, s[4:5]
	s_wait_xcnt 0x0
	s_or_b32 exec_lo, exec_lo, s0
	s_delay_alu instid0(SALU_CYCLE_1)
	s_mov_b32 s0, exec_lo
	v_cmpx_gt_i32_e64 s1, v0
	s_cbranch_execz .LBB48_266
.LBB48_290:
	v_dual_lshrrev_b32 v1, 8, v3 :: v_dual_add_nc_u32 v2, s2, v0
	v_add_nc_u32_e32 v0, 0x100, v0
	global_store_b8 v2, v1, s[4:5]
	s_wait_xcnt 0x0
	s_or_b32 exec_lo, exec_lo, s0
	s_delay_alu instid0(SALU_CYCLE_1)
	s_mov_b32 s0, exec_lo
	v_cmpx_gt_i32_e64 s1, v0
	s_cbranch_execz .LBB48_267
.LBB48_291:
	v_add_nc_u32_e32 v1, s2, v0
	v_add_nc_u32_e32 v0, 0x100, v0
	global_store_d16_hi_b8 v1, v3, s[4:5]
	s_wait_xcnt 0x0
	s_or_b32 exec_lo, exec_lo, s0
	s_delay_alu instid0(SALU_CYCLE_1)
	s_mov_b32 s0, exec_lo
	v_cmpx_gt_i32_e64 s1, v0
	s_cbranch_execnz .LBB48_268
	s_branch .LBB48_269
	.section	.rodata,"a",@progbits
	.p2align	6, 0x0
	.amdhsa_kernel _ZN2at6native29vectorized_elementwise_kernelILi16EZZZNS0_15lcm_kernel_cudaERNS_18TensorIteratorBaseEENKUlvE_clEvENKUlvE0_clEvEUlaaE_St5arrayIPcLm3EEEEviT0_T1_
		.amdhsa_group_segment_fixed_size 0
		.amdhsa_private_segment_fixed_size 0
		.amdhsa_kernarg_size 32
		.amdhsa_user_sgpr_count 2
		.amdhsa_user_sgpr_dispatch_ptr 0
		.amdhsa_user_sgpr_queue_ptr 0
		.amdhsa_user_sgpr_kernarg_segment_ptr 1
		.amdhsa_user_sgpr_dispatch_id 0
		.amdhsa_user_sgpr_kernarg_preload_length 0
		.amdhsa_user_sgpr_kernarg_preload_offset 0
		.amdhsa_user_sgpr_private_segment_size 0
		.amdhsa_wavefront_size32 1
		.amdhsa_uses_dynamic_stack 0
		.amdhsa_enable_private_segment 0
		.amdhsa_system_sgpr_workgroup_id_x 1
		.amdhsa_system_sgpr_workgroup_id_y 0
		.amdhsa_system_sgpr_workgroup_id_z 0
		.amdhsa_system_sgpr_workgroup_info 0
		.amdhsa_system_vgpr_workitem_id 0
		.amdhsa_next_free_vgpr 44
		.amdhsa_next_free_sgpr 21
		.amdhsa_named_barrier_count 0
		.amdhsa_reserve_vcc 1
		.amdhsa_float_round_mode_32 0
		.amdhsa_float_round_mode_16_64 0
		.amdhsa_float_denorm_mode_32 3
		.amdhsa_float_denorm_mode_16_64 3
		.amdhsa_fp16_overflow 0
		.amdhsa_memory_ordered 1
		.amdhsa_forward_progress 1
		.amdhsa_inst_pref_size 148
		.amdhsa_round_robin_scheduling 0
		.amdhsa_exception_fp_ieee_invalid_op 0
		.amdhsa_exception_fp_denorm_src 0
		.amdhsa_exception_fp_ieee_div_zero 0
		.amdhsa_exception_fp_ieee_overflow 0
		.amdhsa_exception_fp_ieee_underflow 0
		.amdhsa_exception_fp_ieee_inexact 0
		.amdhsa_exception_int_div_zero 0
	.end_amdhsa_kernel
	.section	.text._ZN2at6native29vectorized_elementwise_kernelILi16EZZZNS0_15lcm_kernel_cudaERNS_18TensorIteratorBaseEENKUlvE_clEvENKUlvE0_clEvEUlaaE_St5arrayIPcLm3EEEEviT0_T1_,"axG",@progbits,_ZN2at6native29vectorized_elementwise_kernelILi16EZZZNS0_15lcm_kernel_cudaERNS_18TensorIteratorBaseEENKUlvE_clEvENKUlvE0_clEvEUlaaE_St5arrayIPcLm3EEEEviT0_T1_,comdat
.Lfunc_end48:
	.size	_ZN2at6native29vectorized_elementwise_kernelILi16EZZZNS0_15lcm_kernel_cudaERNS_18TensorIteratorBaseEENKUlvE_clEvENKUlvE0_clEvEUlaaE_St5arrayIPcLm3EEEEviT0_T1_, .Lfunc_end48-_ZN2at6native29vectorized_elementwise_kernelILi16EZZZNS0_15lcm_kernel_cudaERNS_18TensorIteratorBaseEENKUlvE_clEvENKUlvE0_clEvEUlaaE_St5arrayIPcLm3EEEEviT0_T1_
                                        ; -- End function
	.set _ZN2at6native29vectorized_elementwise_kernelILi16EZZZNS0_15lcm_kernel_cudaERNS_18TensorIteratorBaseEENKUlvE_clEvENKUlvE0_clEvEUlaaE_St5arrayIPcLm3EEEEviT0_T1_.num_vgpr, 44
	.set _ZN2at6native29vectorized_elementwise_kernelILi16EZZZNS0_15lcm_kernel_cudaERNS_18TensorIteratorBaseEENKUlvE_clEvENKUlvE0_clEvEUlaaE_St5arrayIPcLm3EEEEviT0_T1_.num_agpr, 0
	.set _ZN2at6native29vectorized_elementwise_kernelILi16EZZZNS0_15lcm_kernel_cudaERNS_18TensorIteratorBaseEENKUlvE_clEvENKUlvE0_clEvEUlaaE_St5arrayIPcLm3EEEEviT0_T1_.numbered_sgpr, 21
	.set _ZN2at6native29vectorized_elementwise_kernelILi16EZZZNS0_15lcm_kernel_cudaERNS_18TensorIteratorBaseEENKUlvE_clEvENKUlvE0_clEvEUlaaE_St5arrayIPcLm3EEEEviT0_T1_.num_named_barrier, 0
	.set _ZN2at6native29vectorized_elementwise_kernelILi16EZZZNS0_15lcm_kernel_cudaERNS_18TensorIteratorBaseEENKUlvE_clEvENKUlvE0_clEvEUlaaE_St5arrayIPcLm3EEEEviT0_T1_.private_seg_size, 0
	.set _ZN2at6native29vectorized_elementwise_kernelILi16EZZZNS0_15lcm_kernel_cudaERNS_18TensorIteratorBaseEENKUlvE_clEvENKUlvE0_clEvEUlaaE_St5arrayIPcLm3EEEEviT0_T1_.uses_vcc, 1
	.set _ZN2at6native29vectorized_elementwise_kernelILi16EZZZNS0_15lcm_kernel_cudaERNS_18TensorIteratorBaseEENKUlvE_clEvENKUlvE0_clEvEUlaaE_St5arrayIPcLm3EEEEviT0_T1_.uses_flat_scratch, 0
	.set _ZN2at6native29vectorized_elementwise_kernelILi16EZZZNS0_15lcm_kernel_cudaERNS_18TensorIteratorBaseEENKUlvE_clEvENKUlvE0_clEvEUlaaE_St5arrayIPcLm3EEEEviT0_T1_.has_dyn_sized_stack, 0
	.set _ZN2at6native29vectorized_elementwise_kernelILi16EZZZNS0_15lcm_kernel_cudaERNS_18TensorIteratorBaseEENKUlvE_clEvENKUlvE0_clEvEUlaaE_St5arrayIPcLm3EEEEviT0_T1_.has_recursion, 0
	.set _ZN2at6native29vectorized_elementwise_kernelILi16EZZZNS0_15lcm_kernel_cudaERNS_18TensorIteratorBaseEENKUlvE_clEvENKUlvE0_clEvEUlaaE_St5arrayIPcLm3EEEEviT0_T1_.has_indirect_call, 0
	.section	.AMDGPU.csdata,"",@progbits
; Kernel info:
; codeLenInByte = 18860
; TotalNumSgprs: 23
; NumVgprs: 44
; ScratchSize: 0
; MemoryBound: 0
; FloatMode: 240
; IeeeMode: 1
; LDSByteSize: 0 bytes/workgroup (compile time only)
; SGPRBlocks: 0
; VGPRBlocks: 2
; NumSGPRsForWavesPerEU: 23
; NumVGPRsForWavesPerEU: 44
; NamedBarCnt: 0
; Occupancy: 16
; WaveLimiterHint : 0
; COMPUTE_PGM_RSRC2:SCRATCH_EN: 0
; COMPUTE_PGM_RSRC2:USER_SGPR: 2
; COMPUTE_PGM_RSRC2:TRAP_HANDLER: 0
; COMPUTE_PGM_RSRC2:TGID_X_EN: 1
; COMPUTE_PGM_RSRC2:TGID_Y_EN: 0
; COMPUTE_PGM_RSRC2:TGID_Z_EN: 0
; COMPUTE_PGM_RSRC2:TIDIG_COMP_CNT: 0
	.section	.text._ZN2at6native29vectorized_elementwise_kernelILi8EZZZNS0_15lcm_kernel_cudaERNS_18TensorIteratorBaseEENKUlvE_clEvENKUlvE0_clEvEUlaaE_St5arrayIPcLm3EEEEviT0_T1_,"axG",@progbits,_ZN2at6native29vectorized_elementwise_kernelILi8EZZZNS0_15lcm_kernel_cudaERNS_18TensorIteratorBaseEENKUlvE_clEvENKUlvE0_clEvEUlaaE_St5arrayIPcLm3EEEEviT0_T1_,comdat
	.globl	_ZN2at6native29vectorized_elementwise_kernelILi8EZZZNS0_15lcm_kernel_cudaERNS_18TensorIteratorBaseEENKUlvE_clEvENKUlvE0_clEvEUlaaE_St5arrayIPcLm3EEEEviT0_T1_ ; -- Begin function _ZN2at6native29vectorized_elementwise_kernelILi8EZZZNS0_15lcm_kernel_cudaERNS_18TensorIteratorBaseEENKUlvE_clEvENKUlvE0_clEvEUlaaE_St5arrayIPcLm3EEEEviT0_T1_
	.p2align	8
	.type	_ZN2at6native29vectorized_elementwise_kernelILi8EZZZNS0_15lcm_kernel_cudaERNS_18TensorIteratorBaseEENKUlvE_clEvENKUlvE0_clEvEUlaaE_St5arrayIPcLm3EEEEviT0_T1_,@function
_ZN2at6native29vectorized_elementwise_kernelILi8EZZZNS0_15lcm_kernel_cudaERNS_18TensorIteratorBaseEENKUlvE_clEvENKUlvE0_clEvEUlaaE_St5arrayIPcLm3EEEEviT0_T1_: ; @_ZN2at6native29vectorized_elementwise_kernelILi8EZZZNS0_15lcm_kernel_cudaERNS_18TensorIteratorBaseEENKUlvE_clEvENKUlvE0_clEvEUlaaE_St5arrayIPcLm3EEEEviT0_T1_
; %bb.0:
	s_clause 0x2
	s_load_b32 s3, s[0:1], 0x0
	s_load_b128 s[4:7], s[0:1], 0x8
	s_load_b64 s[8:9], s[0:1], 0x18
	s_wait_xcnt 0x0
	s_bfe_u32 s0, ttmp6, 0x4000c
	s_and_b32 s1, ttmp6, 15
	s_add_co_i32 s0, s0, 1
	s_getreg_b32 s2, hwreg(HW_REG_IB_STS2, 6, 4)
	s_mul_i32 s0, ttmp9, s0
	s_delay_alu instid0(SALU_CYCLE_1) | instskip(SKIP_2) | instid1(SALU_CYCLE_1)
	s_add_co_i32 s1, s1, s0
	s_cmp_eq_u32 s2, 0
	s_cselect_b32 s0, ttmp9, s1
	s_lshl_b32 s2, s0, 12
	s_mov_b32 s0, -1
	s_wait_kmcnt 0x0
	s_sub_co_i32 s1, s3, s2
	s_delay_alu instid0(SALU_CYCLE_1)
	s_cmp_gt_i32 s1, 0xfff
	s_cbranch_scc0 .LBB49_98
; %bb.1:
	s_ashr_i32 s3, s2, 31
	s_mov_b32 s0, exec_lo
	s_add_nc_u64 s[10:11], s[8:9], s[2:3]
	s_add_nc_u64 s[12:13], s[6:7], s[2:3]
	s_clause 0x3
	global_load_b64 v[6:7], v0, s[10:11] scale_offset
	global_load_b64 v[8:9], v0, s[12:13] scale_offset
	global_load_b64 v[4:5], v0, s[12:13] offset:2048 scale_offset
	global_load_b64 v[2:3], v0, s[10:11] offset:2048 scale_offset
	s_wait_loadcnt 0x2
	v_and_b32_e32 v1, 0xff, v8
	v_bfe_i32 v10, v6, 0, 8
	s_delay_alu instid0(VALU_DEP_1) | instskip(NEXT) | instid1(VALU_DEP_1)
	v_sub_nc_u16 v11, 0, v10
	v_max_i16 v12, v10, v11
	v_bfe_i32 v11, v8, 0, 8
	s_wait_xcnt 0x0
	v_cmpx_ne_u16_e32 0, v1
	s_cbranch_execz .LBB49_5
; %bb.2:
	s_delay_alu instid0(VALU_DEP_2) | instskip(SKIP_1) | instid1(VALU_DEP_1)
	v_sub_nc_u16 v1, 0, v11
	s_mov_b32 s10, 0
	v_max_i16 v13, v11, v1
	v_and_b32_e32 v1, 0xff, v12
	s_delay_alu instid0(VALU_DEP_2)
	v_and_b32_e32 v13, 0xffff, v13
.LBB49_3:                               ; =>This Inner Loop Header: Depth=1
	s_delay_alu instid0(VALU_DEP_2) | instskip(NEXT) | instid1(VALU_DEP_2)
	v_bfe_i32 v15, v1, 0, 8
	v_mov_b32_e32 v12, v13
	s_delay_alu instid0(VALU_DEP_2) | instskip(NEXT) | instid1(VALU_DEP_2)
	v_cvt_f32_i32_e32 v17, v15
	v_bfe_i32 v13, v12, 0, 8
	s_delay_alu instid0(VALU_DEP_1) | instskip(SKIP_1) | instid1(VALU_DEP_2)
	v_cvt_f32_i32_e32 v14, v13
	v_xor_b32_e32 v13, v15, v13
	v_rcp_iflag_f32_e32 v16, v14
	v_nop
	s_delay_alu instid0(TRANS32_DEP_1) | instskip(NEXT) | instid1(VALU_DEP_1)
	v_dual_ashrrev_i32 v13, 30, v13 :: v_dual_mul_f32 v15, v17, v16
	v_trunc_f32_e32 v15, v15
	s_delay_alu instid0(VALU_DEP_1) | instskip(SKIP_1) | instid1(VALU_DEP_2)
	v_dual_fma_f32 v16, -v15, v14, v17 :: v_dual_bitop2_b32 v13, 1, v13 bitop3:0x54
	v_cvt_i32_f32_e32 v15, v15
	v_cmp_ge_f32_e64 vcc_lo, |v16|, |v14|
	s_delay_alu instid0(VALU_DEP_3) | instskip(NEXT) | instid1(VALU_DEP_1)
	v_cndmask_b32_e32 v13, 0, v13, vcc_lo
	v_add_nc_u32_e32 v13, v15, v13
	s_delay_alu instid0(VALU_DEP_1) | instskip(NEXT) | instid1(VALU_DEP_1)
	v_mul_lo_u32 v13, v13, v12
	v_sub_nc_u32_e32 v1, v1, v13
	s_delay_alu instid0(VALU_DEP_1) | instskip(SKIP_1) | instid1(VALU_DEP_2)
	v_bfe_i32 v13, v1, 0, 8
	v_mov_b32_e32 v1, v12
	v_cmp_eq_u16_e32 vcc_lo, 0, v13
	v_and_b32_e32 v13, 0xffff, v13
	s_or_b32 s10, vcc_lo, s10
	s_delay_alu instid0(SALU_CYCLE_1)
	s_and_not1_b32 exec_lo, exec_lo, s10
	s_cbranch_execnz .LBB49_3
; %bb.4:
	s_or_b32 exec_lo, exec_lo, s10
.LBB49_5:
	s_delay_alu instid0(SALU_CYCLE_1) | instskip(SKIP_3) | instid1(VALU_DEP_2)
	s_or_b32 exec_lo, exec_lo, s0
	v_and_b32_e32 v13, 0xff, v12
	v_mov_b32_e32 v1, 0
	s_mov_b32 s0, exec_lo
	v_cmpx_ne_u16_e32 0, v13
	s_cbranch_execz .LBB49_7
; %bb.6:
	v_bfe_i32 v1, v12, 0, 8
	v_cvt_f32_i32_e32 v14, v11
	s_delay_alu instid0(VALU_DEP_2) | instskip(SKIP_1) | instid1(VALU_DEP_2)
	v_cvt_f32_i32_e32 v12, v1
	v_xor_b32_e32 v1, v11, v1
	v_rcp_iflag_f32_e32 v13, v12
	v_nop
	s_delay_alu instid0(TRANS32_DEP_1) | instskip(NEXT) | instid1(VALU_DEP_1)
	v_mul_f32_e32 v13, v14, v13
	v_trunc_f32_e32 v11, v13
	s_delay_alu instid0(VALU_DEP_1) | instskip(SKIP_1) | instid1(VALU_DEP_2)
	v_dual_fma_f32 v13, -v11, v12, v14 :: v_dual_ashrrev_i32 v1, 30, v1
	v_cvt_i32_f32_e32 v11, v11
	v_cmp_ge_f32_e64 vcc_lo, |v13|, |v12|
	s_delay_alu instid0(VALU_DEP_3) | instskip(NEXT) | instid1(VALU_DEP_1)
	v_or_b32_e32 v1, 1, v1
	v_cndmask_b32_e32 v1, 0, v1, vcc_lo
	s_delay_alu instid0(VALU_DEP_1) | instskip(NEXT) | instid1(VALU_DEP_1)
	v_add_nc_u32_e32 v1, v11, v1
	v_bfe_i32 v1, v1, 0, 8
	s_delay_alu instid0(VALU_DEP_1) | instskip(NEXT) | instid1(VALU_DEP_1)
	v_mul_i32_i24_e32 v1, v10, v1
	v_sub_nc_u32_e32 v10, 0, v1
	s_delay_alu instid0(VALU_DEP_1)
	v_max_i32_e32 v1, v1, v10
.LBB49_7:
	s_or_b32 exec_lo, exec_lo, s0
	v_lshrrev_b32_e32 v10, 8, v6
	s_mov_b32 s10, 0
	s_mov_b32 s0, exec_lo
	s_delay_alu instid0(VALU_DEP_1) | instskip(SKIP_1) | instid1(VALU_DEP_2)
	v_bfe_i32 v11, v10, 0, 8
	v_lshrrev_b32_e32 v10, 8, v8
	v_sub_nc_u16 v12, 0, v11
	s_delay_alu instid0(VALU_DEP_2) | instskip(NEXT) | instid1(VALU_DEP_2)
	v_and_b32_e32 v10, 0xff, v10
	v_max_i16 v12, v11, v12
	s_delay_alu instid0(VALU_DEP_2)
	v_cmpx_ne_u16_e32 0, v10
	s_cbranch_execz .LBB49_11
; %bb.8:
	v_ashrrev_i16 v10, 8, v8
	s_delay_alu instid0(VALU_DEP_1) | instskip(NEXT) | instid1(VALU_DEP_1)
	v_sub_nc_u16 v13, 0, v10
	v_max_i16 v13, v10, v13
	v_and_b32_e32 v10, 0xff, v12
	s_delay_alu instid0(VALU_DEP_2)
	v_and_b32_e32 v13, 0xffff, v13
.LBB49_9:                               ; =>This Inner Loop Header: Depth=1
	s_delay_alu instid0(VALU_DEP_2) | instskip(NEXT) | instid1(VALU_DEP_2)
	v_bfe_i32 v15, v10, 0, 8
	v_mov_b32_e32 v12, v13
	s_delay_alu instid0(VALU_DEP_2) | instskip(NEXT) | instid1(VALU_DEP_2)
	v_cvt_f32_i32_e32 v17, v15
	v_bfe_i32 v13, v12, 0, 8
	s_delay_alu instid0(VALU_DEP_1) | instskip(SKIP_1) | instid1(VALU_DEP_2)
	v_cvt_f32_i32_e32 v14, v13
	v_xor_b32_e32 v13, v15, v13
	v_rcp_iflag_f32_e32 v16, v14
	v_nop
	s_delay_alu instid0(TRANS32_DEP_1) | instskip(NEXT) | instid1(VALU_DEP_1)
	v_dual_ashrrev_i32 v13, 30, v13 :: v_dual_mul_f32 v15, v17, v16
	v_trunc_f32_e32 v15, v15
	s_delay_alu instid0(VALU_DEP_1) | instskip(SKIP_1) | instid1(VALU_DEP_2)
	v_dual_fma_f32 v16, -v15, v14, v17 :: v_dual_bitop2_b32 v13, 1, v13 bitop3:0x54
	v_cvt_i32_f32_e32 v15, v15
	v_cmp_ge_f32_e64 vcc_lo, |v16|, |v14|
	s_delay_alu instid0(VALU_DEP_3) | instskip(NEXT) | instid1(VALU_DEP_1)
	v_cndmask_b32_e32 v13, 0, v13, vcc_lo
	v_add_nc_u32_e32 v13, v15, v13
	s_delay_alu instid0(VALU_DEP_1) | instskip(NEXT) | instid1(VALU_DEP_1)
	v_mul_lo_u32 v13, v13, v12
	v_sub_nc_u32_e32 v10, v10, v13
	s_delay_alu instid0(VALU_DEP_1) | instskip(SKIP_1) | instid1(VALU_DEP_2)
	v_bfe_i32 v13, v10, 0, 8
	v_mov_b32_e32 v10, v12
	v_cmp_eq_u16_e32 vcc_lo, 0, v13
	v_and_b32_e32 v13, 0xffff, v13
	s_or_b32 s10, vcc_lo, s10
	s_delay_alu instid0(SALU_CYCLE_1)
	s_and_not1_b32 exec_lo, exec_lo, s10
	s_cbranch_execnz .LBB49_9
; %bb.10:
	s_or_b32 exec_lo, exec_lo, s10
.LBB49_11:
	s_delay_alu instid0(SALU_CYCLE_1) | instskip(NEXT) | instid1(VALU_DEP_2)
	s_or_b32 exec_lo, exec_lo, s0
	v_and_b32_e32 v13, 0xff, v12
	v_mov_b32_e32 v10, 0
	s_mov_b32 s0, exec_lo
	s_delay_alu instid0(VALU_DEP_2)
	v_cmpx_ne_u16_e32 0, v13
	s_cbranch_execz .LBB49_13
; %bb.12:
	v_bfe_i32 v10, v12, 0, 8
	v_bfe_i32 v13, v8, 8, 8
	s_delay_alu instid0(VALU_DEP_2) | instskip(NEXT) | instid1(VALU_DEP_2)
	v_cvt_f32_i32_e32 v12, v10
	v_cvt_f32_i32_e32 v15, v13
	v_xor_b32_e32 v10, v13, v10
	s_delay_alu instid0(VALU_DEP_3) | instskip(SKIP_1) | instid1(TRANS32_DEP_1)
	v_rcp_iflag_f32_e32 v14, v12
	v_nop
	v_mul_f32_e32 v14, v15, v14
	s_delay_alu instid0(VALU_DEP_1) | instskip(NEXT) | instid1(VALU_DEP_1)
	v_trunc_f32_e32 v13, v14
	v_dual_fma_f32 v14, -v13, v12, v15 :: v_dual_ashrrev_i32 v10, 30, v10
	v_cvt_i32_f32_e32 v13, v13
	s_delay_alu instid0(VALU_DEP_2) | instskip(NEXT) | instid1(VALU_DEP_3)
	v_cmp_ge_f32_e64 vcc_lo, |v14|, |v12|
	v_or_b32_e32 v10, 1, v10
	s_delay_alu instid0(VALU_DEP_1) | instskip(NEXT) | instid1(VALU_DEP_1)
	v_cndmask_b32_e32 v10, 0, v10, vcc_lo
	v_add_nc_u32_e32 v10, v13, v10
	s_delay_alu instid0(VALU_DEP_1) | instskip(NEXT) | instid1(VALU_DEP_1)
	v_bfe_i32 v10, v10, 0, 8
	v_mul_i32_i24_e32 v10, v11, v10
	s_delay_alu instid0(VALU_DEP_1) | instskip(NEXT) | instid1(VALU_DEP_1)
	v_sub_nc_u32_e32 v11, 0, v10
	v_max_i32_e32 v10, v10, v11
.LBB49_13:
	s_or_b32 exec_lo, exec_lo, s0
	v_lshrrev_b32_e32 v11, 16, v6
	s_mov_b32 s10, 0
	s_mov_b32 s0, exec_lo
	s_delay_alu instid0(VALU_DEP_1) | instskip(SKIP_1) | instid1(VALU_DEP_2)
	v_bfe_i32 v12, v11, 0, 8
	v_lshrrev_b32_e32 v11, 16, v8
	v_sub_nc_u16 v13, 0, v12
	s_delay_alu instid0(VALU_DEP_2) | instskip(NEXT) | instid1(VALU_DEP_2)
	v_and_b32_e32 v14, 0xff, v11
	v_max_i16 v13, v12, v13
	s_delay_alu instid0(VALU_DEP_2)
	v_cmpx_ne_u16_e32 0, v14
	s_cbranch_execz .LBB49_17
; %bb.14:
	v_bfe_i32 v11, v11, 0, 8
	s_delay_alu instid0(VALU_DEP_1) | instskip(NEXT) | instid1(VALU_DEP_1)
	v_sub_nc_u16 v14, 0, v11
	v_max_i16 v14, v11, v14
	v_and_b32_e32 v11, 0xff, v13
	s_delay_alu instid0(VALU_DEP_2)
	v_and_b32_e32 v14, 0xffff, v14
.LBB49_15:                              ; =>This Inner Loop Header: Depth=1
	s_delay_alu instid0(VALU_DEP_2) | instskip(NEXT) | instid1(VALU_DEP_2)
	v_bfe_i32 v16, v11, 0, 8
	v_mov_b32_e32 v13, v14
	s_delay_alu instid0(VALU_DEP_2) | instskip(NEXT) | instid1(VALU_DEP_2)
	v_cvt_f32_i32_e32 v18, v16
	v_bfe_i32 v14, v13, 0, 8
	s_delay_alu instid0(VALU_DEP_1) | instskip(SKIP_1) | instid1(VALU_DEP_2)
	v_cvt_f32_i32_e32 v15, v14
	v_xor_b32_e32 v14, v16, v14
	v_rcp_iflag_f32_e32 v17, v15
	v_nop
	s_delay_alu instid0(TRANS32_DEP_1) | instskip(NEXT) | instid1(VALU_DEP_1)
	v_dual_ashrrev_i32 v14, 30, v14 :: v_dual_mul_f32 v16, v18, v17
	v_trunc_f32_e32 v16, v16
	s_delay_alu instid0(VALU_DEP_1) | instskip(SKIP_1) | instid1(VALU_DEP_2)
	v_dual_fma_f32 v17, -v16, v15, v18 :: v_dual_bitop2_b32 v14, 1, v14 bitop3:0x54
	v_cvt_i32_f32_e32 v16, v16
	v_cmp_ge_f32_e64 vcc_lo, |v17|, |v15|
	s_delay_alu instid0(VALU_DEP_3) | instskip(NEXT) | instid1(VALU_DEP_1)
	v_cndmask_b32_e32 v14, 0, v14, vcc_lo
	v_add_nc_u32_e32 v14, v16, v14
	s_delay_alu instid0(VALU_DEP_1) | instskip(NEXT) | instid1(VALU_DEP_1)
	v_mul_lo_u32 v14, v14, v13
	v_sub_nc_u32_e32 v11, v11, v14
	s_delay_alu instid0(VALU_DEP_1) | instskip(SKIP_1) | instid1(VALU_DEP_2)
	v_bfe_i32 v14, v11, 0, 8
	v_mov_b32_e32 v11, v13
	v_cmp_eq_u16_e32 vcc_lo, 0, v14
	v_and_b32_e32 v14, 0xffff, v14
	s_or_b32 s10, vcc_lo, s10
	s_delay_alu instid0(SALU_CYCLE_1)
	s_and_not1_b32 exec_lo, exec_lo, s10
	s_cbranch_execnz .LBB49_15
; %bb.16:
	s_or_b32 exec_lo, exec_lo, s10
.LBB49_17:
	s_delay_alu instid0(SALU_CYCLE_1) | instskip(NEXT) | instid1(VALU_DEP_2)
	s_or_b32 exec_lo, exec_lo, s0
	v_and_b32_e32 v14, 0xff, v13
	v_mov_b32_e32 v11, 0
	s_mov_b32 s0, exec_lo
	s_delay_alu instid0(VALU_DEP_2)
	v_cmpx_ne_u16_e32 0, v14
	s_cbranch_execz .LBB49_19
; %bb.18:
	v_bfe_i32 v11, v13, 0, 8
	v_bfe_i32 v14, v8, 16, 8
	s_delay_alu instid0(VALU_DEP_2) | instskip(NEXT) | instid1(VALU_DEP_2)
	v_cvt_f32_i32_e32 v13, v11
	v_cvt_f32_i32_e32 v16, v14
	v_xor_b32_e32 v11, v14, v11
	s_delay_alu instid0(VALU_DEP_3) | instskip(SKIP_1) | instid1(TRANS32_DEP_1)
	v_rcp_iflag_f32_e32 v15, v13
	v_nop
	v_mul_f32_e32 v15, v16, v15
	s_delay_alu instid0(VALU_DEP_1) | instskip(NEXT) | instid1(VALU_DEP_1)
	v_trunc_f32_e32 v14, v15
	v_dual_fma_f32 v15, -v14, v13, v16 :: v_dual_ashrrev_i32 v11, 30, v11
	v_cvt_i32_f32_e32 v14, v14
	s_delay_alu instid0(VALU_DEP_2) | instskip(NEXT) | instid1(VALU_DEP_3)
	v_cmp_ge_f32_e64 vcc_lo, |v15|, |v13|
	v_or_b32_e32 v11, 1, v11
	s_delay_alu instid0(VALU_DEP_1) | instskip(NEXT) | instid1(VALU_DEP_1)
	v_cndmask_b32_e32 v11, 0, v11, vcc_lo
	v_add_nc_u32_e32 v11, v14, v11
	s_delay_alu instid0(VALU_DEP_1) | instskip(NEXT) | instid1(VALU_DEP_1)
	v_bfe_i32 v11, v11, 0, 8
	v_mul_i32_i24_e32 v11, v12, v11
	s_delay_alu instid0(VALU_DEP_1) | instskip(NEXT) | instid1(VALU_DEP_1)
	v_sub_nc_u32_e32 v12, 0, v11
	v_max_i32_e32 v11, v11, v12
.LBB49_19:
	s_or_b32 exec_lo, exec_lo, s0
	v_lshrrev_b32_e32 v12, 24, v6
	s_mov_b32 s10, 0
	s_mov_b32 s0, exec_lo
	s_delay_alu instid0(VALU_DEP_1) | instskip(NEXT) | instid1(VALU_DEP_1)
	v_bfe_i32 v12, v12, 0, 8
	v_sub_nc_u16 v13, 0, v12
	s_delay_alu instid0(VALU_DEP_1)
	v_max_i16 v13, v12, v13
	v_cmpx_lt_u32_e32 0xffffff, v8
	s_cbranch_execz .LBB49_23
; %bb.20:
	v_lshrrev_b32_e32 v12, 24, v8
	s_delay_alu instid0(VALU_DEP_1) | instskip(NEXT) | instid1(VALU_DEP_1)
	v_bfe_i32 v12, v12, 0, 8
	v_sub_nc_u16 v14, 0, v12
	s_delay_alu instid0(VALU_DEP_1) | instskip(SKIP_1) | instid1(VALU_DEP_2)
	v_max_i16 v14, v12, v14
	v_and_b32_e32 v12, 0xff, v13
	v_and_b32_e32 v14, 0xffff, v14
.LBB49_21:                              ; =>This Inner Loop Header: Depth=1
	s_delay_alu instid0(VALU_DEP_2) | instskip(NEXT) | instid1(VALU_DEP_2)
	v_bfe_i32 v16, v12, 0, 8
	v_mov_b32_e32 v13, v14
	s_delay_alu instid0(VALU_DEP_2) | instskip(NEXT) | instid1(VALU_DEP_2)
	v_cvt_f32_i32_e32 v18, v16
	v_bfe_i32 v14, v13, 0, 8
	s_delay_alu instid0(VALU_DEP_1) | instskip(SKIP_1) | instid1(VALU_DEP_2)
	v_cvt_f32_i32_e32 v15, v14
	v_xor_b32_e32 v14, v16, v14
	v_rcp_iflag_f32_e32 v17, v15
	v_nop
	s_delay_alu instid0(TRANS32_DEP_1) | instskip(NEXT) | instid1(VALU_DEP_1)
	v_dual_ashrrev_i32 v14, 30, v14 :: v_dual_mul_f32 v16, v18, v17
	v_trunc_f32_e32 v16, v16
	s_delay_alu instid0(VALU_DEP_1) | instskip(SKIP_1) | instid1(VALU_DEP_2)
	v_dual_fma_f32 v17, -v16, v15, v18 :: v_dual_bitop2_b32 v14, 1, v14 bitop3:0x54
	v_cvt_i32_f32_e32 v16, v16
	v_cmp_ge_f32_e64 vcc_lo, |v17|, |v15|
	s_delay_alu instid0(VALU_DEP_3) | instskip(NEXT) | instid1(VALU_DEP_1)
	v_cndmask_b32_e32 v14, 0, v14, vcc_lo
	v_add_nc_u32_e32 v14, v16, v14
	s_delay_alu instid0(VALU_DEP_1) | instskip(NEXT) | instid1(VALU_DEP_1)
	v_mul_lo_u32 v14, v14, v13
	v_sub_nc_u32_e32 v12, v12, v14
	s_delay_alu instid0(VALU_DEP_1) | instskip(SKIP_1) | instid1(VALU_DEP_2)
	v_bfe_i32 v14, v12, 0, 8
	v_mov_b32_e32 v12, v13
	v_cmp_eq_u16_e32 vcc_lo, 0, v14
	v_and_b32_e32 v14, 0xffff, v14
	s_or_b32 s10, vcc_lo, s10
	s_delay_alu instid0(SALU_CYCLE_1)
	s_and_not1_b32 exec_lo, exec_lo, s10
	s_cbranch_execnz .LBB49_21
; %bb.22:
	s_or_b32 exec_lo, exec_lo, s10
.LBB49_23:
	s_delay_alu instid0(SALU_CYCLE_1) | instskip(NEXT) | instid1(VALU_DEP_2)
	s_or_b32 exec_lo, exec_lo, s0
	v_and_b32_e32 v14, 0xff, v13
	v_mov_b32_e32 v12, 0
	s_mov_b32 s0, exec_lo
	s_delay_alu instid0(VALU_DEP_2)
	v_cmpx_ne_u16_e32 0, v14
	s_cbranch_execz .LBB49_25
; %bb.24:
	v_bfe_i32 v12, v13, 0, 8
	v_ashrrev_i32_e32 v6, 24, v6
	s_delay_alu instid0(VALU_DEP_2) | instskip(NEXT) | instid1(VALU_DEP_1)
	v_cvt_f32_i32_e32 v13, v12
	v_rcp_iflag_f32_e32 v14, v13
	v_ashrrev_i32_e32 v8, 24, v8
	s_delay_alu instid0(VALU_DEP_1)
	v_cvt_f32_i32_e32 v15, v8
	s_delay_alu instid0(TRANS32_DEP_1) | instid1(VALU_DEP_1)
	v_dual_mul_f32 v14, v15, v14 :: v_dual_bitop2_b32 v8, v8, v12 bitop3:0x14
	s_delay_alu instid0(VALU_DEP_1) | instskip(NEXT) | instid1(VALU_DEP_1)
	v_trunc_f32_e32 v12, v14
	v_dual_ashrrev_i32 v8, 30, v8 :: v_dual_fma_f32 v14, -v12, v13, v15
	s_delay_alu instid0(VALU_DEP_1) | instskip(SKIP_1) | instid1(VALU_DEP_3)
	v_or_b32_e32 v8, 1, v8
	v_cvt_i32_f32_e32 v12, v12
	v_cmp_ge_f32_e64 vcc_lo, |v14|, |v13|
	s_delay_alu instid0(VALU_DEP_3) | instskip(NEXT) | instid1(VALU_DEP_1)
	v_cndmask_b32_e32 v8, 0, v8, vcc_lo
	v_add_nc_u32_e32 v8, v12, v8
	s_delay_alu instid0(VALU_DEP_1) | instskip(NEXT) | instid1(VALU_DEP_1)
	v_bfe_i32 v8, v8, 0, 8
	v_mul_i32_i24_e32 v6, v6, v8
	s_delay_alu instid0(VALU_DEP_1) | instskip(NEXT) | instid1(VALU_DEP_1)
	v_sub_nc_u32_e32 v8, 0, v6
	v_max_i32_e32 v12, v6, v8
.LBB49_25:
	s_or_b32 exec_lo, exec_lo, s0
	v_bfe_i32 v8, v7, 0, 8
	v_and_b32_e32 v6, 0xff, v9
	s_mov_b32 s10, 0
	s_mov_b32 s0, exec_lo
	s_delay_alu instid0(VALU_DEP_2) | instskip(NEXT) | instid1(VALU_DEP_1)
	v_sub_nc_u16 v13, 0, v8
	v_max_i16 v14, v8, v13
	v_bfe_i32 v13, v9, 0, 8
	v_cmpx_ne_u16_e32 0, v6
	s_cbranch_execz .LBB49_29
; %bb.26:
	s_delay_alu instid0(VALU_DEP_2) | instskip(NEXT) | instid1(VALU_DEP_1)
	v_sub_nc_u16 v6, 0, v13
	v_max_i16 v15, v13, v6
	v_and_b32_e32 v6, 0xff, v14
	s_delay_alu instid0(VALU_DEP_2)
	v_and_b32_e32 v15, 0xffff, v15
.LBB49_27:                              ; =>This Inner Loop Header: Depth=1
	s_delay_alu instid0(VALU_DEP_2) | instskip(NEXT) | instid1(VALU_DEP_2)
	v_bfe_i32 v17, v6, 0, 8
	v_mov_b32_e32 v14, v15
	s_delay_alu instid0(VALU_DEP_2) | instskip(NEXT) | instid1(VALU_DEP_2)
	v_cvt_f32_i32_e32 v19, v17
	v_bfe_i32 v15, v14, 0, 8
	s_delay_alu instid0(VALU_DEP_1) | instskip(SKIP_1) | instid1(VALU_DEP_2)
	v_cvt_f32_i32_e32 v16, v15
	v_xor_b32_e32 v15, v17, v15
	v_rcp_iflag_f32_e32 v18, v16
	v_nop
	s_delay_alu instid0(TRANS32_DEP_1) | instskip(NEXT) | instid1(VALU_DEP_1)
	v_dual_ashrrev_i32 v15, 30, v15 :: v_dual_mul_f32 v17, v19, v18
	v_trunc_f32_e32 v17, v17
	s_delay_alu instid0(VALU_DEP_1) | instskip(SKIP_1) | instid1(VALU_DEP_2)
	v_dual_fma_f32 v18, -v17, v16, v19 :: v_dual_bitop2_b32 v15, 1, v15 bitop3:0x54
	v_cvt_i32_f32_e32 v17, v17
	v_cmp_ge_f32_e64 vcc_lo, |v18|, |v16|
	s_delay_alu instid0(VALU_DEP_3) | instskip(NEXT) | instid1(VALU_DEP_1)
	v_cndmask_b32_e32 v15, 0, v15, vcc_lo
	v_add_nc_u32_e32 v15, v17, v15
	s_delay_alu instid0(VALU_DEP_1) | instskip(NEXT) | instid1(VALU_DEP_1)
	v_mul_lo_u32 v15, v15, v14
	v_sub_nc_u32_e32 v6, v6, v15
	s_delay_alu instid0(VALU_DEP_1) | instskip(SKIP_1) | instid1(VALU_DEP_2)
	v_bfe_i32 v15, v6, 0, 8
	v_mov_b32_e32 v6, v14
	v_cmp_eq_u16_e32 vcc_lo, 0, v15
	v_and_b32_e32 v15, 0xffff, v15
	s_or_b32 s10, vcc_lo, s10
	s_delay_alu instid0(SALU_CYCLE_1)
	s_and_not1_b32 exec_lo, exec_lo, s10
	s_cbranch_execnz .LBB49_27
; %bb.28:
	s_or_b32 exec_lo, exec_lo, s10
.LBB49_29:
	s_delay_alu instid0(SALU_CYCLE_1) | instskip(SKIP_3) | instid1(VALU_DEP_2)
	s_or_b32 exec_lo, exec_lo, s0
	v_and_b32_e32 v15, 0xff, v14
	v_mov_b32_e32 v6, 0
	s_mov_b32 s0, exec_lo
	v_cmpx_ne_u16_e32 0, v15
	s_cbranch_execz .LBB49_31
; %bb.30:
	v_bfe_i32 v6, v14, 0, 8
	v_cvt_f32_i32_e32 v16, v13
	s_delay_alu instid0(VALU_DEP_2) | instskip(SKIP_1) | instid1(VALU_DEP_2)
	v_cvt_f32_i32_e32 v14, v6
	v_xor_b32_e32 v6, v13, v6
	v_rcp_iflag_f32_e32 v15, v14
	s_delay_alu instid0(VALU_DEP_1)
	v_ashrrev_i32_e32 v6, 30, v6
	s_delay_alu instid0(TRANS32_DEP_1) | instid1(VALU_DEP_1)
	v_dual_mul_f32 v15, v16, v15 :: v_dual_bitop2_b32 v6, 1, v6 bitop3:0x54
	s_delay_alu instid0(VALU_DEP_1) | instskip(NEXT) | instid1(VALU_DEP_1)
	v_trunc_f32_e32 v13, v15
	v_fma_f32 v15, -v13, v14, v16
	v_cvt_i32_f32_e32 v13, v13
	s_delay_alu instid0(VALU_DEP_2) | instskip(SKIP_1) | instid1(VALU_DEP_1)
	v_cmp_ge_f32_e64 vcc_lo, |v15|, |v14|
	v_cndmask_b32_e32 v6, 0, v6, vcc_lo
	v_add_nc_u32_e32 v6, v13, v6
	s_delay_alu instid0(VALU_DEP_1) | instskip(NEXT) | instid1(VALU_DEP_1)
	v_bfe_i32 v6, v6, 0, 8
	v_mul_i32_i24_e32 v6, v8, v6
	s_delay_alu instid0(VALU_DEP_1) | instskip(NEXT) | instid1(VALU_DEP_1)
	v_sub_nc_u32_e32 v8, 0, v6
	v_max_i32_e32 v6, v6, v8
.LBB49_31:
	s_or_b32 exec_lo, exec_lo, s0
	v_lshrrev_b32_e32 v8, 8, v7
	s_mov_b32 s10, 0
	s_mov_b32 s0, exec_lo
	s_delay_alu instid0(VALU_DEP_1) | instskip(SKIP_1) | instid1(VALU_DEP_2)
	v_bfe_i32 v13, v8, 0, 8
	v_lshrrev_b32_e32 v8, 8, v9
	v_sub_nc_u16 v14, 0, v13
	s_delay_alu instid0(VALU_DEP_2) | instskip(NEXT) | instid1(VALU_DEP_2)
	v_and_b32_e32 v8, 0xff, v8
	v_max_i16 v14, v13, v14
	s_delay_alu instid0(VALU_DEP_2)
	v_cmpx_ne_u16_e32 0, v8
	s_cbranch_execz .LBB49_35
; %bb.32:
	v_ashrrev_i16 v8, 8, v9
	s_delay_alu instid0(VALU_DEP_1) | instskip(NEXT) | instid1(VALU_DEP_1)
	v_sub_nc_u16 v15, 0, v8
	v_max_i16 v15, v8, v15
	v_and_b32_e32 v8, 0xff, v14
	s_delay_alu instid0(VALU_DEP_2)
	v_and_b32_e32 v15, 0xffff, v15
.LBB49_33:                              ; =>This Inner Loop Header: Depth=1
	s_delay_alu instid0(VALU_DEP_2) | instskip(NEXT) | instid1(VALU_DEP_2)
	v_bfe_i32 v17, v8, 0, 8
	v_mov_b32_e32 v14, v15
	s_delay_alu instid0(VALU_DEP_2) | instskip(NEXT) | instid1(VALU_DEP_2)
	v_cvt_f32_i32_e32 v19, v17
	v_bfe_i32 v15, v14, 0, 8
	s_delay_alu instid0(VALU_DEP_1) | instskip(SKIP_1) | instid1(VALU_DEP_2)
	v_cvt_f32_i32_e32 v16, v15
	v_xor_b32_e32 v15, v17, v15
	v_rcp_iflag_f32_e32 v18, v16
	v_nop
	s_delay_alu instid0(TRANS32_DEP_1) | instskip(NEXT) | instid1(VALU_DEP_1)
	v_dual_ashrrev_i32 v15, 30, v15 :: v_dual_mul_f32 v17, v19, v18
	v_trunc_f32_e32 v17, v17
	s_delay_alu instid0(VALU_DEP_1) | instskip(SKIP_1) | instid1(VALU_DEP_2)
	v_dual_fma_f32 v18, -v17, v16, v19 :: v_dual_bitop2_b32 v15, 1, v15 bitop3:0x54
	v_cvt_i32_f32_e32 v17, v17
	v_cmp_ge_f32_e64 vcc_lo, |v18|, |v16|
	s_delay_alu instid0(VALU_DEP_3) | instskip(NEXT) | instid1(VALU_DEP_1)
	v_cndmask_b32_e32 v15, 0, v15, vcc_lo
	v_add_nc_u32_e32 v15, v17, v15
	s_delay_alu instid0(VALU_DEP_1) | instskip(NEXT) | instid1(VALU_DEP_1)
	v_mul_lo_u32 v15, v15, v14
	v_sub_nc_u32_e32 v8, v8, v15
	s_delay_alu instid0(VALU_DEP_1) | instskip(SKIP_1) | instid1(VALU_DEP_2)
	v_bfe_i32 v15, v8, 0, 8
	v_mov_b32_e32 v8, v14
	v_cmp_eq_u16_e32 vcc_lo, 0, v15
	v_and_b32_e32 v15, 0xffff, v15
	s_or_b32 s10, vcc_lo, s10
	s_delay_alu instid0(SALU_CYCLE_1)
	s_and_not1_b32 exec_lo, exec_lo, s10
	s_cbranch_execnz .LBB49_33
; %bb.34:
	s_or_b32 exec_lo, exec_lo, s10
.LBB49_35:
	s_delay_alu instid0(SALU_CYCLE_1) | instskip(NEXT) | instid1(VALU_DEP_2)
	s_or_b32 exec_lo, exec_lo, s0
	v_and_b32_e32 v15, 0xff, v14
	v_mov_b32_e32 v8, 0
	s_mov_b32 s0, exec_lo
	s_delay_alu instid0(VALU_DEP_2)
	v_cmpx_ne_u16_e32 0, v15
	s_cbranch_execz .LBB49_37
; %bb.36:
	v_bfe_i32 v8, v14, 0, 8
	v_bfe_i32 v15, v9, 8, 8
	s_delay_alu instid0(VALU_DEP_2) | instskip(NEXT) | instid1(VALU_DEP_2)
	v_cvt_f32_i32_e32 v14, v8
	v_cvt_f32_i32_e32 v17, v15
	v_xor_b32_e32 v8, v15, v8
	s_delay_alu instid0(VALU_DEP_3) | instskip(SKIP_1) | instid1(TRANS32_DEP_1)
	v_rcp_iflag_f32_e32 v16, v14
	v_nop
	v_mul_f32_e32 v16, v17, v16
	s_delay_alu instid0(VALU_DEP_1) | instskip(NEXT) | instid1(VALU_DEP_1)
	v_trunc_f32_e32 v15, v16
	v_dual_fma_f32 v16, -v15, v14, v17 :: v_dual_ashrrev_i32 v8, 30, v8
	v_cvt_i32_f32_e32 v15, v15
	s_delay_alu instid0(VALU_DEP_2) | instskip(NEXT) | instid1(VALU_DEP_3)
	v_cmp_ge_f32_e64 vcc_lo, |v16|, |v14|
	v_or_b32_e32 v8, 1, v8
	s_delay_alu instid0(VALU_DEP_1) | instskip(NEXT) | instid1(VALU_DEP_1)
	v_cndmask_b32_e32 v8, 0, v8, vcc_lo
	v_add_nc_u32_e32 v8, v15, v8
	s_delay_alu instid0(VALU_DEP_1) | instskip(NEXT) | instid1(VALU_DEP_1)
	v_bfe_i32 v8, v8, 0, 8
	v_mul_i32_i24_e32 v8, v13, v8
	s_delay_alu instid0(VALU_DEP_1) | instskip(NEXT) | instid1(VALU_DEP_1)
	v_sub_nc_u32_e32 v13, 0, v8
	v_max_i32_e32 v8, v8, v13
.LBB49_37:
	s_or_b32 exec_lo, exec_lo, s0
	v_lshrrev_b32_e32 v13, 16, v7
	s_mov_b32 s10, 0
	s_mov_b32 s0, exec_lo
	s_delay_alu instid0(VALU_DEP_1) | instskip(SKIP_1) | instid1(VALU_DEP_2)
	v_bfe_i32 v14, v13, 0, 8
	v_lshrrev_b32_e32 v13, 16, v9
	v_sub_nc_u16 v15, 0, v14
	s_delay_alu instid0(VALU_DEP_2) | instskip(NEXT) | instid1(VALU_DEP_2)
	v_and_b32_e32 v16, 0xff, v13
	v_max_i16 v15, v14, v15
	s_delay_alu instid0(VALU_DEP_2)
	v_cmpx_ne_u16_e32 0, v16
	s_cbranch_execz .LBB49_41
; %bb.38:
	v_bfe_i32 v13, v13, 0, 8
	s_delay_alu instid0(VALU_DEP_1) | instskip(NEXT) | instid1(VALU_DEP_1)
	v_sub_nc_u16 v16, 0, v13
	v_max_i16 v16, v13, v16
	v_and_b32_e32 v13, 0xff, v15
	s_delay_alu instid0(VALU_DEP_2)
	v_and_b32_e32 v16, 0xffff, v16
.LBB49_39:                              ; =>This Inner Loop Header: Depth=1
	s_delay_alu instid0(VALU_DEP_2) | instskip(NEXT) | instid1(VALU_DEP_2)
	v_bfe_i32 v18, v13, 0, 8
	v_mov_b32_e32 v15, v16
	s_delay_alu instid0(VALU_DEP_2) | instskip(NEXT) | instid1(VALU_DEP_2)
	v_cvt_f32_i32_e32 v20, v18
	v_bfe_i32 v16, v15, 0, 8
	s_delay_alu instid0(VALU_DEP_1) | instskip(SKIP_1) | instid1(VALU_DEP_2)
	v_cvt_f32_i32_e32 v17, v16
	v_xor_b32_e32 v16, v18, v16
	v_rcp_iflag_f32_e32 v19, v17
	v_nop
	s_delay_alu instid0(TRANS32_DEP_1) | instskip(NEXT) | instid1(VALU_DEP_1)
	v_dual_ashrrev_i32 v16, 30, v16 :: v_dual_mul_f32 v18, v20, v19
	v_trunc_f32_e32 v18, v18
	s_delay_alu instid0(VALU_DEP_1) | instskip(SKIP_1) | instid1(VALU_DEP_2)
	v_dual_fma_f32 v19, -v18, v17, v20 :: v_dual_bitop2_b32 v16, 1, v16 bitop3:0x54
	v_cvt_i32_f32_e32 v18, v18
	v_cmp_ge_f32_e64 vcc_lo, |v19|, |v17|
	s_delay_alu instid0(VALU_DEP_3) | instskip(NEXT) | instid1(VALU_DEP_1)
	v_cndmask_b32_e32 v16, 0, v16, vcc_lo
	v_add_nc_u32_e32 v16, v18, v16
	s_delay_alu instid0(VALU_DEP_1) | instskip(NEXT) | instid1(VALU_DEP_1)
	v_mul_lo_u32 v16, v16, v15
	v_sub_nc_u32_e32 v13, v13, v16
	s_delay_alu instid0(VALU_DEP_1) | instskip(SKIP_1) | instid1(VALU_DEP_2)
	v_bfe_i32 v16, v13, 0, 8
	v_mov_b32_e32 v13, v15
	v_cmp_eq_u16_e32 vcc_lo, 0, v16
	v_and_b32_e32 v16, 0xffff, v16
	s_or_b32 s10, vcc_lo, s10
	s_delay_alu instid0(SALU_CYCLE_1)
	s_and_not1_b32 exec_lo, exec_lo, s10
	s_cbranch_execnz .LBB49_39
; %bb.40:
	s_or_b32 exec_lo, exec_lo, s10
.LBB49_41:
	s_delay_alu instid0(SALU_CYCLE_1) | instskip(NEXT) | instid1(VALU_DEP_2)
	s_or_b32 exec_lo, exec_lo, s0
	v_and_b32_e32 v16, 0xff, v15
	v_mov_b32_e32 v13, 0
	s_mov_b32 s0, exec_lo
	s_delay_alu instid0(VALU_DEP_2)
	v_cmpx_ne_u16_e32 0, v16
	s_cbranch_execz .LBB49_43
; %bb.42:
	v_bfe_i32 v13, v15, 0, 8
	v_bfe_i32 v16, v9, 16, 8
	s_delay_alu instid0(VALU_DEP_2) | instskip(NEXT) | instid1(VALU_DEP_2)
	v_cvt_f32_i32_e32 v15, v13
	v_cvt_f32_i32_e32 v18, v16
	v_xor_b32_e32 v13, v16, v13
	s_delay_alu instid0(VALU_DEP_3) | instskip(SKIP_1) | instid1(TRANS32_DEP_1)
	v_rcp_iflag_f32_e32 v17, v15
	v_nop
	v_mul_f32_e32 v17, v18, v17
	s_delay_alu instid0(VALU_DEP_1) | instskip(NEXT) | instid1(VALU_DEP_1)
	v_trunc_f32_e32 v16, v17
	v_dual_fma_f32 v17, -v16, v15, v18 :: v_dual_ashrrev_i32 v13, 30, v13
	v_cvt_i32_f32_e32 v16, v16
	s_delay_alu instid0(VALU_DEP_2) | instskip(NEXT) | instid1(VALU_DEP_3)
	v_cmp_ge_f32_e64 vcc_lo, |v17|, |v15|
	v_or_b32_e32 v13, 1, v13
	s_delay_alu instid0(VALU_DEP_1) | instskip(NEXT) | instid1(VALU_DEP_1)
	v_cndmask_b32_e32 v13, 0, v13, vcc_lo
	v_add_nc_u32_e32 v13, v16, v13
	s_delay_alu instid0(VALU_DEP_1) | instskip(NEXT) | instid1(VALU_DEP_1)
	v_bfe_i32 v13, v13, 0, 8
	v_mul_i32_i24_e32 v13, v14, v13
	s_delay_alu instid0(VALU_DEP_1) | instskip(NEXT) | instid1(VALU_DEP_1)
	v_sub_nc_u32_e32 v14, 0, v13
	v_max_i32_e32 v13, v13, v14
.LBB49_43:
	s_or_b32 exec_lo, exec_lo, s0
	v_lshrrev_b32_e32 v14, 24, v7
	s_mov_b32 s10, 0
	s_mov_b32 s0, exec_lo
	s_delay_alu instid0(VALU_DEP_1) | instskip(NEXT) | instid1(VALU_DEP_1)
	v_bfe_i32 v14, v14, 0, 8
	v_sub_nc_u16 v15, 0, v14
	s_delay_alu instid0(VALU_DEP_1)
	v_max_i16 v15, v14, v15
	v_cmpx_lt_u32_e32 0xffffff, v9
	s_cbranch_execz .LBB49_47
; %bb.44:
	v_lshrrev_b32_e32 v14, 24, v9
	s_delay_alu instid0(VALU_DEP_1) | instskip(NEXT) | instid1(VALU_DEP_1)
	v_bfe_i32 v14, v14, 0, 8
	v_sub_nc_u16 v16, 0, v14
	s_delay_alu instid0(VALU_DEP_1) | instskip(SKIP_1) | instid1(VALU_DEP_2)
	v_max_i16 v16, v14, v16
	v_and_b32_e32 v14, 0xff, v15
	v_and_b32_e32 v16, 0xffff, v16
.LBB49_45:                              ; =>This Inner Loop Header: Depth=1
	s_delay_alu instid0(VALU_DEP_2) | instskip(NEXT) | instid1(VALU_DEP_2)
	v_bfe_i32 v18, v14, 0, 8
	v_mov_b32_e32 v15, v16
	s_delay_alu instid0(VALU_DEP_2) | instskip(NEXT) | instid1(VALU_DEP_2)
	v_cvt_f32_i32_e32 v20, v18
	v_bfe_i32 v16, v15, 0, 8
	s_delay_alu instid0(VALU_DEP_1) | instskip(SKIP_1) | instid1(VALU_DEP_2)
	v_cvt_f32_i32_e32 v17, v16
	v_xor_b32_e32 v16, v18, v16
	v_rcp_iflag_f32_e32 v19, v17
	v_nop
	s_delay_alu instid0(TRANS32_DEP_1) | instskip(NEXT) | instid1(VALU_DEP_1)
	v_dual_ashrrev_i32 v16, 30, v16 :: v_dual_mul_f32 v18, v20, v19
	v_trunc_f32_e32 v18, v18
	s_delay_alu instid0(VALU_DEP_1) | instskip(SKIP_1) | instid1(VALU_DEP_2)
	v_dual_fma_f32 v19, -v18, v17, v20 :: v_dual_bitop2_b32 v16, 1, v16 bitop3:0x54
	v_cvt_i32_f32_e32 v18, v18
	v_cmp_ge_f32_e64 vcc_lo, |v19|, |v17|
	s_delay_alu instid0(VALU_DEP_3) | instskip(NEXT) | instid1(VALU_DEP_1)
	v_cndmask_b32_e32 v16, 0, v16, vcc_lo
	v_add_nc_u32_e32 v16, v18, v16
	s_delay_alu instid0(VALU_DEP_1) | instskip(NEXT) | instid1(VALU_DEP_1)
	v_mul_lo_u32 v16, v16, v15
	v_sub_nc_u32_e32 v14, v14, v16
	s_delay_alu instid0(VALU_DEP_1) | instskip(SKIP_1) | instid1(VALU_DEP_2)
	v_bfe_i32 v16, v14, 0, 8
	v_mov_b32_e32 v14, v15
	v_cmp_eq_u16_e32 vcc_lo, 0, v16
	v_and_b32_e32 v16, 0xffff, v16
	s_or_b32 s10, vcc_lo, s10
	s_delay_alu instid0(SALU_CYCLE_1)
	s_and_not1_b32 exec_lo, exec_lo, s10
	s_cbranch_execnz .LBB49_45
; %bb.46:
	s_or_b32 exec_lo, exec_lo, s10
.LBB49_47:
	s_delay_alu instid0(SALU_CYCLE_1) | instskip(NEXT) | instid1(VALU_DEP_2)
	s_or_b32 exec_lo, exec_lo, s0
	v_and_b32_e32 v16, 0xff, v15
	v_mov_b32_e32 v14, 0
	s_mov_b32 s0, exec_lo
	s_delay_alu instid0(VALU_DEP_2)
	v_cmpx_ne_u16_e32 0, v16
	s_cbranch_execz .LBB49_49
; %bb.48:
	v_bfe_i32 v14, v15, 0, 8
	v_ashrrev_i32_e32 v7, 24, v7
	s_delay_alu instid0(VALU_DEP_2) | instskip(NEXT) | instid1(VALU_DEP_1)
	v_cvt_f32_i32_e32 v15, v14
	v_rcp_iflag_f32_e32 v16, v15
	v_ashrrev_i32_e32 v9, 24, v9
	s_delay_alu instid0(VALU_DEP_1)
	v_cvt_f32_i32_e32 v17, v9
	s_delay_alu instid0(TRANS32_DEP_1) | instid1(VALU_DEP_1)
	v_mul_f32_e32 v16, v17, v16
	v_xor_b32_e32 v9, v9, v14
	s_delay_alu instid0(VALU_DEP_2) | instskip(NEXT) | instid1(VALU_DEP_1)
	v_trunc_f32_e32 v14, v16
	v_dual_fma_f32 v16, -v14, v15, v17 :: v_dual_ashrrev_i32 v9, 30, v9
	v_cvt_i32_f32_e32 v14, v14
	s_delay_alu instid0(VALU_DEP_2) | instskip(NEXT) | instid1(VALU_DEP_3)
	v_cmp_ge_f32_e64 vcc_lo, |v16|, |v15|
	v_or_b32_e32 v9, 1, v9
	s_delay_alu instid0(VALU_DEP_1) | instskip(NEXT) | instid1(VALU_DEP_1)
	v_cndmask_b32_e32 v9, 0, v9, vcc_lo
	v_add_nc_u32_e32 v9, v14, v9
	s_delay_alu instid0(VALU_DEP_1) | instskip(NEXT) | instid1(VALU_DEP_1)
	v_bfe_i32 v9, v9, 0, 8
	v_mul_i32_i24_e32 v7, v7, v9
	s_delay_alu instid0(VALU_DEP_1) | instskip(NEXT) | instid1(VALU_DEP_1)
	v_sub_nc_u32_e32 v9, 0, v7
	v_max_i32_e32 v14, v7, v9
.LBB49_49:
	s_or_b32 exec_lo, exec_lo, s0
	s_wait_loadcnt 0x0
	v_bfe_i32 v9, v2, 0, 8
	v_and_b32_e32 v7, 0xff, v4
	s_mov_b32 s10, 0
	s_mov_b32 s0, exec_lo
	s_delay_alu instid0(VALU_DEP_2) | instskip(NEXT) | instid1(VALU_DEP_1)
	v_sub_nc_u16 v15, 0, v9
	v_max_i16 v16, v9, v15
	v_bfe_i32 v15, v4, 0, 8
	v_cmpx_ne_u16_e32 0, v7
	s_cbranch_execz .LBB49_53
; %bb.50:
	s_delay_alu instid0(VALU_DEP_2) | instskip(NEXT) | instid1(VALU_DEP_1)
	v_sub_nc_u16 v7, 0, v15
	v_max_i16 v17, v15, v7
	v_and_b32_e32 v7, 0xff, v16
	s_delay_alu instid0(VALU_DEP_2)
	v_and_b32_e32 v17, 0xffff, v17
.LBB49_51:                              ; =>This Inner Loop Header: Depth=1
	s_delay_alu instid0(VALU_DEP_2) | instskip(NEXT) | instid1(VALU_DEP_2)
	v_bfe_i32 v19, v7, 0, 8
	v_mov_b32_e32 v16, v17
	s_delay_alu instid0(VALU_DEP_2) | instskip(NEXT) | instid1(VALU_DEP_2)
	v_cvt_f32_i32_e32 v21, v19
	v_bfe_i32 v17, v16, 0, 8
	s_delay_alu instid0(VALU_DEP_1) | instskip(SKIP_1) | instid1(VALU_DEP_2)
	v_cvt_f32_i32_e32 v18, v17
	v_xor_b32_e32 v17, v19, v17
	v_rcp_iflag_f32_e32 v20, v18
	v_nop
	s_delay_alu instid0(TRANS32_DEP_1) | instskip(NEXT) | instid1(VALU_DEP_1)
	v_dual_ashrrev_i32 v17, 30, v17 :: v_dual_mul_f32 v19, v21, v20
	v_trunc_f32_e32 v19, v19
	s_delay_alu instid0(VALU_DEP_1) | instskip(SKIP_1) | instid1(VALU_DEP_2)
	v_dual_fma_f32 v20, -v19, v18, v21 :: v_dual_bitop2_b32 v17, 1, v17 bitop3:0x54
	v_cvt_i32_f32_e32 v19, v19
	v_cmp_ge_f32_e64 vcc_lo, |v20|, |v18|
	s_delay_alu instid0(VALU_DEP_3) | instskip(NEXT) | instid1(VALU_DEP_1)
	v_cndmask_b32_e32 v17, 0, v17, vcc_lo
	v_add_nc_u32_e32 v17, v19, v17
	s_delay_alu instid0(VALU_DEP_1) | instskip(NEXT) | instid1(VALU_DEP_1)
	v_mul_lo_u32 v17, v17, v16
	v_sub_nc_u32_e32 v7, v7, v17
	s_delay_alu instid0(VALU_DEP_1) | instskip(SKIP_1) | instid1(VALU_DEP_2)
	v_bfe_i32 v17, v7, 0, 8
	v_mov_b32_e32 v7, v16
	v_cmp_eq_u16_e32 vcc_lo, 0, v17
	v_and_b32_e32 v17, 0xffff, v17
	s_or_b32 s10, vcc_lo, s10
	s_delay_alu instid0(SALU_CYCLE_1)
	s_and_not1_b32 exec_lo, exec_lo, s10
	s_cbranch_execnz .LBB49_51
; %bb.52:
	s_or_b32 exec_lo, exec_lo, s10
.LBB49_53:
	s_delay_alu instid0(SALU_CYCLE_1) | instskip(SKIP_3) | instid1(VALU_DEP_2)
	s_or_b32 exec_lo, exec_lo, s0
	v_and_b32_e32 v17, 0xff, v16
	v_mov_b32_e32 v7, 0
	s_mov_b32 s0, exec_lo
	v_cmpx_ne_u16_e32 0, v17
	s_cbranch_execz .LBB49_55
; %bb.54:
	v_bfe_i32 v7, v16, 0, 8
	v_cvt_f32_i32_e32 v18, v15
	s_delay_alu instid0(VALU_DEP_2) | instskip(SKIP_1) | instid1(VALU_DEP_2)
	v_cvt_f32_i32_e32 v16, v7
	v_xor_b32_e32 v7, v15, v7
	v_rcp_iflag_f32_e32 v17, v16
	v_nop
	s_delay_alu instid0(TRANS32_DEP_1) | instskip(NEXT) | instid1(VALU_DEP_1)
	v_mul_f32_e32 v17, v18, v17
	v_trunc_f32_e32 v15, v17
	s_delay_alu instid0(VALU_DEP_1) | instskip(NEXT) | instid1(VALU_DEP_1)
	v_dual_ashrrev_i32 v7, 30, v7 :: v_dual_fma_f32 v17, -v15, v16, v18
	v_or_b32_e32 v7, 1, v7
	v_cvt_i32_f32_e32 v15, v15
	s_delay_alu instid0(VALU_DEP_3) | instskip(NEXT) | instid1(VALU_DEP_3)
	v_cmp_ge_f32_e64 vcc_lo, |v17|, |v16|
	v_cndmask_b32_e32 v7, 0, v7, vcc_lo
	s_delay_alu instid0(VALU_DEP_1) | instskip(NEXT) | instid1(VALU_DEP_1)
	v_add_nc_u32_e32 v7, v15, v7
	v_bfe_i32 v7, v7, 0, 8
	s_delay_alu instid0(VALU_DEP_1) | instskip(NEXT) | instid1(VALU_DEP_1)
	v_mul_i32_i24_e32 v7, v9, v7
	v_sub_nc_u32_e32 v9, 0, v7
	s_delay_alu instid0(VALU_DEP_1)
	v_max_i32_e32 v7, v7, v9
.LBB49_55:
	s_or_b32 exec_lo, exec_lo, s0
	v_lshrrev_b32_e32 v9, 8, v2
	s_mov_b32 s10, 0
	s_mov_b32 s0, exec_lo
	s_delay_alu instid0(VALU_DEP_1) | instskip(SKIP_1) | instid1(VALU_DEP_2)
	v_bfe_i32 v15, v9, 0, 8
	v_lshrrev_b32_e32 v9, 8, v4
	v_sub_nc_u16 v16, 0, v15
	s_delay_alu instid0(VALU_DEP_2) | instskip(NEXT) | instid1(VALU_DEP_2)
	v_and_b32_e32 v9, 0xff, v9
	v_max_i16 v16, v15, v16
	s_delay_alu instid0(VALU_DEP_2)
	v_cmpx_ne_u16_e32 0, v9
	s_cbranch_execz .LBB49_59
; %bb.56:
	v_ashrrev_i16 v9, 8, v4
	s_delay_alu instid0(VALU_DEP_1) | instskip(NEXT) | instid1(VALU_DEP_1)
	v_sub_nc_u16 v17, 0, v9
	v_max_i16 v17, v9, v17
	v_and_b32_e32 v9, 0xff, v16
	s_delay_alu instid0(VALU_DEP_2)
	v_and_b32_e32 v17, 0xffff, v17
.LBB49_57:                              ; =>This Inner Loop Header: Depth=1
	s_delay_alu instid0(VALU_DEP_2) | instskip(NEXT) | instid1(VALU_DEP_2)
	v_bfe_i32 v19, v9, 0, 8
	v_mov_b32_e32 v16, v17
	s_delay_alu instid0(VALU_DEP_2) | instskip(NEXT) | instid1(VALU_DEP_2)
	v_cvt_f32_i32_e32 v21, v19
	v_bfe_i32 v17, v16, 0, 8
	s_delay_alu instid0(VALU_DEP_1) | instskip(SKIP_1) | instid1(VALU_DEP_2)
	v_cvt_f32_i32_e32 v18, v17
	v_xor_b32_e32 v17, v19, v17
	v_rcp_iflag_f32_e32 v20, v18
	v_nop
	s_delay_alu instid0(TRANS32_DEP_1) | instskip(NEXT) | instid1(VALU_DEP_1)
	v_dual_ashrrev_i32 v17, 30, v17 :: v_dual_mul_f32 v19, v21, v20
	v_trunc_f32_e32 v19, v19
	s_delay_alu instid0(VALU_DEP_1) | instskip(SKIP_1) | instid1(VALU_DEP_2)
	v_dual_fma_f32 v20, -v19, v18, v21 :: v_dual_bitop2_b32 v17, 1, v17 bitop3:0x54
	v_cvt_i32_f32_e32 v19, v19
	v_cmp_ge_f32_e64 vcc_lo, |v20|, |v18|
	s_delay_alu instid0(VALU_DEP_3) | instskip(NEXT) | instid1(VALU_DEP_1)
	v_cndmask_b32_e32 v17, 0, v17, vcc_lo
	v_add_nc_u32_e32 v17, v19, v17
	s_delay_alu instid0(VALU_DEP_1) | instskip(NEXT) | instid1(VALU_DEP_1)
	v_mul_lo_u32 v17, v17, v16
	v_sub_nc_u32_e32 v9, v9, v17
	s_delay_alu instid0(VALU_DEP_1) | instskip(SKIP_1) | instid1(VALU_DEP_2)
	v_bfe_i32 v17, v9, 0, 8
	v_mov_b32_e32 v9, v16
	v_cmp_eq_u16_e32 vcc_lo, 0, v17
	v_and_b32_e32 v17, 0xffff, v17
	s_or_b32 s10, vcc_lo, s10
	s_delay_alu instid0(SALU_CYCLE_1)
	s_and_not1_b32 exec_lo, exec_lo, s10
	s_cbranch_execnz .LBB49_57
; %bb.58:
	s_or_b32 exec_lo, exec_lo, s10
.LBB49_59:
	s_delay_alu instid0(SALU_CYCLE_1) | instskip(NEXT) | instid1(VALU_DEP_2)
	s_or_b32 exec_lo, exec_lo, s0
	v_and_b32_e32 v17, 0xff, v16
	v_mov_b32_e32 v9, 0
	s_mov_b32 s0, exec_lo
	s_delay_alu instid0(VALU_DEP_2)
	v_cmpx_ne_u16_e32 0, v17
	s_cbranch_execz .LBB49_61
; %bb.60:
	v_bfe_i32 v9, v16, 0, 8
	v_bfe_i32 v17, v4, 8, 8
	s_delay_alu instid0(VALU_DEP_2) | instskip(NEXT) | instid1(VALU_DEP_2)
	v_cvt_f32_i32_e32 v16, v9
	v_cvt_f32_i32_e32 v19, v17
	v_xor_b32_e32 v9, v17, v9
	s_delay_alu instid0(VALU_DEP_3) | instskip(SKIP_1) | instid1(TRANS32_DEP_1)
	v_rcp_iflag_f32_e32 v18, v16
	v_nop
	v_mul_f32_e32 v18, v19, v18
	s_delay_alu instid0(VALU_DEP_1) | instskip(NEXT) | instid1(VALU_DEP_1)
	v_trunc_f32_e32 v17, v18
	v_dual_ashrrev_i32 v9, 30, v9 :: v_dual_fma_f32 v18, -v17, v16, v19
	s_delay_alu instid0(VALU_DEP_1) | instskip(SKIP_1) | instid1(VALU_DEP_3)
	v_or_b32_e32 v9, 1, v9
	v_cvt_i32_f32_e32 v17, v17
	v_cmp_ge_f32_e64 vcc_lo, |v18|, |v16|
	s_delay_alu instid0(VALU_DEP_3) | instskip(NEXT) | instid1(VALU_DEP_1)
	v_cndmask_b32_e32 v9, 0, v9, vcc_lo
	v_add_nc_u32_e32 v9, v17, v9
	s_delay_alu instid0(VALU_DEP_1) | instskip(NEXT) | instid1(VALU_DEP_1)
	v_bfe_i32 v9, v9, 0, 8
	v_mul_i32_i24_e32 v9, v15, v9
	s_delay_alu instid0(VALU_DEP_1) | instskip(NEXT) | instid1(VALU_DEP_1)
	v_sub_nc_u32_e32 v15, 0, v9
	v_max_i32_e32 v9, v9, v15
.LBB49_61:
	s_or_b32 exec_lo, exec_lo, s0
	v_lshrrev_b32_e32 v15, 16, v2
	s_mov_b32 s10, 0
	s_mov_b32 s0, exec_lo
	s_delay_alu instid0(VALU_DEP_1) | instskip(SKIP_1) | instid1(VALU_DEP_2)
	v_bfe_i32 v16, v15, 0, 8
	v_lshrrev_b32_e32 v15, 16, v4
	v_sub_nc_u16 v17, 0, v16
	s_delay_alu instid0(VALU_DEP_2) | instskip(NEXT) | instid1(VALU_DEP_2)
	v_and_b32_e32 v18, 0xff, v15
	v_max_i16 v17, v16, v17
	s_delay_alu instid0(VALU_DEP_2)
	v_cmpx_ne_u16_e32 0, v18
	s_cbranch_execz .LBB49_65
; %bb.62:
	v_bfe_i32 v15, v15, 0, 8
	s_delay_alu instid0(VALU_DEP_1) | instskip(NEXT) | instid1(VALU_DEP_1)
	v_sub_nc_u16 v18, 0, v15
	v_max_i16 v18, v15, v18
	v_and_b32_e32 v15, 0xff, v17
	s_delay_alu instid0(VALU_DEP_2)
	v_and_b32_e32 v18, 0xffff, v18
.LBB49_63:                              ; =>This Inner Loop Header: Depth=1
	s_delay_alu instid0(VALU_DEP_2) | instskip(NEXT) | instid1(VALU_DEP_2)
	v_bfe_i32 v20, v15, 0, 8
	v_mov_b32_e32 v17, v18
	s_delay_alu instid0(VALU_DEP_2) | instskip(NEXT) | instid1(VALU_DEP_2)
	v_cvt_f32_i32_e32 v22, v20
	v_bfe_i32 v18, v17, 0, 8
	s_delay_alu instid0(VALU_DEP_1) | instskip(SKIP_1) | instid1(VALU_DEP_2)
	v_cvt_f32_i32_e32 v19, v18
	v_xor_b32_e32 v18, v20, v18
	v_rcp_iflag_f32_e32 v21, v19
	v_nop
	s_delay_alu instid0(TRANS32_DEP_1) | instskip(NEXT) | instid1(VALU_DEP_1)
	v_dual_ashrrev_i32 v18, 30, v18 :: v_dual_mul_f32 v20, v22, v21
	v_trunc_f32_e32 v20, v20
	s_delay_alu instid0(VALU_DEP_1) | instskip(SKIP_1) | instid1(VALU_DEP_2)
	v_dual_fma_f32 v21, -v20, v19, v22 :: v_dual_bitop2_b32 v18, 1, v18 bitop3:0x54
	v_cvt_i32_f32_e32 v20, v20
	v_cmp_ge_f32_e64 vcc_lo, |v21|, |v19|
	s_delay_alu instid0(VALU_DEP_3) | instskip(NEXT) | instid1(VALU_DEP_1)
	v_cndmask_b32_e32 v18, 0, v18, vcc_lo
	v_add_nc_u32_e32 v18, v20, v18
	s_delay_alu instid0(VALU_DEP_1) | instskip(NEXT) | instid1(VALU_DEP_1)
	v_mul_lo_u32 v18, v18, v17
	v_sub_nc_u32_e32 v15, v15, v18
	s_delay_alu instid0(VALU_DEP_1) | instskip(SKIP_1) | instid1(VALU_DEP_2)
	v_bfe_i32 v18, v15, 0, 8
	v_mov_b32_e32 v15, v17
	v_cmp_eq_u16_e32 vcc_lo, 0, v18
	v_and_b32_e32 v18, 0xffff, v18
	s_or_b32 s10, vcc_lo, s10
	s_delay_alu instid0(SALU_CYCLE_1)
	s_and_not1_b32 exec_lo, exec_lo, s10
	s_cbranch_execnz .LBB49_63
; %bb.64:
	s_or_b32 exec_lo, exec_lo, s10
.LBB49_65:
	s_delay_alu instid0(SALU_CYCLE_1) | instskip(NEXT) | instid1(VALU_DEP_2)
	s_or_b32 exec_lo, exec_lo, s0
	v_and_b32_e32 v18, 0xff, v17
	v_mov_b32_e32 v15, 0
	s_mov_b32 s0, exec_lo
	s_delay_alu instid0(VALU_DEP_2)
	v_cmpx_ne_u16_e32 0, v18
	s_cbranch_execz .LBB49_67
; %bb.66:
	v_bfe_i32 v15, v17, 0, 8
	v_bfe_i32 v18, v4, 16, 8
	s_delay_alu instid0(VALU_DEP_2) | instskip(NEXT) | instid1(VALU_DEP_2)
	v_cvt_f32_i32_e32 v17, v15
	v_cvt_f32_i32_e32 v20, v18
	v_xor_b32_e32 v15, v18, v15
	s_delay_alu instid0(VALU_DEP_3) | instskip(SKIP_1) | instid1(TRANS32_DEP_1)
	v_rcp_iflag_f32_e32 v19, v17
	v_nop
	v_mul_f32_e32 v19, v20, v19
	s_delay_alu instid0(VALU_DEP_1) | instskip(NEXT) | instid1(VALU_DEP_1)
	v_trunc_f32_e32 v18, v19
	v_dual_fma_f32 v19, -v18, v17, v20 :: v_dual_ashrrev_i32 v15, 30, v15
	v_cvt_i32_f32_e32 v18, v18
	s_delay_alu instid0(VALU_DEP_2) | instskip(NEXT) | instid1(VALU_DEP_3)
	v_cmp_ge_f32_e64 vcc_lo, |v19|, |v17|
	v_or_b32_e32 v15, 1, v15
	s_delay_alu instid0(VALU_DEP_1) | instskip(NEXT) | instid1(VALU_DEP_1)
	v_cndmask_b32_e32 v15, 0, v15, vcc_lo
	v_add_nc_u32_e32 v15, v18, v15
	s_delay_alu instid0(VALU_DEP_1) | instskip(NEXT) | instid1(VALU_DEP_1)
	v_bfe_i32 v15, v15, 0, 8
	v_mul_i32_i24_e32 v15, v16, v15
	s_delay_alu instid0(VALU_DEP_1) | instskip(NEXT) | instid1(VALU_DEP_1)
	v_sub_nc_u32_e32 v16, 0, v15
	v_max_i32_e32 v15, v15, v16
.LBB49_67:
	s_or_b32 exec_lo, exec_lo, s0
	v_lshrrev_b32_e32 v16, 24, v2
	s_mov_b32 s10, 0
	s_mov_b32 s0, exec_lo
	s_delay_alu instid0(VALU_DEP_1) | instskip(NEXT) | instid1(VALU_DEP_1)
	v_bfe_i32 v16, v16, 0, 8
	v_sub_nc_u16 v17, 0, v16
	s_delay_alu instid0(VALU_DEP_1)
	v_max_i16 v17, v16, v17
	v_cmpx_lt_u32_e32 0xffffff, v4
	s_cbranch_execz .LBB49_71
; %bb.68:
	v_lshrrev_b32_e32 v16, 24, v4
	s_delay_alu instid0(VALU_DEP_1) | instskip(NEXT) | instid1(VALU_DEP_1)
	v_bfe_i32 v16, v16, 0, 8
	v_sub_nc_u16 v18, 0, v16
	s_delay_alu instid0(VALU_DEP_1) | instskip(SKIP_1) | instid1(VALU_DEP_2)
	v_max_i16 v18, v16, v18
	v_and_b32_e32 v16, 0xff, v17
	v_and_b32_e32 v18, 0xffff, v18
.LBB49_69:                              ; =>This Inner Loop Header: Depth=1
	s_delay_alu instid0(VALU_DEP_2) | instskip(NEXT) | instid1(VALU_DEP_2)
	v_bfe_i32 v20, v16, 0, 8
	v_mov_b32_e32 v17, v18
	s_delay_alu instid0(VALU_DEP_2) | instskip(NEXT) | instid1(VALU_DEP_2)
	v_cvt_f32_i32_e32 v22, v20
	v_bfe_i32 v18, v17, 0, 8
	s_delay_alu instid0(VALU_DEP_1) | instskip(SKIP_1) | instid1(VALU_DEP_2)
	v_cvt_f32_i32_e32 v19, v18
	v_xor_b32_e32 v18, v20, v18
	v_rcp_iflag_f32_e32 v21, v19
	v_nop
	s_delay_alu instid0(TRANS32_DEP_1) | instskip(NEXT) | instid1(VALU_DEP_1)
	v_dual_ashrrev_i32 v18, 30, v18 :: v_dual_mul_f32 v20, v22, v21
	v_trunc_f32_e32 v20, v20
	s_delay_alu instid0(VALU_DEP_1) | instskip(SKIP_1) | instid1(VALU_DEP_2)
	v_dual_fma_f32 v21, -v20, v19, v22 :: v_dual_bitop2_b32 v18, 1, v18 bitop3:0x54
	v_cvt_i32_f32_e32 v20, v20
	v_cmp_ge_f32_e64 vcc_lo, |v21|, |v19|
	s_delay_alu instid0(VALU_DEP_3) | instskip(NEXT) | instid1(VALU_DEP_1)
	v_cndmask_b32_e32 v18, 0, v18, vcc_lo
	v_add_nc_u32_e32 v18, v20, v18
	s_delay_alu instid0(VALU_DEP_1) | instskip(NEXT) | instid1(VALU_DEP_1)
	v_mul_lo_u32 v18, v18, v17
	v_sub_nc_u32_e32 v16, v16, v18
	s_delay_alu instid0(VALU_DEP_1) | instskip(SKIP_1) | instid1(VALU_DEP_2)
	v_bfe_i32 v18, v16, 0, 8
	v_mov_b32_e32 v16, v17
	v_cmp_eq_u16_e32 vcc_lo, 0, v18
	v_and_b32_e32 v18, 0xffff, v18
	s_or_b32 s10, vcc_lo, s10
	s_delay_alu instid0(SALU_CYCLE_1)
	s_and_not1_b32 exec_lo, exec_lo, s10
	s_cbranch_execnz .LBB49_69
; %bb.70:
	s_or_b32 exec_lo, exec_lo, s10
.LBB49_71:
	s_delay_alu instid0(SALU_CYCLE_1) | instskip(NEXT) | instid1(VALU_DEP_2)
	s_or_b32 exec_lo, exec_lo, s0
	v_and_b32_e32 v18, 0xff, v17
	v_mov_b32_e32 v16, 0
	s_mov_b32 s0, exec_lo
	s_delay_alu instid0(VALU_DEP_2)
	v_cmpx_ne_u16_e32 0, v18
	s_cbranch_execz .LBB49_73
; %bb.72:
	v_bfe_i32 v16, v17, 0, 8
	v_ashrrev_i32_e32 v2, 24, v2
	s_delay_alu instid0(VALU_DEP_2) | instskip(NEXT) | instid1(VALU_DEP_1)
	v_cvt_f32_i32_e32 v17, v16
	v_rcp_iflag_f32_e32 v18, v17
	v_ashrrev_i32_e32 v4, 24, v4
	s_delay_alu instid0(VALU_DEP_1)
	v_cvt_f32_i32_e32 v19, v4
	s_delay_alu instid0(TRANS32_DEP_1) | instid1(VALU_DEP_1)
	v_dual_mul_f32 v18, v19, v18 :: v_dual_bitop2_b32 v4, v4, v16 bitop3:0x14
	s_delay_alu instid0(VALU_DEP_1) | instskip(NEXT) | instid1(VALU_DEP_1)
	v_trunc_f32_e32 v16, v18
	v_dual_ashrrev_i32 v4, 30, v4 :: v_dual_fma_f32 v18, -v16, v17, v19
	s_delay_alu instid0(VALU_DEP_1) | instskip(SKIP_1) | instid1(VALU_DEP_3)
	v_or_b32_e32 v4, 1, v4
	v_cvt_i32_f32_e32 v16, v16
	v_cmp_ge_f32_e64 vcc_lo, |v18|, |v17|
	s_delay_alu instid0(VALU_DEP_3) | instskip(NEXT) | instid1(VALU_DEP_1)
	v_cndmask_b32_e32 v4, 0, v4, vcc_lo
	v_add_nc_u32_e32 v4, v16, v4
	s_delay_alu instid0(VALU_DEP_1) | instskip(NEXT) | instid1(VALU_DEP_1)
	v_bfe_i32 v4, v4, 0, 8
	v_mul_i32_i24_e32 v2, v2, v4
	s_delay_alu instid0(VALU_DEP_1) | instskip(NEXT) | instid1(VALU_DEP_1)
	v_sub_nc_u32_e32 v4, 0, v2
	v_max_i32_e32 v16, v2, v4
.LBB49_73:
	s_or_b32 exec_lo, exec_lo, s0
	v_bfe_i32 v4, v3, 0, 8
	v_and_b32_e32 v2, 0xff, v5
	s_mov_b32 s10, 0
	s_mov_b32 s0, exec_lo
	s_delay_alu instid0(VALU_DEP_2) | instskip(NEXT) | instid1(VALU_DEP_1)
	v_sub_nc_u16 v17, 0, v4
	v_max_i16 v18, v4, v17
	v_bfe_i32 v17, v5, 0, 8
	v_cmpx_ne_u16_e32 0, v2
	s_cbranch_execz .LBB49_77
; %bb.74:
	s_delay_alu instid0(VALU_DEP_2) | instskip(NEXT) | instid1(VALU_DEP_1)
	v_sub_nc_u16 v2, 0, v17
	v_max_i16 v19, v17, v2
	v_and_b32_e32 v2, 0xff, v18
	s_delay_alu instid0(VALU_DEP_2)
	v_and_b32_e32 v19, 0xffff, v19
.LBB49_75:                              ; =>This Inner Loop Header: Depth=1
	s_delay_alu instid0(VALU_DEP_2) | instskip(NEXT) | instid1(VALU_DEP_2)
	v_bfe_i32 v21, v2, 0, 8
	v_mov_b32_e32 v18, v19
	s_delay_alu instid0(VALU_DEP_2) | instskip(NEXT) | instid1(VALU_DEP_2)
	v_cvt_f32_i32_e32 v23, v21
	v_bfe_i32 v19, v18, 0, 8
	s_delay_alu instid0(VALU_DEP_1) | instskip(SKIP_1) | instid1(VALU_DEP_2)
	v_cvt_f32_i32_e32 v20, v19
	v_xor_b32_e32 v19, v21, v19
	v_rcp_iflag_f32_e32 v22, v20
	v_nop
	s_delay_alu instid0(TRANS32_DEP_1) | instskip(NEXT) | instid1(VALU_DEP_1)
	v_dual_ashrrev_i32 v19, 30, v19 :: v_dual_mul_f32 v21, v23, v22
	v_trunc_f32_e32 v21, v21
	s_delay_alu instid0(VALU_DEP_1) | instskip(SKIP_1) | instid1(VALU_DEP_2)
	v_dual_fma_f32 v22, -v21, v20, v23 :: v_dual_bitop2_b32 v19, 1, v19 bitop3:0x54
	v_cvt_i32_f32_e32 v21, v21
	v_cmp_ge_f32_e64 vcc_lo, |v22|, |v20|
	s_delay_alu instid0(VALU_DEP_3) | instskip(NEXT) | instid1(VALU_DEP_1)
	v_cndmask_b32_e32 v19, 0, v19, vcc_lo
	v_add_nc_u32_e32 v19, v21, v19
	s_delay_alu instid0(VALU_DEP_1) | instskip(NEXT) | instid1(VALU_DEP_1)
	v_mul_lo_u32 v19, v19, v18
	v_sub_nc_u32_e32 v2, v2, v19
	s_delay_alu instid0(VALU_DEP_1) | instskip(SKIP_1) | instid1(VALU_DEP_2)
	v_bfe_i32 v19, v2, 0, 8
	v_mov_b32_e32 v2, v18
	v_cmp_eq_u16_e32 vcc_lo, 0, v19
	v_and_b32_e32 v19, 0xffff, v19
	s_or_b32 s10, vcc_lo, s10
	s_delay_alu instid0(SALU_CYCLE_1)
	s_and_not1_b32 exec_lo, exec_lo, s10
	s_cbranch_execnz .LBB49_75
; %bb.76:
	s_or_b32 exec_lo, exec_lo, s10
.LBB49_77:
	s_delay_alu instid0(SALU_CYCLE_1) | instskip(SKIP_3) | instid1(VALU_DEP_2)
	s_or_b32 exec_lo, exec_lo, s0
	v_and_b32_e32 v19, 0xff, v18
	v_mov_b32_e32 v2, 0
	s_mov_b32 s0, exec_lo
	v_cmpx_ne_u16_e32 0, v19
	s_cbranch_execz .LBB49_79
; %bb.78:
	v_bfe_i32 v2, v18, 0, 8
	v_cvt_f32_i32_e32 v20, v17
	s_delay_alu instid0(VALU_DEP_2) | instskip(SKIP_1) | instid1(VALU_DEP_2)
	v_cvt_f32_i32_e32 v18, v2
	v_xor_b32_e32 v2, v17, v2
	v_rcp_iflag_f32_e32 v19, v18
	s_delay_alu instid0(VALU_DEP_1)
	v_ashrrev_i32_e32 v2, 30, v2
	s_delay_alu instid0(TRANS32_DEP_1) | instid1(VALU_DEP_1)
	v_dual_mul_f32 v19, v20, v19 :: v_dual_bitop2_b32 v2, 1, v2 bitop3:0x54
	s_delay_alu instid0(VALU_DEP_1) | instskip(NEXT) | instid1(VALU_DEP_1)
	v_trunc_f32_e32 v17, v19
	v_fma_f32 v19, -v17, v18, v20
	v_cvt_i32_f32_e32 v17, v17
	s_delay_alu instid0(VALU_DEP_2) | instskip(SKIP_1) | instid1(VALU_DEP_1)
	v_cmp_ge_f32_e64 vcc_lo, |v19|, |v18|
	v_cndmask_b32_e32 v2, 0, v2, vcc_lo
	v_add_nc_u32_e32 v2, v17, v2
	s_delay_alu instid0(VALU_DEP_1) | instskip(NEXT) | instid1(VALU_DEP_1)
	v_bfe_i32 v2, v2, 0, 8
	v_mul_i32_i24_e32 v2, v4, v2
	s_delay_alu instid0(VALU_DEP_1) | instskip(NEXT) | instid1(VALU_DEP_1)
	v_sub_nc_u32_e32 v4, 0, v2
	v_max_i32_e32 v2, v2, v4
.LBB49_79:
	s_or_b32 exec_lo, exec_lo, s0
	v_lshrrev_b32_e32 v4, 8, v3
	s_mov_b32 s10, 0
	s_mov_b32 s0, exec_lo
	s_delay_alu instid0(VALU_DEP_1) | instskip(SKIP_1) | instid1(VALU_DEP_2)
	v_bfe_i32 v17, v4, 0, 8
	v_lshrrev_b32_e32 v4, 8, v5
	v_sub_nc_u16 v18, 0, v17
	s_delay_alu instid0(VALU_DEP_2) | instskip(NEXT) | instid1(VALU_DEP_2)
	v_and_b32_e32 v4, 0xff, v4
	v_max_i16 v18, v17, v18
	s_delay_alu instid0(VALU_DEP_2)
	v_cmpx_ne_u16_e32 0, v4
	s_cbranch_execz .LBB49_83
; %bb.80:
	v_ashrrev_i16 v4, 8, v5
	s_delay_alu instid0(VALU_DEP_1) | instskip(NEXT) | instid1(VALU_DEP_1)
	v_sub_nc_u16 v19, 0, v4
	v_max_i16 v19, v4, v19
	v_and_b32_e32 v4, 0xff, v18
	s_delay_alu instid0(VALU_DEP_2)
	v_and_b32_e32 v19, 0xffff, v19
.LBB49_81:                              ; =>This Inner Loop Header: Depth=1
	s_delay_alu instid0(VALU_DEP_2) | instskip(NEXT) | instid1(VALU_DEP_2)
	v_bfe_i32 v21, v4, 0, 8
	v_mov_b32_e32 v18, v19
	s_delay_alu instid0(VALU_DEP_2) | instskip(NEXT) | instid1(VALU_DEP_2)
	v_cvt_f32_i32_e32 v23, v21
	v_bfe_i32 v19, v18, 0, 8
	s_delay_alu instid0(VALU_DEP_1) | instskip(SKIP_1) | instid1(VALU_DEP_2)
	v_cvt_f32_i32_e32 v20, v19
	v_xor_b32_e32 v19, v21, v19
	v_rcp_iflag_f32_e32 v22, v20
	v_nop
	s_delay_alu instid0(TRANS32_DEP_1) | instskip(NEXT) | instid1(VALU_DEP_1)
	v_dual_ashrrev_i32 v19, 30, v19 :: v_dual_mul_f32 v21, v23, v22
	v_trunc_f32_e32 v21, v21
	s_delay_alu instid0(VALU_DEP_1) | instskip(SKIP_1) | instid1(VALU_DEP_2)
	v_dual_fma_f32 v22, -v21, v20, v23 :: v_dual_bitop2_b32 v19, 1, v19 bitop3:0x54
	v_cvt_i32_f32_e32 v21, v21
	v_cmp_ge_f32_e64 vcc_lo, |v22|, |v20|
	s_delay_alu instid0(VALU_DEP_3) | instskip(NEXT) | instid1(VALU_DEP_1)
	v_cndmask_b32_e32 v19, 0, v19, vcc_lo
	v_add_nc_u32_e32 v19, v21, v19
	s_delay_alu instid0(VALU_DEP_1) | instskip(NEXT) | instid1(VALU_DEP_1)
	v_mul_lo_u32 v19, v19, v18
	v_sub_nc_u32_e32 v4, v4, v19
	s_delay_alu instid0(VALU_DEP_1) | instskip(SKIP_1) | instid1(VALU_DEP_2)
	v_bfe_i32 v19, v4, 0, 8
	v_mov_b32_e32 v4, v18
	v_cmp_eq_u16_e32 vcc_lo, 0, v19
	v_and_b32_e32 v19, 0xffff, v19
	s_or_b32 s10, vcc_lo, s10
	s_delay_alu instid0(SALU_CYCLE_1)
	s_and_not1_b32 exec_lo, exec_lo, s10
	s_cbranch_execnz .LBB49_81
; %bb.82:
	s_or_b32 exec_lo, exec_lo, s10
.LBB49_83:
	s_delay_alu instid0(SALU_CYCLE_1) | instskip(NEXT) | instid1(VALU_DEP_2)
	s_or_b32 exec_lo, exec_lo, s0
	v_and_b32_e32 v19, 0xff, v18
	v_mov_b32_e32 v4, 0
	s_mov_b32 s0, exec_lo
	s_delay_alu instid0(VALU_DEP_2)
	v_cmpx_ne_u16_e32 0, v19
	s_cbranch_execz .LBB49_85
; %bb.84:
	v_bfe_i32 v4, v18, 0, 8
	v_bfe_i32 v19, v5, 8, 8
	s_delay_alu instid0(VALU_DEP_2) | instskip(NEXT) | instid1(VALU_DEP_2)
	v_cvt_f32_i32_e32 v18, v4
	v_cvt_f32_i32_e32 v21, v19
	v_xor_b32_e32 v4, v19, v4
	s_delay_alu instid0(VALU_DEP_3) | instskip(SKIP_1) | instid1(TRANS32_DEP_1)
	v_rcp_iflag_f32_e32 v20, v18
	v_nop
	v_mul_f32_e32 v20, v21, v20
	s_delay_alu instid0(VALU_DEP_1) | instskip(NEXT) | instid1(VALU_DEP_1)
	v_trunc_f32_e32 v19, v20
	v_dual_fma_f32 v20, -v19, v18, v21 :: v_dual_ashrrev_i32 v4, 30, v4
	v_cvt_i32_f32_e32 v19, v19
	s_delay_alu instid0(VALU_DEP_2) | instskip(NEXT) | instid1(VALU_DEP_3)
	v_cmp_ge_f32_e64 vcc_lo, |v20|, |v18|
	v_or_b32_e32 v4, 1, v4
	s_delay_alu instid0(VALU_DEP_1) | instskip(NEXT) | instid1(VALU_DEP_1)
	v_cndmask_b32_e32 v4, 0, v4, vcc_lo
	v_add_nc_u32_e32 v4, v19, v4
	s_delay_alu instid0(VALU_DEP_1) | instskip(NEXT) | instid1(VALU_DEP_1)
	v_bfe_i32 v4, v4, 0, 8
	v_mul_i32_i24_e32 v4, v17, v4
	s_delay_alu instid0(VALU_DEP_1) | instskip(NEXT) | instid1(VALU_DEP_1)
	v_sub_nc_u32_e32 v17, 0, v4
	v_max_i32_e32 v4, v4, v17
.LBB49_85:
	s_or_b32 exec_lo, exec_lo, s0
	v_lshrrev_b32_e32 v17, 16, v3
	s_mov_b32 s10, 0
	s_mov_b32 s0, exec_lo
	s_delay_alu instid0(VALU_DEP_1) | instskip(SKIP_1) | instid1(VALU_DEP_2)
	v_bfe_i32 v18, v17, 0, 8
	v_lshrrev_b32_e32 v17, 16, v5
	v_sub_nc_u16 v19, 0, v18
	s_delay_alu instid0(VALU_DEP_2) | instskip(NEXT) | instid1(VALU_DEP_2)
	v_and_b32_e32 v20, 0xff, v17
	v_max_i16 v19, v18, v19
	s_delay_alu instid0(VALU_DEP_2)
	v_cmpx_ne_u16_e32 0, v20
	s_cbranch_execz .LBB49_89
; %bb.86:
	v_bfe_i32 v17, v17, 0, 8
	s_delay_alu instid0(VALU_DEP_1) | instskip(NEXT) | instid1(VALU_DEP_1)
	v_sub_nc_u16 v20, 0, v17
	v_max_i16 v20, v17, v20
	v_and_b32_e32 v17, 0xff, v19
	s_delay_alu instid0(VALU_DEP_2)
	v_and_b32_e32 v20, 0xffff, v20
.LBB49_87:                              ; =>This Inner Loop Header: Depth=1
	s_delay_alu instid0(VALU_DEP_2) | instskip(NEXT) | instid1(VALU_DEP_2)
	v_bfe_i32 v22, v17, 0, 8
	v_mov_b32_e32 v19, v20
	s_delay_alu instid0(VALU_DEP_2) | instskip(NEXT) | instid1(VALU_DEP_2)
	v_cvt_f32_i32_e32 v24, v22
	v_bfe_i32 v20, v19, 0, 8
	s_delay_alu instid0(VALU_DEP_1) | instskip(SKIP_1) | instid1(VALU_DEP_2)
	v_cvt_f32_i32_e32 v21, v20
	v_xor_b32_e32 v20, v22, v20
	v_rcp_iflag_f32_e32 v23, v21
	v_nop
	s_delay_alu instid0(TRANS32_DEP_1) | instskip(NEXT) | instid1(VALU_DEP_1)
	v_dual_ashrrev_i32 v20, 30, v20 :: v_dual_mul_f32 v22, v24, v23
	v_trunc_f32_e32 v22, v22
	s_delay_alu instid0(VALU_DEP_1) | instskip(SKIP_1) | instid1(VALU_DEP_2)
	v_dual_fma_f32 v23, -v22, v21, v24 :: v_dual_bitop2_b32 v20, 1, v20 bitop3:0x54
	v_cvt_i32_f32_e32 v22, v22
	v_cmp_ge_f32_e64 vcc_lo, |v23|, |v21|
	s_delay_alu instid0(VALU_DEP_3) | instskip(NEXT) | instid1(VALU_DEP_1)
	v_cndmask_b32_e32 v20, 0, v20, vcc_lo
	v_add_nc_u32_e32 v20, v22, v20
	s_delay_alu instid0(VALU_DEP_1) | instskip(NEXT) | instid1(VALU_DEP_1)
	v_mul_lo_u32 v20, v20, v19
	v_sub_nc_u32_e32 v17, v17, v20
	s_delay_alu instid0(VALU_DEP_1) | instskip(SKIP_1) | instid1(VALU_DEP_2)
	v_bfe_i32 v20, v17, 0, 8
	v_mov_b32_e32 v17, v19
	v_cmp_eq_u16_e32 vcc_lo, 0, v20
	v_and_b32_e32 v20, 0xffff, v20
	s_or_b32 s10, vcc_lo, s10
	s_delay_alu instid0(SALU_CYCLE_1)
	s_and_not1_b32 exec_lo, exec_lo, s10
	s_cbranch_execnz .LBB49_87
; %bb.88:
	s_or_b32 exec_lo, exec_lo, s10
.LBB49_89:
	s_delay_alu instid0(SALU_CYCLE_1) | instskip(NEXT) | instid1(VALU_DEP_2)
	s_or_b32 exec_lo, exec_lo, s0
	v_and_b32_e32 v20, 0xff, v19
	v_mov_b32_e32 v17, 0
	s_mov_b32 s0, exec_lo
	s_delay_alu instid0(VALU_DEP_2)
	v_cmpx_ne_u16_e32 0, v20
	s_cbranch_execz .LBB49_91
; %bb.90:
	v_bfe_i32 v17, v19, 0, 8
	v_bfe_i32 v20, v5, 16, 8
	s_delay_alu instid0(VALU_DEP_2) | instskip(NEXT) | instid1(VALU_DEP_2)
	v_cvt_f32_i32_e32 v19, v17
	v_cvt_f32_i32_e32 v22, v20
	v_xor_b32_e32 v17, v20, v17
	s_delay_alu instid0(VALU_DEP_3) | instskip(SKIP_1) | instid1(TRANS32_DEP_1)
	v_rcp_iflag_f32_e32 v21, v19
	v_nop
	v_mul_f32_e32 v21, v22, v21
	s_delay_alu instid0(VALU_DEP_1) | instskip(NEXT) | instid1(VALU_DEP_1)
	v_trunc_f32_e32 v20, v21
	v_dual_fma_f32 v21, -v20, v19, v22 :: v_dual_ashrrev_i32 v17, 30, v17
	v_cvt_i32_f32_e32 v20, v20
	s_delay_alu instid0(VALU_DEP_2) | instskip(NEXT) | instid1(VALU_DEP_3)
	v_cmp_ge_f32_e64 vcc_lo, |v21|, |v19|
	v_or_b32_e32 v17, 1, v17
	s_delay_alu instid0(VALU_DEP_1) | instskip(NEXT) | instid1(VALU_DEP_1)
	v_cndmask_b32_e32 v17, 0, v17, vcc_lo
	v_add_nc_u32_e32 v17, v20, v17
	s_delay_alu instid0(VALU_DEP_1) | instskip(NEXT) | instid1(VALU_DEP_1)
	v_bfe_i32 v17, v17, 0, 8
	v_mul_i32_i24_e32 v17, v18, v17
	s_delay_alu instid0(VALU_DEP_1) | instskip(NEXT) | instid1(VALU_DEP_1)
	v_sub_nc_u32_e32 v18, 0, v17
	v_max_i32_e32 v17, v17, v18
.LBB49_91:
	s_or_b32 exec_lo, exec_lo, s0
	v_lshrrev_b32_e32 v18, 24, v3
	s_mov_b32 s10, 0
	s_mov_b32 s0, exec_lo
	s_delay_alu instid0(VALU_DEP_1) | instskip(NEXT) | instid1(VALU_DEP_1)
	v_bfe_i32 v18, v18, 0, 8
	v_sub_nc_u16 v19, 0, v18
	s_delay_alu instid0(VALU_DEP_1)
	v_max_i16 v18, v18, v19
	v_cmpx_lt_u32_e32 0xffffff, v5
	s_cbranch_execz .LBB49_95
; %bb.92:
	v_lshrrev_b32_e32 v19, 24, v5
	s_delay_alu instid0(VALU_DEP_1) | instskip(NEXT) | instid1(VALU_DEP_1)
	v_bfe_i32 v19, v19, 0, 8
	v_sub_nc_u16 v20, 0, v19
	s_delay_alu instid0(VALU_DEP_1) | instskip(SKIP_1) | instid1(VALU_DEP_2)
	v_max_i16 v20, v19, v20
	v_and_b32_e32 v19, 0xff, v18
	v_and_b32_e32 v20, 0xffff, v20
.LBB49_93:                              ; =>This Inner Loop Header: Depth=1
	s_delay_alu instid0(VALU_DEP_2) | instskip(NEXT) | instid1(VALU_DEP_2)
	v_bfe_i32 v22, v19, 0, 8
	v_mov_b32_e32 v18, v20
	s_delay_alu instid0(VALU_DEP_2) | instskip(NEXT) | instid1(VALU_DEP_2)
	v_cvt_f32_i32_e32 v24, v22
	v_bfe_i32 v20, v18, 0, 8
	s_delay_alu instid0(VALU_DEP_1) | instskip(SKIP_1) | instid1(VALU_DEP_2)
	v_cvt_f32_i32_e32 v21, v20
	v_xor_b32_e32 v20, v22, v20
	v_rcp_iflag_f32_e32 v23, v21
	v_nop
	s_delay_alu instid0(TRANS32_DEP_1) | instskip(NEXT) | instid1(VALU_DEP_1)
	v_dual_ashrrev_i32 v20, 30, v20 :: v_dual_mul_f32 v22, v24, v23
	v_trunc_f32_e32 v22, v22
	s_delay_alu instid0(VALU_DEP_1) | instskip(SKIP_1) | instid1(VALU_DEP_2)
	v_dual_fma_f32 v23, -v22, v21, v24 :: v_dual_bitop2_b32 v20, 1, v20 bitop3:0x54
	v_cvt_i32_f32_e32 v22, v22
	v_cmp_ge_f32_e64 vcc_lo, |v23|, |v21|
	s_delay_alu instid0(VALU_DEP_3) | instskip(NEXT) | instid1(VALU_DEP_1)
	v_cndmask_b32_e32 v20, 0, v20, vcc_lo
	v_add_nc_u32_e32 v20, v22, v20
	s_delay_alu instid0(VALU_DEP_1) | instskip(NEXT) | instid1(VALU_DEP_1)
	v_mul_lo_u32 v20, v20, v18
	v_sub_nc_u32_e32 v19, v19, v20
	s_delay_alu instid0(VALU_DEP_1) | instskip(SKIP_1) | instid1(VALU_DEP_2)
	v_bfe_i32 v20, v19, 0, 8
	v_mov_b32_e32 v19, v18
	v_cmp_eq_u16_e32 vcc_lo, 0, v20
	v_and_b32_e32 v20, 0xffff, v20
	s_or_b32 s10, vcc_lo, s10
	s_delay_alu instid0(SALU_CYCLE_1)
	s_and_not1_b32 exec_lo, exec_lo, s10
	s_cbranch_execnz .LBB49_93
; %bb.94:
	s_or_b32 exec_lo, exec_lo, s10
.LBB49_95:
	s_delay_alu instid0(SALU_CYCLE_1) | instskip(NEXT) | instid1(VALU_DEP_2)
	s_or_b32 exec_lo, exec_lo, s0
	v_and_b32_e32 v20, 0xff, v18
	v_mov_b32_e32 v19, 0
	s_mov_b32 s0, exec_lo
	s_delay_alu instid0(VALU_DEP_2)
	v_cmpx_ne_u16_e32 0, v20
	s_cbranch_execz .LBB49_97
; %bb.96:
	v_bfe_i32 v18, v18, 0, 8
	v_ashrrev_i32_e32 v3, 24, v3
	s_delay_alu instid0(VALU_DEP_2) | instskip(NEXT) | instid1(VALU_DEP_1)
	v_cvt_f32_i32_e32 v19, v18
	v_rcp_iflag_f32_e32 v20, v19
	v_ashrrev_i32_e32 v5, 24, v5
	s_delay_alu instid0(VALU_DEP_1)
	v_cvt_f32_i32_e32 v21, v5
	s_delay_alu instid0(TRANS32_DEP_1) | instid1(VALU_DEP_1)
	v_mul_f32_e32 v20, v21, v20
	v_xor_b32_e32 v5, v5, v18
	s_delay_alu instid0(VALU_DEP_2) | instskip(NEXT) | instid1(VALU_DEP_1)
	v_trunc_f32_e32 v18, v20
	v_dual_fma_f32 v20, -v18, v19, v21 :: v_dual_ashrrev_i32 v5, 30, v5
	v_cvt_i32_f32_e32 v18, v18
	s_delay_alu instid0(VALU_DEP_2) | instskip(NEXT) | instid1(VALU_DEP_3)
	v_cmp_ge_f32_e64 vcc_lo, |v20|, |v19|
	v_or_b32_e32 v5, 1, v5
	s_delay_alu instid0(VALU_DEP_1) | instskip(NEXT) | instid1(VALU_DEP_1)
	v_cndmask_b32_e32 v5, 0, v5, vcc_lo
	v_add_nc_u32_e32 v5, v18, v5
	s_delay_alu instid0(VALU_DEP_1) | instskip(NEXT) | instid1(VALU_DEP_1)
	v_bfe_i32 v5, v5, 0, 8
	v_mul_i32_i24_e32 v3, v3, v5
	s_delay_alu instid0(VALU_DEP_1) | instskip(NEXT) | instid1(VALU_DEP_1)
	v_sub_nc_u32_e32 v5, 0, v3
	v_max_i32_e32 v19, v3, v5
.LBB49_97:
	s_or_b32 exec_lo, exec_lo, s0
	v_perm_b32 v2, v2, v4, 0xc0c0004
	v_perm_b32 v4, v6, v8, 0xc0c0004
	;; [unrolled: 1-line block ×8, first 2 shown]
	v_lshl_or_b32 v5, v5, 16, v4
	v_lshl_or_b32 v4, v6, 16, v1
	;; [unrolled: 1-line block ×3, first 2 shown]
	s_add_nc_u64 s[10:11], s[4:5], s[2:3]
	v_lshl_or_b32 v2, v8, 16, v7
	s_mov_b32 s0, 0
	s_clause 0x1
	global_store_b64 v0, v[4:5], s[10:11] scale_offset
	global_store_b64 v0, v[2:3], s[10:11] offset:2048 scale_offset
.LBB49_98:
	s_and_b32 vcc_lo, exec_lo, s0
	s_cbranch_vccz .LBB49_269
; %bb.99:
	v_cmp_gt_i32_e32 vcc_lo, s1, v0
	s_wait_xcnt 0x0
	v_dual_mov_b32 v2, 0 :: v_dual_bitop2_b32 v10, s2, v0 bitop3:0x54
	v_or_b32_e32 v11, 0x100, v0
	v_dual_mov_b32 v13, 0 :: v_dual_mov_b32 v12, 0
	v_dual_mov_b32 v15, 0 :: v_dual_mov_b32 v14, 0
	;; [unrolled: 1-line block ×16, first 2 shown]
	s_and_saveexec_b32 s3, vcc_lo
	s_cbranch_execz .LBB49_131
; %bb.100:
	s_clause 0x1
	global_load_u8 v40, v10, s[6:7]
	global_load_u8 v41, v10, s[8:9]
	v_or_b32_e32 v1, 0x100, v0
	v_dual_mov_b32 v39, 0 :: v_dual_mov_b32 v38, 0
	v_dual_mov_b32 v5, 0 :: v_dual_mov_b32 v37, 0
	s_delay_alu instid0(VALU_DEP_3)
	v_cmp_gt_u32_e64 s0, s1, v1
	v_dual_mov_b32 v6, 0 :: v_dual_mov_b32 v36, 0
	v_dual_mov_b32 v35, 0 :: v_dual_mov_b32 v34, 0
	v_dual_mov_b32 v33, 0 :: v_dual_mov_b32 v32, 0
	v_dual_mov_b32 v31, 0 :: v_dual_mov_b32 v30, 0
	v_dual_mov_b32 v29, 0 :: v_dual_mov_b32 v28, 0
	v_dual_mov_b32 v27, 0 :: v_dual_mov_b32 v26, 0
	v_dual_mov_b32 v24, 0 :: v_dual_mov_b32 v25, 0
	v_dual_mov_b32 v22, 0 :: v_dual_mov_b32 v23, 0
	v_dual_mov_b32 v20, 0 :: v_dual_mov_b32 v21, 0
	v_dual_mov_b32 v18, 0 :: v_dual_mov_b32 v19, 0
	v_dual_mov_b32 v16, 0 :: v_dual_mov_b32 v17, 0
	v_dual_mov_b32 v14, 0 :: v_dual_mov_b32 v15, 0
	v_dual_mov_b32 v12, 0 :: v_dual_mov_b32 v13, 0
	s_wait_xcnt 0x0
	s_and_saveexec_b32 s10, s0
	s_cbranch_execz .LBB49_130
; %bb.101:
	v_dual_mov_b32 v5, 0 :: v_dual_add_nc_u32 v4, s2, v0
	v_or_b32_e32 v1, 0x200, v0
	v_dual_mov_b32 v37, 0 :: v_dual_mov_b32 v6, 0
	s_clause 0x1
	global_load_u8 v38, v4, s[6:7] offset:256
	global_load_u8 v39, v4, s[8:9] offset:256
	v_dual_mov_b32 v36, 0 :: v_dual_mov_b32 v35, 0
	v_cmp_gt_u32_e64 s0, s1, v1
	v_dual_mov_b32 v34, 0 :: v_dual_mov_b32 v33, 0
	v_dual_mov_b32 v32, 0 :: v_dual_mov_b32 v31, 0
	;; [unrolled: 1-line block ×11, first 2 shown]
	v_mov_b32_e32 v13, 0
	s_wait_xcnt 0x0
	s_and_saveexec_b32 s11, s0
	s_cbranch_execz .LBB49_129
; %bb.102:
	v_add_nc_u64_e32 v[6:7], s[6:7], v[4:5]
	v_add_nc_u64_e32 v[8:9], s[8:9], v[4:5]
	v_or_b32_e32 v3, 0x300, v0
	v_dual_mov_b32 v36, 0 :: v_dual_mov_b32 v35, 0
	v_dual_mov_b32 v34, 0 :: v_dual_mov_b32 v33, 0
	global_load_u8 v37, v[6:7], off offset:512
	global_load_u8 v1, v[8:9], off offset:512
	v_cmp_gt_u32_e64 s0, s1, v3
	v_dual_mov_b32 v32, 0 :: v_dual_mov_b32 v31, 0
	v_dual_mov_b32 v30, 0 :: v_dual_mov_b32 v29, 0
	;; [unrolled: 1-line block ×10, first 2 shown]
	v_mov_b32_e32 v13, 0
	s_wait_xcnt 0x0
	s_and_saveexec_b32 s6, s0
	s_cbranch_execz .LBB49_128
; %bb.103:
	global_load_u8 v36, v[6:7], off offset:768
	global_load_u8 v5, v[8:9], off offset:768
	v_or_b32_e32 v3, 0x400, v0
	v_dual_mov_b32 v35, 0 :: v_dual_mov_b32 v34, 0
	v_dual_mov_b32 v33, 0 :: v_dual_mov_b32 v32, 0
	s_delay_alu instid0(VALU_DEP_3)
	v_cmp_gt_u32_e64 s0, s1, v3
	v_dual_mov_b32 v31, 0 :: v_dual_mov_b32 v30, 0
	v_dual_mov_b32 v29, 0 :: v_dual_mov_b32 v28, 0
	;; [unrolled: 1-line block ×10, first 2 shown]
	s_wait_xcnt 0x0
	s_and_saveexec_b32 s7, s0
	s_cbranch_execz .LBB49_127
; %bb.104:
	global_load_u8 v34, v[6:7], off offset:1024
	global_load_u8 v35, v[8:9], off offset:1024
	v_or_b32_e32 v3, 0x500, v0
	v_dual_mov_b32 v33, 0 :: v_dual_mov_b32 v32, 0
	v_dual_mov_b32 v31, 0 :: v_dual_mov_b32 v30, 0
	s_delay_alu instid0(VALU_DEP_3)
	v_cmp_gt_u32_e64 s0, s1, v3
	v_dual_mov_b32 v29, 0 :: v_dual_mov_b32 v28, 0
	v_dual_mov_b32 v27, 0 :: v_dual_mov_b32 v26, 0
	;; [unrolled: 1-line block ×9, first 2 shown]
	s_wait_xcnt 0x0
	s_and_saveexec_b32 s8, s0
	s_cbranch_execz .LBB49_126
; %bb.105:
	global_load_u8 v32, v[6:7], off offset:1280
	global_load_u8 v33, v[8:9], off offset:1280
	v_or_b32_e32 v3, 0x600, v0
	v_dual_mov_b32 v31, 0 :: v_dual_mov_b32 v30, 0
	v_dual_mov_b32 v29, 0 :: v_dual_mov_b32 v28, 0
	s_delay_alu instid0(VALU_DEP_3)
	v_cmp_gt_u32_e64 s0, s1, v3
	v_dual_mov_b32 v27, 0 :: v_dual_mov_b32 v26, 0
	v_dual_mov_b32 v24, 0 :: v_dual_mov_b32 v25, 0
	;; [unrolled: 1-line block ×8, first 2 shown]
	s_wait_xcnt 0x0
	s_and_saveexec_b32 s9, s0
	s_cbranch_execz .LBB49_125
; %bb.106:
	global_load_u8 v30, v[6:7], off offset:1536
	global_load_u8 v31, v[8:9], off offset:1536
	v_or_b32_e32 v3, 0x700, v0
	v_dual_mov_b32 v29, 0 :: v_dual_mov_b32 v28, 0
	v_dual_mov_b32 v27, 0 :: v_dual_mov_b32 v26, 0
	;; [unrolled: 1-line block ×9, first 2 shown]
	s_mov_b32 s12, exec_lo
	s_wait_xcnt 0x0
	v_cmpx_gt_u32_e64 s1, v3
	s_cbranch_execz .LBB49_124
; %bb.107:
	global_load_u8 v28, v[6:7], off offset:1792
	global_load_u8 v29, v[8:9], off offset:1792
	v_or_b32_e32 v3, 0x800, v0
	v_dual_mov_b32 v27, 0 :: v_dual_mov_b32 v26, 0
	v_dual_mov_b32 v24, 0 :: v_dual_mov_b32 v25, 0
	;; [unrolled: 1-line block ×8, first 2 shown]
	s_mov_b32 s13, exec_lo
	s_wait_xcnt 0x0
	v_cmpx_gt_u32_e64 s1, v3
	s_cbranch_execz .LBB49_123
; %bb.108:
	global_load_u8 v26, v[6:7], off offset:2048
	global_load_u8 v27, v[8:9], off offset:2048
	v_or_b32_e32 v3, 0x900, v0
	v_dual_mov_b32 v24, 0 :: v_dual_mov_b32 v25, 0
	v_dual_mov_b32 v22, 0 :: v_dual_mov_b32 v23, 0
	;; [unrolled: 1-line block ×7, first 2 shown]
	s_mov_b32 s14, exec_lo
	s_wait_xcnt 0x0
	v_cmpx_gt_u32_e64 s1, v3
	s_cbranch_execz .LBB49_122
; %bb.109:
	global_load_u8 v25, v[6:7], off offset:2304
	global_load_u8 v24, v[8:9], off offset:2304
	v_or_b32_e32 v3, 0xa00, v0
	v_dual_mov_b32 v22, 0 :: v_dual_mov_b32 v23, 0
	v_dual_mov_b32 v20, 0 :: v_dual_mov_b32 v21, 0
	;; [unrolled: 1-line block ×6, first 2 shown]
	s_mov_b32 s15, exec_lo
	s_wait_xcnt 0x0
	v_cmpx_gt_u32_e64 s1, v3
	s_cbranch_execz .LBB49_121
; %bb.110:
	global_load_u8 v23, v[6:7], off offset:2560
	global_load_u8 v22, v[8:9], off offset:2560
	v_or_b32_e32 v3, 0xb00, v0
	v_dual_mov_b32 v20, 0 :: v_dual_mov_b32 v21, 0
	v_dual_mov_b32 v18, 0 :: v_dual_mov_b32 v19, 0
	;; [unrolled: 1-line block ×5, first 2 shown]
	s_mov_b32 s16, exec_lo
	s_wait_xcnt 0x0
	v_cmpx_gt_u32_e64 s1, v3
	s_cbranch_execz .LBB49_120
; %bb.111:
	global_load_u8 v21, v[6:7], off offset:2816
	global_load_u8 v20, v[8:9], off offset:2816
	v_or_b32_e32 v3, 0xc00, v0
	v_dual_mov_b32 v18, 0 :: v_dual_mov_b32 v19, 0
	v_dual_mov_b32 v16, 0 :: v_dual_mov_b32 v17, 0
	;; [unrolled: 1-line block ×4, first 2 shown]
	s_mov_b32 s17, exec_lo
	s_wait_xcnt 0x0
	v_cmpx_gt_u32_e64 s1, v3
	s_cbranch_execz .LBB49_119
; %bb.112:
	global_load_u8 v19, v[6:7], off offset:3072
	global_load_u8 v18, v[8:9], off offset:3072
	v_or_b32_e32 v3, 0xd00, v0
	v_dual_mov_b32 v16, 0 :: v_dual_mov_b32 v17, 0
	v_dual_mov_b32 v14, 0 :: v_dual_mov_b32 v15, 0
	;; [unrolled: 1-line block ×3, first 2 shown]
	s_mov_b32 s18, exec_lo
	s_wait_xcnt 0x0
	v_cmpx_gt_u32_e64 s1, v3
	s_cbranch_execz .LBB49_118
; %bb.113:
	global_load_u8 v17, v[6:7], off offset:3328
	global_load_u8 v16, v[8:9], off offset:3328
	v_or_b32_e32 v3, 0xe00, v0
	v_dual_mov_b32 v14, 0 :: v_dual_mov_b32 v15, 0
	v_dual_mov_b32 v12, 0 :: v_dual_mov_b32 v13, 0
	s_mov_b32 s19, exec_lo
	s_wait_xcnt 0x0
	v_cmpx_gt_u32_e64 s1, v3
	s_cbranch_execz .LBB49_117
; %bb.114:
	global_load_u8 v15, v[6:7], off offset:3584
	global_load_u8 v14, v[8:9], off offset:3584
	v_or_b32_e32 v3, 0xf00, v0
	v_dual_mov_b32 v12, 0 :: v_dual_mov_b32 v13, 0
	s_mov_b32 s20, exec_lo
	s_wait_xcnt 0x0
	s_delay_alu instid0(VALU_DEP_2)
	v_cmpx_gt_u32_e64 s1, v3
	s_cbranch_execz .LBB49_116
; %bb.115:
	global_load_u8 v13, v[6:7], off offset:3840
	global_load_u8 v12, v[8:9], off offset:3840
.LBB49_116:
	s_wait_xcnt 0x0
	s_or_b32 exec_lo, exec_lo, s20
.LBB49_117:
	s_delay_alu instid0(SALU_CYCLE_1)
	s_or_b32 exec_lo, exec_lo, s19
.LBB49_118:
	s_delay_alu instid0(SALU_CYCLE_1)
	s_or_b32 exec_lo, exec_lo, s18
.LBB49_119:
	s_delay_alu instid0(SALU_CYCLE_1)
	s_or_b32 exec_lo, exec_lo, s17
.LBB49_120:
	s_delay_alu instid0(SALU_CYCLE_1)
	s_or_b32 exec_lo, exec_lo, s16
.LBB49_121:
	s_delay_alu instid0(SALU_CYCLE_1)
	s_or_b32 exec_lo, exec_lo, s15
.LBB49_122:
	s_delay_alu instid0(SALU_CYCLE_1)
	s_or_b32 exec_lo, exec_lo, s14
.LBB49_123:
	s_delay_alu instid0(SALU_CYCLE_1)
	s_or_b32 exec_lo, exec_lo, s13
.LBB49_124:
	s_delay_alu instid0(SALU_CYCLE_1)
	s_or_b32 exec_lo, exec_lo, s12
.LBB49_125:
	s_delay_alu instid0(SALU_CYCLE_1)
	s_or_b32 exec_lo, exec_lo, s9
.LBB49_126:
	s_delay_alu instid0(SALU_CYCLE_1)
	s_or_b32 exec_lo, exec_lo, s8
.LBB49_127:
	s_delay_alu instid0(SALU_CYCLE_1)
	s_or_b32 exec_lo, exec_lo, s7
.LBB49_128:
	s_delay_alu instid0(SALU_CYCLE_1)
	s_or_b32 exec_lo, exec_lo, s6
	s_wait_loadcnt 0x0
	v_dual_mov_b32 v6, v5 :: v_dual_mov_b32 v5, v1
.LBB49_129:
	s_or_b32 exec_lo, exec_lo, s11
.LBB49_130:
	s_delay_alu instid0(SALU_CYCLE_1)
	s_or_b32 exec_lo, exec_lo, s10
.LBB49_131:
	s_delay_alu instid0(SALU_CYCLE_1)
	s_or_b32 exec_lo, exec_lo, s3
	v_dual_mov_b32 v1, v2 :: v_dual_mov_b32 v4, v2
	v_mov_b32_e32 v3, v2
	s_and_saveexec_b32 s3, vcc_lo
	s_cbranch_execz .LBB49_139
; %bb.132:
	s_wait_loadcnt 0x0
	v_bfe_i32 v2, v41, 0, 8
	v_and_b32_e32 v1, 0xff, v40
	s_mov_b32 s6, exec_lo
	s_delay_alu instid0(VALU_DEP_2) | instskip(NEXT) | instid1(VALU_DEP_1)
	v_sub_nc_u16 v3, 0, v2
	v_max_i16 v4, v2, v3
	v_bfe_i32 v3, v40, 0, 8
	v_cmpx_ne_u16_e32 0, v1
	s_cbranch_execz .LBB49_136
; %bb.133:
	s_delay_alu instid0(VALU_DEP_2) | instskip(SKIP_1) | instid1(VALU_DEP_1)
	v_sub_nc_u16 v1, 0, v3
	s_mov_b32 s7, 0
	v_max_i16 v7, v3, v1
	v_and_b32_e32 v1, 0xff, v4
	s_delay_alu instid0(VALU_DEP_2)
	v_and_b32_e32 v7, 0xffff, v7
.LBB49_134:                             ; =>This Inner Loop Header: Depth=1
	s_delay_alu instid0(VALU_DEP_2) | instskip(NEXT) | instid1(VALU_DEP_2)
	v_bfe_i32 v9, v1, 0, 8
	v_mov_b32_e32 v4, v7
	s_delay_alu instid0(VALU_DEP_2) | instskip(NEXT) | instid1(VALU_DEP_2)
	v_cvt_f32_i32_e32 v41, v9
	v_bfe_i32 v7, v4, 0, 8
	s_delay_alu instid0(VALU_DEP_1) | instskip(SKIP_1) | instid1(VALU_DEP_2)
	v_cvt_f32_i32_e32 v8, v7
	v_xor_b32_e32 v7, v9, v7
	v_rcp_iflag_f32_e32 v40, v8
	v_nop
	s_delay_alu instid0(TRANS32_DEP_1) | instskip(NEXT) | instid1(VALU_DEP_1)
	v_dual_ashrrev_i32 v7, 30, v7 :: v_dual_mul_f32 v9, v41, v40
	v_trunc_f32_e32 v9, v9
	s_delay_alu instid0(VALU_DEP_1) | instskip(SKIP_1) | instid1(VALU_DEP_2)
	v_dual_fma_f32 v40, -v9, v8, v41 :: v_dual_bitop2_b32 v7, 1, v7 bitop3:0x54
	v_cvt_i32_f32_e32 v9, v9
	v_cmp_ge_f32_e64 s0, |v40|, |v8|
	s_delay_alu instid0(VALU_DEP_1) | instskip(NEXT) | instid1(VALU_DEP_1)
	v_cndmask_b32_e64 v7, 0, v7, s0
	v_add_nc_u32_e32 v7, v9, v7
	s_delay_alu instid0(VALU_DEP_1) | instskip(NEXT) | instid1(VALU_DEP_1)
	v_mul_lo_u32 v7, v7, v4
	v_sub_nc_u32_e32 v1, v1, v7
	s_delay_alu instid0(VALU_DEP_1) | instskip(SKIP_1) | instid1(VALU_DEP_2)
	v_bfe_i32 v7, v1, 0, 8
	v_mov_b32_e32 v1, v4
	v_cmp_eq_u16_e64 s0, 0, v7
	v_and_b32_e32 v7, 0xffff, v7
	s_or_b32 s7, s0, s7
	s_delay_alu instid0(SALU_CYCLE_1)
	s_and_not1_b32 exec_lo, exec_lo, s7
	s_cbranch_execnz .LBB49_134
; %bb.135:
	s_or_b32 exec_lo, exec_lo, s7
.LBB49_136:
	s_delay_alu instid0(SALU_CYCLE_1) | instskip(SKIP_2) | instid1(VALU_DEP_2)
	s_or_b32 exec_lo, exec_lo, s6
	v_and_b32_e32 v7, 0xff, v4
	v_mov_b32_e32 v1, 0
	v_cmp_ne_u16_e64 s0, 0, v7
	v_mov_b32_e32 v7, 0
	s_and_saveexec_b32 s6, s0
	s_cbranch_execz .LBB49_138
; %bb.137:
	v_bfe_i32 v4, v4, 0, 8
	v_cvt_f32_i32_e32 v9, v3
	s_delay_alu instid0(VALU_DEP_2) | instskip(SKIP_1) | instid1(VALU_DEP_2)
	v_cvt_f32_i32_e32 v7, v4
	v_xor_b32_e32 v3, v3, v4
	v_rcp_iflag_f32_e32 v8, v7
	s_delay_alu instid0(VALU_DEP_1)
	v_ashrrev_i32_e32 v3, 30, v3
	s_delay_alu instid0(TRANS32_DEP_1) | instid1(VALU_DEP_1)
	v_dual_mul_f32 v8, v9, v8 :: v_dual_bitop2_b32 v3, 1, v3 bitop3:0x54
	s_delay_alu instid0(VALU_DEP_1) | instskip(NEXT) | instid1(VALU_DEP_1)
	v_trunc_f32_e32 v4, v8
	v_fma_f32 v8, -v4, v7, v9
	v_cvt_i32_f32_e32 v4, v4
	s_delay_alu instid0(VALU_DEP_2) | instskip(NEXT) | instid1(VALU_DEP_1)
	v_cmp_ge_f32_e64 s0, |v8|, |v7|
	v_cndmask_b32_e64 v3, 0, v3, s0
	s_delay_alu instid0(VALU_DEP_1) | instskip(NEXT) | instid1(VALU_DEP_1)
	v_add_nc_u32_e32 v3, v4, v3
	v_bfe_i32 v3, v3, 0, 8
	s_delay_alu instid0(VALU_DEP_1) | instskip(NEXT) | instid1(VALU_DEP_1)
	v_mul_i32_i24_e32 v2, v3, v2
	v_sub_nc_u32_e32 v3, 0, v2
	s_delay_alu instid0(VALU_DEP_1)
	v_max_i32_e32 v7, v2, v3
.LBB49_138:
	s_or_b32 exec_lo, exec_lo, s6
	s_delay_alu instid0(VALU_DEP_1) | instskip(SKIP_1) | instid1(VALU_DEP_2)
	v_and_b32_e32 v2, 0xff, v7
	v_dual_mov_b32 v4, v1 :: v_dual_mov_b32 v3, v1
	v_and_b32_e32 v2, 0xffff, v2
.LBB49_139:
	s_or_b32 exec_lo, exec_lo, s3
	s_delay_alu instid0(SALU_CYCLE_1)
	s_mov_b32 s3, exec_lo
	v_cmpx_gt_i32_e64 s1, v11
	s_cbranch_execz .LBB49_147
; %bb.140:
	s_wait_loadcnt 0x0
	v_bfe_i32 v7, v39, 0, 8
	v_and_b32_e32 v8, 0xff, v38
	s_mov_b32 s7, 0
	s_delay_alu instid0(VALU_DEP_2) | instskip(NEXT) | instid1(VALU_DEP_2)
	v_sub_nc_u16 v9, 0, v7
	v_cmp_ne_u16_e64 s0, 0, v8
	v_bfe_i32 v8, v38, 0, 8
	s_delay_alu instid0(VALU_DEP_3)
	v_max_i16 v9, v7, v9
	s_and_saveexec_b32 s6, s0
	s_cbranch_execz .LBB49_144
; %bb.141:
	s_delay_alu instid0(VALU_DEP_2) | instskip(NEXT) | instid1(VALU_DEP_1)
	v_sub_nc_u16 v38, 0, v8
	v_max_i16 v39, v8, v38
	v_and_b32_e32 v38, 0xff, v9
	s_delay_alu instid0(VALU_DEP_2)
	v_and_b32_e32 v39, 0xffff, v39
.LBB49_142:                             ; =>This Inner Loop Header: Depth=1
	s_delay_alu instid0(VALU_DEP_2) | instskip(NEXT) | instid1(VALU_DEP_2)
	v_bfe_i32 v41, v38, 0, 8
	v_mov_b32_e32 v9, v39
	s_delay_alu instid0(VALU_DEP_2) | instskip(NEXT) | instid1(VALU_DEP_2)
	v_cvt_f32_i32_e32 v43, v41
	v_bfe_i32 v39, v9, 0, 8
	s_delay_alu instid0(VALU_DEP_1) | instskip(SKIP_1) | instid1(VALU_DEP_2)
	v_cvt_f32_i32_e32 v40, v39
	v_xor_b32_e32 v39, v41, v39
	v_rcp_iflag_f32_e32 v42, v40
	v_nop
	s_delay_alu instid0(TRANS32_DEP_1) | instskip(NEXT) | instid1(VALU_DEP_1)
	v_dual_ashrrev_i32 v39, 30, v39 :: v_dual_mul_f32 v41, v43, v42
	v_trunc_f32_e32 v41, v41
	s_delay_alu instid0(VALU_DEP_1) | instskip(SKIP_1) | instid1(VALU_DEP_2)
	v_dual_fma_f32 v42, -v41, v40, v43 :: v_dual_bitop2_b32 v39, 1, v39 bitop3:0x54
	v_cvt_i32_f32_e32 v41, v41
	v_cmp_ge_f32_e64 s0, |v42|, |v40|
	s_delay_alu instid0(VALU_DEP_1) | instskip(NEXT) | instid1(VALU_DEP_1)
	v_cndmask_b32_e64 v39, 0, v39, s0
	v_add_nc_u32_e32 v39, v41, v39
	s_delay_alu instid0(VALU_DEP_1) | instskip(NEXT) | instid1(VALU_DEP_1)
	v_mul_lo_u32 v39, v39, v9
	v_sub_nc_u32_e32 v38, v38, v39
	s_delay_alu instid0(VALU_DEP_1) | instskip(SKIP_1) | instid1(VALU_DEP_2)
	v_bfe_i32 v39, v38, 0, 8
	v_mov_b32_e32 v38, v9
	v_cmp_eq_u16_e64 s0, 0, v39
	v_and_b32_e32 v39, 0xffff, v39
	s_or_b32 s7, s0, s7
	s_delay_alu instid0(SALU_CYCLE_1)
	s_and_not1_b32 exec_lo, exec_lo, s7
	s_cbranch_execnz .LBB49_142
; %bb.143:
	s_or_b32 exec_lo, exec_lo, s7
.LBB49_144:
	s_delay_alu instid0(SALU_CYCLE_1) | instskip(NEXT) | instid1(VALU_DEP_1)
	s_or_b32 exec_lo, exec_lo, s6
	v_and_b32_e32 v39, 0xff, v9
	v_mov_b32_e32 v38, 0
	s_mov_b32 s6, exec_lo
	s_delay_alu instid0(VALU_DEP_2)
	v_cmpx_ne_u16_e32 0, v39
	s_cbranch_execz .LBB49_146
; %bb.145:
	v_bfe_i32 v9, v9, 0, 8
	v_cvt_f32_i32_e32 v40, v8
	s_delay_alu instid0(VALU_DEP_2) | instskip(SKIP_1) | instid1(VALU_DEP_2)
	v_cvt_f32_i32_e32 v38, v9
	v_xor_b32_e32 v8, v8, v9
	v_rcp_iflag_f32_e32 v39, v38
	s_delay_alu instid0(VALU_DEP_1)
	v_ashrrev_i32_e32 v8, 30, v8
	s_delay_alu instid0(TRANS32_DEP_1) | instid1(VALU_DEP_1)
	v_dual_mul_f32 v39, v40, v39 :: v_dual_bitop2_b32 v8, 1, v8 bitop3:0x54
	s_delay_alu instid0(VALU_DEP_1) | instskip(NEXT) | instid1(VALU_DEP_1)
	v_trunc_f32_e32 v9, v39
	v_fma_f32 v39, -v9, v38, v40
	v_cvt_i32_f32_e32 v9, v9
	s_delay_alu instid0(VALU_DEP_2) | instskip(NEXT) | instid1(VALU_DEP_1)
	v_cmp_ge_f32_e64 s0, |v39|, |v38|
	v_cndmask_b32_e64 v8, 0, v8, s0
	s_delay_alu instid0(VALU_DEP_1) | instskip(NEXT) | instid1(VALU_DEP_1)
	v_add_nc_u32_e32 v8, v9, v8
	v_bfe_i32 v8, v8, 0, 8
	s_delay_alu instid0(VALU_DEP_1) | instskip(NEXT) | instid1(VALU_DEP_1)
	v_mul_i32_i24_e32 v7, v8, v7
	v_sub_nc_u32_e32 v8, 0, v7
	s_delay_alu instid0(VALU_DEP_1)
	v_max_i32_e32 v38, v7, v8
.LBB49_146:
	s_or_b32 exec_lo, exec_lo, s6
	s_delay_alu instid0(VALU_DEP_1)
	v_perm_b32 v2, v2, v38, 0x7060004
.LBB49_147:
	s_or_b32 exec_lo, exec_lo, s3
	v_or_b32_e32 v7, 0x200, v0
	s_mov_b32 s3, exec_lo
	s_delay_alu instid0(VALU_DEP_1)
	v_cmpx_gt_i32_e64 s1, v7
	s_cbranch_execz .LBB49_155
; %bb.148:
	v_bfe_i32 v5, v5, 0, 8
	v_and_b32_e32 v7, 0xff, v37
	s_mov_b32 s7, 0
	s_delay_alu instid0(VALU_DEP_2) | instskip(NEXT) | instid1(VALU_DEP_2)
	v_sub_nc_u16 v8, 0, v5
	v_cmp_ne_u16_e64 s0, 0, v7
	v_bfe_i32 v7, v37, 0, 8
	s_delay_alu instid0(VALU_DEP_3)
	v_max_i16 v8, v5, v8
	s_and_saveexec_b32 s6, s0
	s_cbranch_execz .LBB49_152
; %bb.149:
	s_delay_alu instid0(VALU_DEP_2) | instskip(NEXT) | instid1(VALU_DEP_1)
	v_sub_nc_u16 v9, 0, v7
	v_max_i16 v37, v7, v9
	v_and_b32_e32 v9, 0xff, v8
	s_delay_alu instid0(VALU_DEP_2)
	v_and_b32_e32 v37, 0xffff, v37
.LBB49_150:                             ; =>This Inner Loop Header: Depth=1
	s_wait_loadcnt 0x0
	s_delay_alu instid0(VALU_DEP_2) | instskip(NEXT) | instid1(VALU_DEP_2)
	v_bfe_i32 v39, v9, 0, 8
	v_mov_b32_e32 v8, v37
	s_delay_alu instid0(VALU_DEP_2) | instskip(NEXT) | instid1(VALU_DEP_2)
	v_cvt_f32_i32_e32 v41, v39
	v_bfe_i32 v37, v8, 0, 8
	s_delay_alu instid0(VALU_DEP_1) | instskip(SKIP_1) | instid1(VALU_DEP_2)
	v_cvt_f32_i32_e32 v38, v37
	v_xor_b32_e32 v37, v39, v37
	v_rcp_iflag_f32_e32 v40, v38
	v_nop
	s_delay_alu instid0(TRANS32_DEP_1) | instskip(NEXT) | instid1(VALU_DEP_1)
	v_dual_ashrrev_i32 v37, 30, v37 :: v_dual_mul_f32 v39, v41, v40
	v_trunc_f32_e32 v39, v39
	s_delay_alu instid0(VALU_DEP_1) | instskip(SKIP_1) | instid1(VALU_DEP_2)
	v_dual_fma_f32 v40, -v39, v38, v41 :: v_dual_bitop2_b32 v37, 1, v37 bitop3:0x54
	v_cvt_i32_f32_e32 v39, v39
	v_cmp_ge_f32_e64 s0, |v40|, |v38|
	s_delay_alu instid0(VALU_DEP_1) | instskip(NEXT) | instid1(VALU_DEP_1)
	v_cndmask_b32_e64 v37, 0, v37, s0
	v_add_nc_u32_e32 v37, v39, v37
	s_delay_alu instid0(VALU_DEP_1) | instskip(NEXT) | instid1(VALU_DEP_1)
	v_mul_lo_u32 v37, v37, v8
	v_sub_nc_u32_e32 v9, v9, v37
	s_delay_alu instid0(VALU_DEP_1) | instskip(SKIP_1) | instid1(VALU_DEP_2)
	v_bfe_i32 v37, v9, 0, 8
	v_mov_b32_e32 v9, v8
	v_cmp_eq_u16_e64 s0, 0, v37
	v_and_b32_e32 v37, 0xffff, v37
	s_or_b32 s7, s0, s7
	s_delay_alu instid0(SALU_CYCLE_1)
	s_and_not1_b32 exec_lo, exec_lo, s7
	s_cbranch_execnz .LBB49_150
; %bb.151:
	s_or_b32 exec_lo, exec_lo, s7
.LBB49_152:
	s_delay_alu instid0(SALU_CYCLE_1) | instskip(NEXT) | instid1(VALU_DEP_1)
	s_or_b32 exec_lo, exec_lo, s6
	v_and_b32_e32 v37, 0xff, v8
	v_mov_b32_e32 v9, 0
	s_mov_b32 s6, exec_lo
	s_delay_alu instid0(VALU_DEP_2)
	v_cmpx_ne_u16_e32 0, v37
	s_cbranch_execz .LBB49_154
; %bb.153:
	v_bfe_i32 v8, v8, 0, 8
	s_wait_loadcnt 0x1
	v_cvt_f32_i32_e32 v38, v7
	s_delay_alu instid0(VALU_DEP_2) | instskip(SKIP_1) | instid1(VALU_DEP_2)
	v_cvt_f32_i32_e32 v9, v8
	v_xor_b32_e32 v7, v7, v8
	v_rcp_iflag_f32_e32 v37, v9
	v_nop
	s_delay_alu instid0(TRANS32_DEP_1) | instskip(NEXT) | instid1(VALU_DEP_1)
	v_mul_f32_e32 v37, v38, v37
	v_trunc_f32_e32 v8, v37
	s_delay_alu instid0(VALU_DEP_1) | instskip(NEXT) | instid1(VALU_DEP_1)
	v_dual_ashrrev_i32 v7, 30, v7 :: v_dual_fma_f32 v37, -v8, v9, v38
	v_or_b32_e32 v7, 1, v7
	v_cvt_i32_f32_e32 v8, v8
	s_delay_alu instid0(VALU_DEP_3) | instskip(NEXT) | instid1(VALU_DEP_1)
	v_cmp_ge_f32_e64 s0, |v37|, |v9|
	v_cndmask_b32_e64 v7, 0, v7, s0
	s_delay_alu instid0(VALU_DEP_1) | instskip(NEXT) | instid1(VALU_DEP_1)
	v_add_nc_u32_e32 v7, v8, v7
	v_bfe_i32 v7, v7, 0, 8
	s_delay_alu instid0(VALU_DEP_1) | instskip(NEXT) | instid1(VALU_DEP_1)
	v_mul_i32_i24_e32 v5, v7, v5
	v_sub_nc_u32_e32 v7, 0, v5
	s_delay_alu instid0(VALU_DEP_1)
	v_max_i32_e32 v9, v5, v7
.LBB49_154:
	s_or_b32 exec_lo, exec_lo, s6
	s_delay_alu instid0(VALU_DEP_1)
	v_perm_b32 v2, v2, v9, 0x7000504
.LBB49_155:
	s_or_b32 exec_lo, exec_lo, s3
	v_or_b32_e32 v5, 0x300, v0
	s_mov_b32 s3, exec_lo
	s_delay_alu instid0(VALU_DEP_1)
	v_cmpx_gt_i32_e64 s1, v5
	s_cbranch_execz .LBB49_163
; %bb.156:
	v_bfe_i32 v5, v6, 0, 8
	v_and_b32_e32 v6, 0xff, v36
	s_mov_b32 s7, 0
	s_delay_alu instid0(VALU_DEP_2) | instskip(NEXT) | instid1(VALU_DEP_2)
	v_sub_nc_u16 v7, 0, v5
	v_cmp_ne_u16_e64 s0, 0, v6
	v_bfe_i32 v6, v36, 0, 8
	s_delay_alu instid0(VALU_DEP_3)
	v_max_i16 v7, v5, v7
	s_and_saveexec_b32 s6, s0
	s_cbranch_execz .LBB49_160
; %bb.157:
	s_delay_alu instid0(VALU_DEP_2) | instskip(NEXT) | instid1(VALU_DEP_1)
	v_sub_nc_u16 v8, 0, v6
	v_max_i16 v9, v6, v8
	v_and_b32_e32 v8, 0xff, v7
	s_delay_alu instid0(VALU_DEP_2)
	v_and_b32_e32 v9, 0xffff, v9
.LBB49_158:                             ; =>This Inner Loop Header: Depth=1
	s_delay_alu instid0(VALU_DEP_2) | instskip(SKIP_1) | instid1(VALU_DEP_1)
	v_bfe_i32 v37, v8, 0, 8
	s_wait_loadcnt 0x0
	v_cvt_f32_i32_e32 v39, v37
	s_delay_alu instid0(VALU_DEP_3) | instskip(NEXT) | instid1(VALU_DEP_1)
	v_mov_b32_e32 v7, v9
	v_bfe_i32 v9, v7, 0, 8
	s_delay_alu instid0(VALU_DEP_1) | instskip(SKIP_1) | instid1(VALU_DEP_2)
	v_cvt_f32_i32_e32 v36, v9
	v_xor_b32_e32 v9, v37, v9
	v_rcp_iflag_f32_e32 v38, v36
	v_nop
	s_delay_alu instid0(TRANS32_DEP_1) | instskip(NEXT) | instid1(VALU_DEP_1)
	v_mul_f32_e32 v37, v39, v38
	v_trunc_f32_e32 v37, v37
	s_delay_alu instid0(VALU_DEP_1) | instskip(SKIP_1) | instid1(VALU_DEP_2)
	v_dual_fma_f32 v38, -v37, v36, v39 :: v_dual_ashrrev_i32 v9, 30, v9
	v_cvt_i32_f32_e32 v37, v37
	v_cmp_ge_f32_e64 s0, |v38|, |v36|
	s_delay_alu instid0(VALU_DEP_3) | instskip(NEXT) | instid1(VALU_DEP_1)
	v_or_b32_e32 v9, 1, v9
	v_cndmask_b32_e64 v9, 0, v9, s0
	s_delay_alu instid0(VALU_DEP_1) | instskip(NEXT) | instid1(VALU_DEP_1)
	v_add_nc_u32_e32 v9, v37, v9
	v_mul_lo_u32 v9, v9, v7
	s_delay_alu instid0(VALU_DEP_1) | instskip(NEXT) | instid1(VALU_DEP_1)
	v_sub_nc_u32_e32 v8, v8, v9
	v_bfe_i32 v9, v8, 0, 8
	v_mov_b32_e32 v8, v7
	s_delay_alu instid0(VALU_DEP_2) | instskip(SKIP_2) | instid1(SALU_CYCLE_1)
	v_cmp_eq_u16_e64 s0, 0, v9
	v_and_b32_e32 v9, 0xffff, v9
	s_or_b32 s7, s0, s7
	s_and_not1_b32 exec_lo, exec_lo, s7
	s_cbranch_execnz .LBB49_158
; %bb.159:
	s_or_b32 exec_lo, exec_lo, s7
.LBB49_160:
	s_delay_alu instid0(SALU_CYCLE_1) | instskip(NEXT) | instid1(VALU_DEP_1)
	s_or_b32 exec_lo, exec_lo, s6
	v_and_b32_e32 v9, 0xff, v7
	v_mov_b32_e32 v8, 0
	s_mov_b32 s6, exec_lo
	s_delay_alu instid0(VALU_DEP_2)
	v_cmpx_ne_u16_e32 0, v9
	s_cbranch_execz .LBB49_162
; %bb.161:
	v_bfe_i32 v7, v7, 0, 8
	v_cvt_f32_i32_e32 v36, v6
	s_delay_alu instid0(VALU_DEP_2) | instskip(SKIP_1) | instid1(VALU_DEP_2)
	v_cvt_f32_i32_e32 v8, v7
	v_xor_b32_e32 v6, v6, v7
	v_rcp_iflag_f32_e32 v9, v8
	v_nop
	s_delay_alu instid0(TRANS32_DEP_1) | instskip(NEXT) | instid1(VALU_DEP_1)
	v_mul_f32_e32 v9, v36, v9
	v_trunc_f32_e32 v7, v9
	s_delay_alu instid0(VALU_DEP_1) | instskip(NEXT) | instid1(VALU_DEP_1)
	v_dual_ashrrev_i32 v6, 30, v6 :: v_dual_fma_f32 v9, -v7, v8, v36
	v_or_b32_e32 v6, 1, v6
	v_cvt_i32_f32_e32 v7, v7
	s_delay_alu instid0(VALU_DEP_3) | instskip(NEXT) | instid1(VALU_DEP_1)
	v_cmp_ge_f32_e64 s0, |v9|, |v8|
	v_cndmask_b32_e64 v6, 0, v6, s0
	s_delay_alu instid0(VALU_DEP_1) | instskip(NEXT) | instid1(VALU_DEP_1)
	v_add_nc_u32_e32 v6, v7, v6
	v_bfe_i32 v6, v6, 0, 8
	s_delay_alu instid0(VALU_DEP_1) | instskip(NEXT) | instid1(VALU_DEP_1)
	v_mul_i32_i24_e32 v5, v6, v5
	v_sub_nc_u32_e32 v6, 0, v5
	s_delay_alu instid0(VALU_DEP_1)
	v_max_i32_e32 v8, v5, v6
.LBB49_162:
	s_or_b32 exec_lo, exec_lo, s6
	s_delay_alu instid0(VALU_DEP_1)
	v_perm_b32 v2, v2, v8, 0x60504
.LBB49_163:
	s_or_b32 exec_lo, exec_lo, s3
	v_or_b32_e32 v5, 0x400, v0
	s_mov_b32 s3, exec_lo
	s_delay_alu instid0(VALU_DEP_1)
	v_cmpx_gt_i32_e64 s1, v5
	s_cbranch_execz .LBB49_171
; %bb.164:
	v_bfe_i32 v5, v35, 0, 8
	v_and_b32_e32 v6, 0xff, v34
	s_mov_b32 s7, 0
	s_delay_alu instid0(VALU_DEP_2) | instskip(NEXT) | instid1(VALU_DEP_2)
	v_sub_nc_u16 v7, 0, v5
	v_cmp_ne_u16_e64 s0, 0, v6
	v_bfe_i32 v6, v34, 0, 8
	s_delay_alu instid0(VALU_DEP_3)
	v_max_i16 v7, v5, v7
	s_and_saveexec_b32 s6, s0
	s_cbranch_execz .LBB49_168
; %bb.165:
	s_delay_alu instid0(VALU_DEP_2) | instskip(NEXT) | instid1(VALU_DEP_1)
	v_sub_nc_u16 v8, 0, v6
	v_max_i16 v9, v6, v8
	v_and_b32_e32 v8, 0xff, v7
	s_delay_alu instid0(VALU_DEP_2)
	v_and_b32_e32 v9, 0xffff, v9
.LBB49_166:                             ; =>This Inner Loop Header: Depth=1
	s_delay_alu instid0(VALU_DEP_2) | instskip(NEXT) | instid1(VALU_DEP_2)
	v_bfe_i32 v35, v8, 0, 8
	v_mov_b32_e32 v7, v9
	s_delay_alu instid0(VALU_DEP_2) | instskip(NEXT) | instid1(VALU_DEP_2)
	v_cvt_f32_i32_e32 v37, v35
	v_bfe_i32 v9, v7, 0, 8
	s_delay_alu instid0(VALU_DEP_1) | instskip(SKIP_1) | instid1(VALU_DEP_2)
	v_cvt_f32_i32_e32 v34, v9
	v_xor_b32_e32 v9, v35, v9
	v_rcp_iflag_f32_e32 v36, v34
	v_nop
	s_delay_alu instid0(TRANS32_DEP_1) | instskip(NEXT) | instid1(VALU_DEP_1)
	v_dual_ashrrev_i32 v9, 30, v9 :: v_dual_mul_f32 v35, v37, v36
	v_trunc_f32_e32 v35, v35
	s_delay_alu instid0(VALU_DEP_1) | instskip(SKIP_1) | instid1(VALU_DEP_2)
	v_dual_fma_f32 v36, -v35, v34, v37 :: v_dual_bitop2_b32 v9, 1, v9 bitop3:0x54
	v_cvt_i32_f32_e32 v35, v35
	v_cmp_ge_f32_e64 s0, |v36|, |v34|
	s_delay_alu instid0(VALU_DEP_1) | instskip(NEXT) | instid1(VALU_DEP_1)
	v_cndmask_b32_e64 v9, 0, v9, s0
	v_add_nc_u32_e32 v9, v35, v9
	s_delay_alu instid0(VALU_DEP_1) | instskip(NEXT) | instid1(VALU_DEP_1)
	v_mul_lo_u32 v9, v9, v7
	v_sub_nc_u32_e32 v8, v8, v9
	s_delay_alu instid0(VALU_DEP_1) | instskip(SKIP_1) | instid1(VALU_DEP_2)
	v_bfe_i32 v9, v8, 0, 8
	v_mov_b32_e32 v8, v7
	v_cmp_eq_u16_e64 s0, 0, v9
	v_and_b32_e32 v9, 0xffff, v9
	s_or_b32 s7, s0, s7
	s_delay_alu instid0(SALU_CYCLE_1)
	s_and_not1_b32 exec_lo, exec_lo, s7
	s_cbranch_execnz .LBB49_166
; %bb.167:
	s_or_b32 exec_lo, exec_lo, s7
.LBB49_168:
	s_delay_alu instid0(SALU_CYCLE_1) | instskip(NEXT) | instid1(VALU_DEP_1)
	s_or_b32 exec_lo, exec_lo, s6
	v_and_b32_e32 v9, 0xff, v7
	v_mov_b32_e32 v8, 0
	s_mov_b32 s6, exec_lo
	s_delay_alu instid0(VALU_DEP_2)
	v_cmpx_ne_u16_e32 0, v9
	s_cbranch_execz .LBB49_170
; %bb.169:
	v_bfe_i32 v7, v7, 0, 8
	v_cvt_f32_i32_e32 v34, v6
	s_delay_alu instid0(VALU_DEP_2) | instskip(SKIP_1) | instid1(VALU_DEP_2)
	v_cvt_f32_i32_e32 v8, v7
	v_xor_b32_e32 v6, v6, v7
	v_rcp_iflag_f32_e32 v9, v8
	s_delay_alu instid0(VALU_DEP_1)
	v_ashrrev_i32_e32 v6, 30, v6
	s_delay_alu instid0(TRANS32_DEP_1) | instid1(VALU_DEP_1)
	v_dual_mul_f32 v9, v34, v9 :: v_dual_bitop2_b32 v6, 1, v6 bitop3:0x54
	s_delay_alu instid0(VALU_DEP_1) | instskip(NEXT) | instid1(VALU_DEP_1)
	v_trunc_f32_e32 v7, v9
	v_fma_f32 v9, -v7, v8, v34
	v_cvt_i32_f32_e32 v7, v7
	s_delay_alu instid0(VALU_DEP_2) | instskip(NEXT) | instid1(VALU_DEP_1)
	v_cmp_ge_f32_e64 s0, |v9|, |v8|
	v_cndmask_b32_e64 v6, 0, v6, s0
	s_delay_alu instid0(VALU_DEP_1) | instskip(NEXT) | instid1(VALU_DEP_1)
	v_add_nc_u32_e32 v6, v7, v6
	v_bfe_i32 v6, v6, 0, 8
	s_delay_alu instid0(VALU_DEP_1) | instskip(NEXT) | instid1(VALU_DEP_1)
	v_mul_i32_i24_e32 v5, v6, v5
	v_sub_nc_u32_e32 v6, 0, v5
	s_delay_alu instid0(VALU_DEP_1)
	v_max_i32_e32 v8, v5, v6
.LBB49_170:
	s_or_b32 exec_lo, exec_lo, s6
	s_delay_alu instid0(VALU_DEP_1)
	v_perm_b32 v1, v8, v1, 0x3020104
.LBB49_171:
	s_or_b32 exec_lo, exec_lo, s3
	v_or_b32_e32 v5, 0x500, v0
	s_mov_b32 s3, exec_lo
	s_delay_alu instid0(VALU_DEP_1)
	v_cmpx_gt_i32_e64 s1, v5
	s_cbranch_execz .LBB49_179
; %bb.172:
	v_bfe_i32 v5, v33, 0, 8
	v_and_b32_e32 v6, 0xff, v32
	s_mov_b32 s7, 0
	s_delay_alu instid0(VALU_DEP_2) | instskip(NEXT) | instid1(VALU_DEP_2)
	v_sub_nc_u16 v7, 0, v5
	v_cmp_ne_u16_e64 s0, 0, v6
	v_bfe_i32 v6, v32, 0, 8
	s_delay_alu instid0(VALU_DEP_3)
	v_max_i16 v7, v5, v7
	s_and_saveexec_b32 s6, s0
	s_cbranch_execz .LBB49_176
; %bb.173:
	s_delay_alu instid0(VALU_DEP_2) | instskip(NEXT) | instid1(VALU_DEP_1)
	v_sub_nc_u16 v8, 0, v6
	v_max_i16 v9, v6, v8
	v_and_b32_e32 v8, 0xff, v7
	s_delay_alu instid0(VALU_DEP_2)
	v_and_b32_e32 v9, 0xffff, v9
.LBB49_174:                             ; =>This Inner Loop Header: Depth=1
	s_delay_alu instid0(VALU_DEP_2) | instskip(NEXT) | instid1(VALU_DEP_1)
	v_bfe_i32 v33, v8, 0, 8
	v_cvt_f32_i32_e32 v35, v33
	s_delay_alu instid0(VALU_DEP_3) | instskip(NEXT) | instid1(VALU_DEP_1)
	v_mov_b32_e32 v7, v9
	v_bfe_i32 v9, v7, 0, 8
	s_delay_alu instid0(VALU_DEP_1) | instskip(SKIP_1) | instid1(VALU_DEP_2)
	v_cvt_f32_i32_e32 v32, v9
	v_xor_b32_e32 v9, v33, v9
	v_rcp_iflag_f32_e32 v34, v32
	v_nop
	s_delay_alu instid0(TRANS32_DEP_1) | instskip(NEXT) | instid1(VALU_DEP_1)
	v_mul_f32_e32 v33, v35, v34
	v_trunc_f32_e32 v33, v33
	s_delay_alu instid0(VALU_DEP_1) | instskip(SKIP_1) | instid1(VALU_DEP_2)
	v_dual_fma_f32 v34, -v33, v32, v35 :: v_dual_ashrrev_i32 v9, 30, v9
	v_cvt_i32_f32_e32 v33, v33
	v_cmp_ge_f32_e64 s0, |v34|, |v32|
	s_delay_alu instid0(VALU_DEP_3) | instskip(NEXT) | instid1(VALU_DEP_1)
	v_or_b32_e32 v9, 1, v9
	v_cndmask_b32_e64 v9, 0, v9, s0
	s_delay_alu instid0(VALU_DEP_1) | instskip(NEXT) | instid1(VALU_DEP_1)
	v_add_nc_u32_e32 v9, v33, v9
	v_mul_lo_u32 v9, v9, v7
	s_delay_alu instid0(VALU_DEP_1) | instskip(NEXT) | instid1(VALU_DEP_1)
	v_sub_nc_u32_e32 v8, v8, v9
	v_bfe_i32 v9, v8, 0, 8
	v_mov_b32_e32 v8, v7
	s_delay_alu instid0(VALU_DEP_2) | instskip(SKIP_2) | instid1(SALU_CYCLE_1)
	v_cmp_eq_u16_e64 s0, 0, v9
	v_and_b32_e32 v9, 0xffff, v9
	s_or_b32 s7, s0, s7
	s_and_not1_b32 exec_lo, exec_lo, s7
	s_cbranch_execnz .LBB49_174
; %bb.175:
	s_or_b32 exec_lo, exec_lo, s7
.LBB49_176:
	s_delay_alu instid0(SALU_CYCLE_1) | instskip(NEXT) | instid1(VALU_DEP_1)
	s_or_b32 exec_lo, exec_lo, s6
	v_and_b32_e32 v9, 0xff, v7
	v_mov_b32_e32 v8, 0
	s_mov_b32 s6, exec_lo
	s_delay_alu instid0(VALU_DEP_2)
	v_cmpx_ne_u16_e32 0, v9
	s_cbranch_execz .LBB49_178
; %bb.177:
	v_bfe_i32 v7, v7, 0, 8
	v_cvt_f32_i32_e32 v32, v6
	s_delay_alu instid0(VALU_DEP_2) | instskip(SKIP_1) | instid1(VALU_DEP_2)
	v_cvt_f32_i32_e32 v8, v7
	v_xor_b32_e32 v6, v6, v7
	v_rcp_iflag_f32_e32 v9, v8
	v_nop
	s_delay_alu instid0(TRANS32_DEP_1) | instskip(NEXT) | instid1(VALU_DEP_1)
	v_mul_f32_e32 v9, v32, v9
	v_trunc_f32_e32 v7, v9
	s_delay_alu instid0(VALU_DEP_1) | instskip(NEXT) | instid1(VALU_DEP_1)
	v_dual_ashrrev_i32 v6, 30, v6 :: v_dual_fma_f32 v9, -v7, v8, v32
	v_or_b32_e32 v6, 1, v6
	v_cvt_i32_f32_e32 v7, v7
	s_delay_alu instid0(VALU_DEP_3) | instskip(NEXT) | instid1(VALU_DEP_1)
	v_cmp_ge_f32_e64 s0, |v9|, |v8|
	v_cndmask_b32_e64 v6, 0, v6, s0
	s_delay_alu instid0(VALU_DEP_1) | instskip(NEXT) | instid1(VALU_DEP_1)
	v_add_nc_u32_e32 v6, v7, v6
	v_bfe_i32 v6, v6, 0, 8
	s_delay_alu instid0(VALU_DEP_1) | instskip(NEXT) | instid1(VALU_DEP_1)
	v_mul_i32_i24_e32 v5, v6, v5
	v_sub_nc_u32_e32 v6, 0, v5
	s_delay_alu instid0(VALU_DEP_1)
	v_max_i32_e32 v8, v5, v6
.LBB49_178:
	s_or_b32 exec_lo, exec_lo, s6
	s_delay_alu instid0(VALU_DEP_1)
	v_perm_b32 v1, v1, v8, 0x7060004
.LBB49_179:
	s_or_b32 exec_lo, exec_lo, s3
	v_or_b32_e32 v5, 0x600, v0
	s_mov_b32 s3, exec_lo
	s_delay_alu instid0(VALU_DEP_1)
	v_cmpx_gt_i32_e64 s1, v5
	s_cbranch_execz .LBB49_187
; %bb.180:
	v_bfe_i32 v5, v31, 0, 8
	v_and_b32_e32 v6, 0xff, v30
	s_mov_b32 s7, 0
	s_delay_alu instid0(VALU_DEP_2) | instskip(NEXT) | instid1(VALU_DEP_2)
	v_sub_nc_u16 v7, 0, v5
	v_cmp_ne_u16_e64 s0, 0, v6
	v_bfe_i32 v6, v30, 0, 8
	s_delay_alu instid0(VALU_DEP_3)
	v_max_i16 v7, v5, v7
	s_and_saveexec_b32 s6, s0
	s_cbranch_execz .LBB49_184
; %bb.181:
	s_delay_alu instid0(VALU_DEP_2) | instskip(NEXT) | instid1(VALU_DEP_1)
	v_sub_nc_u16 v8, 0, v6
	v_max_i16 v9, v6, v8
	v_and_b32_e32 v8, 0xff, v7
	s_delay_alu instid0(VALU_DEP_2)
	v_and_b32_e32 v9, 0xffff, v9
.LBB49_182:                             ; =>This Inner Loop Header: Depth=1
	s_delay_alu instid0(VALU_DEP_2) | instskip(NEXT) | instid1(VALU_DEP_2)
	v_bfe_i32 v31, v8, 0, 8
	v_mov_b32_e32 v7, v9
	s_delay_alu instid0(VALU_DEP_2) | instskip(NEXT) | instid1(VALU_DEP_2)
	v_cvt_f32_i32_e32 v33, v31
	v_bfe_i32 v9, v7, 0, 8
	s_delay_alu instid0(VALU_DEP_1) | instskip(SKIP_1) | instid1(VALU_DEP_2)
	v_cvt_f32_i32_e32 v30, v9
	v_xor_b32_e32 v9, v31, v9
	v_rcp_iflag_f32_e32 v32, v30
	v_nop
	s_delay_alu instid0(TRANS32_DEP_1) | instskip(NEXT) | instid1(VALU_DEP_1)
	v_dual_ashrrev_i32 v9, 30, v9 :: v_dual_mul_f32 v31, v33, v32
	v_trunc_f32_e32 v31, v31
	s_delay_alu instid0(VALU_DEP_1) | instskip(SKIP_1) | instid1(VALU_DEP_2)
	v_dual_fma_f32 v32, -v31, v30, v33 :: v_dual_bitop2_b32 v9, 1, v9 bitop3:0x54
	v_cvt_i32_f32_e32 v31, v31
	v_cmp_ge_f32_e64 s0, |v32|, |v30|
	s_delay_alu instid0(VALU_DEP_1) | instskip(NEXT) | instid1(VALU_DEP_1)
	v_cndmask_b32_e64 v9, 0, v9, s0
	v_add_nc_u32_e32 v9, v31, v9
	s_delay_alu instid0(VALU_DEP_1) | instskip(NEXT) | instid1(VALU_DEP_1)
	v_mul_lo_u32 v9, v9, v7
	v_sub_nc_u32_e32 v8, v8, v9
	s_delay_alu instid0(VALU_DEP_1) | instskip(SKIP_1) | instid1(VALU_DEP_2)
	v_bfe_i32 v9, v8, 0, 8
	v_mov_b32_e32 v8, v7
	v_cmp_eq_u16_e64 s0, 0, v9
	v_and_b32_e32 v9, 0xffff, v9
	s_or_b32 s7, s0, s7
	s_delay_alu instid0(SALU_CYCLE_1)
	s_and_not1_b32 exec_lo, exec_lo, s7
	s_cbranch_execnz .LBB49_182
; %bb.183:
	s_or_b32 exec_lo, exec_lo, s7
.LBB49_184:
	s_delay_alu instid0(SALU_CYCLE_1) | instskip(NEXT) | instid1(VALU_DEP_1)
	s_or_b32 exec_lo, exec_lo, s6
	v_and_b32_e32 v9, 0xff, v7
	v_mov_b32_e32 v8, 0
	s_mov_b32 s6, exec_lo
	s_delay_alu instid0(VALU_DEP_2)
	v_cmpx_ne_u16_e32 0, v9
	s_cbranch_execz .LBB49_186
; %bb.185:
	v_bfe_i32 v7, v7, 0, 8
	v_cvt_f32_i32_e32 v30, v6
	s_delay_alu instid0(VALU_DEP_2) | instskip(SKIP_1) | instid1(VALU_DEP_2)
	v_cvt_f32_i32_e32 v8, v7
	v_xor_b32_e32 v6, v6, v7
	v_rcp_iflag_f32_e32 v9, v8
	s_delay_alu instid0(VALU_DEP_1)
	v_ashrrev_i32_e32 v6, 30, v6
	s_delay_alu instid0(TRANS32_DEP_1) | instid1(VALU_DEP_1)
	v_dual_mul_f32 v9, v30, v9 :: v_dual_bitop2_b32 v6, 1, v6 bitop3:0x54
	s_delay_alu instid0(VALU_DEP_1) | instskip(NEXT) | instid1(VALU_DEP_1)
	v_trunc_f32_e32 v7, v9
	v_fma_f32 v9, -v7, v8, v30
	v_cvt_i32_f32_e32 v7, v7
	s_delay_alu instid0(VALU_DEP_2) | instskip(NEXT) | instid1(VALU_DEP_1)
	v_cmp_ge_f32_e64 s0, |v9|, |v8|
	v_cndmask_b32_e64 v6, 0, v6, s0
	s_delay_alu instid0(VALU_DEP_1) | instskip(NEXT) | instid1(VALU_DEP_1)
	v_add_nc_u32_e32 v6, v7, v6
	v_bfe_i32 v6, v6, 0, 8
	s_delay_alu instid0(VALU_DEP_1) | instskip(NEXT) | instid1(VALU_DEP_1)
	v_mul_i32_i24_e32 v5, v6, v5
	v_sub_nc_u32_e32 v6, 0, v5
	s_delay_alu instid0(VALU_DEP_1)
	v_max_i32_e32 v8, v5, v6
.LBB49_186:
	s_or_b32 exec_lo, exec_lo, s6
	s_delay_alu instid0(VALU_DEP_1)
	v_perm_b32 v1, v1, v8, 0x7000504
.LBB49_187:
	s_or_b32 exec_lo, exec_lo, s3
	v_or_b32_e32 v5, 0x700, v0
	s_mov_b32 s3, exec_lo
	s_delay_alu instid0(VALU_DEP_1)
	v_cmpx_gt_i32_e64 s1, v5
	s_cbranch_execz .LBB49_195
; %bb.188:
	v_bfe_i32 v5, v29, 0, 8
	v_and_b32_e32 v6, 0xff, v28
	s_mov_b32 s7, 0
	s_delay_alu instid0(VALU_DEP_2) | instskip(NEXT) | instid1(VALU_DEP_2)
	v_sub_nc_u16 v7, 0, v5
	v_cmp_ne_u16_e64 s0, 0, v6
	v_bfe_i32 v6, v28, 0, 8
	s_delay_alu instid0(VALU_DEP_3)
	v_max_i16 v7, v5, v7
	s_and_saveexec_b32 s6, s0
	s_cbranch_execz .LBB49_192
; %bb.189:
	s_delay_alu instid0(VALU_DEP_2) | instskip(NEXT) | instid1(VALU_DEP_1)
	v_sub_nc_u16 v8, 0, v6
	v_max_i16 v9, v6, v8
	v_and_b32_e32 v8, 0xff, v7
	s_delay_alu instid0(VALU_DEP_2)
	v_and_b32_e32 v9, 0xffff, v9
.LBB49_190:                             ; =>This Inner Loop Header: Depth=1
	s_delay_alu instid0(VALU_DEP_2) | instskip(NEXT) | instid1(VALU_DEP_1)
	v_bfe_i32 v29, v8, 0, 8
	v_cvt_f32_i32_e32 v31, v29
	s_delay_alu instid0(VALU_DEP_3) | instskip(NEXT) | instid1(VALU_DEP_1)
	v_mov_b32_e32 v7, v9
	v_bfe_i32 v9, v7, 0, 8
	s_delay_alu instid0(VALU_DEP_1) | instskip(SKIP_1) | instid1(VALU_DEP_2)
	v_cvt_f32_i32_e32 v28, v9
	v_xor_b32_e32 v9, v29, v9
	v_rcp_iflag_f32_e32 v30, v28
	v_nop
	s_delay_alu instid0(TRANS32_DEP_1) | instskip(NEXT) | instid1(VALU_DEP_1)
	v_mul_f32_e32 v29, v31, v30
	v_trunc_f32_e32 v29, v29
	s_delay_alu instid0(VALU_DEP_1) | instskip(SKIP_1) | instid1(VALU_DEP_2)
	v_dual_fma_f32 v30, -v29, v28, v31 :: v_dual_ashrrev_i32 v9, 30, v9
	v_cvt_i32_f32_e32 v29, v29
	v_cmp_ge_f32_e64 s0, |v30|, |v28|
	s_delay_alu instid0(VALU_DEP_3) | instskip(NEXT) | instid1(VALU_DEP_1)
	v_or_b32_e32 v9, 1, v9
	v_cndmask_b32_e64 v9, 0, v9, s0
	s_delay_alu instid0(VALU_DEP_1) | instskip(NEXT) | instid1(VALU_DEP_1)
	v_add_nc_u32_e32 v9, v29, v9
	v_mul_lo_u32 v9, v9, v7
	s_delay_alu instid0(VALU_DEP_1) | instskip(NEXT) | instid1(VALU_DEP_1)
	v_sub_nc_u32_e32 v8, v8, v9
	v_bfe_i32 v9, v8, 0, 8
	v_mov_b32_e32 v8, v7
	s_delay_alu instid0(VALU_DEP_2) | instskip(SKIP_2) | instid1(SALU_CYCLE_1)
	v_cmp_eq_u16_e64 s0, 0, v9
	v_and_b32_e32 v9, 0xffff, v9
	s_or_b32 s7, s0, s7
	s_and_not1_b32 exec_lo, exec_lo, s7
	s_cbranch_execnz .LBB49_190
; %bb.191:
	s_or_b32 exec_lo, exec_lo, s7
.LBB49_192:
	s_delay_alu instid0(SALU_CYCLE_1) | instskip(NEXT) | instid1(VALU_DEP_1)
	s_or_b32 exec_lo, exec_lo, s6
	v_and_b32_e32 v9, 0xff, v7
	v_mov_b32_e32 v8, 0
	s_mov_b32 s6, exec_lo
	s_delay_alu instid0(VALU_DEP_2)
	v_cmpx_ne_u16_e32 0, v9
	s_cbranch_execz .LBB49_194
; %bb.193:
	v_bfe_i32 v7, v7, 0, 8
	v_cvt_f32_i32_e32 v28, v6
	s_delay_alu instid0(VALU_DEP_2) | instskip(SKIP_1) | instid1(VALU_DEP_2)
	v_cvt_f32_i32_e32 v8, v7
	v_xor_b32_e32 v6, v6, v7
	v_rcp_iflag_f32_e32 v9, v8
	v_nop
	s_delay_alu instid0(TRANS32_DEP_1) | instskip(NEXT) | instid1(VALU_DEP_1)
	v_mul_f32_e32 v9, v28, v9
	v_trunc_f32_e32 v7, v9
	s_delay_alu instid0(VALU_DEP_1) | instskip(NEXT) | instid1(VALU_DEP_1)
	v_dual_ashrrev_i32 v6, 30, v6 :: v_dual_fma_f32 v9, -v7, v8, v28
	v_or_b32_e32 v6, 1, v6
	v_cvt_i32_f32_e32 v7, v7
	s_delay_alu instid0(VALU_DEP_3) | instskip(NEXT) | instid1(VALU_DEP_1)
	v_cmp_ge_f32_e64 s0, |v9|, |v8|
	v_cndmask_b32_e64 v6, 0, v6, s0
	s_delay_alu instid0(VALU_DEP_1) | instskip(NEXT) | instid1(VALU_DEP_1)
	v_add_nc_u32_e32 v6, v7, v6
	v_bfe_i32 v6, v6, 0, 8
	s_delay_alu instid0(VALU_DEP_1) | instskip(NEXT) | instid1(VALU_DEP_1)
	v_mul_i32_i24_e32 v5, v6, v5
	v_sub_nc_u32_e32 v6, 0, v5
	s_delay_alu instid0(VALU_DEP_1)
	v_max_i32_e32 v8, v5, v6
.LBB49_194:
	s_or_b32 exec_lo, exec_lo, s6
	s_delay_alu instid0(VALU_DEP_1)
	v_perm_b32 v1, v1, v8, 0x60504
.LBB49_195:
	s_or_b32 exec_lo, exec_lo, s3
	v_or_b32_e32 v5, 0x800, v0
	s_mov_b32 s3, exec_lo
	s_delay_alu instid0(VALU_DEP_1)
	v_cmpx_gt_i32_e64 s1, v5
	s_cbranch_execz .LBB49_203
; %bb.196:
	v_bfe_i32 v5, v27, 0, 8
	v_and_b32_e32 v6, 0xff, v26
	s_mov_b32 s7, 0
	s_delay_alu instid0(VALU_DEP_2) | instskip(NEXT) | instid1(VALU_DEP_2)
	v_sub_nc_u16 v7, 0, v5
	v_cmp_ne_u16_e64 s0, 0, v6
	v_bfe_i32 v6, v26, 0, 8
	s_delay_alu instid0(VALU_DEP_3)
	v_max_i16 v7, v5, v7
	s_and_saveexec_b32 s6, s0
	s_cbranch_execz .LBB49_200
; %bb.197:
	s_delay_alu instid0(VALU_DEP_2) | instskip(NEXT) | instid1(VALU_DEP_1)
	v_sub_nc_u16 v8, 0, v6
	v_max_i16 v9, v6, v8
	v_and_b32_e32 v8, 0xff, v7
	s_delay_alu instid0(VALU_DEP_2)
	v_and_b32_e32 v9, 0xffff, v9
.LBB49_198:                             ; =>This Inner Loop Header: Depth=1
	s_delay_alu instid0(VALU_DEP_2) | instskip(NEXT) | instid1(VALU_DEP_2)
	v_bfe_i32 v27, v8, 0, 8
	v_mov_b32_e32 v7, v9
	s_delay_alu instid0(VALU_DEP_2) | instskip(NEXT) | instid1(VALU_DEP_2)
	v_cvt_f32_i32_e32 v29, v27
	v_bfe_i32 v9, v7, 0, 8
	s_delay_alu instid0(VALU_DEP_1) | instskip(SKIP_1) | instid1(VALU_DEP_2)
	v_cvt_f32_i32_e32 v26, v9
	v_xor_b32_e32 v9, v27, v9
	v_rcp_iflag_f32_e32 v28, v26
	v_nop
	s_delay_alu instid0(TRANS32_DEP_1) | instskip(NEXT) | instid1(VALU_DEP_1)
	v_dual_ashrrev_i32 v9, 30, v9 :: v_dual_mul_f32 v27, v29, v28
	v_trunc_f32_e32 v27, v27
	s_delay_alu instid0(VALU_DEP_1) | instskip(SKIP_1) | instid1(VALU_DEP_2)
	v_dual_fma_f32 v28, -v27, v26, v29 :: v_dual_bitop2_b32 v9, 1, v9 bitop3:0x54
	v_cvt_i32_f32_e32 v27, v27
	v_cmp_ge_f32_e64 s0, |v28|, |v26|
	s_delay_alu instid0(VALU_DEP_1) | instskip(NEXT) | instid1(VALU_DEP_1)
	v_cndmask_b32_e64 v9, 0, v9, s0
	v_add_nc_u32_e32 v9, v27, v9
	s_delay_alu instid0(VALU_DEP_1) | instskip(NEXT) | instid1(VALU_DEP_1)
	v_mul_lo_u32 v9, v9, v7
	v_sub_nc_u32_e32 v8, v8, v9
	s_delay_alu instid0(VALU_DEP_1) | instskip(SKIP_1) | instid1(VALU_DEP_2)
	v_bfe_i32 v9, v8, 0, 8
	v_mov_b32_e32 v8, v7
	v_cmp_eq_u16_e64 s0, 0, v9
	v_and_b32_e32 v9, 0xffff, v9
	s_or_b32 s7, s0, s7
	s_delay_alu instid0(SALU_CYCLE_1)
	s_and_not1_b32 exec_lo, exec_lo, s7
	s_cbranch_execnz .LBB49_198
; %bb.199:
	s_or_b32 exec_lo, exec_lo, s7
.LBB49_200:
	s_delay_alu instid0(SALU_CYCLE_1) | instskip(NEXT) | instid1(VALU_DEP_1)
	s_or_b32 exec_lo, exec_lo, s6
	v_and_b32_e32 v9, 0xff, v7
	v_mov_b32_e32 v8, 0
	s_mov_b32 s6, exec_lo
	s_delay_alu instid0(VALU_DEP_2)
	v_cmpx_ne_u16_e32 0, v9
	s_cbranch_execz .LBB49_202
; %bb.201:
	v_bfe_i32 v7, v7, 0, 8
	v_cvt_f32_i32_e32 v26, v6
	s_delay_alu instid0(VALU_DEP_2) | instskip(SKIP_1) | instid1(VALU_DEP_2)
	v_cvt_f32_i32_e32 v8, v7
	v_xor_b32_e32 v6, v6, v7
	v_rcp_iflag_f32_e32 v9, v8
	s_delay_alu instid0(VALU_DEP_1)
	v_ashrrev_i32_e32 v6, 30, v6
	s_delay_alu instid0(TRANS32_DEP_1) | instid1(VALU_DEP_1)
	v_dual_mul_f32 v9, v26, v9 :: v_dual_bitop2_b32 v6, 1, v6 bitop3:0x54
	s_delay_alu instid0(VALU_DEP_1) | instskip(NEXT) | instid1(VALU_DEP_1)
	v_trunc_f32_e32 v7, v9
	v_fma_f32 v9, -v7, v8, v26
	v_cvt_i32_f32_e32 v7, v7
	s_delay_alu instid0(VALU_DEP_2) | instskip(NEXT) | instid1(VALU_DEP_1)
	v_cmp_ge_f32_e64 s0, |v9|, |v8|
	v_cndmask_b32_e64 v6, 0, v6, s0
	s_delay_alu instid0(VALU_DEP_1) | instskip(NEXT) | instid1(VALU_DEP_1)
	v_add_nc_u32_e32 v6, v7, v6
	v_bfe_i32 v6, v6, 0, 8
	s_delay_alu instid0(VALU_DEP_1) | instskip(NEXT) | instid1(VALU_DEP_1)
	v_mul_i32_i24_e32 v5, v6, v5
	v_sub_nc_u32_e32 v6, 0, v5
	s_delay_alu instid0(VALU_DEP_1)
	v_max_i32_e32 v8, v5, v6
.LBB49_202:
	s_or_b32 exec_lo, exec_lo, s6
	s_delay_alu instid0(VALU_DEP_1)
	v_perm_b32 v4, v8, v4, 0x3020104
.LBB49_203:
	s_or_b32 exec_lo, exec_lo, s3
	v_or_b32_e32 v5, 0x900, v0
	s_mov_b32 s3, exec_lo
	s_delay_alu instid0(VALU_DEP_1)
	v_cmpx_gt_i32_e64 s1, v5
	s_cbranch_execz .LBB49_211
; %bb.204:
	v_bfe_i32 v5, v24, 0, 8
	v_and_b32_e32 v6, 0xff, v25
	s_mov_b32 s7, 0
	s_delay_alu instid0(VALU_DEP_2) | instskip(NEXT) | instid1(VALU_DEP_2)
	v_sub_nc_u16 v7, 0, v5
	v_cmp_ne_u16_e64 s0, 0, v6
	v_bfe_i32 v6, v25, 0, 8
	s_delay_alu instid0(VALU_DEP_3)
	v_max_i16 v7, v5, v7
	s_and_saveexec_b32 s6, s0
	s_cbranch_execz .LBB49_208
; %bb.205:
	s_delay_alu instid0(VALU_DEP_2) | instskip(NEXT) | instid1(VALU_DEP_1)
	v_sub_nc_u16 v8, 0, v6
	v_max_i16 v9, v6, v8
	v_and_b32_e32 v8, 0xff, v7
	s_delay_alu instid0(VALU_DEP_2)
	v_and_b32_e32 v9, 0xffff, v9
.LBB49_206:                             ; =>This Inner Loop Header: Depth=1
	s_delay_alu instid0(VALU_DEP_2) | instskip(NEXT) | instid1(VALU_DEP_1)
	v_bfe_i32 v25, v8, 0, 8
	v_cvt_f32_i32_e32 v27, v25
	s_delay_alu instid0(VALU_DEP_3) | instskip(NEXT) | instid1(VALU_DEP_1)
	v_mov_b32_e32 v7, v9
	v_bfe_i32 v9, v7, 0, 8
	s_delay_alu instid0(VALU_DEP_1) | instskip(SKIP_1) | instid1(VALU_DEP_2)
	v_cvt_f32_i32_e32 v24, v9
	v_xor_b32_e32 v9, v25, v9
	v_rcp_iflag_f32_e32 v26, v24
	v_nop
	s_delay_alu instid0(TRANS32_DEP_1) | instskip(NEXT) | instid1(VALU_DEP_1)
	v_mul_f32_e32 v25, v27, v26
	v_trunc_f32_e32 v25, v25
	s_delay_alu instid0(VALU_DEP_1) | instskip(SKIP_1) | instid1(VALU_DEP_2)
	v_dual_fma_f32 v26, -v25, v24, v27 :: v_dual_ashrrev_i32 v9, 30, v9
	v_cvt_i32_f32_e32 v25, v25
	v_cmp_ge_f32_e64 s0, |v26|, |v24|
	s_delay_alu instid0(VALU_DEP_3) | instskip(NEXT) | instid1(VALU_DEP_1)
	v_or_b32_e32 v9, 1, v9
	v_cndmask_b32_e64 v9, 0, v9, s0
	s_delay_alu instid0(VALU_DEP_1) | instskip(NEXT) | instid1(VALU_DEP_1)
	v_add_nc_u32_e32 v9, v25, v9
	v_mul_lo_u32 v9, v9, v7
	s_delay_alu instid0(VALU_DEP_1) | instskip(NEXT) | instid1(VALU_DEP_1)
	v_sub_nc_u32_e32 v8, v8, v9
	v_bfe_i32 v9, v8, 0, 8
	v_mov_b32_e32 v8, v7
	s_delay_alu instid0(VALU_DEP_2) | instskip(SKIP_2) | instid1(SALU_CYCLE_1)
	v_cmp_eq_u16_e64 s0, 0, v9
	v_and_b32_e32 v9, 0xffff, v9
	s_or_b32 s7, s0, s7
	s_and_not1_b32 exec_lo, exec_lo, s7
	s_cbranch_execnz .LBB49_206
; %bb.207:
	s_or_b32 exec_lo, exec_lo, s7
.LBB49_208:
	s_delay_alu instid0(SALU_CYCLE_1) | instskip(NEXT) | instid1(VALU_DEP_1)
	s_or_b32 exec_lo, exec_lo, s6
	v_and_b32_e32 v9, 0xff, v7
	v_mov_b32_e32 v8, 0
	s_mov_b32 s6, exec_lo
	s_delay_alu instid0(VALU_DEP_2)
	v_cmpx_ne_u16_e32 0, v9
	s_cbranch_execz .LBB49_210
; %bb.209:
	v_bfe_i32 v7, v7, 0, 8
	v_cvt_f32_i32_e32 v24, v6
	s_delay_alu instid0(VALU_DEP_2) | instskip(SKIP_1) | instid1(VALU_DEP_2)
	v_cvt_f32_i32_e32 v8, v7
	v_xor_b32_e32 v6, v6, v7
	v_rcp_iflag_f32_e32 v9, v8
	v_nop
	s_delay_alu instid0(TRANS32_DEP_1) | instskip(NEXT) | instid1(VALU_DEP_1)
	v_mul_f32_e32 v9, v24, v9
	v_trunc_f32_e32 v7, v9
	s_delay_alu instid0(VALU_DEP_1) | instskip(NEXT) | instid1(VALU_DEP_1)
	v_dual_ashrrev_i32 v6, 30, v6 :: v_dual_fma_f32 v9, -v7, v8, v24
	v_or_b32_e32 v6, 1, v6
	v_cvt_i32_f32_e32 v7, v7
	s_delay_alu instid0(VALU_DEP_3) | instskip(NEXT) | instid1(VALU_DEP_1)
	v_cmp_ge_f32_e64 s0, |v9|, |v8|
	v_cndmask_b32_e64 v6, 0, v6, s0
	s_delay_alu instid0(VALU_DEP_1) | instskip(NEXT) | instid1(VALU_DEP_1)
	v_add_nc_u32_e32 v6, v7, v6
	v_bfe_i32 v6, v6, 0, 8
	s_delay_alu instid0(VALU_DEP_1) | instskip(NEXT) | instid1(VALU_DEP_1)
	v_mul_i32_i24_e32 v5, v6, v5
	v_sub_nc_u32_e32 v6, 0, v5
	s_delay_alu instid0(VALU_DEP_1)
	v_max_i32_e32 v8, v5, v6
.LBB49_210:
	s_or_b32 exec_lo, exec_lo, s6
	s_delay_alu instid0(VALU_DEP_1)
	v_perm_b32 v4, v4, v8, 0x7060004
.LBB49_211:
	s_or_b32 exec_lo, exec_lo, s3
	v_or_b32_e32 v5, 0xa00, v0
	s_mov_b32 s3, exec_lo
	s_delay_alu instid0(VALU_DEP_1)
	v_cmpx_gt_i32_e64 s1, v5
	s_cbranch_execz .LBB49_219
; %bb.212:
	v_bfe_i32 v5, v22, 0, 8
	v_and_b32_e32 v6, 0xff, v23
	s_mov_b32 s7, 0
	s_delay_alu instid0(VALU_DEP_2) | instskip(NEXT) | instid1(VALU_DEP_2)
	v_sub_nc_u16 v7, 0, v5
	v_cmp_ne_u16_e64 s0, 0, v6
	v_bfe_i32 v6, v23, 0, 8
	s_delay_alu instid0(VALU_DEP_3)
	v_max_i16 v7, v5, v7
	s_and_saveexec_b32 s6, s0
	s_cbranch_execz .LBB49_216
; %bb.213:
	s_delay_alu instid0(VALU_DEP_2) | instskip(NEXT) | instid1(VALU_DEP_1)
	v_sub_nc_u16 v8, 0, v6
	v_max_i16 v9, v6, v8
	v_and_b32_e32 v8, 0xff, v7
	s_delay_alu instid0(VALU_DEP_2)
	v_and_b32_e32 v9, 0xffff, v9
.LBB49_214:                             ; =>This Inner Loop Header: Depth=1
	s_delay_alu instid0(VALU_DEP_2) | instskip(NEXT) | instid1(VALU_DEP_2)
	v_bfe_i32 v23, v8, 0, 8
	v_mov_b32_e32 v7, v9
	s_delay_alu instid0(VALU_DEP_2) | instskip(NEXT) | instid1(VALU_DEP_2)
	v_cvt_f32_i32_e32 v25, v23
	v_bfe_i32 v9, v7, 0, 8
	s_delay_alu instid0(VALU_DEP_1) | instskip(SKIP_1) | instid1(VALU_DEP_2)
	v_cvt_f32_i32_e32 v22, v9
	v_xor_b32_e32 v9, v23, v9
	v_rcp_iflag_f32_e32 v24, v22
	v_nop
	s_delay_alu instid0(TRANS32_DEP_1) | instskip(NEXT) | instid1(VALU_DEP_1)
	v_dual_ashrrev_i32 v9, 30, v9 :: v_dual_mul_f32 v23, v25, v24
	v_trunc_f32_e32 v23, v23
	s_delay_alu instid0(VALU_DEP_1) | instskip(SKIP_1) | instid1(VALU_DEP_2)
	v_dual_fma_f32 v24, -v23, v22, v25 :: v_dual_bitop2_b32 v9, 1, v9 bitop3:0x54
	v_cvt_i32_f32_e32 v23, v23
	v_cmp_ge_f32_e64 s0, |v24|, |v22|
	s_delay_alu instid0(VALU_DEP_1) | instskip(NEXT) | instid1(VALU_DEP_1)
	v_cndmask_b32_e64 v9, 0, v9, s0
	v_add_nc_u32_e32 v9, v23, v9
	s_delay_alu instid0(VALU_DEP_1) | instskip(NEXT) | instid1(VALU_DEP_1)
	v_mul_lo_u32 v9, v9, v7
	v_sub_nc_u32_e32 v8, v8, v9
	s_delay_alu instid0(VALU_DEP_1) | instskip(SKIP_1) | instid1(VALU_DEP_2)
	v_bfe_i32 v9, v8, 0, 8
	v_mov_b32_e32 v8, v7
	v_cmp_eq_u16_e64 s0, 0, v9
	v_and_b32_e32 v9, 0xffff, v9
	s_or_b32 s7, s0, s7
	s_delay_alu instid0(SALU_CYCLE_1)
	s_and_not1_b32 exec_lo, exec_lo, s7
	s_cbranch_execnz .LBB49_214
; %bb.215:
	s_or_b32 exec_lo, exec_lo, s7
.LBB49_216:
	s_delay_alu instid0(SALU_CYCLE_1) | instskip(NEXT) | instid1(VALU_DEP_1)
	s_or_b32 exec_lo, exec_lo, s6
	v_and_b32_e32 v9, 0xff, v7
	v_mov_b32_e32 v8, 0
	s_mov_b32 s6, exec_lo
	s_delay_alu instid0(VALU_DEP_2)
	v_cmpx_ne_u16_e32 0, v9
	s_cbranch_execz .LBB49_218
; %bb.217:
	v_bfe_i32 v7, v7, 0, 8
	v_cvt_f32_i32_e32 v22, v6
	s_delay_alu instid0(VALU_DEP_2) | instskip(SKIP_1) | instid1(VALU_DEP_2)
	v_cvt_f32_i32_e32 v8, v7
	v_xor_b32_e32 v6, v6, v7
	v_rcp_iflag_f32_e32 v9, v8
	s_delay_alu instid0(VALU_DEP_1)
	v_ashrrev_i32_e32 v6, 30, v6
	s_delay_alu instid0(TRANS32_DEP_1) | instid1(VALU_DEP_1)
	v_dual_mul_f32 v9, v22, v9 :: v_dual_bitop2_b32 v6, 1, v6 bitop3:0x54
	s_delay_alu instid0(VALU_DEP_1) | instskip(NEXT) | instid1(VALU_DEP_1)
	v_trunc_f32_e32 v7, v9
	v_fma_f32 v9, -v7, v8, v22
	v_cvt_i32_f32_e32 v7, v7
	s_delay_alu instid0(VALU_DEP_2) | instskip(NEXT) | instid1(VALU_DEP_1)
	v_cmp_ge_f32_e64 s0, |v9|, |v8|
	v_cndmask_b32_e64 v6, 0, v6, s0
	s_delay_alu instid0(VALU_DEP_1) | instskip(NEXT) | instid1(VALU_DEP_1)
	v_add_nc_u32_e32 v6, v7, v6
	v_bfe_i32 v6, v6, 0, 8
	s_delay_alu instid0(VALU_DEP_1) | instskip(NEXT) | instid1(VALU_DEP_1)
	v_mul_i32_i24_e32 v5, v6, v5
	v_sub_nc_u32_e32 v6, 0, v5
	s_delay_alu instid0(VALU_DEP_1)
	v_max_i32_e32 v8, v5, v6
.LBB49_218:
	s_or_b32 exec_lo, exec_lo, s6
	s_delay_alu instid0(VALU_DEP_1)
	v_perm_b32 v4, v4, v8, 0x7000504
.LBB49_219:
	s_or_b32 exec_lo, exec_lo, s3
	v_or_b32_e32 v5, 0xb00, v0
	s_mov_b32 s3, exec_lo
	s_delay_alu instid0(VALU_DEP_1)
	v_cmpx_gt_i32_e64 s1, v5
	s_cbranch_execz .LBB49_227
; %bb.220:
	v_bfe_i32 v5, v20, 0, 8
	v_and_b32_e32 v6, 0xff, v21
	s_mov_b32 s7, 0
	s_delay_alu instid0(VALU_DEP_2) | instskip(NEXT) | instid1(VALU_DEP_2)
	v_sub_nc_u16 v7, 0, v5
	v_cmp_ne_u16_e64 s0, 0, v6
	v_bfe_i32 v6, v21, 0, 8
	s_delay_alu instid0(VALU_DEP_3)
	v_max_i16 v7, v5, v7
	s_and_saveexec_b32 s6, s0
	s_cbranch_execz .LBB49_224
; %bb.221:
	s_delay_alu instid0(VALU_DEP_2) | instskip(NEXT) | instid1(VALU_DEP_1)
	v_sub_nc_u16 v8, 0, v6
	v_max_i16 v9, v6, v8
	v_and_b32_e32 v8, 0xff, v7
	s_delay_alu instid0(VALU_DEP_2)
	v_and_b32_e32 v9, 0xffff, v9
.LBB49_222:                             ; =>This Inner Loop Header: Depth=1
	s_delay_alu instid0(VALU_DEP_2) | instskip(NEXT) | instid1(VALU_DEP_1)
	v_bfe_i32 v21, v8, 0, 8
	v_cvt_f32_i32_e32 v23, v21
	s_delay_alu instid0(VALU_DEP_3) | instskip(NEXT) | instid1(VALU_DEP_1)
	v_mov_b32_e32 v7, v9
	v_bfe_i32 v9, v7, 0, 8
	s_delay_alu instid0(VALU_DEP_1) | instskip(SKIP_1) | instid1(VALU_DEP_2)
	v_cvt_f32_i32_e32 v20, v9
	v_xor_b32_e32 v9, v21, v9
	v_rcp_iflag_f32_e32 v22, v20
	v_nop
	s_delay_alu instid0(TRANS32_DEP_1) | instskip(NEXT) | instid1(VALU_DEP_1)
	v_mul_f32_e32 v21, v23, v22
	v_trunc_f32_e32 v21, v21
	s_delay_alu instid0(VALU_DEP_1) | instskip(SKIP_1) | instid1(VALU_DEP_2)
	v_dual_fma_f32 v22, -v21, v20, v23 :: v_dual_ashrrev_i32 v9, 30, v9
	v_cvt_i32_f32_e32 v21, v21
	v_cmp_ge_f32_e64 s0, |v22|, |v20|
	s_delay_alu instid0(VALU_DEP_3) | instskip(NEXT) | instid1(VALU_DEP_1)
	v_or_b32_e32 v9, 1, v9
	v_cndmask_b32_e64 v9, 0, v9, s0
	s_delay_alu instid0(VALU_DEP_1) | instskip(NEXT) | instid1(VALU_DEP_1)
	v_add_nc_u32_e32 v9, v21, v9
	v_mul_lo_u32 v9, v9, v7
	s_delay_alu instid0(VALU_DEP_1) | instskip(NEXT) | instid1(VALU_DEP_1)
	v_sub_nc_u32_e32 v8, v8, v9
	v_bfe_i32 v9, v8, 0, 8
	v_mov_b32_e32 v8, v7
	s_delay_alu instid0(VALU_DEP_2) | instskip(SKIP_2) | instid1(SALU_CYCLE_1)
	v_cmp_eq_u16_e64 s0, 0, v9
	v_and_b32_e32 v9, 0xffff, v9
	s_or_b32 s7, s0, s7
	s_and_not1_b32 exec_lo, exec_lo, s7
	s_cbranch_execnz .LBB49_222
; %bb.223:
	s_or_b32 exec_lo, exec_lo, s7
.LBB49_224:
	s_delay_alu instid0(SALU_CYCLE_1) | instskip(NEXT) | instid1(VALU_DEP_1)
	s_or_b32 exec_lo, exec_lo, s6
	v_and_b32_e32 v9, 0xff, v7
	v_mov_b32_e32 v8, 0
	s_mov_b32 s6, exec_lo
	s_delay_alu instid0(VALU_DEP_2)
	v_cmpx_ne_u16_e32 0, v9
	s_cbranch_execz .LBB49_226
; %bb.225:
	v_bfe_i32 v7, v7, 0, 8
	v_cvt_f32_i32_e32 v20, v6
	s_delay_alu instid0(VALU_DEP_2) | instskip(SKIP_1) | instid1(VALU_DEP_2)
	v_cvt_f32_i32_e32 v8, v7
	v_xor_b32_e32 v6, v6, v7
	v_rcp_iflag_f32_e32 v9, v8
	v_nop
	s_delay_alu instid0(TRANS32_DEP_1) | instskip(NEXT) | instid1(VALU_DEP_1)
	v_mul_f32_e32 v9, v20, v9
	v_trunc_f32_e32 v7, v9
	s_delay_alu instid0(VALU_DEP_1) | instskip(NEXT) | instid1(VALU_DEP_1)
	v_dual_ashrrev_i32 v6, 30, v6 :: v_dual_fma_f32 v9, -v7, v8, v20
	v_or_b32_e32 v6, 1, v6
	v_cvt_i32_f32_e32 v7, v7
	s_delay_alu instid0(VALU_DEP_3) | instskip(NEXT) | instid1(VALU_DEP_1)
	v_cmp_ge_f32_e64 s0, |v9|, |v8|
	v_cndmask_b32_e64 v6, 0, v6, s0
	s_delay_alu instid0(VALU_DEP_1) | instskip(NEXT) | instid1(VALU_DEP_1)
	v_add_nc_u32_e32 v6, v7, v6
	v_bfe_i32 v6, v6, 0, 8
	s_delay_alu instid0(VALU_DEP_1) | instskip(NEXT) | instid1(VALU_DEP_1)
	v_mul_i32_i24_e32 v5, v6, v5
	v_sub_nc_u32_e32 v6, 0, v5
	s_delay_alu instid0(VALU_DEP_1)
	v_max_i32_e32 v8, v5, v6
.LBB49_226:
	s_or_b32 exec_lo, exec_lo, s6
	s_delay_alu instid0(VALU_DEP_1)
	v_perm_b32 v4, v4, v8, 0x60504
.LBB49_227:
	s_or_b32 exec_lo, exec_lo, s3
	v_or_b32_e32 v5, 0xc00, v0
	s_mov_b32 s3, exec_lo
	s_delay_alu instid0(VALU_DEP_1)
	v_cmpx_gt_i32_e64 s1, v5
	s_cbranch_execz .LBB49_235
; %bb.228:
	v_bfe_i32 v5, v18, 0, 8
	v_and_b32_e32 v6, 0xff, v19
	s_mov_b32 s7, 0
	s_delay_alu instid0(VALU_DEP_2) | instskip(NEXT) | instid1(VALU_DEP_2)
	v_sub_nc_u16 v7, 0, v5
	v_cmp_ne_u16_e64 s0, 0, v6
	v_bfe_i32 v6, v19, 0, 8
	s_delay_alu instid0(VALU_DEP_3)
	v_max_i16 v7, v5, v7
	s_and_saveexec_b32 s6, s0
	s_cbranch_execz .LBB49_232
; %bb.229:
	s_delay_alu instid0(VALU_DEP_2) | instskip(NEXT) | instid1(VALU_DEP_1)
	v_sub_nc_u16 v8, 0, v6
	v_max_i16 v9, v6, v8
	v_and_b32_e32 v8, 0xff, v7
	s_delay_alu instid0(VALU_DEP_2)
	v_and_b32_e32 v9, 0xffff, v9
.LBB49_230:                             ; =>This Inner Loop Header: Depth=1
	s_delay_alu instid0(VALU_DEP_2) | instskip(NEXT) | instid1(VALU_DEP_2)
	v_bfe_i32 v19, v8, 0, 8
	v_mov_b32_e32 v7, v9
	s_delay_alu instid0(VALU_DEP_2) | instskip(NEXT) | instid1(VALU_DEP_2)
	v_cvt_f32_i32_e32 v21, v19
	v_bfe_i32 v9, v7, 0, 8
	s_delay_alu instid0(VALU_DEP_1) | instskip(SKIP_1) | instid1(VALU_DEP_2)
	v_cvt_f32_i32_e32 v18, v9
	v_xor_b32_e32 v9, v19, v9
	v_rcp_iflag_f32_e32 v20, v18
	v_nop
	s_delay_alu instid0(TRANS32_DEP_1) | instskip(NEXT) | instid1(VALU_DEP_1)
	v_dual_ashrrev_i32 v9, 30, v9 :: v_dual_mul_f32 v19, v21, v20
	v_trunc_f32_e32 v19, v19
	s_delay_alu instid0(VALU_DEP_1) | instskip(SKIP_1) | instid1(VALU_DEP_2)
	v_dual_fma_f32 v20, -v19, v18, v21 :: v_dual_bitop2_b32 v9, 1, v9 bitop3:0x54
	v_cvt_i32_f32_e32 v19, v19
	v_cmp_ge_f32_e64 s0, |v20|, |v18|
	s_delay_alu instid0(VALU_DEP_1) | instskip(NEXT) | instid1(VALU_DEP_1)
	v_cndmask_b32_e64 v9, 0, v9, s0
	v_add_nc_u32_e32 v9, v19, v9
	s_delay_alu instid0(VALU_DEP_1) | instskip(NEXT) | instid1(VALU_DEP_1)
	v_mul_lo_u32 v9, v9, v7
	v_sub_nc_u32_e32 v8, v8, v9
	s_delay_alu instid0(VALU_DEP_1) | instskip(SKIP_1) | instid1(VALU_DEP_2)
	v_bfe_i32 v9, v8, 0, 8
	v_mov_b32_e32 v8, v7
	v_cmp_eq_u16_e64 s0, 0, v9
	v_and_b32_e32 v9, 0xffff, v9
	s_or_b32 s7, s0, s7
	s_delay_alu instid0(SALU_CYCLE_1)
	s_and_not1_b32 exec_lo, exec_lo, s7
	s_cbranch_execnz .LBB49_230
; %bb.231:
	s_or_b32 exec_lo, exec_lo, s7
.LBB49_232:
	s_delay_alu instid0(SALU_CYCLE_1) | instskip(NEXT) | instid1(VALU_DEP_1)
	s_or_b32 exec_lo, exec_lo, s6
	v_and_b32_e32 v9, 0xff, v7
	v_mov_b32_e32 v8, 0
	s_mov_b32 s6, exec_lo
	s_delay_alu instid0(VALU_DEP_2)
	v_cmpx_ne_u16_e32 0, v9
	s_cbranch_execz .LBB49_234
; %bb.233:
	v_bfe_i32 v7, v7, 0, 8
	v_cvt_f32_i32_e32 v18, v6
	s_delay_alu instid0(VALU_DEP_2) | instskip(SKIP_1) | instid1(VALU_DEP_2)
	v_cvt_f32_i32_e32 v8, v7
	v_xor_b32_e32 v6, v6, v7
	v_rcp_iflag_f32_e32 v9, v8
	s_delay_alu instid0(VALU_DEP_1)
	v_ashrrev_i32_e32 v6, 30, v6
	s_delay_alu instid0(TRANS32_DEP_1) | instid1(VALU_DEP_1)
	v_dual_mul_f32 v9, v18, v9 :: v_dual_bitop2_b32 v6, 1, v6 bitop3:0x54
	s_delay_alu instid0(VALU_DEP_1) | instskip(NEXT) | instid1(VALU_DEP_1)
	v_trunc_f32_e32 v7, v9
	v_fma_f32 v9, -v7, v8, v18
	v_cvt_i32_f32_e32 v7, v7
	s_delay_alu instid0(VALU_DEP_2) | instskip(NEXT) | instid1(VALU_DEP_1)
	v_cmp_ge_f32_e64 s0, |v9|, |v8|
	v_cndmask_b32_e64 v6, 0, v6, s0
	s_delay_alu instid0(VALU_DEP_1) | instskip(NEXT) | instid1(VALU_DEP_1)
	v_add_nc_u32_e32 v6, v7, v6
	v_bfe_i32 v6, v6, 0, 8
	s_delay_alu instid0(VALU_DEP_1) | instskip(NEXT) | instid1(VALU_DEP_1)
	v_mul_i32_i24_e32 v5, v6, v5
	v_sub_nc_u32_e32 v6, 0, v5
	s_delay_alu instid0(VALU_DEP_1)
	v_max_i32_e32 v8, v5, v6
.LBB49_234:
	s_or_b32 exec_lo, exec_lo, s6
	s_delay_alu instid0(VALU_DEP_1)
	v_perm_b32 v3, v8, v3, 0x3020104
.LBB49_235:
	s_or_b32 exec_lo, exec_lo, s3
	v_or_b32_e32 v5, 0xd00, v0
	s_mov_b32 s3, exec_lo
	s_delay_alu instid0(VALU_DEP_1)
	v_cmpx_gt_i32_e64 s1, v5
	s_cbranch_execz .LBB49_243
; %bb.236:
	v_bfe_i32 v5, v16, 0, 8
	v_and_b32_e32 v6, 0xff, v17
	s_mov_b32 s7, 0
	s_delay_alu instid0(VALU_DEP_2) | instskip(NEXT) | instid1(VALU_DEP_2)
	v_sub_nc_u16 v7, 0, v5
	v_cmp_ne_u16_e64 s0, 0, v6
	v_bfe_i32 v6, v17, 0, 8
	s_delay_alu instid0(VALU_DEP_3)
	v_max_i16 v7, v5, v7
	s_and_saveexec_b32 s6, s0
	s_cbranch_execz .LBB49_240
; %bb.237:
	s_delay_alu instid0(VALU_DEP_2) | instskip(NEXT) | instid1(VALU_DEP_1)
	v_sub_nc_u16 v8, 0, v6
	v_max_i16 v9, v6, v8
	v_and_b32_e32 v8, 0xff, v7
	s_delay_alu instid0(VALU_DEP_2)
	v_and_b32_e32 v9, 0xffff, v9
.LBB49_238:                             ; =>This Inner Loop Header: Depth=1
	s_delay_alu instid0(VALU_DEP_2) | instskip(NEXT) | instid1(VALU_DEP_1)
	v_bfe_i32 v17, v8, 0, 8
	v_cvt_f32_i32_e32 v19, v17
	s_delay_alu instid0(VALU_DEP_3) | instskip(NEXT) | instid1(VALU_DEP_1)
	v_mov_b32_e32 v7, v9
	v_bfe_i32 v9, v7, 0, 8
	s_delay_alu instid0(VALU_DEP_1) | instskip(SKIP_1) | instid1(VALU_DEP_2)
	v_cvt_f32_i32_e32 v16, v9
	v_xor_b32_e32 v9, v17, v9
	v_rcp_iflag_f32_e32 v18, v16
	v_nop
	s_delay_alu instid0(TRANS32_DEP_1) | instskip(NEXT) | instid1(VALU_DEP_1)
	v_mul_f32_e32 v17, v19, v18
	v_trunc_f32_e32 v17, v17
	s_delay_alu instid0(VALU_DEP_1) | instskip(SKIP_1) | instid1(VALU_DEP_2)
	v_dual_fma_f32 v18, -v17, v16, v19 :: v_dual_ashrrev_i32 v9, 30, v9
	v_cvt_i32_f32_e32 v17, v17
	v_cmp_ge_f32_e64 s0, |v18|, |v16|
	s_delay_alu instid0(VALU_DEP_3) | instskip(NEXT) | instid1(VALU_DEP_1)
	v_or_b32_e32 v9, 1, v9
	v_cndmask_b32_e64 v9, 0, v9, s0
	s_delay_alu instid0(VALU_DEP_1) | instskip(NEXT) | instid1(VALU_DEP_1)
	v_add_nc_u32_e32 v9, v17, v9
	v_mul_lo_u32 v9, v9, v7
	s_delay_alu instid0(VALU_DEP_1) | instskip(NEXT) | instid1(VALU_DEP_1)
	v_sub_nc_u32_e32 v8, v8, v9
	v_bfe_i32 v9, v8, 0, 8
	v_mov_b32_e32 v8, v7
	s_delay_alu instid0(VALU_DEP_2) | instskip(SKIP_2) | instid1(SALU_CYCLE_1)
	v_cmp_eq_u16_e64 s0, 0, v9
	v_and_b32_e32 v9, 0xffff, v9
	s_or_b32 s7, s0, s7
	s_and_not1_b32 exec_lo, exec_lo, s7
	s_cbranch_execnz .LBB49_238
; %bb.239:
	s_or_b32 exec_lo, exec_lo, s7
.LBB49_240:
	s_delay_alu instid0(SALU_CYCLE_1) | instskip(NEXT) | instid1(VALU_DEP_1)
	s_or_b32 exec_lo, exec_lo, s6
	v_and_b32_e32 v9, 0xff, v7
	v_mov_b32_e32 v8, 0
	s_mov_b32 s6, exec_lo
	s_delay_alu instid0(VALU_DEP_2)
	v_cmpx_ne_u16_e32 0, v9
	s_cbranch_execz .LBB49_242
; %bb.241:
	v_bfe_i32 v7, v7, 0, 8
	v_cvt_f32_i32_e32 v16, v6
	s_delay_alu instid0(VALU_DEP_2) | instskip(SKIP_1) | instid1(VALU_DEP_2)
	v_cvt_f32_i32_e32 v8, v7
	v_xor_b32_e32 v6, v6, v7
	v_rcp_iflag_f32_e32 v9, v8
	v_nop
	s_delay_alu instid0(TRANS32_DEP_1) | instskip(NEXT) | instid1(VALU_DEP_1)
	v_mul_f32_e32 v9, v16, v9
	v_trunc_f32_e32 v7, v9
	s_delay_alu instid0(VALU_DEP_1) | instskip(NEXT) | instid1(VALU_DEP_1)
	v_dual_ashrrev_i32 v6, 30, v6 :: v_dual_fma_f32 v9, -v7, v8, v16
	v_or_b32_e32 v6, 1, v6
	v_cvt_i32_f32_e32 v7, v7
	s_delay_alu instid0(VALU_DEP_3) | instskip(NEXT) | instid1(VALU_DEP_1)
	v_cmp_ge_f32_e64 s0, |v9|, |v8|
	v_cndmask_b32_e64 v6, 0, v6, s0
	s_delay_alu instid0(VALU_DEP_1) | instskip(NEXT) | instid1(VALU_DEP_1)
	v_add_nc_u32_e32 v6, v7, v6
	v_bfe_i32 v6, v6, 0, 8
	s_delay_alu instid0(VALU_DEP_1) | instskip(NEXT) | instid1(VALU_DEP_1)
	v_mul_i32_i24_e32 v5, v6, v5
	v_sub_nc_u32_e32 v6, 0, v5
	s_delay_alu instid0(VALU_DEP_1)
	v_max_i32_e32 v8, v5, v6
.LBB49_242:
	s_or_b32 exec_lo, exec_lo, s6
	s_delay_alu instid0(VALU_DEP_1)
	v_perm_b32 v3, v3, v8, 0x7060004
.LBB49_243:
	s_or_b32 exec_lo, exec_lo, s3
	v_or_b32_e32 v5, 0xe00, v0
	s_mov_b32 s3, exec_lo
	s_delay_alu instid0(VALU_DEP_1)
	v_cmpx_gt_i32_e64 s1, v5
	s_cbranch_execz .LBB49_251
; %bb.244:
	v_bfe_i32 v5, v14, 0, 8
	v_and_b32_e32 v6, 0xff, v15
	s_mov_b32 s7, 0
	s_delay_alu instid0(VALU_DEP_2) | instskip(NEXT) | instid1(VALU_DEP_2)
	v_sub_nc_u16 v7, 0, v5
	v_cmp_ne_u16_e64 s0, 0, v6
	v_bfe_i32 v6, v15, 0, 8
	s_delay_alu instid0(VALU_DEP_3)
	v_max_i16 v7, v5, v7
	s_and_saveexec_b32 s6, s0
	s_cbranch_execz .LBB49_248
; %bb.245:
	s_delay_alu instid0(VALU_DEP_2) | instskip(NEXT) | instid1(VALU_DEP_1)
	v_sub_nc_u16 v8, 0, v6
	v_max_i16 v9, v6, v8
	v_and_b32_e32 v8, 0xff, v7
	s_delay_alu instid0(VALU_DEP_2)
	v_and_b32_e32 v9, 0xffff, v9
.LBB49_246:                             ; =>This Inner Loop Header: Depth=1
	s_delay_alu instid0(VALU_DEP_2) | instskip(NEXT) | instid1(VALU_DEP_2)
	v_bfe_i32 v15, v8, 0, 8
	v_mov_b32_e32 v7, v9
	s_delay_alu instid0(VALU_DEP_2) | instskip(NEXT) | instid1(VALU_DEP_2)
	v_cvt_f32_i32_e32 v17, v15
	v_bfe_i32 v9, v7, 0, 8
	s_delay_alu instid0(VALU_DEP_1) | instskip(SKIP_1) | instid1(VALU_DEP_2)
	v_cvt_f32_i32_e32 v14, v9
	v_xor_b32_e32 v9, v15, v9
	v_rcp_iflag_f32_e32 v16, v14
	v_nop
	s_delay_alu instid0(TRANS32_DEP_1) | instskip(NEXT) | instid1(VALU_DEP_1)
	v_dual_ashrrev_i32 v9, 30, v9 :: v_dual_mul_f32 v15, v17, v16
	v_trunc_f32_e32 v15, v15
	s_delay_alu instid0(VALU_DEP_1) | instskip(SKIP_1) | instid1(VALU_DEP_2)
	v_dual_fma_f32 v16, -v15, v14, v17 :: v_dual_bitop2_b32 v9, 1, v9 bitop3:0x54
	v_cvt_i32_f32_e32 v15, v15
	v_cmp_ge_f32_e64 s0, |v16|, |v14|
	s_delay_alu instid0(VALU_DEP_1) | instskip(NEXT) | instid1(VALU_DEP_1)
	v_cndmask_b32_e64 v9, 0, v9, s0
	v_add_nc_u32_e32 v9, v15, v9
	s_delay_alu instid0(VALU_DEP_1) | instskip(NEXT) | instid1(VALU_DEP_1)
	v_mul_lo_u32 v9, v9, v7
	v_sub_nc_u32_e32 v8, v8, v9
	s_delay_alu instid0(VALU_DEP_1) | instskip(SKIP_1) | instid1(VALU_DEP_2)
	v_bfe_i32 v9, v8, 0, 8
	v_mov_b32_e32 v8, v7
	v_cmp_eq_u16_e64 s0, 0, v9
	v_and_b32_e32 v9, 0xffff, v9
	s_or_b32 s7, s0, s7
	s_delay_alu instid0(SALU_CYCLE_1)
	s_and_not1_b32 exec_lo, exec_lo, s7
	s_cbranch_execnz .LBB49_246
; %bb.247:
	s_or_b32 exec_lo, exec_lo, s7
.LBB49_248:
	s_delay_alu instid0(SALU_CYCLE_1) | instskip(NEXT) | instid1(VALU_DEP_1)
	s_or_b32 exec_lo, exec_lo, s6
	v_and_b32_e32 v9, 0xff, v7
	v_mov_b32_e32 v8, 0
	s_mov_b32 s6, exec_lo
	s_delay_alu instid0(VALU_DEP_2)
	v_cmpx_ne_u16_e32 0, v9
	s_cbranch_execz .LBB49_250
; %bb.249:
	v_bfe_i32 v7, v7, 0, 8
	v_cvt_f32_i32_e32 v14, v6
	s_delay_alu instid0(VALU_DEP_2) | instskip(SKIP_1) | instid1(VALU_DEP_2)
	v_cvt_f32_i32_e32 v8, v7
	v_xor_b32_e32 v6, v6, v7
	v_rcp_iflag_f32_e32 v9, v8
	s_delay_alu instid0(VALU_DEP_1)
	v_ashrrev_i32_e32 v6, 30, v6
	s_delay_alu instid0(TRANS32_DEP_1) | instid1(VALU_DEP_1)
	v_dual_mul_f32 v9, v14, v9 :: v_dual_bitop2_b32 v6, 1, v6 bitop3:0x54
	s_delay_alu instid0(VALU_DEP_1) | instskip(NEXT) | instid1(VALU_DEP_1)
	v_trunc_f32_e32 v7, v9
	v_fma_f32 v9, -v7, v8, v14
	v_cvt_i32_f32_e32 v7, v7
	s_delay_alu instid0(VALU_DEP_2) | instskip(NEXT) | instid1(VALU_DEP_1)
	v_cmp_ge_f32_e64 s0, |v9|, |v8|
	v_cndmask_b32_e64 v6, 0, v6, s0
	s_delay_alu instid0(VALU_DEP_1) | instskip(NEXT) | instid1(VALU_DEP_1)
	v_add_nc_u32_e32 v6, v7, v6
	v_bfe_i32 v6, v6, 0, 8
	s_delay_alu instid0(VALU_DEP_1) | instskip(NEXT) | instid1(VALU_DEP_1)
	v_mul_i32_i24_e32 v5, v6, v5
	v_sub_nc_u32_e32 v6, 0, v5
	s_delay_alu instid0(VALU_DEP_1)
	v_max_i32_e32 v8, v5, v6
.LBB49_250:
	s_or_b32 exec_lo, exec_lo, s6
	s_delay_alu instid0(VALU_DEP_1)
	v_perm_b32 v3, v3, v8, 0x7000504
.LBB49_251:
	s_or_b32 exec_lo, exec_lo, s3
	v_or_b32_e32 v5, 0xf00, v0
	s_mov_b32 s3, exec_lo
	s_delay_alu instid0(VALU_DEP_1)
	v_cmpx_gt_i32_e64 s1, v5
	s_cbranch_execnz .LBB49_270
; %bb.252:
	s_or_b32 exec_lo, exec_lo, s3
	s_and_saveexec_b32 s0, vcc_lo
	s_delay_alu instid0(SALU_CYCLE_1)
	s_xor_b32 s0, exec_lo, s0
	s_cbranch_execnz .LBB49_277
.LBB49_253:
	s_or_b32 exec_lo, exec_lo, s0
	s_delay_alu instid0(SALU_CYCLE_1)
	s_mov_b32 s0, exec_lo
	v_cmpx_gt_i32_e64 s1, v0
	s_cbranch_execnz .LBB49_278
.LBB49_254:
	s_or_b32 exec_lo, exec_lo, s0
	s_delay_alu instid0(SALU_CYCLE_1)
	s_mov_b32 s0, exec_lo
	v_cmpx_gt_i32_e64 s1, v0
	s_cbranch_execnz .LBB49_279
.LBB49_255:
	s_or_b32 exec_lo, exec_lo, s0
	s_delay_alu instid0(SALU_CYCLE_1)
	s_mov_b32 s0, exec_lo
	v_cmpx_gt_i32_e64 s1, v0
	s_cbranch_execnz .LBB49_280
.LBB49_256:
	s_or_b32 exec_lo, exec_lo, s0
	s_delay_alu instid0(SALU_CYCLE_1)
	s_mov_b32 s0, exec_lo
	v_cmpx_gt_i32_e64 s1, v0
	s_cbranch_execnz .LBB49_281
.LBB49_257:
	s_or_b32 exec_lo, exec_lo, s0
	s_delay_alu instid0(SALU_CYCLE_1)
	s_mov_b32 s0, exec_lo
	v_cmpx_gt_i32_e64 s1, v0
	s_cbranch_execnz .LBB49_282
.LBB49_258:
	s_or_b32 exec_lo, exec_lo, s0
	s_delay_alu instid0(SALU_CYCLE_1)
	s_mov_b32 s0, exec_lo
	v_cmpx_gt_i32_e64 s1, v0
	s_cbranch_execnz .LBB49_283
.LBB49_259:
	s_or_b32 exec_lo, exec_lo, s0
	s_delay_alu instid0(SALU_CYCLE_1)
	s_mov_b32 s0, exec_lo
	v_cmpx_gt_i32_e64 s1, v0
	s_cbranch_execnz .LBB49_284
.LBB49_260:
	s_or_b32 exec_lo, exec_lo, s0
	s_delay_alu instid0(SALU_CYCLE_1)
	s_mov_b32 s0, exec_lo
	v_cmpx_gt_i32_e64 s1, v0
	s_cbranch_execnz .LBB49_285
.LBB49_261:
	s_or_b32 exec_lo, exec_lo, s0
	s_delay_alu instid0(SALU_CYCLE_1)
	s_mov_b32 s0, exec_lo
	v_cmpx_gt_i32_e64 s1, v0
	s_cbranch_execnz .LBB49_286
.LBB49_262:
	s_or_b32 exec_lo, exec_lo, s0
	s_delay_alu instid0(SALU_CYCLE_1)
	s_mov_b32 s0, exec_lo
	v_cmpx_gt_i32_e64 s1, v0
	s_cbranch_execnz .LBB49_287
.LBB49_263:
	s_or_b32 exec_lo, exec_lo, s0
	s_delay_alu instid0(SALU_CYCLE_1)
	s_mov_b32 s0, exec_lo
	v_cmpx_gt_i32_e64 s1, v0
	s_cbranch_execnz .LBB49_288
.LBB49_264:
	s_or_b32 exec_lo, exec_lo, s0
	s_delay_alu instid0(SALU_CYCLE_1)
	s_mov_b32 s0, exec_lo
	v_cmpx_gt_i32_e64 s1, v0
	s_cbranch_execnz .LBB49_289
.LBB49_265:
	s_or_b32 exec_lo, exec_lo, s0
	s_delay_alu instid0(SALU_CYCLE_1)
	s_mov_b32 s0, exec_lo
	v_cmpx_gt_i32_e64 s1, v0
	s_cbranch_execnz .LBB49_290
.LBB49_266:
	s_or_b32 exec_lo, exec_lo, s0
	s_delay_alu instid0(SALU_CYCLE_1)
	s_mov_b32 s0, exec_lo
	v_cmpx_gt_i32_e64 s1, v0
	s_cbranch_execnz .LBB49_291
.LBB49_267:
	s_or_b32 exec_lo, exec_lo, s0
	s_delay_alu instid0(SALU_CYCLE_1)
	s_mov_b32 s0, exec_lo
	v_cmpx_gt_i32_e64 s1, v0
	s_cbranch_execz .LBB49_269
.LBB49_268:
	v_dual_lshrrev_b32 v1, 24, v3 :: v_dual_add_nc_u32 v0, s2, v0
	global_store_b8 v0, v1, s[4:5]
.LBB49_269:
	s_endpgm
.LBB49_270:
	v_bfe_i32 v5, v12, 0, 8
	v_and_b32_e32 v6, 0xff, v13
	s_mov_b32 s7, 0
	s_delay_alu instid0(VALU_DEP_2) | instskip(NEXT) | instid1(VALU_DEP_2)
	v_sub_nc_u16 v7, 0, v5
	v_cmp_ne_u16_e64 s0, 0, v6
	v_bfe_i32 v6, v13, 0, 8
	s_delay_alu instid0(VALU_DEP_3)
	v_max_i16 v7, v5, v7
	s_and_saveexec_b32 s6, s0
	s_cbranch_execz .LBB49_274
; %bb.271:
	s_delay_alu instid0(VALU_DEP_2) | instskip(NEXT) | instid1(VALU_DEP_1)
	v_sub_nc_u16 v8, 0, v6
	v_max_i16 v9, v6, v8
	v_and_b32_e32 v8, 0xff, v7
	s_delay_alu instid0(VALU_DEP_2)
	v_and_b32_e32 v9, 0xffff, v9
.LBB49_272:                             ; =>This Inner Loop Header: Depth=1
	s_delay_alu instid0(VALU_DEP_2) | instskip(NEXT) | instid1(VALU_DEP_1)
	v_bfe_i32 v13, v8, 0, 8
	v_cvt_f32_i32_e32 v15, v13
	s_delay_alu instid0(VALU_DEP_3) | instskip(NEXT) | instid1(VALU_DEP_1)
	v_mov_b32_e32 v7, v9
	v_bfe_i32 v9, v7, 0, 8
	s_delay_alu instid0(VALU_DEP_1) | instskip(SKIP_1) | instid1(VALU_DEP_2)
	v_cvt_f32_i32_e32 v12, v9
	v_xor_b32_e32 v9, v13, v9
	v_rcp_iflag_f32_e32 v14, v12
	v_nop
	s_delay_alu instid0(TRANS32_DEP_1) | instskip(NEXT) | instid1(VALU_DEP_1)
	v_mul_f32_e32 v13, v15, v14
	v_trunc_f32_e32 v13, v13
	s_delay_alu instid0(VALU_DEP_1) | instskip(SKIP_1) | instid1(VALU_DEP_2)
	v_dual_fma_f32 v14, -v13, v12, v15 :: v_dual_ashrrev_i32 v9, 30, v9
	v_cvt_i32_f32_e32 v13, v13
	v_cmp_ge_f32_e64 s0, |v14|, |v12|
	s_delay_alu instid0(VALU_DEP_3) | instskip(NEXT) | instid1(VALU_DEP_1)
	v_or_b32_e32 v9, 1, v9
	v_cndmask_b32_e64 v9, 0, v9, s0
	s_delay_alu instid0(VALU_DEP_1) | instskip(NEXT) | instid1(VALU_DEP_1)
	v_add_nc_u32_e32 v9, v13, v9
	v_mul_lo_u32 v9, v9, v7
	s_delay_alu instid0(VALU_DEP_1) | instskip(NEXT) | instid1(VALU_DEP_1)
	v_sub_nc_u32_e32 v8, v8, v9
	v_bfe_i32 v9, v8, 0, 8
	v_mov_b32_e32 v8, v7
	s_delay_alu instid0(VALU_DEP_2) | instskip(SKIP_2) | instid1(SALU_CYCLE_1)
	v_cmp_eq_u16_e64 s0, 0, v9
	v_and_b32_e32 v9, 0xffff, v9
	s_or_b32 s7, s0, s7
	s_and_not1_b32 exec_lo, exec_lo, s7
	s_cbranch_execnz .LBB49_272
; %bb.273:
	s_or_b32 exec_lo, exec_lo, s7
.LBB49_274:
	s_delay_alu instid0(SALU_CYCLE_1) | instskip(NEXT) | instid1(VALU_DEP_1)
	s_or_b32 exec_lo, exec_lo, s6
	v_and_b32_e32 v9, 0xff, v7
	v_mov_b32_e32 v8, 0
	s_mov_b32 s6, exec_lo
	s_delay_alu instid0(VALU_DEP_2)
	v_cmpx_ne_u16_e32 0, v9
	s_cbranch_execz .LBB49_276
; %bb.275:
	v_bfe_i32 v7, v7, 0, 8
	v_cvt_f32_i32_e32 v12, v6
	s_delay_alu instid0(VALU_DEP_2) | instskip(SKIP_1) | instid1(VALU_DEP_2)
	v_cvt_f32_i32_e32 v8, v7
	v_xor_b32_e32 v6, v6, v7
	v_rcp_iflag_f32_e32 v9, v8
	v_nop
	s_delay_alu instid0(TRANS32_DEP_1) | instskip(NEXT) | instid1(VALU_DEP_1)
	v_mul_f32_e32 v9, v12, v9
	v_trunc_f32_e32 v7, v9
	s_delay_alu instid0(VALU_DEP_1) | instskip(NEXT) | instid1(VALU_DEP_1)
	v_dual_ashrrev_i32 v6, 30, v6 :: v_dual_fma_f32 v9, -v7, v8, v12
	v_or_b32_e32 v6, 1, v6
	v_cvt_i32_f32_e32 v7, v7
	s_delay_alu instid0(VALU_DEP_3) | instskip(NEXT) | instid1(VALU_DEP_1)
	v_cmp_ge_f32_e64 s0, |v9|, |v8|
	v_cndmask_b32_e64 v6, 0, v6, s0
	s_delay_alu instid0(VALU_DEP_1) | instskip(NEXT) | instid1(VALU_DEP_1)
	v_add_nc_u32_e32 v6, v7, v6
	v_bfe_i32 v6, v6, 0, 8
	s_delay_alu instid0(VALU_DEP_1) | instskip(NEXT) | instid1(VALU_DEP_1)
	v_mul_i32_i24_e32 v5, v6, v5
	v_sub_nc_u32_e32 v6, 0, v5
	s_delay_alu instid0(VALU_DEP_1)
	v_max_i32_e32 v8, v5, v6
.LBB49_276:
	s_or_b32 exec_lo, exec_lo, s6
	s_delay_alu instid0(VALU_DEP_1) | instskip(SKIP_2) | instid1(SALU_CYCLE_1)
	v_perm_b32 v3, v3, v8, 0x60504
	s_or_b32 exec_lo, exec_lo, s3
	s_and_saveexec_b32 s0, vcc_lo
	s_xor_b32 s0, exec_lo, s0
	s_cbranch_execz .LBB49_253
.LBB49_277:
	v_mov_b32_e32 v0, v11
	global_store_b8 v10, v2, s[4:5]
	s_wait_xcnt 0x0
	s_or_b32 exec_lo, exec_lo, s0
	s_delay_alu instid0(SALU_CYCLE_1)
	s_mov_b32 s0, exec_lo
	v_cmpx_gt_i32_e64 s1, v0
	s_cbranch_execz .LBB49_254
.LBB49_278:
	v_dual_lshrrev_b32 v5, 8, v2 :: v_dual_add_nc_u32 v6, s2, v0
	v_add_nc_u32_e32 v0, 0x100, v0
	global_store_b8 v6, v5, s[4:5]
	s_wait_xcnt 0x0
	s_or_b32 exec_lo, exec_lo, s0
	s_delay_alu instid0(SALU_CYCLE_1)
	s_mov_b32 s0, exec_lo
	v_cmpx_gt_i32_e64 s1, v0
	s_cbranch_execz .LBB49_255
.LBB49_279:
	v_add_nc_u32_e32 v5, s2, v0
	v_add_nc_u32_e32 v0, 0x100, v0
	global_store_d16_hi_b8 v5, v2, s[4:5]
	s_wait_xcnt 0x0
	s_or_b32 exec_lo, exec_lo, s0
	s_delay_alu instid0(SALU_CYCLE_1)
	s_mov_b32 s0, exec_lo
	v_cmpx_gt_i32_e64 s1, v0
	s_cbranch_execz .LBB49_256
.LBB49_280:
	v_dual_lshrrev_b32 v2, 24, v2 :: v_dual_add_nc_u32 v5, s2, v0
	v_add_nc_u32_e32 v0, 0x100, v0
	global_store_b8 v5, v2, s[4:5]
	s_wait_xcnt 0x0
	s_or_b32 exec_lo, exec_lo, s0
	s_delay_alu instid0(SALU_CYCLE_1)
	s_mov_b32 s0, exec_lo
	v_cmpx_gt_i32_e64 s1, v0
	s_cbranch_execz .LBB49_257
.LBB49_281:
	v_add_nc_u32_e32 v2, s2, v0
	v_add_nc_u32_e32 v0, 0x100, v0
	global_store_b8 v2, v1, s[4:5]
	s_wait_xcnt 0x0
	s_or_b32 exec_lo, exec_lo, s0
	s_delay_alu instid0(SALU_CYCLE_1)
	s_mov_b32 s0, exec_lo
	v_cmpx_gt_i32_e64 s1, v0
	s_cbranch_execz .LBB49_258
.LBB49_282:
	v_dual_lshrrev_b32 v2, 8, v1 :: v_dual_add_nc_u32 v5, s2, v0
	v_add_nc_u32_e32 v0, 0x100, v0
	global_store_b8 v5, v2, s[4:5]
	s_wait_xcnt 0x0
	s_or_b32 exec_lo, exec_lo, s0
	s_delay_alu instid0(SALU_CYCLE_1)
	s_mov_b32 s0, exec_lo
	v_cmpx_gt_i32_e64 s1, v0
	s_cbranch_execz .LBB49_259
.LBB49_283:
	v_add_nc_u32_e32 v2, s2, v0
	v_add_nc_u32_e32 v0, 0x100, v0
	global_store_d16_hi_b8 v2, v1, s[4:5]
	s_wait_xcnt 0x0
	s_or_b32 exec_lo, exec_lo, s0
	s_delay_alu instid0(SALU_CYCLE_1)
	s_mov_b32 s0, exec_lo
	v_cmpx_gt_i32_e64 s1, v0
	s_cbranch_execz .LBB49_260
.LBB49_284:
	v_dual_lshrrev_b32 v1, 24, v1 :: v_dual_add_nc_u32 v2, s2, v0
	v_add_nc_u32_e32 v0, 0x100, v0
	global_store_b8 v2, v1, s[4:5]
	s_wait_xcnt 0x0
	s_or_b32 exec_lo, exec_lo, s0
	s_delay_alu instid0(SALU_CYCLE_1)
	s_mov_b32 s0, exec_lo
	v_cmpx_gt_i32_e64 s1, v0
	s_cbranch_execz .LBB49_261
.LBB49_285:
	v_add_nc_u32_e32 v1, s2, v0
	v_add_nc_u32_e32 v0, 0x100, v0
	global_store_b8 v1, v4, s[4:5]
	s_wait_xcnt 0x0
	s_or_b32 exec_lo, exec_lo, s0
	s_delay_alu instid0(SALU_CYCLE_1)
	s_mov_b32 s0, exec_lo
	v_cmpx_gt_i32_e64 s1, v0
	s_cbranch_execz .LBB49_262
.LBB49_286:
	v_lshrrev_b32_e32 v1, 8, v4
	v_add_nc_u32_e32 v2, s2, v0
	v_add_nc_u32_e32 v0, 0x100, v0
	global_store_b8 v2, v1, s[4:5]
	s_wait_xcnt 0x0
	s_or_b32 exec_lo, exec_lo, s0
	s_delay_alu instid0(SALU_CYCLE_1)
	s_mov_b32 s0, exec_lo
	v_cmpx_gt_i32_e64 s1, v0
	s_cbranch_execz .LBB49_263
.LBB49_287:
	v_add_nc_u32_e32 v1, s2, v0
	v_add_nc_u32_e32 v0, 0x100, v0
	global_store_d16_hi_b8 v1, v4, s[4:5]
	s_wait_xcnt 0x0
	s_or_b32 exec_lo, exec_lo, s0
	s_delay_alu instid0(SALU_CYCLE_1)
	s_mov_b32 s0, exec_lo
	v_cmpx_gt_i32_e64 s1, v0
	s_cbranch_execz .LBB49_264
.LBB49_288:
	v_lshrrev_b32_e32 v1, 24, v4
	v_add_nc_u32_e32 v2, s2, v0
	v_add_nc_u32_e32 v0, 0x100, v0
	global_store_b8 v2, v1, s[4:5]
	s_wait_xcnt 0x0
	s_or_b32 exec_lo, exec_lo, s0
	s_delay_alu instid0(SALU_CYCLE_1)
	s_mov_b32 s0, exec_lo
	v_cmpx_gt_i32_e64 s1, v0
	s_cbranch_execz .LBB49_265
.LBB49_289:
	v_add_nc_u32_e32 v1, s2, v0
	v_add_nc_u32_e32 v0, 0x100, v0
	global_store_b8 v1, v3, s[4:5]
	s_wait_xcnt 0x0
	s_or_b32 exec_lo, exec_lo, s0
	s_delay_alu instid0(SALU_CYCLE_1)
	s_mov_b32 s0, exec_lo
	v_cmpx_gt_i32_e64 s1, v0
	s_cbranch_execz .LBB49_266
.LBB49_290:
	v_dual_lshrrev_b32 v1, 8, v3 :: v_dual_add_nc_u32 v2, s2, v0
	v_add_nc_u32_e32 v0, 0x100, v0
	global_store_b8 v2, v1, s[4:5]
	s_wait_xcnt 0x0
	s_or_b32 exec_lo, exec_lo, s0
	s_delay_alu instid0(SALU_CYCLE_1)
	s_mov_b32 s0, exec_lo
	v_cmpx_gt_i32_e64 s1, v0
	s_cbranch_execz .LBB49_267
.LBB49_291:
	v_add_nc_u32_e32 v1, s2, v0
	v_add_nc_u32_e32 v0, 0x100, v0
	global_store_d16_hi_b8 v1, v3, s[4:5]
	s_wait_xcnt 0x0
	s_or_b32 exec_lo, exec_lo, s0
	s_delay_alu instid0(SALU_CYCLE_1)
	s_mov_b32 s0, exec_lo
	v_cmpx_gt_i32_e64 s1, v0
	s_cbranch_execnz .LBB49_268
	s_branch .LBB49_269
	.section	.rodata,"a",@progbits
	.p2align	6, 0x0
	.amdhsa_kernel _ZN2at6native29vectorized_elementwise_kernelILi8EZZZNS0_15lcm_kernel_cudaERNS_18TensorIteratorBaseEENKUlvE_clEvENKUlvE0_clEvEUlaaE_St5arrayIPcLm3EEEEviT0_T1_
		.amdhsa_group_segment_fixed_size 0
		.amdhsa_private_segment_fixed_size 0
		.amdhsa_kernarg_size 32
		.amdhsa_user_sgpr_count 2
		.amdhsa_user_sgpr_dispatch_ptr 0
		.amdhsa_user_sgpr_queue_ptr 0
		.amdhsa_user_sgpr_kernarg_segment_ptr 1
		.amdhsa_user_sgpr_dispatch_id 0
		.amdhsa_user_sgpr_kernarg_preload_length 0
		.amdhsa_user_sgpr_kernarg_preload_offset 0
		.amdhsa_user_sgpr_private_segment_size 0
		.amdhsa_wavefront_size32 1
		.amdhsa_uses_dynamic_stack 0
		.amdhsa_enable_private_segment 0
		.amdhsa_system_sgpr_workgroup_id_x 1
		.amdhsa_system_sgpr_workgroup_id_y 0
		.amdhsa_system_sgpr_workgroup_id_z 0
		.amdhsa_system_sgpr_workgroup_info 0
		.amdhsa_system_vgpr_workitem_id 0
		.amdhsa_next_free_vgpr 44
		.amdhsa_next_free_sgpr 21
		.amdhsa_named_barrier_count 0
		.amdhsa_reserve_vcc 1
		.amdhsa_float_round_mode_32 0
		.amdhsa_float_round_mode_16_64 0
		.amdhsa_float_denorm_mode_32 3
		.amdhsa_float_denorm_mode_16_64 3
		.amdhsa_fp16_overflow 0
		.amdhsa_memory_ordered 1
		.amdhsa_forward_progress 1
		.amdhsa_inst_pref_size 149
		.amdhsa_round_robin_scheduling 0
		.amdhsa_exception_fp_ieee_invalid_op 0
		.amdhsa_exception_fp_denorm_src 0
		.amdhsa_exception_fp_ieee_div_zero 0
		.amdhsa_exception_fp_ieee_overflow 0
		.amdhsa_exception_fp_ieee_underflow 0
		.amdhsa_exception_fp_ieee_inexact 0
		.amdhsa_exception_int_div_zero 0
	.end_amdhsa_kernel
	.section	.text._ZN2at6native29vectorized_elementwise_kernelILi8EZZZNS0_15lcm_kernel_cudaERNS_18TensorIteratorBaseEENKUlvE_clEvENKUlvE0_clEvEUlaaE_St5arrayIPcLm3EEEEviT0_T1_,"axG",@progbits,_ZN2at6native29vectorized_elementwise_kernelILi8EZZZNS0_15lcm_kernel_cudaERNS_18TensorIteratorBaseEENKUlvE_clEvENKUlvE0_clEvEUlaaE_St5arrayIPcLm3EEEEviT0_T1_,comdat
.Lfunc_end49:
	.size	_ZN2at6native29vectorized_elementwise_kernelILi8EZZZNS0_15lcm_kernel_cudaERNS_18TensorIteratorBaseEENKUlvE_clEvENKUlvE0_clEvEUlaaE_St5arrayIPcLm3EEEEviT0_T1_, .Lfunc_end49-_ZN2at6native29vectorized_elementwise_kernelILi8EZZZNS0_15lcm_kernel_cudaERNS_18TensorIteratorBaseEENKUlvE_clEvENKUlvE0_clEvEUlaaE_St5arrayIPcLm3EEEEviT0_T1_
                                        ; -- End function
	.set _ZN2at6native29vectorized_elementwise_kernelILi8EZZZNS0_15lcm_kernel_cudaERNS_18TensorIteratorBaseEENKUlvE_clEvENKUlvE0_clEvEUlaaE_St5arrayIPcLm3EEEEviT0_T1_.num_vgpr, 44
	.set _ZN2at6native29vectorized_elementwise_kernelILi8EZZZNS0_15lcm_kernel_cudaERNS_18TensorIteratorBaseEENKUlvE_clEvENKUlvE0_clEvEUlaaE_St5arrayIPcLm3EEEEviT0_T1_.num_agpr, 0
	.set _ZN2at6native29vectorized_elementwise_kernelILi8EZZZNS0_15lcm_kernel_cudaERNS_18TensorIteratorBaseEENKUlvE_clEvENKUlvE0_clEvEUlaaE_St5arrayIPcLm3EEEEviT0_T1_.numbered_sgpr, 21
	.set _ZN2at6native29vectorized_elementwise_kernelILi8EZZZNS0_15lcm_kernel_cudaERNS_18TensorIteratorBaseEENKUlvE_clEvENKUlvE0_clEvEUlaaE_St5arrayIPcLm3EEEEviT0_T1_.num_named_barrier, 0
	.set _ZN2at6native29vectorized_elementwise_kernelILi8EZZZNS0_15lcm_kernel_cudaERNS_18TensorIteratorBaseEENKUlvE_clEvENKUlvE0_clEvEUlaaE_St5arrayIPcLm3EEEEviT0_T1_.private_seg_size, 0
	.set _ZN2at6native29vectorized_elementwise_kernelILi8EZZZNS0_15lcm_kernel_cudaERNS_18TensorIteratorBaseEENKUlvE_clEvENKUlvE0_clEvEUlaaE_St5arrayIPcLm3EEEEviT0_T1_.uses_vcc, 1
	.set _ZN2at6native29vectorized_elementwise_kernelILi8EZZZNS0_15lcm_kernel_cudaERNS_18TensorIteratorBaseEENKUlvE_clEvENKUlvE0_clEvEUlaaE_St5arrayIPcLm3EEEEviT0_T1_.uses_flat_scratch, 0
	.set _ZN2at6native29vectorized_elementwise_kernelILi8EZZZNS0_15lcm_kernel_cudaERNS_18TensorIteratorBaseEENKUlvE_clEvENKUlvE0_clEvEUlaaE_St5arrayIPcLm3EEEEviT0_T1_.has_dyn_sized_stack, 0
	.set _ZN2at6native29vectorized_elementwise_kernelILi8EZZZNS0_15lcm_kernel_cudaERNS_18TensorIteratorBaseEENKUlvE_clEvENKUlvE0_clEvEUlaaE_St5arrayIPcLm3EEEEviT0_T1_.has_recursion, 0
	.set _ZN2at6native29vectorized_elementwise_kernelILi8EZZZNS0_15lcm_kernel_cudaERNS_18TensorIteratorBaseEENKUlvE_clEvENKUlvE0_clEvEUlaaE_St5arrayIPcLm3EEEEviT0_T1_.has_indirect_call, 0
	.section	.AMDGPU.csdata,"",@progbits
; Kernel info:
; codeLenInByte = 19024
; TotalNumSgprs: 23
; NumVgprs: 44
; ScratchSize: 0
; MemoryBound: 0
; FloatMode: 240
; IeeeMode: 1
; LDSByteSize: 0 bytes/workgroup (compile time only)
; SGPRBlocks: 0
; VGPRBlocks: 2
; NumSGPRsForWavesPerEU: 23
; NumVGPRsForWavesPerEU: 44
; NamedBarCnt: 0
; Occupancy: 16
; WaveLimiterHint : 1
; COMPUTE_PGM_RSRC2:SCRATCH_EN: 0
; COMPUTE_PGM_RSRC2:USER_SGPR: 2
; COMPUTE_PGM_RSRC2:TRAP_HANDLER: 0
; COMPUTE_PGM_RSRC2:TGID_X_EN: 1
; COMPUTE_PGM_RSRC2:TGID_Y_EN: 0
; COMPUTE_PGM_RSRC2:TGID_Z_EN: 0
; COMPUTE_PGM_RSRC2:TIDIG_COMP_CNT: 0
	.section	.text._ZN2at6native29vectorized_elementwise_kernelILi4EZZZNS0_15lcm_kernel_cudaERNS_18TensorIteratorBaseEENKUlvE_clEvENKUlvE0_clEvEUlaaE_St5arrayIPcLm3EEEEviT0_T1_,"axG",@progbits,_ZN2at6native29vectorized_elementwise_kernelILi4EZZZNS0_15lcm_kernel_cudaERNS_18TensorIteratorBaseEENKUlvE_clEvENKUlvE0_clEvEUlaaE_St5arrayIPcLm3EEEEviT0_T1_,comdat
	.globl	_ZN2at6native29vectorized_elementwise_kernelILi4EZZZNS0_15lcm_kernel_cudaERNS_18TensorIteratorBaseEENKUlvE_clEvENKUlvE0_clEvEUlaaE_St5arrayIPcLm3EEEEviT0_T1_ ; -- Begin function _ZN2at6native29vectorized_elementwise_kernelILi4EZZZNS0_15lcm_kernel_cudaERNS_18TensorIteratorBaseEENKUlvE_clEvENKUlvE0_clEvEUlaaE_St5arrayIPcLm3EEEEviT0_T1_
	.p2align	8
	.type	_ZN2at6native29vectorized_elementwise_kernelILi4EZZZNS0_15lcm_kernel_cudaERNS_18TensorIteratorBaseEENKUlvE_clEvENKUlvE0_clEvEUlaaE_St5arrayIPcLm3EEEEviT0_T1_,@function
_ZN2at6native29vectorized_elementwise_kernelILi4EZZZNS0_15lcm_kernel_cudaERNS_18TensorIteratorBaseEENKUlvE_clEvENKUlvE0_clEvEUlaaE_St5arrayIPcLm3EEEEviT0_T1_: ; @_ZN2at6native29vectorized_elementwise_kernelILi4EZZZNS0_15lcm_kernel_cudaERNS_18TensorIteratorBaseEENKUlvE_clEvENKUlvE0_clEvEUlaaE_St5arrayIPcLm3EEEEviT0_T1_
; %bb.0:
	s_clause 0x2
	s_load_b32 s3, s[0:1], 0x0
	s_load_b128 s[4:7], s[0:1], 0x8
	s_load_b64 s[8:9], s[0:1], 0x18
	s_wait_xcnt 0x0
	s_bfe_u32 s0, ttmp6, 0x4000c
	s_and_b32 s1, ttmp6, 15
	s_add_co_i32 s0, s0, 1
	s_getreg_b32 s2, hwreg(HW_REG_IB_STS2, 6, 4)
	s_mul_i32 s0, ttmp9, s0
	s_delay_alu instid0(SALU_CYCLE_1) | instskip(SKIP_2) | instid1(SALU_CYCLE_1)
	s_add_co_i32 s1, s1, s0
	s_cmp_eq_u32 s2, 0
	s_cselect_b32 s0, ttmp9, s1
	s_lshl_b32 s2, s0, 12
	s_mov_b32 s0, -1
	s_wait_kmcnt 0x0
	s_sub_co_i32 s1, s3, s2
	s_delay_alu instid0(SALU_CYCLE_1)
	s_cmp_gt_i32 s1, 0xfff
	s_cbranch_scc0 .LBB50_98
; %bb.1:
	s_ashr_i32 s3, s2, 31
	s_mov_b32 s0, exec_lo
	s_add_nc_u64 s[10:11], s[8:9], s[2:3]
	s_add_nc_u64 s[12:13], s[6:7], s[2:3]
	s_clause 0x7
	global_load_b32 v9, v0, s[10:11] scale_offset
	global_load_b32 v10, v0, s[12:13] scale_offset
	global_load_b32 v14, v0, s[12:13] offset:1024 scale_offset
	global_load_b32 v8, v0, s[12:13] offset:2048 scale_offset
	;; [unrolled: 1-line block ×6, first 2 shown]
	s_wait_loadcnt 0x6
	v_and_b32_e32 v3, 0xff, v10
	v_bfe_i32 v4, v9, 0, 8
	s_delay_alu instid0(VALU_DEP_1) | instskip(NEXT) | instid1(VALU_DEP_1)
	v_sub_nc_u16 v5, 0, v4
	v_max_i16 v6, v4, v5
	v_bfe_i32 v5, v10, 0, 8
	s_wait_xcnt 0x0
	v_cmpx_ne_u16_e32 0, v3
	s_cbranch_execz .LBB50_5
; %bb.2:
	s_delay_alu instid0(VALU_DEP_2) | instskip(SKIP_1) | instid1(VALU_DEP_1)
	v_sub_nc_u16 v3, 0, v5
	s_mov_b32 s10, 0
	v_max_i16 v11, v5, v3
	v_and_b32_e32 v3, 0xff, v6
	s_delay_alu instid0(VALU_DEP_2)
	v_and_b32_e32 v11, 0xffff, v11
.LBB50_3:                               ; =>This Inner Loop Header: Depth=1
	s_delay_alu instid0(VALU_DEP_2) | instskip(NEXT) | instid1(VALU_DEP_1)
	v_bfe_i32 v15, v3, 0, 8
	v_cvt_f32_i32_e32 v17, v15
	s_delay_alu instid0(VALU_DEP_3) | instskip(NEXT) | instid1(VALU_DEP_1)
	v_mov_b32_e32 v6, v11
	v_bfe_i32 v11, v6, 0, 8
	s_delay_alu instid0(VALU_DEP_1) | instskip(SKIP_1) | instid1(VALU_DEP_2)
	v_cvt_f32_i32_e32 v12, v11
	v_xor_b32_e32 v11, v15, v11
	v_rcp_iflag_f32_e32 v16, v12
	v_nop
	s_delay_alu instid0(TRANS32_DEP_1) | instskip(NEXT) | instid1(VALU_DEP_1)
	v_mul_f32_e32 v15, v17, v16
	v_trunc_f32_e32 v15, v15
	s_delay_alu instid0(VALU_DEP_1) | instskip(SKIP_1) | instid1(VALU_DEP_2)
	v_dual_fma_f32 v16, -v15, v12, v17 :: v_dual_ashrrev_i32 v11, 30, v11
	v_cvt_i32_f32_e32 v15, v15
	v_cmp_ge_f32_e64 vcc_lo, |v16|, |v12|
	s_delay_alu instid0(VALU_DEP_3) | instskip(NEXT) | instid1(VALU_DEP_1)
	v_or_b32_e32 v11, 1, v11
	v_cndmask_b32_e32 v11, 0, v11, vcc_lo
	s_delay_alu instid0(VALU_DEP_1) | instskip(NEXT) | instid1(VALU_DEP_1)
	v_add_nc_u32_e32 v11, v15, v11
	v_mul_lo_u32 v11, v11, v6
	s_delay_alu instid0(VALU_DEP_1) | instskip(NEXT) | instid1(VALU_DEP_1)
	v_sub_nc_u32_e32 v3, v3, v11
	v_bfe_i32 v11, v3, 0, 8
	v_mov_b32_e32 v3, v6
	s_delay_alu instid0(VALU_DEP_2) | instskip(SKIP_2) | instid1(SALU_CYCLE_1)
	v_cmp_eq_u16_e32 vcc_lo, 0, v11
	v_and_b32_e32 v11, 0xffff, v11
	s_or_b32 s10, vcc_lo, s10
	s_and_not1_b32 exec_lo, exec_lo, s10
	s_cbranch_execnz .LBB50_3
; %bb.4:
	s_or_b32 exec_lo, exec_lo, s10
.LBB50_5:
	s_delay_alu instid0(SALU_CYCLE_1) | instskip(SKIP_3) | instid1(VALU_DEP_2)
	s_or_b32 exec_lo, exec_lo, s0
	v_and_b32_e32 v11, 0xff, v6
	v_mov_b32_e32 v3, 0
	s_mov_b32 s0, exec_lo
	v_cmpx_ne_u16_e32 0, v11
	s_cbranch_execz .LBB50_7
; %bb.6:
	v_bfe_i32 v3, v6, 0, 8
	v_cvt_f32_i32_e32 v12, v5
	s_delay_alu instid0(VALU_DEP_2) | instskip(SKIP_1) | instid1(VALU_DEP_2)
	v_cvt_f32_i32_e32 v6, v3
	v_xor_b32_e32 v3, v5, v3
	v_rcp_iflag_f32_e32 v11, v6
	v_nop
	s_delay_alu instid0(TRANS32_DEP_1) | instskip(NEXT) | instid1(VALU_DEP_1)
	v_mul_f32_e32 v11, v12, v11
	v_trunc_f32_e32 v5, v11
	s_delay_alu instid0(VALU_DEP_1) | instskip(SKIP_1) | instid1(VALU_DEP_2)
	v_dual_fma_f32 v11, -v5, v6, v12 :: v_dual_ashrrev_i32 v3, 30, v3
	v_cvt_i32_f32_e32 v5, v5
	v_cmp_ge_f32_e64 vcc_lo, |v11|, |v6|
	s_delay_alu instid0(VALU_DEP_3) | instskip(NEXT) | instid1(VALU_DEP_1)
	v_or_b32_e32 v3, 1, v3
	v_cndmask_b32_e32 v3, 0, v3, vcc_lo
	s_delay_alu instid0(VALU_DEP_1) | instskip(NEXT) | instid1(VALU_DEP_1)
	v_add_nc_u32_e32 v3, v5, v3
	v_bfe_i32 v3, v3, 0, 8
	s_delay_alu instid0(VALU_DEP_1) | instskip(NEXT) | instid1(VALU_DEP_1)
	v_mul_i32_i24_e32 v3, v4, v3
	v_sub_nc_u32_e32 v4, 0, v3
	s_delay_alu instid0(VALU_DEP_1)
	v_max_i32_e32 v3, v3, v4
.LBB50_7:
	s_or_b32 exec_lo, exec_lo, s0
	v_lshrrev_b32_e32 v4, 8, v9
	s_mov_b32 s10, 0
	s_mov_b32 s0, exec_lo
	s_delay_alu instid0(VALU_DEP_1) | instskip(SKIP_1) | instid1(VALU_DEP_2)
	v_bfe_i32 v5, v4, 0, 8
	v_lshrrev_b32_e32 v4, 8, v10
	v_sub_nc_u16 v6, 0, v5
	s_delay_alu instid0(VALU_DEP_2) | instskip(NEXT) | instid1(VALU_DEP_2)
	v_and_b32_e32 v4, 0xff, v4
	v_max_i16 v6, v5, v6
	s_delay_alu instid0(VALU_DEP_2)
	v_cmpx_ne_u16_e32 0, v4
	s_cbranch_execz .LBB50_11
; %bb.8:
	v_ashrrev_i16 v4, 8, v10
	s_delay_alu instid0(VALU_DEP_1) | instskip(NEXT) | instid1(VALU_DEP_1)
	v_sub_nc_u16 v11, 0, v4
	v_max_i16 v11, v4, v11
	v_and_b32_e32 v4, 0xff, v6
	s_delay_alu instid0(VALU_DEP_2)
	v_and_b32_e32 v11, 0xffff, v11
.LBB50_9:                               ; =>This Inner Loop Header: Depth=1
	s_delay_alu instid0(VALU_DEP_2) | instskip(NEXT) | instid1(VALU_DEP_1)
	v_bfe_i32 v15, v4, 0, 8
	v_cvt_f32_i32_e32 v17, v15
	s_delay_alu instid0(VALU_DEP_3) | instskip(NEXT) | instid1(VALU_DEP_1)
	v_mov_b32_e32 v6, v11
	v_bfe_i32 v11, v6, 0, 8
	s_delay_alu instid0(VALU_DEP_1) | instskip(SKIP_1) | instid1(VALU_DEP_2)
	v_cvt_f32_i32_e32 v12, v11
	v_xor_b32_e32 v11, v15, v11
	v_rcp_iflag_f32_e32 v16, v12
	v_nop
	s_delay_alu instid0(TRANS32_DEP_1) | instskip(NEXT) | instid1(VALU_DEP_1)
	v_mul_f32_e32 v15, v17, v16
	v_trunc_f32_e32 v15, v15
	s_delay_alu instid0(VALU_DEP_1) | instskip(SKIP_1) | instid1(VALU_DEP_2)
	v_dual_fma_f32 v16, -v15, v12, v17 :: v_dual_ashrrev_i32 v11, 30, v11
	v_cvt_i32_f32_e32 v15, v15
	v_cmp_ge_f32_e64 vcc_lo, |v16|, |v12|
	s_delay_alu instid0(VALU_DEP_3) | instskip(NEXT) | instid1(VALU_DEP_1)
	v_or_b32_e32 v11, 1, v11
	v_cndmask_b32_e32 v11, 0, v11, vcc_lo
	s_delay_alu instid0(VALU_DEP_1) | instskip(NEXT) | instid1(VALU_DEP_1)
	v_add_nc_u32_e32 v11, v15, v11
	v_mul_lo_u32 v11, v11, v6
	s_delay_alu instid0(VALU_DEP_1) | instskip(NEXT) | instid1(VALU_DEP_1)
	v_sub_nc_u32_e32 v4, v4, v11
	v_bfe_i32 v11, v4, 0, 8
	v_mov_b32_e32 v4, v6
	s_delay_alu instid0(VALU_DEP_2) | instskip(SKIP_2) | instid1(SALU_CYCLE_1)
	v_cmp_eq_u16_e32 vcc_lo, 0, v11
	v_and_b32_e32 v11, 0xffff, v11
	s_or_b32 s10, vcc_lo, s10
	s_and_not1_b32 exec_lo, exec_lo, s10
	s_cbranch_execnz .LBB50_9
; %bb.10:
	s_or_b32 exec_lo, exec_lo, s10
.LBB50_11:
	s_delay_alu instid0(SALU_CYCLE_1) | instskip(NEXT) | instid1(VALU_DEP_2)
	s_or_b32 exec_lo, exec_lo, s0
	v_and_b32_e32 v11, 0xff, v6
	v_mov_b32_e32 v4, 0
	s_mov_b32 s0, exec_lo
	s_delay_alu instid0(VALU_DEP_2)
	v_cmpx_ne_u16_e32 0, v11
	s_cbranch_execz .LBB50_13
; %bb.12:
	v_bfe_i32 v4, v6, 0, 8
	v_bfe_i32 v11, v10, 8, 8
	s_delay_alu instid0(VALU_DEP_2) | instskip(NEXT) | instid1(VALU_DEP_2)
	v_cvt_f32_i32_e32 v6, v4
	v_cvt_f32_i32_e32 v15, v11
	v_xor_b32_e32 v4, v11, v4
	s_delay_alu instid0(VALU_DEP_3) | instskip(SKIP_1) | instid1(TRANS32_DEP_1)
	v_rcp_iflag_f32_e32 v12, v6
	v_nop
	v_mul_f32_e32 v12, v15, v12
	s_delay_alu instid0(VALU_DEP_1) | instskip(NEXT) | instid1(VALU_DEP_1)
	v_trunc_f32_e32 v11, v12
	v_dual_fma_f32 v12, -v11, v6, v15 :: v_dual_ashrrev_i32 v4, 30, v4
	v_cvt_i32_f32_e32 v11, v11
	s_delay_alu instid0(VALU_DEP_2) | instskip(NEXT) | instid1(VALU_DEP_3)
	v_cmp_ge_f32_e64 vcc_lo, |v12|, |v6|
	v_or_b32_e32 v4, 1, v4
	s_delay_alu instid0(VALU_DEP_1) | instskip(NEXT) | instid1(VALU_DEP_1)
	v_cndmask_b32_e32 v4, 0, v4, vcc_lo
	v_add_nc_u32_e32 v4, v11, v4
	s_delay_alu instid0(VALU_DEP_1) | instskip(NEXT) | instid1(VALU_DEP_1)
	v_bfe_i32 v4, v4, 0, 8
	v_mul_i32_i24_e32 v4, v5, v4
	s_delay_alu instid0(VALU_DEP_1) | instskip(NEXT) | instid1(VALU_DEP_1)
	v_sub_nc_u32_e32 v5, 0, v4
	v_max_i32_e32 v4, v4, v5
.LBB50_13:
	s_or_b32 exec_lo, exec_lo, s0
	v_lshrrev_b32_e32 v5, 16, v9
	s_mov_b32 s10, 0
	s_mov_b32 s0, exec_lo
	s_delay_alu instid0(VALU_DEP_1) | instskip(SKIP_1) | instid1(VALU_DEP_2)
	v_bfe_i32 v6, v5, 0, 8
	v_lshrrev_b32_e32 v5, 16, v10
	v_sub_nc_u16 v11, 0, v6
	s_delay_alu instid0(VALU_DEP_2) | instskip(NEXT) | instid1(VALU_DEP_2)
	v_and_b32_e32 v12, 0xff, v5
	v_max_i16 v11, v6, v11
	s_delay_alu instid0(VALU_DEP_2)
	v_cmpx_ne_u16_e32 0, v12
	s_cbranch_execz .LBB50_17
; %bb.14:
	v_bfe_i32 v5, v5, 0, 8
	s_delay_alu instid0(VALU_DEP_1) | instskip(NEXT) | instid1(VALU_DEP_1)
	v_sub_nc_u16 v12, 0, v5
	v_max_i16 v12, v5, v12
	v_and_b32_e32 v5, 0xff, v11
	s_delay_alu instid0(VALU_DEP_2)
	v_and_b32_e32 v12, 0xffff, v12
.LBB50_15:                              ; =>This Inner Loop Header: Depth=1
	s_delay_alu instid0(VALU_DEP_2) | instskip(NEXT) | instid1(VALU_DEP_1)
	v_bfe_i32 v16, v5, 0, 8
	v_cvt_f32_i32_e32 v18, v16
	s_delay_alu instid0(VALU_DEP_3) | instskip(NEXT) | instid1(VALU_DEP_1)
	v_mov_b32_e32 v11, v12
	v_bfe_i32 v12, v11, 0, 8
	s_delay_alu instid0(VALU_DEP_1) | instskip(SKIP_1) | instid1(VALU_DEP_2)
	v_cvt_f32_i32_e32 v15, v12
	v_xor_b32_e32 v12, v16, v12
	v_rcp_iflag_f32_e32 v17, v15
	v_nop
	s_delay_alu instid0(TRANS32_DEP_1) | instskip(NEXT) | instid1(VALU_DEP_1)
	v_mul_f32_e32 v16, v18, v17
	v_trunc_f32_e32 v16, v16
	s_delay_alu instid0(VALU_DEP_1) | instskip(SKIP_1) | instid1(VALU_DEP_2)
	v_dual_fma_f32 v17, -v16, v15, v18 :: v_dual_ashrrev_i32 v12, 30, v12
	v_cvt_i32_f32_e32 v16, v16
	v_cmp_ge_f32_e64 vcc_lo, |v17|, |v15|
	s_delay_alu instid0(VALU_DEP_3) | instskip(NEXT) | instid1(VALU_DEP_1)
	v_or_b32_e32 v12, 1, v12
	v_cndmask_b32_e32 v12, 0, v12, vcc_lo
	s_delay_alu instid0(VALU_DEP_1) | instskip(NEXT) | instid1(VALU_DEP_1)
	v_add_nc_u32_e32 v12, v16, v12
	v_mul_lo_u32 v12, v12, v11
	s_delay_alu instid0(VALU_DEP_1) | instskip(NEXT) | instid1(VALU_DEP_1)
	v_sub_nc_u32_e32 v5, v5, v12
	v_bfe_i32 v12, v5, 0, 8
	v_mov_b32_e32 v5, v11
	s_delay_alu instid0(VALU_DEP_2) | instskip(SKIP_2) | instid1(SALU_CYCLE_1)
	v_cmp_eq_u16_e32 vcc_lo, 0, v12
	v_and_b32_e32 v12, 0xffff, v12
	s_or_b32 s10, vcc_lo, s10
	s_and_not1_b32 exec_lo, exec_lo, s10
	s_cbranch_execnz .LBB50_15
; %bb.16:
	s_or_b32 exec_lo, exec_lo, s10
.LBB50_17:
	s_delay_alu instid0(SALU_CYCLE_1) | instskip(NEXT) | instid1(VALU_DEP_2)
	s_or_b32 exec_lo, exec_lo, s0
	v_and_b32_e32 v12, 0xff, v11
	v_mov_b32_e32 v5, 0
	s_mov_b32 s0, exec_lo
	s_delay_alu instid0(VALU_DEP_2)
	v_cmpx_ne_u16_e32 0, v12
	s_cbranch_execz .LBB50_19
; %bb.18:
	v_bfe_i32 v5, v11, 0, 8
	v_bfe_i32 v12, v10, 16, 8
	s_delay_alu instid0(VALU_DEP_2) | instskip(NEXT) | instid1(VALU_DEP_2)
	v_cvt_f32_i32_e32 v11, v5
	v_cvt_f32_i32_e32 v16, v12
	v_xor_b32_e32 v5, v12, v5
	s_delay_alu instid0(VALU_DEP_3) | instskip(SKIP_1) | instid1(TRANS32_DEP_1)
	v_rcp_iflag_f32_e32 v15, v11
	v_nop
	v_dual_ashrrev_i32 v5, 30, v5 :: v_dual_mul_f32 v15, v16, v15
	s_delay_alu instid0(VALU_DEP_1) | instskip(NEXT) | instid1(VALU_DEP_2)
	v_or_b32_e32 v5, 1, v5
	v_trunc_f32_e32 v12, v15
	s_delay_alu instid0(VALU_DEP_1) | instskip(SKIP_1) | instid1(VALU_DEP_2)
	v_fma_f32 v15, -v12, v11, v16
	v_cvt_i32_f32_e32 v12, v12
	v_cmp_ge_f32_e64 vcc_lo, |v15|, |v11|
	v_cndmask_b32_e32 v5, 0, v5, vcc_lo
	s_delay_alu instid0(VALU_DEP_1) | instskip(NEXT) | instid1(VALU_DEP_1)
	v_add_nc_u32_e32 v5, v12, v5
	v_bfe_i32 v5, v5, 0, 8
	s_delay_alu instid0(VALU_DEP_1) | instskip(NEXT) | instid1(VALU_DEP_1)
	v_mul_i32_i24_e32 v5, v6, v5
	v_sub_nc_u32_e32 v6, 0, v5
	s_delay_alu instid0(VALU_DEP_1)
	v_max_i32_e32 v5, v5, v6
.LBB50_19:
	s_or_b32 exec_lo, exec_lo, s0
	v_lshrrev_b32_e32 v6, 24, v9
	s_mov_b32 s10, 0
	s_mov_b32 s0, exec_lo
	s_delay_alu instid0(VALU_DEP_1) | instskip(NEXT) | instid1(VALU_DEP_1)
	v_bfe_i32 v6, v6, 0, 8
	v_sub_nc_u16 v11, 0, v6
	s_delay_alu instid0(VALU_DEP_1)
	v_max_i16 v11, v6, v11
	v_cmpx_lt_u32_e32 0xffffff, v10
	s_cbranch_execz .LBB50_23
; %bb.20:
	v_lshrrev_b32_e32 v6, 24, v10
	s_delay_alu instid0(VALU_DEP_1) | instskip(NEXT) | instid1(VALU_DEP_1)
	v_bfe_i32 v6, v6, 0, 8
	v_sub_nc_u16 v12, 0, v6
	s_delay_alu instid0(VALU_DEP_1) | instskip(SKIP_1) | instid1(VALU_DEP_2)
	v_max_i16 v12, v6, v12
	v_and_b32_e32 v6, 0xff, v11
	v_and_b32_e32 v12, 0xffff, v12
.LBB50_21:                              ; =>This Inner Loop Header: Depth=1
	s_delay_alu instid0(VALU_DEP_2) | instskip(NEXT) | instid1(VALU_DEP_1)
	v_bfe_i32 v16, v6, 0, 8
	v_cvt_f32_i32_e32 v18, v16
	s_delay_alu instid0(VALU_DEP_3) | instskip(NEXT) | instid1(VALU_DEP_1)
	v_mov_b32_e32 v11, v12
	v_bfe_i32 v12, v11, 0, 8
	s_delay_alu instid0(VALU_DEP_1) | instskip(SKIP_1) | instid1(VALU_DEP_2)
	v_cvt_f32_i32_e32 v15, v12
	v_xor_b32_e32 v12, v16, v12
	v_rcp_iflag_f32_e32 v17, v15
	v_nop
	s_delay_alu instid0(TRANS32_DEP_1) | instskip(NEXT) | instid1(VALU_DEP_1)
	v_mul_f32_e32 v16, v18, v17
	v_trunc_f32_e32 v16, v16
	s_delay_alu instid0(VALU_DEP_1) | instskip(SKIP_1) | instid1(VALU_DEP_2)
	v_dual_fma_f32 v17, -v16, v15, v18 :: v_dual_ashrrev_i32 v12, 30, v12
	v_cvt_i32_f32_e32 v16, v16
	v_cmp_ge_f32_e64 vcc_lo, |v17|, |v15|
	s_delay_alu instid0(VALU_DEP_3) | instskip(NEXT) | instid1(VALU_DEP_1)
	v_or_b32_e32 v12, 1, v12
	v_cndmask_b32_e32 v12, 0, v12, vcc_lo
	s_delay_alu instid0(VALU_DEP_1) | instskip(NEXT) | instid1(VALU_DEP_1)
	v_add_nc_u32_e32 v12, v16, v12
	v_mul_lo_u32 v12, v12, v11
	s_delay_alu instid0(VALU_DEP_1) | instskip(NEXT) | instid1(VALU_DEP_1)
	v_sub_nc_u32_e32 v6, v6, v12
	v_bfe_i32 v12, v6, 0, 8
	v_mov_b32_e32 v6, v11
	s_delay_alu instid0(VALU_DEP_2) | instskip(SKIP_2) | instid1(SALU_CYCLE_1)
	v_cmp_eq_u16_e32 vcc_lo, 0, v12
	v_and_b32_e32 v12, 0xffff, v12
	s_or_b32 s10, vcc_lo, s10
	s_and_not1_b32 exec_lo, exec_lo, s10
	s_cbranch_execnz .LBB50_21
; %bb.22:
	s_or_b32 exec_lo, exec_lo, s10
.LBB50_23:
	s_delay_alu instid0(SALU_CYCLE_1) | instskip(NEXT) | instid1(VALU_DEP_2)
	s_or_b32 exec_lo, exec_lo, s0
	v_and_b32_e32 v12, 0xff, v11
	v_mov_b32_e32 v6, 0
	s_mov_b32 s0, exec_lo
	s_delay_alu instid0(VALU_DEP_2)
	v_cmpx_ne_u16_e32 0, v12
	s_cbranch_execz .LBB50_25
; %bb.24:
	v_bfe_i32 v6, v11, 0, 8
	v_ashrrev_i32_e32 v9, 24, v9
	s_delay_alu instid0(VALU_DEP_2) | instskip(NEXT) | instid1(VALU_DEP_1)
	v_cvt_f32_i32_e32 v11, v6
	v_rcp_iflag_f32_e32 v12, v11
	v_ashrrev_i32_e32 v10, 24, v10
	s_delay_alu instid0(VALU_DEP_1)
	v_cvt_f32_i32_e32 v15, v10
	s_delay_alu instid0(TRANS32_DEP_1) | instid1(VALU_DEP_1)
	v_dual_mul_f32 v12, v15, v12 :: v_dual_bitop2_b32 v6, v10, v6 bitop3:0x14
	s_delay_alu instid0(VALU_DEP_1) | instskip(NEXT) | instid1(VALU_DEP_1)
	v_trunc_f32_e32 v10, v12
	v_dual_fma_f32 v12, -v10, v11, v15 :: v_dual_ashrrev_i32 v6, 30, v6
	v_cvt_i32_f32_e32 v10, v10
	s_delay_alu instid0(VALU_DEP_2) | instskip(NEXT) | instid1(VALU_DEP_3)
	v_cmp_ge_f32_e64 vcc_lo, |v12|, |v11|
	v_or_b32_e32 v6, 1, v6
	s_delay_alu instid0(VALU_DEP_1) | instskip(NEXT) | instid1(VALU_DEP_1)
	v_cndmask_b32_e32 v6, 0, v6, vcc_lo
	v_add_nc_u32_e32 v6, v10, v6
	s_delay_alu instid0(VALU_DEP_1) | instskip(NEXT) | instid1(VALU_DEP_1)
	v_bfe_i32 v6, v6, 0, 8
	v_mul_i32_i24_e32 v6, v9, v6
	s_delay_alu instid0(VALU_DEP_1) | instskip(NEXT) | instid1(VALU_DEP_1)
	v_sub_nc_u32_e32 v9, 0, v6
	v_max_i32_e32 v6, v6, v9
.LBB50_25:
	s_or_b32 exec_lo, exec_lo, s0
	s_wait_loadcnt 0x2
	v_bfe_i32 v10, v13, 0, 8
	v_and_b32_e32 v9, 0xff, v14
	s_mov_b32 s10, 0
	s_mov_b32 s0, exec_lo
	s_delay_alu instid0(VALU_DEP_2) | instskip(NEXT) | instid1(VALU_DEP_1)
	v_sub_nc_u16 v11, 0, v10
	v_max_i16 v12, v10, v11
	v_bfe_i32 v11, v14, 0, 8
	v_cmpx_ne_u16_e32 0, v9
	s_cbranch_execz .LBB50_29
; %bb.26:
	s_delay_alu instid0(VALU_DEP_2) | instskip(NEXT) | instid1(VALU_DEP_1)
	v_sub_nc_u16 v9, 0, v11
	v_max_i16 v15, v11, v9
	v_and_b32_e32 v9, 0xff, v12
	s_delay_alu instid0(VALU_DEP_2)
	v_and_b32_e32 v15, 0xffff, v15
.LBB50_27:                              ; =>This Inner Loop Header: Depth=1
	s_delay_alu instid0(VALU_DEP_2) | instskip(NEXT) | instid1(VALU_DEP_2)
	v_bfe_i32 v17, v9, 0, 8
	v_mov_b32_e32 v12, v15
	s_delay_alu instid0(VALU_DEP_2) | instskip(NEXT) | instid1(VALU_DEP_2)
	v_cvt_f32_i32_e32 v19, v17
	v_bfe_i32 v15, v12, 0, 8
	s_delay_alu instid0(VALU_DEP_1) | instskip(SKIP_1) | instid1(VALU_DEP_2)
	v_cvt_f32_i32_e32 v16, v15
	v_xor_b32_e32 v15, v17, v15
	v_rcp_iflag_f32_e32 v18, v16
	v_nop
	s_delay_alu instid0(TRANS32_DEP_1) | instskip(NEXT) | instid1(VALU_DEP_1)
	v_dual_ashrrev_i32 v15, 30, v15 :: v_dual_mul_f32 v17, v19, v18
	v_trunc_f32_e32 v17, v17
	s_delay_alu instid0(VALU_DEP_1) | instskip(SKIP_1) | instid1(VALU_DEP_2)
	v_dual_fma_f32 v18, -v17, v16, v19 :: v_dual_bitop2_b32 v15, 1, v15 bitop3:0x54
	v_cvt_i32_f32_e32 v17, v17
	v_cmp_ge_f32_e64 vcc_lo, |v18|, |v16|
	s_delay_alu instid0(VALU_DEP_3) | instskip(NEXT) | instid1(VALU_DEP_1)
	v_cndmask_b32_e32 v15, 0, v15, vcc_lo
	v_add_nc_u32_e32 v15, v17, v15
	s_delay_alu instid0(VALU_DEP_1) | instskip(NEXT) | instid1(VALU_DEP_1)
	v_mul_lo_u32 v15, v15, v12
	v_sub_nc_u32_e32 v9, v9, v15
	s_delay_alu instid0(VALU_DEP_1) | instskip(SKIP_1) | instid1(VALU_DEP_2)
	v_bfe_i32 v15, v9, 0, 8
	v_mov_b32_e32 v9, v12
	v_cmp_eq_u16_e32 vcc_lo, 0, v15
	v_and_b32_e32 v15, 0xffff, v15
	s_or_b32 s10, vcc_lo, s10
	s_delay_alu instid0(SALU_CYCLE_1)
	s_and_not1_b32 exec_lo, exec_lo, s10
	s_cbranch_execnz .LBB50_27
; %bb.28:
	s_or_b32 exec_lo, exec_lo, s10
.LBB50_29:
	s_delay_alu instid0(SALU_CYCLE_1) | instskip(SKIP_3) | instid1(VALU_DEP_2)
	s_or_b32 exec_lo, exec_lo, s0
	v_and_b32_e32 v15, 0xff, v12
	v_mov_b32_e32 v9, 0
	s_mov_b32 s0, exec_lo
	v_cmpx_ne_u16_e32 0, v15
	s_cbranch_execz .LBB50_31
; %bb.30:
	v_bfe_i32 v9, v12, 0, 8
	v_cvt_f32_i32_e32 v16, v11
	s_delay_alu instid0(VALU_DEP_2) | instskip(SKIP_1) | instid1(VALU_DEP_2)
	v_cvt_f32_i32_e32 v12, v9
	v_xor_b32_e32 v9, v11, v9
	v_rcp_iflag_f32_e32 v15, v12
	v_nop
	s_delay_alu instid0(TRANS32_DEP_1) | instskip(NEXT) | instid1(VALU_DEP_1)
	v_mul_f32_e32 v15, v16, v15
	v_trunc_f32_e32 v11, v15
	s_delay_alu instid0(VALU_DEP_1) | instskip(NEXT) | instid1(VALU_DEP_1)
	v_dual_ashrrev_i32 v9, 30, v9 :: v_dual_fma_f32 v15, -v11, v12, v16
	v_or_b32_e32 v9, 1, v9
	v_cvt_i32_f32_e32 v11, v11
	s_delay_alu instid0(VALU_DEP_3) | instskip(NEXT) | instid1(VALU_DEP_3)
	v_cmp_ge_f32_e64 vcc_lo, |v15|, |v12|
	v_cndmask_b32_e32 v9, 0, v9, vcc_lo
	s_delay_alu instid0(VALU_DEP_1) | instskip(NEXT) | instid1(VALU_DEP_1)
	v_add_nc_u32_e32 v9, v11, v9
	v_bfe_i32 v9, v9, 0, 8
	s_delay_alu instid0(VALU_DEP_1) | instskip(NEXT) | instid1(VALU_DEP_1)
	v_mul_i32_i24_e32 v9, v10, v9
	v_sub_nc_u32_e32 v10, 0, v9
	s_delay_alu instid0(VALU_DEP_1)
	v_max_i32_e32 v9, v9, v10
.LBB50_31:
	s_or_b32 exec_lo, exec_lo, s0
	v_lshrrev_b32_e32 v10, 8, v13
	s_mov_b32 s10, 0
	s_mov_b32 s0, exec_lo
	s_delay_alu instid0(VALU_DEP_1) | instskip(SKIP_1) | instid1(VALU_DEP_2)
	v_bfe_i32 v11, v10, 0, 8
	v_lshrrev_b32_e32 v10, 8, v14
	v_sub_nc_u16 v12, 0, v11
	s_delay_alu instid0(VALU_DEP_2) | instskip(NEXT) | instid1(VALU_DEP_2)
	v_and_b32_e32 v10, 0xff, v10
	v_max_i16 v12, v11, v12
	s_delay_alu instid0(VALU_DEP_2)
	v_cmpx_ne_u16_e32 0, v10
	s_cbranch_execz .LBB50_35
; %bb.32:
	v_ashrrev_i16 v10, 8, v14
	s_delay_alu instid0(VALU_DEP_1) | instskip(NEXT) | instid1(VALU_DEP_1)
	v_sub_nc_u16 v15, 0, v10
	v_max_i16 v15, v10, v15
	v_and_b32_e32 v10, 0xff, v12
	s_delay_alu instid0(VALU_DEP_2)
	v_and_b32_e32 v15, 0xffff, v15
.LBB50_33:                              ; =>This Inner Loop Header: Depth=1
	s_delay_alu instid0(VALU_DEP_2) | instskip(NEXT) | instid1(VALU_DEP_2)
	v_bfe_i32 v17, v10, 0, 8
	v_mov_b32_e32 v12, v15
	s_delay_alu instid0(VALU_DEP_2) | instskip(NEXT) | instid1(VALU_DEP_2)
	v_cvt_f32_i32_e32 v19, v17
	v_bfe_i32 v15, v12, 0, 8
	s_delay_alu instid0(VALU_DEP_1) | instskip(SKIP_1) | instid1(VALU_DEP_2)
	v_cvt_f32_i32_e32 v16, v15
	v_xor_b32_e32 v15, v17, v15
	v_rcp_iflag_f32_e32 v18, v16
	v_nop
	s_delay_alu instid0(TRANS32_DEP_1) | instskip(NEXT) | instid1(VALU_DEP_1)
	v_dual_ashrrev_i32 v15, 30, v15 :: v_dual_mul_f32 v17, v19, v18
	v_trunc_f32_e32 v17, v17
	s_delay_alu instid0(VALU_DEP_1) | instskip(SKIP_1) | instid1(VALU_DEP_2)
	v_dual_fma_f32 v18, -v17, v16, v19 :: v_dual_bitop2_b32 v15, 1, v15 bitop3:0x54
	v_cvt_i32_f32_e32 v17, v17
	v_cmp_ge_f32_e64 vcc_lo, |v18|, |v16|
	s_delay_alu instid0(VALU_DEP_3) | instskip(NEXT) | instid1(VALU_DEP_1)
	v_cndmask_b32_e32 v15, 0, v15, vcc_lo
	v_add_nc_u32_e32 v15, v17, v15
	s_delay_alu instid0(VALU_DEP_1) | instskip(NEXT) | instid1(VALU_DEP_1)
	v_mul_lo_u32 v15, v15, v12
	v_sub_nc_u32_e32 v10, v10, v15
	s_delay_alu instid0(VALU_DEP_1) | instskip(SKIP_1) | instid1(VALU_DEP_2)
	v_bfe_i32 v15, v10, 0, 8
	v_mov_b32_e32 v10, v12
	v_cmp_eq_u16_e32 vcc_lo, 0, v15
	v_and_b32_e32 v15, 0xffff, v15
	s_or_b32 s10, vcc_lo, s10
	s_delay_alu instid0(SALU_CYCLE_1)
	s_and_not1_b32 exec_lo, exec_lo, s10
	s_cbranch_execnz .LBB50_33
; %bb.34:
	s_or_b32 exec_lo, exec_lo, s10
.LBB50_35:
	s_delay_alu instid0(SALU_CYCLE_1) | instskip(NEXT) | instid1(VALU_DEP_2)
	s_or_b32 exec_lo, exec_lo, s0
	v_and_b32_e32 v15, 0xff, v12
	v_mov_b32_e32 v10, 0
	s_mov_b32 s0, exec_lo
	s_delay_alu instid0(VALU_DEP_2)
	v_cmpx_ne_u16_e32 0, v15
	s_cbranch_execz .LBB50_37
; %bb.36:
	v_bfe_i32 v10, v12, 0, 8
	v_bfe_i32 v15, v14, 8, 8
	s_delay_alu instid0(VALU_DEP_2) | instskip(NEXT) | instid1(VALU_DEP_2)
	v_cvt_f32_i32_e32 v12, v10
	v_cvt_f32_i32_e32 v17, v15
	v_xor_b32_e32 v10, v15, v10
	s_delay_alu instid0(VALU_DEP_3) | instskip(SKIP_1) | instid1(TRANS32_DEP_1)
	v_rcp_iflag_f32_e32 v16, v12
	v_nop
	v_mul_f32_e32 v16, v17, v16
	s_delay_alu instid0(VALU_DEP_1) | instskip(NEXT) | instid1(VALU_DEP_1)
	v_trunc_f32_e32 v15, v16
	v_dual_ashrrev_i32 v10, 30, v10 :: v_dual_fma_f32 v16, -v15, v12, v17
	s_delay_alu instid0(VALU_DEP_1) | instskip(SKIP_1) | instid1(VALU_DEP_3)
	v_or_b32_e32 v10, 1, v10
	v_cvt_i32_f32_e32 v15, v15
	v_cmp_ge_f32_e64 vcc_lo, |v16|, |v12|
	s_delay_alu instid0(VALU_DEP_3) | instskip(NEXT) | instid1(VALU_DEP_1)
	v_cndmask_b32_e32 v10, 0, v10, vcc_lo
	v_add_nc_u32_e32 v10, v15, v10
	s_delay_alu instid0(VALU_DEP_1) | instskip(NEXT) | instid1(VALU_DEP_1)
	v_bfe_i32 v10, v10, 0, 8
	v_mul_i32_i24_e32 v10, v11, v10
	s_delay_alu instid0(VALU_DEP_1) | instskip(NEXT) | instid1(VALU_DEP_1)
	v_sub_nc_u32_e32 v11, 0, v10
	v_max_i32_e32 v10, v10, v11
.LBB50_37:
	s_or_b32 exec_lo, exec_lo, s0
	v_lshrrev_b32_e32 v11, 16, v13
	s_mov_b32 s10, 0
	s_mov_b32 s0, exec_lo
	s_delay_alu instid0(VALU_DEP_1) | instskip(SKIP_1) | instid1(VALU_DEP_2)
	v_bfe_i32 v12, v11, 0, 8
	v_lshrrev_b32_e32 v11, 16, v14
	v_sub_nc_u16 v15, 0, v12
	s_delay_alu instid0(VALU_DEP_2) | instskip(NEXT) | instid1(VALU_DEP_2)
	v_and_b32_e32 v16, 0xff, v11
	v_max_i16 v15, v12, v15
	s_delay_alu instid0(VALU_DEP_2)
	v_cmpx_ne_u16_e32 0, v16
	s_cbranch_execz .LBB50_41
; %bb.38:
	v_bfe_i32 v11, v11, 0, 8
	s_delay_alu instid0(VALU_DEP_1) | instskip(NEXT) | instid1(VALU_DEP_1)
	v_sub_nc_u16 v16, 0, v11
	v_max_i16 v16, v11, v16
	v_and_b32_e32 v11, 0xff, v15
	s_delay_alu instid0(VALU_DEP_2)
	v_and_b32_e32 v16, 0xffff, v16
.LBB50_39:                              ; =>This Inner Loop Header: Depth=1
	s_delay_alu instid0(VALU_DEP_2) | instskip(NEXT) | instid1(VALU_DEP_2)
	v_bfe_i32 v18, v11, 0, 8
	v_mov_b32_e32 v15, v16
	s_delay_alu instid0(VALU_DEP_2) | instskip(NEXT) | instid1(VALU_DEP_2)
	v_cvt_f32_i32_e32 v20, v18
	v_bfe_i32 v16, v15, 0, 8
	s_delay_alu instid0(VALU_DEP_1) | instskip(SKIP_1) | instid1(VALU_DEP_2)
	v_cvt_f32_i32_e32 v17, v16
	v_xor_b32_e32 v16, v18, v16
	v_rcp_iflag_f32_e32 v19, v17
	v_nop
	s_delay_alu instid0(TRANS32_DEP_1) | instskip(NEXT) | instid1(VALU_DEP_1)
	v_dual_ashrrev_i32 v16, 30, v16 :: v_dual_mul_f32 v18, v20, v19
	v_trunc_f32_e32 v18, v18
	s_delay_alu instid0(VALU_DEP_1) | instskip(SKIP_1) | instid1(VALU_DEP_2)
	v_dual_fma_f32 v19, -v18, v17, v20 :: v_dual_bitop2_b32 v16, 1, v16 bitop3:0x54
	v_cvt_i32_f32_e32 v18, v18
	v_cmp_ge_f32_e64 vcc_lo, |v19|, |v17|
	s_delay_alu instid0(VALU_DEP_3) | instskip(NEXT) | instid1(VALU_DEP_1)
	v_cndmask_b32_e32 v16, 0, v16, vcc_lo
	v_add_nc_u32_e32 v16, v18, v16
	s_delay_alu instid0(VALU_DEP_1) | instskip(NEXT) | instid1(VALU_DEP_1)
	v_mul_lo_u32 v16, v16, v15
	v_sub_nc_u32_e32 v11, v11, v16
	s_delay_alu instid0(VALU_DEP_1) | instskip(SKIP_1) | instid1(VALU_DEP_2)
	v_bfe_i32 v16, v11, 0, 8
	v_mov_b32_e32 v11, v15
	v_cmp_eq_u16_e32 vcc_lo, 0, v16
	v_and_b32_e32 v16, 0xffff, v16
	s_or_b32 s10, vcc_lo, s10
	s_delay_alu instid0(SALU_CYCLE_1)
	s_and_not1_b32 exec_lo, exec_lo, s10
	s_cbranch_execnz .LBB50_39
; %bb.40:
	s_or_b32 exec_lo, exec_lo, s10
.LBB50_41:
	s_delay_alu instid0(SALU_CYCLE_1) | instskip(NEXT) | instid1(VALU_DEP_2)
	s_or_b32 exec_lo, exec_lo, s0
	v_and_b32_e32 v16, 0xff, v15
	v_mov_b32_e32 v11, 0
	s_mov_b32 s0, exec_lo
	s_delay_alu instid0(VALU_DEP_2)
	v_cmpx_ne_u16_e32 0, v16
	s_cbranch_execz .LBB50_43
; %bb.42:
	v_bfe_i32 v11, v15, 0, 8
	v_bfe_i32 v16, v14, 16, 8
	s_delay_alu instid0(VALU_DEP_2) | instskip(NEXT) | instid1(VALU_DEP_2)
	v_cvt_f32_i32_e32 v15, v11
	v_cvt_f32_i32_e32 v18, v16
	v_xor_b32_e32 v11, v16, v11
	s_delay_alu instid0(VALU_DEP_3) | instskip(SKIP_1) | instid1(TRANS32_DEP_1)
	v_rcp_iflag_f32_e32 v17, v15
	v_nop
	v_dual_ashrrev_i32 v11, 30, v11 :: v_dual_mul_f32 v17, v18, v17
	s_delay_alu instid0(VALU_DEP_1) | instskip(NEXT) | instid1(VALU_DEP_2)
	v_or_b32_e32 v11, 1, v11
	v_trunc_f32_e32 v16, v17
	s_delay_alu instid0(VALU_DEP_1) | instskip(SKIP_1) | instid1(VALU_DEP_2)
	v_fma_f32 v17, -v16, v15, v18
	v_cvt_i32_f32_e32 v16, v16
	v_cmp_ge_f32_e64 vcc_lo, |v17|, |v15|
	v_cndmask_b32_e32 v11, 0, v11, vcc_lo
	s_delay_alu instid0(VALU_DEP_1) | instskip(NEXT) | instid1(VALU_DEP_1)
	v_add_nc_u32_e32 v11, v16, v11
	v_bfe_i32 v11, v11, 0, 8
	s_delay_alu instid0(VALU_DEP_1) | instskip(NEXT) | instid1(VALU_DEP_1)
	v_mul_i32_i24_e32 v11, v12, v11
	v_sub_nc_u32_e32 v12, 0, v11
	s_delay_alu instid0(VALU_DEP_1)
	v_max_i32_e32 v11, v11, v12
.LBB50_43:
	s_or_b32 exec_lo, exec_lo, s0
	v_lshrrev_b32_e32 v12, 24, v13
	s_mov_b32 s10, 0
	s_mov_b32 s0, exec_lo
	s_delay_alu instid0(VALU_DEP_1) | instskip(NEXT) | instid1(VALU_DEP_1)
	v_bfe_i32 v12, v12, 0, 8
	v_sub_nc_u16 v15, 0, v12
	s_delay_alu instid0(VALU_DEP_1)
	v_max_i16 v15, v12, v15
	v_cmpx_lt_u32_e32 0xffffff, v14
	s_cbranch_execz .LBB50_47
; %bb.44:
	v_lshrrev_b32_e32 v12, 24, v14
	s_delay_alu instid0(VALU_DEP_1) | instskip(NEXT) | instid1(VALU_DEP_1)
	v_bfe_i32 v12, v12, 0, 8
	v_sub_nc_u16 v16, 0, v12
	s_delay_alu instid0(VALU_DEP_1) | instskip(SKIP_1) | instid1(VALU_DEP_2)
	v_max_i16 v16, v12, v16
	v_and_b32_e32 v12, 0xff, v15
	v_and_b32_e32 v16, 0xffff, v16
.LBB50_45:                              ; =>This Inner Loop Header: Depth=1
	s_delay_alu instid0(VALU_DEP_2) | instskip(NEXT) | instid1(VALU_DEP_2)
	v_bfe_i32 v18, v12, 0, 8
	v_mov_b32_e32 v15, v16
	s_delay_alu instid0(VALU_DEP_2) | instskip(NEXT) | instid1(VALU_DEP_2)
	v_cvt_f32_i32_e32 v20, v18
	v_bfe_i32 v16, v15, 0, 8
	s_delay_alu instid0(VALU_DEP_1) | instskip(SKIP_1) | instid1(VALU_DEP_2)
	v_cvt_f32_i32_e32 v17, v16
	v_xor_b32_e32 v16, v18, v16
	v_rcp_iflag_f32_e32 v19, v17
	v_nop
	s_delay_alu instid0(TRANS32_DEP_1) | instskip(NEXT) | instid1(VALU_DEP_1)
	v_dual_ashrrev_i32 v16, 30, v16 :: v_dual_mul_f32 v18, v20, v19
	v_trunc_f32_e32 v18, v18
	s_delay_alu instid0(VALU_DEP_1) | instskip(SKIP_1) | instid1(VALU_DEP_2)
	v_dual_fma_f32 v19, -v18, v17, v20 :: v_dual_bitop2_b32 v16, 1, v16 bitop3:0x54
	v_cvt_i32_f32_e32 v18, v18
	v_cmp_ge_f32_e64 vcc_lo, |v19|, |v17|
	s_delay_alu instid0(VALU_DEP_3) | instskip(NEXT) | instid1(VALU_DEP_1)
	v_cndmask_b32_e32 v16, 0, v16, vcc_lo
	v_add_nc_u32_e32 v16, v18, v16
	s_delay_alu instid0(VALU_DEP_1) | instskip(NEXT) | instid1(VALU_DEP_1)
	v_mul_lo_u32 v16, v16, v15
	v_sub_nc_u32_e32 v12, v12, v16
	s_delay_alu instid0(VALU_DEP_1) | instskip(SKIP_1) | instid1(VALU_DEP_2)
	v_bfe_i32 v16, v12, 0, 8
	v_mov_b32_e32 v12, v15
	v_cmp_eq_u16_e32 vcc_lo, 0, v16
	v_and_b32_e32 v16, 0xffff, v16
	s_or_b32 s10, vcc_lo, s10
	s_delay_alu instid0(SALU_CYCLE_1)
	s_and_not1_b32 exec_lo, exec_lo, s10
	s_cbranch_execnz .LBB50_45
; %bb.46:
	s_or_b32 exec_lo, exec_lo, s10
.LBB50_47:
	s_delay_alu instid0(SALU_CYCLE_1) | instskip(NEXT) | instid1(VALU_DEP_2)
	s_or_b32 exec_lo, exec_lo, s0
	v_and_b32_e32 v16, 0xff, v15
	v_mov_b32_e32 v12, 0
	s_mov_b32 s0, exec_lo
	s_delay_alu instid0(VALU_DEP_2)
	v_cmpx_ne_u16_e32 0, v16
	s_cbranch_execz .LBB50_49
; %bb.48:
	v_bfe_i32 v12, v15, 0, 8
	v_ashrrev_i32_e32 v13, 24, v13
	s_delay_alu instid0(VALU_DEP_2) | instskip(NEXT) | instid1(VALU_DEP_1)
	v_cvt_f32_i32_e32 v15, v12
	v_rcp_iflag_f32_e32 v16, v15
	v_ashrrev_i32_e32 v14, 24, v14
	s_delay_alu instid0(VALU_DEP_1)
	v_cvt_f32_i32_e32 v17, v14
	s_delay_alu instid0(TRANS32_DEP_1) | instid1(VALU_DEP_1)
	v_mul_f32_e32 v16, v17, v16
	v_xor_b32_e32 v12, v14, v12
	s_delay_alu instid0(VALU_DEP_2) | instskip(NEXT) | instid1(VALU_DEP_1)
	v_trunc_f32_e32 v14, v16
	v_dual_fma_f32 v16, -v14, v15, v17 :: v_dual_ashrrev_i32 v12, 30, v12
	v_cvt_i32_f32_e32 v14, v14
	s_delay_alu instid0(VALU_DEP_2) | instskip(NEXT) | instid1(VALU_DEP_3)
	v_cmp_ge_f32_e64 vcc_lo, |v16|, |v15|
	v_or_b32_e32 v12, 1, v12
	s_delay_alu instid0(VALU_DEP_1) | instskip(NEXT) | instid1(VALU_DEP_1)
	v_cndmask_b32_e32 v12, 0, v12, vcc_lo
	v_add_nc_u32_e32 v12, v14, v12
	s_delay_alu instid0(VALU_DEP_1) | instskip(NEXT) | instid1(VALU_DEP_1)
	v_bfe_i32 v12, v12, 0, 8
	v_mul_i32_i24_e32 v12, v13, v12
	s_delay_alu instid0(VALU_DEP_1) | instskip(NEXT) | instid1(VALU_DEP_1)
	v_sub_nc_u32_e32 v13, 0, v12
	v_max_i32_e32 v12, v12, v13
.LBB50_49:
	s_or_b32 exec_lo, exec_lo, s0
	s_wait_loadcnt 0x1
	v_bfe_i32 v14, v7, 0, 8
	v_and_b32_e32 v13, 0xff, v8
	s_mov_b32 s10, 0
	s_mov_b32 s0, exec_lo
	s_delay_alu instid0(VALU_DEP_2) | instskip(NEXT) | instid1(VALU_DEP_1)
	v_sub_nc_u16 v15, 0, v14
	v_max_i16 v16, v14, v15
	v_bfe_i32 v15, v8, 0, 8
	v_cmpx_ne_u16_e32 0, v13
	s_cbranch_execz .LBB50_53
; %bb.50:
	s_delay_alu instid0(VALU_DEP_2) | instskip(NEXT) | instid1(VALU_DEP_1)
	v_sub_nc_u16 v13, 0, v15
	v_max_i16 v17, v15, v13
	v_and_b32_e32 v13, 0xff, v16
	s_delay_alu instid0(VALU_DEP_2)
	v_and_b32_e32 v17, 0xffff, v17
.LBB50_51:                              ; =>This Inner Loop Header: Depth=1
	s_delay_alu instid0(VALU_DEP_2) | instskip(NEXT) | instid1(VALU_DEP_2)
	v_bfe_i32 v19, v13, 0, 8
	v_mov_b32_e32 v16, v17
	s_delay_alu instid0(VALU_DEP_2) | instskip(NEXT) | instid1(VALU_DEP_2)
	v_cvt_f32_i32_e32 v21, v19
	v_bfe_i32 v17, v16, 0, 8
	s_delay_alu instid0(VALU_DEP_1) | instskip(SKIP_1) | instid1(VALU_DEP_2)
	v_cvt_f32_i32_e32 v18, v17
	v_xor_b32_e32 v17, v19, v17
	v_rcp_iflag_f32_e32 v20, v18
	v_nop
	s_delay_alu instid0(TRANS32_DEP_1) | instskip(NEXT) | instid1(VALU_DEP_1)
	v_dual_ashrrev_i32 v17, 30, v17 :: v_dual_mul_f32 v19, v21, v20
	v_trunc_f32_e32 v19, v19
	s_delay_alu instid0(VALU_DEP_1) | instskip(SKIP_1) | instid1(VALU_DEP_2)
	v_dual_fma_f32 v20, -v19, v18, v21 :: v_dual_bitop2_b32 v17, 1, v17 bitop3:0x54
	v_cvt_i32_f32_e32 v19, v19
	v_cmp_ge_f32_e64 vcc_lo, |v20|, |v18|
	s_delay_alu instid0(VALU_DEP_3) | instskip(NEXT) | instid1(VALU_DEP_1)
	v_cndmask_b32_e32 v17, 0, v17, vcc_lo
	v_add_nc_u32_e32 v17, v19, v17
	s_delay_alu instid0(VALU_DEP_1) | instskip(NEXT) | instid1(VALU_DEP_1)
	v_mul_lo_u32 v17, v17, v16
	v_sub_nc_u32_e32 v13, v13, v17
	s_delay_alu instid0(VALU_DEP_1) | instskip(SKIP_1) | instid1(VALU_DEP_2)
	v_bfe_i32 v17, v13, 0, 8
	v_mov_b32_e32 v13, v16
	v_cmp_eq_u16_e32 vcc_lo, 0, v17
	v_and_b32_e32 v17, 0xffff, v17
	s_or_b32 s10, vcc_lo, s10
	s_delay_alu instid0(SALU_CYCLE_1)
	s_and_not1_b32 exec_lo, exec_lo, s10
	s_cbranch_execnz .LBB50_51
; %bb.52:
	s_or_b32 exec_lo, exec_lo, s10
.LBB50_53:
	s_delay_alu instid0(SALU_CYCLE_1) | instskip(SKIP_3) | instid1(VALU_DEP_2)
	s_or_b32 exec_lo, exec_lo, s0
	v_and_b32_e32 v17, 0xff, v16
	v_mov_b32_e32 v13, 0
	s_mov_b32 s0, exec_lo
	v_cmpx_ne_u16_e32 0, v17
	s_cbranch_execz .LBB50_55
; %bb.54:
	v_bfe_i32 v13, v16, 0, 8
	v_cvt_f32_i32_e32 v18, v15
	s_delay_alu instid0(VALU_DEP_2) | instskip(SKIP_1) | instid1(VALU_DEP_2)
	v_cvt_f32_i32_e32 v16, v13
	v_xor_b32_e32 v13, v15, v13
	v_rcp_iflag_f32_e32 v17, v16
	v_nop
	s_delay_alu instid0(TRANS32_DEP_1) | instskip(NEXT) | instid1(VALU_DEP_1)
	v_mul_f32_e32 v17, v18, v17
	v_trunc_f32_e32 v15, v17
	s_delay_alu instid0(VALU_DEP_1) | instskip(SKIP_1) | instid1(VALU_DEP_2)
	v_dual_fma_f32 v17, -v15, v16, v18 :: v_dual_ashrrev_i32 v13, 30, v13
	v_cvt_i32_f32_e32 v15, v15
	v_cmp_ge_f32_e64 vcc_lo, |v17|, |v16|
	s_delay_alu instid0(VALU_DEP_3) | instskip(NEXT) | instid1(VALU_DEP_1)
	v_or_b32_e32 v13, 1, v13
	v_cndmask_b32_e32 v13, 0, v13, vcc_lo
	s_delay_alu instid0(VALU_DEP_1) | instskip(NEXT) | instid1(VALU_DEP_1)
	v_add_nc_u32_e32 v13, v15, v13
	v_bfe_i32 v13, v13, 0, 8
	s_delay_alu instid0(VALU_DEP_1) | instskip(NEXT) | instid1(VALU_DEP_1)
	v_mul_i32_i24_e32 v13, v14, v13
	v_sub_nc_u32_e32 v14, 0, v13
	s_delay_alu instid0(VALU_DEP_1)
	v_max_i32_e32 v13, v13, v14
.LBB50_55:
	s_or_b32 exec_lo, exec_lo, s0
	v_lshrrev_b32_e32 v14, 8, v7
	s_mov_b32 s10, 0
	s_mov_b32 s0, exec_lo
	s_delay_alu instid0(VALU_DEP_1) | instskip(SKIP_1) | instid1(VALU_DEP_2)
	v_bfe_i32 v15, v14, 0, 8
	v_lshrrev_b32_e32 v14, 8, v8
	v_sub_nc_u16 v16, 0, v15
	s_delay_alu instid0(VALU_DEP_2) | instskip(NEXT) | instid1(VALU_DEP_2)
	v_and_b32_e32 v14, 0xff, v14
	v_max_i16 v16, v15, v16
	s_delay_alu instid0(VALU_DEP_2)
	v_cmpx_ne_u16_e32 0, v14
	s_cbranch_execz .LBB50_59
; %bb.56:
	v_ashrrev_i16 v14, 8, v8
	s_delay_alu instid0(VALU_DEP_1) | instskip(NEXT) | instid1(VALU_DEP_1)
	v_sub_nc_u16 v17, 0, v14
	v_max_i16 v17, v14, v17
	v_and_b32_e32 v14, 0xff, v16
	s_delay_alu instid0(VALU_DEP_2)
	v_and_b32_e32 v17, 0xffff, v17
.LBB50_57:                              ; =>This Inner Loop Header: Depth=1
	s_delay_alu instid0(VALU_DEP_2) | instskip(NEXT) | instid1(VALU_DEP_2)
	v_bfe_i32 v19, v14, 0, 8
	v_mov_b32_e32 v16, v17
	s_delay_alu instid0(VALU_DEP_2) | instskip(NEXT) | instid1(VALU_DEP_2)
	v_cvt_f32_i32_e32 v21, v19
	v_bfe_i32 v17, v16, 0, 8
	s_delay_alu instid0(VALU_DEP_1) | instskip(SKIP_1) | instid1(VALU_DEP_2)
	v_cvt_f32_i32_e32 v18, v17
	v_xor_b32_e32 v17, v19, v17
	v_rcp_iflag_f32_e32 v20, v18
	v_nop
	s_delay_alu instid0(TRANS32_DEP_1) | instskip(NEXT) | instid1(VALU_DEP_1)
	v_dual_ashrrev_i32 v17, 30, v17 :: v_dual_mul_f32 v19, v21, v20
	v_trunc_f32_e32 v19, v19
	s_delay_alu instid0(VALU_DEP_1) | instskip(SKIP_1) | instid1(VALU_DEP_2)
	v_dual_fma_f32 v20, -v19, v18, v21 :: v_dual_bitop2_b32 v17, 1, v17 bitop3:0x54
	v_cvt_i32_f32_e32 v19, v19
	v_cmp_ge_f32_e64 vcc_lo, |v20|, |v18|
	s_delay_alu instid0(VALU_DEP_3) | instskip(NEXT) | instid1(VALU_DEP_1)
	v_cndmask_b32_e32 v17, 0, v17, vcc_lo
	v_add_nc_u32_e32 v17, v19, v17
	s_delay_alu instid0(VALU_DEP_1) | instskip(NEXT) | instid1(VALU_DEP_1)
	v_mul_lo_u32 v17, v17, v16
	v_sub_nc_u32_e32 v14, v14, v17
	s_delay_alu instid0(VALU_DEP_1) | instskip(SKIP_1) | instid1(VALU_DEP_2)
	v_bfe_i32 v17, v14, 0, 8
	v_mov_b32_e32 v14, v16
	v_cmp_eq_u16_e32 vcc_lo, 0, v17
	v_and_b32_e32 v17, 0xffff, v17
	s_or_b32 s10, vcc_lo, s10
	s_delay_alu instid0(SALU_CYCLE_1)
	s_and_not1_b32 exec_lo, exec_lo, s10
	s_cbranch_execnz .LBB50_57
; %bb.58:
	s_or_b32 exec_lo, exec_lo, s10
.LBB50_59:
	s_delay_alu instid0(SALU_CYCLE_1) | instskip(NEXT) | instid1(VALU_DEP_2)
	s_or_b32 exec_lo, exec_lo, s0
	v_and_b32_e32 v17, 0xff, v16
	v_mov_b32_e32 v14, 0
	s_mov_b32 s0, exec_lo
	s_delay_alu instid0(VALU_DEP_2)
	v_cmpx_ne_u16_e32 0, v17
	s_cbranch_execz .LBB50_61
; %bb.60:
	v_bfe_i32 v14, v16, 0, 8
	v_bfe_i32 v17, v8, 8, 8
	s_delay_alu instid0(VALU_DEP_2) | instskip(NEXT) | instid1(VALU_DEP_2)
	v_cvt_f32_i32_e32 v16, v14
	v_cvt_f32_i32_e32 v19, v17
	v_xor_b32_e32 v14, v17, v14
	s_delay_alu instid0(VALU_DEP_3) | instskip(SKIP_1) | instid1(TRANS32_DEP_1)
	v_rcp_iflag_f32_e32 v18, v16
	v_nop
	v_mul_f32_e32 v18, v19, v18
	s_delay_alu instid0(VALU_DEP_1) | instskip(NEXT) | instid1(VALU_DEP_1)
	v_trunc_f32_e32 v17, v18
	v_dual_fma_f32 v18, -v17, v16, v19 :: v_dual_ashrrev_i32 v14, 30, v14
	v_cvt_i32_f32_e32 v17, v17
	s_delay_alu instid0(VALU_DEP_2) | instskip(NEXT) | instid1(VALU_DEP_3)
	v_cmp_ge_f32_e64 vcc_lo, |v18|, |v16|
	v_or_b32_e32 v14, 1, v14
	s_delay_alu instid0(VALU_DEP_1) | instskip(NEXT) | instid1(VALU_DEP_1)
	v_cndmask_b32_e32 v14, 0, v14, vcc_lo
	v_add_nc_u32_e32 v14, v17, v14
	s_delay_alu instid0(VALU_DEP_1) | instskip(NEXT) | instid1(VALU_DEP_1)
	v_bfe_i32 v14, v14, 0, 8
	v_mul_i32_i24_e32 v14, v15, v14
	s_delay_alu instid0(VALU_DEP_1) | instskip(NEXT) | instid1(VALU_DEP_1)
	v_sub_nc_u32_e32 v15, 0, v14
	v_max_i32_e32 v14, v14, v15
.LBB50_61:
	s_or_b32 exec_lo, exec_lo, s0
	v_lshrrev_b32_e32 v15, 16, v7
	s_mov_b32 s10, 0
	s_mov_b32 s0, exec_lo
	s_delay_alu instid0(VALU_DEP_1) | instskip(SKIP_1) | instid1(VALU_DEP_2)
	v_bfe_i32 v16, v15, 0, 8
	v_lshrrev_b32_e32 v15, 16, v8
	v_sub_nc_u16 v17, 0, v16
	s_delay_alu instid0(VALU_DEP_2) | instskip(NEXT) | instid1(VALU_DEP_2)
	v_and_b32_e32 v18, 0xff, v15
	v_max_i16 v17, v16, v17
	s_delay_alu instid0(VALU_DEP_2)
	v_cmpx_ne_u16_e32 0, v18
	s_cbranch_execz .LBB50_65
; %bb.62:
	v_bfe_i32 v15, v15, 0, 8
	s_delay_alu instid0(VALU_DEP_1) | instskip(NEXT) | instid1(VALU_DEP_1)
	v_sub_nc_u16 v18, 0, v15
	v_max_i16 v18, v15, v18
	v_and_b32_e32 v15, 0xff, v17
	s_delay_alu instid0(VALU_DEP_2)
	v_and_b32_e32 v18, 0xffff, v18
.LBB50_63:                              ; =>This Inner Loop Header: Depth=1
	s_delay_alu instid0(VALU_DEP_2) | instskip(NEXT) | instid1(VALU_DEP_2)
	v_bfe_i32 v20, v15, 0, 8
	v_mov_b32_e32 v17, v18
	s_delay_alu instid0(VALU_DEP_2) | instskip(NEXT) | instid1(VALU_DEP_2)
	v_cvt_f32_i32_e32 v22, v20
	v_bfe_i32 v18, v17, 0, 8
	s_delay_alu instid0(VALU_DEP_1) | instskip(SKIP_1) | instid1(VALU_DEP_2)
	v_cvt_f32_i32_e32 v19, v18
	v_xor_b32_e32 v18, v20, v18
	v_rcp_iflag_f32_e32 v21, v19
	v_nop
	s_delay_alu instid0(TRANS32_DEP_1) | instskip(NEXT) | instid1(VALU_DEP_1)
	v_dual_ashrrev_i32 v18, 30, v18 :: v_dual_mul_f32 v20, v22, v21
	v_trunc_f32_e32 v20, v20
	s_delay_alu instid0(VALU_DEP_1) | instskip(SKIP_1) | instid1(VALU_DEP_2)
	v_dual_fma_f32 v21, -v20, v19, v22 :: v_dual_bitop2_b32 v18, 1, v18 bitop3:0x54
	v_cvt_i32_f32_e32 v20, v20
	v_cmp_ge_f32_e64 vcc_lo, |v21|, |v19|
	s_delay_alu instid0(VALU_DEP_3) | instskip(NEXT) | instid1(VALU_DEP_1)
	v_cndmask_b32_e32 v18, 0, v18, vcc_lo
	v_add_nc_u32_e32 v18, v20, v18
	s_delay_alu instid0(VALU_DEP_1) | instskip(NEXT) | instid1(VALU_DEP_1)
	v_mul_lo_u32 v18, v18, v17
	v_sub_nc_u32_e32 v15, v15, v18
	s_delay_alu instid0(VALU_DEP_1) | instskip(SKIP_1) | instid1(VALU_DEP_2)
	v_bfe_i32 v18, v15, 0, 8
	v_mov_b32_e32 v15, v17
	v_cmp_eq_u16_e32 vcc_lo, 0, v18
	v_and_b32_e32 v18, 0xffff, v18
	s_or_b32 s10, vcc_lo, s10
	s_delay_alu instid0(SALU_CYCLE_1)
	s_and_not1_b32 exec_lo, exec_lo, s10
	s_cbranch_execnz .LBB50_63
; %bb.64:
	s_or_b32 exec_lo, exec_lo, s10
.LBB50_65:
	s_delay_alu instid0(SALU_CYCLE_1) | instskip(NEXT) | instid1(VALU_DEP_2)
	s_or_b32 exec_lo, exec_lo, s0
	v_and_b32_e32 v18, 0xff, v17
	v_mov_b32_e32 v15, 0
	s_mov_b32 s0, exec_lo
	s_delay_alu instid0(VALU_DEP_2)
	v_cmpx_ne_u16_e32 0, v18
	s_cbranch_execz .LBB50_67
; %bb.66:
	v_bfe_i32 v15, v17, 0, 8
	v_bfe_i32 v18, v8, 16, 8
	s_delay_alu instid0(VALU_DEP_2) | instskip(NEXT) | instid1(VALU_DEP_2)
	v_cvt_f32_i32_e32 v17, v15
	v_cvt_f32_i32_e32 v20, v18
	v_xor_b32_e32 v15, v18, v15
	s_delay_alu instid0(VALU_DEP_3) | instskip(SKIP_1) | instid1(TRANS32_DEP_1)
	v_rcp_iflag_f32_e32 v19, v17
	v_nop
	v_mul_f32_e32 v19, v20, v19
	s_delay_alu instid0(VALU_DEP_1) | instskip(NEXT) | instid1(VALU_DEP_1)
	v_trunc_f32_e32 v18, v19
	v_dual_fma_f32 v19, -v18, v17, v20 :: v_dual_ashrrev_i32 v15, 30, v15
	v_cvt_i32_f32_e32 v18, v18
	s_delay_alu instid0(VALU_DEP_2) | instskip(NEXT) | instid1(VALU_DEP_3)
	v_cmp_ge_f32_e64 vcc_lo, |v19|, |v17|
	v_or_b32_e32 v15, 1, v15
	s_delay_alu instid0(VALU_DEP_1) | instskip(NEXT) | instid1(VALU_DEP_1)
	v_cndmask_b32_e32 v15, 0, v15, vcc_lo
	v_add_nc_u32_e32 v15, v18, v15
	s_delay_alu instid0(VALU_DEP_1) | instskip(NEXT) | instid1(VALU_DEP_1)
	v_bfe_i32 v15, v15, 0, 8
	v_mul_i32_i24_e32 v15, v16, v15
	s_delay_alu instid0(VALU_DEP_1) | instskip(NEXT) | instid1(VALU_DEP_1)
	v_sub_nc_u32_e32 v16, 0, v15
	v_max_i32_e32 v15, v15, v16
.LBB50_67:
	s_or_b32 exec_lo, exec_lo, s0
	v_lshrrev_b32_e32 v16, 24, v7
	s_mov_b32 s10, 0
	s_mov_b32 s0, exec_lo
	s_delay_alu instid0(VALU_DEP_1) | instskip(NEXT) | instid1(VALU_DEP_1)
	v_bfe_i32 v16, v16, 0, 8
	v_sub_nc_u16 v17, 0, v16
	s_delay_alu instid0(VALU_DEP_1)
	v_max_i16 v17, v16, v17
	v_cmpx_lt_u32_e32 0xffffff, v8
	s_cbranch_execz .LBB50_71
; %bb.68:
	v_lshrrev_b32_e32 v16, 24, v8
	s_delay_alu instid0(VALU_DEP_1) | instskip(NEXT) | instid1(VALU_DEP_1)
	v_bfe_i32 v16, v16, 0, 8
	v_sub_nc_u16 v18, 0, v16
	s_delay_alu instid0(VALU_DEP_1) | instskip(SKIP_1) | instid1(VALU_DEP_2)
	v_max_i16 v18, v16, v18
	v_and_b32_e32 v16, 0xff, v17
	v_and_b32_e32 v18, 0xffff, v18
.LBB50_69:                              ; =>This Inner Loop Header: Depth=1
	s_delay_alu instid0(VALU_DEP_2) | instskip(NEXT) | instid1(VALU_DEP_2)
	v_bfe_i32 v20, v16, 0, 8
	v_mov_b32_e32 v17, v18
	s_delay_alu instid0(VALU_DEP_2) | instskip(NEXT) | instid1(VALU_DEP_2)
	v_cvt_f32_i32_e32 v22, v20
	v_bfe_i32 v18, v17, 0, 8
	s_delay_alu instid0(VALU_DEP_1) | instskip(SKIP_1) | instid1(VALU_DEP_2)
	v_cvt_f32_i32_e32 v19, v18
	v_xor_b32_e32 v18, v20, v18
	v_rcp_iflag_f32_e32 v21, v19
	v_nop
	s_delay_alu instid0(TRANS32_DEP_1) | instskip(NEXT) | instid1(VALU_DEP_1)
	v_dual_ashrrev_i32 v18, 30, v18 :: v_dual_mul_f32 v20, v22, v21
	v_trunc_f32_e32 v20, v20
	s_delay_alu instid0(VALU_DEP_1) | instskip(SKIP_1) | instid1(VALU_DEP_2)
	v_dual_fma_f32 v21, -v20, v19, v22 :: v_dual_bitop2_b32 v18, 1, v18 bitop3:0x54
	v_cvt_i32_f32_e32 v20, v20
	v_cmp_ge_f32_e64 vcc_lo, |v21|, |v19|
	s_delay_alu instid0(VALU_DEP_3) | instskip(NEXT) | instid1(VALU_DEP_1)
	v_cndmask_b32_e32 v18, 0, v18, vcc_lo
	v_add_nc_u32_e32 v18, v20, v18
	s_delay_alu instid0(VALU_DEP_1) | instskip(NEXT) | instid1(VALU_DEP_1)
	v_mul_lo_u32 v18, v18, v17
	v_sub_nc_u32_e32 v16, v16, v18
	s_delay_alu instid0(VALU_DEP_1) | instskip(SKIP_1) | instid1(VALU_DEP_2)
	v_bfe_i32 v18, v16, 0, 8
	v_mov_b32_e32 v16, v17
	v_cmp_eq_u16_e32 vcc_lo, 0, v18
	v_and_b32_e32 v18, 0xffff, v18
	s_or_b32 s10, vcc_lo, s10
	s_delay_alu instid0(SALU_CYCLE_1)
	s_and_not1_b32 exec_lo, exec_lo, s10
	s_cbranch_execnz .LBB50_69
; %bb.70:
	s_or_b32 exec_lo, exec_lo, s10
.LBB50_71:
	s_delay_alu instid0(SALU_CYCLE_1) | instskip(NEXT) | instid1(VALU_DEP_2)
	s_or_b32 exec_lo, exec_lo, s0
	v_and_b32_e32 v18, 0xff, v17
	v_mov_b32_e32 v16, 0
	s_mov_b32 s0, exec_lo
	s_delay_alu instid0(VALU_DEP_2)
	v_cmpx_ne_u16_e32 0, v18
	s_cbranch_execz .LBB50_73
; %bb.72:
	v_bfe_i32 v16, v17, 0, 8
	v_ashrrev_i32_e32 v7, 24, v7
	s_delay_alu instid0(VALU_DEP_2) | instskip(NEXT) | instid1(VALU_DEP_1)
	v_cvt_f32_i32_e32 v17, v16
	v_rcp_iflag_f32_e32 v18, v17
	v_ashrrev_i32_e32 v8, 24, v8
	s_delay_alu instid0(VALU_DEP_1)
	v_cvt_f32_i32_e32 v19, v8
	s_delay_alu instid0(TRANS32_DEP_1) | instid1(VALU_DEP_1)
	v_dual_mul_f32 v18, v19, v18 :: v_dual_bitop2_b32 v8, v8, v16 bitop3:0x14
	s_delay_alu instid0(VALU_DEP_1) | instskip(NEXT) | instid1(VALU_DEP_1)
	v_trunc_f32_e32 v16, v18
	v_dual_ashrrev_i32 v8, 30, v8 :: v_dual_fma_f32 v18, -v16, v17, v19
	s_delay_alu instid0(VALU_DEP_1) | instskip(SKIP_1) | instid1(VALU_DEP_3)
	v_or_b32_e32 v8, 1, v8
	v_cvt_i32_f32_e32 v16, v16
	v_cmp_ge_f32_e64 vcc_lo, |v18|, |v17|
	s_delay_alu instid0(VALU_DEP_3) | instskip(NEXT) | instid1(VALU_DEP_1)
	v_cndmask_b32_e32 v8, 0, v8, vcc_lo
	v_add_nc_u32_e32 v8, v16, v8
	s_delay_alu instid0(VALU_DEP_1) | instskip(NEXT) | instid1(VALU_DEP_1)
	v_bfe_i32 v8, v8, 0, 8
	v_mul_i32_i24_e32 v7, v7, v8
	s_delay_alu instid0(VALU_DEP_1) | instskip(NEXT) | instid1(VALU_DEP_1)
	v_sub_nc_u32_e32 v8, 0, v7
	v_max_i32_e32 v16, v7, v8
.LBB50_73:
	s_or_b32 exec_lo, exec_lo, s0
	s_wait_loadcnt 0x0
	v_bfe_i32 v8, v1, 0, 8
	v_and_b32_e32 v7, 0xff, v2
	s_mov_b32 s10, 0
	s_mov_b32 s0, exec_lo
	s_delay_alu instid0(VALU_DEP_2) | instskip(NEXT) | instid1(VALU_DEP_1)
	v_sub_nc_u16 v17, 0, v8
	v_max_i16 v18, v8, v17
	v_bfe_i32 v17, v2, 0, 8
	v_cmpx_ne_u16_e32 0, v7
	s_cbranch_execz .LBB50_77
; %bb.74:
	s_delay_alu instid0(VALU_DEP_2) | instskip(NEXT) | instid1(VALU_DEP_1)
	v_sub_nc_u16 v7, 0, v17
	v_max_i16 v19, v17, v7
	v_and_b32_e32 v7, 0xff, v18
	s_delay_alu instid0(VALU_DEP_2)
	v_and_b32_e32 v19, 0xffff, v19
.LBB50_75:                              ; =>This Inner Loop Header: Depth=1
	s_delay_alu instid0(VALU_DEP_2) | instskip(NEXT) | instid1(VALU_DEP_2)
	v_bfe_i32 v21, v7, 0, 8
	v_mov_b32_e32 v18, v19
	s_delay_alu instid0(VALU_DEP_2) | instskip(NEXT) | instid1(VALU_DEP_2)
	v_cvt_f32_i32_e32 v23, v21
	v_bfe_i32 v19, v18, 0, 8
	s_delay_alu instid0(VALU_DEP_1) | instskip(SKIP_1) | instid1(VALU_DEP_2)
	v_cvt_f32_i32_e32 v20, v19
	v_xor_b32_e32 v19, v21, v19
	v_rcp_iflag_f32_e32 v22, v20
	v_nop
	s_delay_alu instid0(TRANS32_DEP_1) | instskip(NEXT) | instid1(VALU_DEP_1)
	v_dual_ashrrev_i32 v19, 30, v19 :: v_dual_mul_f32 v21, v23, v22
	v_trunc_f32_e32 v21, v21
	s_delay_alu instid0(VALU_DEP_1) | instskip(SKIP_1) | instid1(VALU_DEP_2)
	v_dual_fma_f32 v22, -v21, v20, v23 :: v_dual_bitop2_b32 v19, 1, v19 bitop3:0x54
	v_cvt_i32_f32_e32 v21, v21
	v_cmp_ge_f32_e64 vcc_lo, |v22|, |v20|
	s_delay_alu instid0(VALU_DEP_3) | instskip(NEXT) | instid1(VALU_DEP_1)
	v_cndmask_b32_e32 v19, 0, v19, vcc_lo
	v_add_nc_u32_e32 v19, v21, v19
	s_delay_alu instid0(VALU_DEP_1) | instskip(NEXT) | instid1(VALU_DEP_1)
	v_mul_lo_u32 v19, v19, v18
	v_sub_nc_u32_e32 v7, v7, v19
	s_delay_alu instid0(VALU_DEP_1) | instskip(SKIP_1) | instid1(VALU_DEP_2)
	v_bfe_i32 v19, v7, 0, 8
	v_mov_b32_e32 v7, v18
	v_cmp_eq_u16_e32 vcc_lo, 0, v19
	v_and_b32_e32 v19, 0xffff, v19
	s_or_b32 s10, vcc_lo, s10
	s_delay_alu instid0(SALU_CYCLE_1)
	s_and_not1_b32 exec_lo, exec_lo, s10
	s_cbranch_execnz .LBB50_75
; %bb.76:
	s_or_b32 exec_lo, exec_lo, s10
.LBB50_77:
	s_delay_alu instid0(SALU_CYCLE_1) | instskip(SKIP_3) | instid1(VALU_DEP_2)
	s_or_b32 exec_lo, exec_lo, s0
	v_and_b32_e32 v19, 0xff, v18
	v_mov_b32_e32 v7, 0
	s_mov_b32 s0, exec_lo
	v_cmpx_ne_u16_e32 0, v19
	s_cbranch_execz .LBB50_79
; %bb.78:
	v_bfe_i32 v7, v18, 0, 8
	v_cvt_f32_i32_e32 v20, v17
	s_delay_alu instid0(VALU_DEP_2) | instskip(SKIP_1) | instid1(VALU_DEP_2)
	v_cvt_f32_i32_e32 v18, v7
	v_xor_b32_e32 v7, v17, v7
	v_rcp_iflag_f32_e32 v19, v18
	v_nop
	s_delay_alu instid0(TRANS32_DEP_1) | instskip(NEXT) | instid1(VALU_DEP_1)
	v_mul_f32_e32 v19, v20, v19
	v_trunc_f32_e32 v17, v19
	s_delay_alu instid0(VALU_DEP_1) | instskip(SKIP_1) | instid1(VALU_DEP_2)
	v_dual_fma_f32 v19, -v17, v18, v20 :: v_dual_ashrrev_i32 v7, 30, v7
	v_cvt_i32_f32_e32 v17, v17
	v_cmp_ge_f32_e64 vcc_lo, |v19|, |v18|
	s_delay_alu instid0(VALU_DEP_3) | instskip(NEXT) | instid1(VALU_DEP_1)
	v_or_b32_e32 v7, 1, v7
	v_cndmask_b32_e32 v7, 0, v7, vcc_lo
	s_delay_alu instid0(VALU_DEP_1) | instskip(NEXT) | instid1(VALU_DEP_1)
	v_add_nc_u32_e32 v7, v17, v7
	v_bfe_i32 v7, v7, 0, 8
	s_delay_alu instid0(VALU_DEP_1) | instskip(NEXT) | instid1(VALU_DEP_1)
	v_mul_i32_i24_e32 v7, v8, v7
	v_sub_nc_u32_e32 v8, 0, v7
	s_delay_alu instid0(VALU_DEP_1)
	v_max_i32_e32 v7, v7, v8
.LBB50_79:
	s_or_b32 exec_lo, exec_lo, s0
	v_lshrrev_b32_e32 v8, 8, v1
	s_mov_b32 s10, 0
	s_mov_b32 s0, exec_lo
	s_delay_alu instid0(VALU_DEP_1) | instskip(SKIP_1) | instid1(VALU_DEP_2)
	v_bfe_i32 v17, v8, 0, 8
	v_lshrrev_b32_e32 v8, 8, v2
	v_sub_nc_u16 v18, 0, v17
	s_delay_alu instid0(VALU_DEP_2) | instskip(NEXT) | instid1(VALU_DEP_2)
	v_and_b32_e32 v8, 0xff, v8
	v_max_i16 v18, v17, v18
	s_delay_alu instid0(VALU_DEP_2)
	v_cmpx_ne_u16_e32 0, v8
	s_cbranch_execz .LBB50_83
; %bb.80:
	v_ashrrev_i16 v8, 8, v2
	s_delay_alu instid0(VALU_DEP_1) | instskip(NEXT) | instid1(VALU_DEP_1)
	v_sub_nc_u16 v19, 0, v8
	v_max_i16 v19, v8, v19
	v_and_b32_e32 v8, 0xff, v18
	s_delay_alu instid0(VALU_DEP_2)
	v_and_b32_e32 v19, 0xffff, v19
.LBB50_81:                              ; =>This Inner Loop Header: Depth=1
	s_delay_alu instid0(VALU_DEP_2) | instskip(NEXT) | instid1(VALU_DEP_2)
	v_bfe_i32 v21, v8, 0, 8
	v_mov_b32_e32 v18, v19
	s_delay_alu instid0(VALU_DEP_2) | instskip(NEXT) | instid1(VALU_DEP_2)
	v_cvt_f32_i32_e32 v23, v21
	v_bfe_i32 v19, v18, 0, 8
	s_delay_alu instid0(VALU_DEP_1) | instskip(SKIP_1) | instid1(VALU_DEP_2)
	v_cvt_f32_i32_e32 v20, v19
	v_xor_b32_e32 v19, v21, v19
	v_rcp_iflag_f32_e32 v22, v20
	v_nop
	s_delay_alu instid0(TRANS32_DEP_1) | instskip(NEXT) | instid1(VALU_DEP_1)
	v_dual_ashrrev_i32 v19, 30, v19 :: v_dual_mul_f32 v21, v23, v22
	v_trunc_f32_e32 v21, v21
	s_delay_alu instid0(VALU_DEP_1) | instskip(SKIP_1) | instid1(VALU_DEP_2)
	v_dual_fma_f32 v22, -v21, v20, v23 :: v_dual_bitop2_b32 v19, 1, v19 bitop3:0x54
	v_cvt_i32_f32_e32 v21, v21
	v_cmp_ge_f32_e64 vcc_lo, |v22|, |v20|
	s_delay_alu instid0(VALU_DEP_3) | instskip(NEXT) | instid1(VALU_DEP_1)
	v_cndmask_b32_e32 v19, 0, v19, vcc_lo
	v_add_nc_u32_e32 v19, v21, v19
	s_delay_alu instid0(VALU_DEP_1) | instskip(NEXT) | instid1(VALU_DEP_1)
	v_mul_lo_u32 v19, v19, v18
	v_sub_nc_u32_e32 v8, v8, v19
	s_delay_alu instid0(VALU_DEP_1) | instskip(SKIP_1) | instid1(VALU_DEP_2)
	v_bfe_i32 v19, v8, 0, 8
	v_mov_b32_e32 v8, v18
	v_cmp_eq_u16_e32 vcc_lo, 0, v19
	v_and_b32_e32 v19, 0xffff, v19
	s_or_b32 s10, vcc_lo, s10
	s_delay_alu instid0(SALU_CYCLE_1)
	s_and_not1_b32 exec_lo, exec_lo, s10
	s_cbranch_execnz .LBB50_81
; %bb.82:
	s_or_b32 exec_lo, exec_lo, s10
.LBB50_83:
	s_delay_alu instid0(SALU_CYCLE_1) | instskip(NEXT) | instid1(VALU_DEP_2)
	s_or_b32 exec_lo, exec_lo, s0
	v_and_b32_e32 v19, 0xff, v18
	v_mov_b32_e32 v8, 0
	s_mov_b32 s0, exec_lo
	s_delay_alu instid0(VALU_DEP_2)
	v_cmpx_ne_u16_e32 0, v19
	s_cbranch_execz .LBB50_85
; %bb.84:
	v_bfe_i32 v8, v18, 0, 8
	v_bfe_i32 v19, v2, 8, 8
	s_delay_alu instid0(VALU_DEP_2) | instskip(NEXT) | instid1(VALU_DEP_2)
	v_cvt_f32_i32_e32 v18, v8
	v_cvt_f32_i32_e32 v21, v19
	v_xor_b32_e32 v8, v19, v8
	s_delay_alu instid0(VALU_DEP_3) | instskip(SKIP_1) | instid1(TRANS32_DEP_1)
	v_rcp_iflag_f32_e32 v20, v18
	v_nop
	v_mul_f32_e32 v20, v21, v20
	s_delay_alu instid0(VALU_DEP_1) | instskip(NEXT) | instid1(VALU_DEP_1)
	v_trunc_f32_e32 v19, v20
	v_dual_fma_f32 v20, -v19, v18, v21 :: v_dual_ashrrev_i32 v8, 30, v8
	v_cvt_i32_f32_e32 v19, v19
	s_delay_alu instid0(VALU_DEP_2) | instskip(NEXT) | instid1(VALU_DEP_3)
	v_cmp_ge_f32_e64 vcc_lo, |v20|, |v18|
	v_or_b32_e32 v8, 1, v8
	s_delay_alu instid0(VALU_DEP_1) | instskip(NEXT) | instid1(VALU_DEP_1)
	v_cndmask_b32_e32 v8, 0, v8, vcc_lo
	v_add_nc_u32_e32 v8, v19, v8
	s_delay_alu instid0(VALU_DEP_1) | instskip(NEXT) | instid1(VALU_DEP_1)
	v_bfe_i32 v8, v8, 0, 8
	v_mul_i32_i24_e32 v8, v17, v8
	s_delay_alu instid0(VALU_DEP_1) | instskip(NEXT) | instid1(VALU_DEP_1)
	v_sub_nc_u32_e32 v17, 0, v8
	v_max_i32_e32 v8, v8, v17
.LBB50_85:
	s_or_b32 exec_lo, exec_lo, s0
	v_lshrrev_b32_e32 v17, 16, v1
	s_mov_b32 s10, 0
	s_mov_b32 s0, exec_lo
	s_delay_alu instid0(VALU_DEP_1) | instskip(SKIP_1) | instid1(VALU_DEP_2)
	v_bfe_i32 v18, v17, 0, 8
	v_lshrrev_b32_e32 v17, 16, v2
	v_sub_nc_u16 v19, 0, v18
	s_delay_alu instid0(VALU_DEP_2) | instskip(NEXT) | instid1(VALU_DEP_2)
	v_and_b32_e32 v20, 0xff, v17
	v_max_i16 v19, v18, v19
	s_delay_alu instid0(VALU_DEP_2)
	v_cmpx_ne_u16_e32 0, v20
	s_cbranch_execz .LBB50_89
; %bb.86:
	v_bfe_i32 v17, v17, 0, 8
	s_delay_alu instid0(VALU_DEP_1) | instskip(NEXT) | instid1(VALU_DEP_1)
	v_sub_nc_u16 v20, 0, v17
	v_max_i16 v20, v17, v20
	v_and_b32_e32 v17, 0xff, v19
	s_delay_alu instid0(VALU_DEP_2)
	v_and_b32_e32 v20, 0xffff, v20
.LBB50_87:                              ; =>This Inner Loop Header: Depth=1
	s_delay_alu instid0(VALU_DEP_2) | instskip(NEXT) | instid1(VALU_DEP_2)
	v_bfe_i32 v22, v17, 0, 8
	v_mov_b32_e32 v19, v20
	s_delay_alu instid0(VALU_DEP_2) | instskip(NEXT) | instid1(VALU_DEP_2)
	v_cvt_f32_i32_e32 v24, v22
	v_bfe_i32 v20, v19, 0, 8
	s_delay_alu instid0(VALU_DEP_1) | instskip(SKIP_1) | instid1(VALU_DEP_2)
	v_cvt_f32_i32_e32 v21, v20
	v_xor_b32_e32 v20, v22, v20
	v_rcp_iflag_f32_e32 v23, v21
	v_nop
	s_delay_alu instid0(TRANS32_DEP_1) | instskip(NEXT) | instid1(VALU_DEP_1)
	v_dual_ashrrev_i32 v20, 30, v20 :: v_dual_mul_f32 v22, v24, v23
	v_trunc_f32_e32 v22, v22
	s_delay_alu instid0(VALU_DEP_1) | instskip(SKIP_1) | instid1(VALU_DEP_2)
	v_dual_fma_f32 v23, -v22, v21, v24 :: v_dual_bitop2_b32 v20, 1, v20 bitop3:0x54
	v_cvt_i32_f32_e32 v22, v22
	v_cmp_ge_f32_e64 vcc_lo, |v23|, |v21|
	s_delay_alu instid0(VALU_DEP_3) | instskip(NEXT) | instid1(VALU_DEP_1)
	v_cndmask_b32_e32 v20, 0, v20, vcc_lo
	v_add_nc_u32_e32 v20, v22, v20
	s_delay_alu instid0(VALU_DEP_1) | instskip(NEXT) | instid1(VALU_DEP_1)
	v_mul_lo_u32 v20, v20, v19
	v_sub_nc_u32_e32 v17, v17, v20
	s_delay_alu instid0(VALU_DEP_1) | instskip(SKIP_1) | instid1(VALU_DEP_2)
	v_bfe_i32 v20, v17, 0, 8
	v_mov_b32_e32 v17, v19
	v_cmp_eq_u16_e32 vcc_lo, 0, v20
	v_and_b32_e32 v20, 0xffff, v20
	s_or_b32 s10, vcc_lo, s10
	s_delay_alu instid0(SALU_CYCLE_1)
	s_and_not1_b32 exec_lo, exec_lo, s10
	s_cbranch_execnz .LBB50_87
; %bb.88:
	s_or_b32 exec_lo, exec_lo, s10
.LBB50_89:
	s_delay_alu instid0(SALU_CYCLE_1) | instskip(NEXT) | instid1(VALU_DEP_2)
	s_or_b32 exec_lo, exec_lo, s0
	v_and_b32_e32 v20, 0xff, v19
	v_mov_b32_e32 v17, 0
	s_mov_b32 s0, exec_lo
	s_delay_alu instid0(VALU_DEP_2)
	v_cmpx_ne_u16_e32 0, v20
	s_cbranch_execz .LBB50_91
; %bb.90:
	v_bfe_i32 v17, v19, 0, 8
	v_bfe_i32 v20, v2, 16, 8
	s_delay_alu instid0(VALU_DEP_2) | instskip(NEXT) | instid1(VALU_DEP_2)
	v_cvt_f32_i32_e32 v19, v17
	v_cvt_f32_i32_e32 v22, v20
	v_xor_b32_e32 v17, v20, v17
	s_delay_alu instid0(VALU_DEP_3) | instskip(SKIP_1) | instid1(TRANS32_DEP_1)
	v_rcp_iflag_f32_e32 v21, v19
	v_nop
	v_mul_f32_e32 v21, v22, v21
	s_delay_alu instid0(VALU_DEP_1) | instskip(NEXT) | instid1(VALU_DEP_1)
	v_trunc_f32_e32 v20, v21
	v_dual_fma_f32 v21, -v20, v19, v22 :: v_dual_ashrrev_i32 v17, 30, v17
	v_cvt_i32_f32_e32 v20, v20
	s_delay_alu instid0(VALU_DEP_2) | instskip(NEXT) | instid1(VALU_DEP_3)
	v_cmp_ge_f32_e64 vcc_lo, |v21|, |v19|
	v_or_b32_e32 v17, 1, v17
	s_delay_alu instid0(VALU_DEP_1) | instskip(NEXT) | instid1(VALU_DEP_1)
	v_cndmask_b32_e32 v17, 0, v17, vcc_lo
	v_add_nc_u32_e32 v17, v20, v17
	s_delay_alu instid0(VALU_DEP_1) | instskip(NEXT) | instid1(VALU_DEP_1)
	v_bfe_i32 v17, v17, 0, 8
	v_mul_i32_i24_e32 v17, v18, v17
	s_delay_alu instid0(VALU_DEP_1) | instskip(NEXT) | instid1(VALU_DEP_1)
	v_sub_nc_u32_e32 v18, 0, v17
	v_max_i32_e32 v17, v17, v18
.LBB50_91:
	s_or_b32 exec_lo, exec_lo, s0
	v_lshrrev_b32_e32 v18, 24, v1
	s_mov_b32 s10, 0
	s_mov_b32 s0, exec_lo
	s_delay_alu instid0(VALU_DEP_1) | instskip(NEXT) | instid1(VALU_DEP_1)
	v_bfe_i32 v18, v18, 0, 8
	v_sub_nc_u16 v19, 0, v18
	s_delay_alu instid0(VALU_DEP_1)
	v_max_i16 v18, v18, v19
	v_cmpx_lt_u32_e32 0xffffff, v2
	s_cbranch_execz .LBB50_95
; %bb.92:
	v_lshrrev_b32_e32 v19, 24, v2
	s_delay_alu instid0(VALU_DEP_1) | instskip(NEXT) | instid1(VALU_DEP_1)
	v_bfe_i32 v19, v19, 0, 8
	v_sub_nc_u16 v20, 0, v19
	s_delay_alu instid0(VALU_DEP_1) | instskip(SKIP_1) | instid1(VALU_DEP_2)
	v_max_i16 v20, v19, v20
	v_and_b32_e32 v19, 0xff, v18
	v_and_b32_e32 v20, 0xffff, v20
.LBB50_93:                              ; =>This Inner Loop Header: Depth=1
	s_delay_alu instid0(VALU_DEP_2) | instskip(NEXT) | instid1(VALU_DEP_2)
	v_bfe_i32 v22, v19, 0, 8
	v_mov_b32_e32 v18, v20
	s_delay_alu instid0(VALU_DEP_2) | instskip(NEXT) | instid1(VALU_DEP_2)
	v_cvt_f32_i32_e32 v24, v22
	v_bfe_i32 v20, v18, 0, 8
	s_delay_alu instid0(VALU_DEP_1) | instskip(SKIP_1) | instid1(VALU_DEP_2)
	v_cvt_f32_i32_e32 v21, v20
	v_xor_b32_e32 v20, v22, v20
	v_rcp_iflag_f32_e32 v23, v21
	v_nop
	s_delay_alu instid0(TRANS32_DEP_1) | instskip(NEXT) | instid1(VALU_DEP_1)
	v_dual_ashrrev_i32 v20, 30, v20 :: v_dual_mul_f32 v22, v24, v23
	v_trunc_f32_e32 v22, v22
	s_delay_alu instid0(VALU_DEP_1) | instskip(SKIP_1) | instid1(VALU_DEP_2)
	v_dual_fma_f32 v23, -v22, v21, v24 :: v_dual_bitop2_b32 v20, 1, v20 bitop3:0x54
	v_cvt_i32_f32_e32 v22, v22
	v_cmp_ge_f32_e64 vcc_lo, |v23|, |v21|
	s_delay_alu instid0(VALU_DEP_3) | instskip(NEXT) | instid1(VALU_DEP_1)
	v_cndmask_b32_e32 v20, 0, v20, vcc_lo
	v_add_nc_u32_e32 v20, v22, v20
	s_delay_alu instid0(VALU_DEP_1) | instskip(NEXT) | instid1(VALU_DEP_1)
	v_mul_lo_u32 v20, v20, v18
	v_sub_nc_u32_e32 v19, v19, v20
	s_delay_alu instid0(VALU_DEP_1) | instskip(SKIP_1) | instid1(VALU_DEP_2)
	v_bfe_i32 v20, v19, 0, 8
	v_mov_b32_e32 v19, v18
	v_cmp_eq_u16_e32 vcc_lo, 0, v20
	v_and_b32_e32 v20, 0xffff, v20
	s_or_b32 s10, vcc_lo, s10
	s_delay_alu instid0(SALU_CYCLE_1)
	s_and_not1_b32 exec_lo, exec_lo, s10
	s_cbranch_execnz .LBB50_93
; %bb.94:
	s_or_b32 exec_lo, exec_lo, s10
.LBB50_95:
	s_delay_alu instid0(SALU_CYCLE_1) | instskip(NEXT) | instid1(VALU_DEP_2)
	s_or_b32 exec_lo, exec_lo, s0
	v_and_b32_e32 v20, 0xff, v18
	v_mov_b32_e32 v19, 0
	s_mov_b32 s0, exec_lo
	s_delay_alu instid0(VALU_DEP_2)
	v_cmpx_ne_u16_e32 0, v20
	s_cbranch_execz .LBB50_97
; %bb.96:
	v_bfe_i32 v18, v18, 0, 8
	v_ashrrev_i32_e32 v1, 24, v1
	s_delay_alu instid0(VALU_DEP_2) | instskip(NEXT) | instid1(VALU_DEP_1)
	v_cvt_f32_i32_e32 v19, v18
	v_rcp_iflag_f32_e32 v20, v19
	v_ashrrev_i32_e32 v2, 24, v2
	s_delay_alu instid0(VALU_DEP_1)
	v_cvt_f32_i32_e32 v21, v2
	s_delay_alu instid0(TRANS32_DEP_1) | instid1(VALU_DEP_1)
	v_dual_mul_f32 v20, v21, v20 :: v_dual_bitop2_b32 v2, v2, v18 bitop3:0x14
	s_delay_alu instid0(VALU_DEP_1) | instskip(NEXT) | instid1(VALU_DEP_1)
	v_trunc_f32_e32 v18, v20
	v_dual_ashrrev_i32 v2, 30, v2 :: v_dual_fma_f32 v20, -v18, v19, v21
	s_delay_alu instid0(VALU_DEP_1) | instskip(SKIP_1) | instid1(VALU_DEP_3)
	v_or_b32_e32 v2, 1, v2
	v_cvt_i32_f32_e32 v18, v18
	v_cmp_ge_f32_e64 vcc_lo, |v20|, |v19|
	s_delay_alu instid0(VALU_DEP_3) | instskip(NEXT) | instid1(VALU_DEP_1)
	v_cndmask_b32_e32 v2, 0, v2, vcc_lo
	v_add_nc_u32_e32 v2, v18, v2
	s_delay_alu instid0(VALU_DEP_1) | instskip(NEXT) | instid1(VALU_DEP_1)
	v_bfe_i32 v2, v2, 0, 8
	v_mul_i32_i24_e32 v1, v1, v2
	s_delay_alu instid0(VALU_DEP_1) | instskip(NEXT) | instid1(VALU_DEP_1)
	v_sub_nc_u32_e32 v2, 0, v1
	v_max_i32_e32 v19, v1, v2
.LBB50_97:
	s_or_b32 exec_lo, exec_lo, s0
	v_perm_b32 v1, v7, v8, 0xc0c0004
	s_delay_alu instid0(VALU_DEP_2)
	v_perm_b32 v2, v17, v19, 0xc0c0004
	v_perm_b32 v3, v3, v4, 0xc0c0004
	;; [unrolled: 1-line block ×7, first 2 shown]
	v_lshl_or_b32 v1, v2, 16, v1
	v_lshl_or_b32 v2, v4, 16, v3
	;; [unrolled: 1-line block ×3, first 2 shown]
	s_add_nc_u64 s[10:11], s[4:5], s[2:3]
	v_lshl_or_b32 v4, v6, 16, v7
	s_mov_b32 s0, 0
	s_clause 0x3
	global_store_b32 v0, v2, s[10:11] scale_offset
	global_store_b32 v0, v3, s[10:11] offset:1024 scale_offset
	global_store_b32 v0, v4, s[10:11] offset:2048 scale_offset
	;; [unrolled: 1-line block ×3, first 2 shown]
.LBB50_98:
	s_and_b32 vcc_lo, exec_lo, s0
	s_cbranch_vccz .LBB50_269
; %bb.99:
	v_cmp_gt_i32_e32 vcc_lo, s1, v0
	s_wait_xcnt 0x3
	v_dual_mov_b32 v2, 0 :: v_dual_bitop2_b32 v10, s2, v0 bitop3:0x54
	v_or_b32_e32 v11, 0x100, v0
	v_dual_mov_b32 v13, 0 :: v_dual_mov_b32 v12, 0
	v_dual_mov_b32 v15, 0 :: v_dual_mov_b32 v14, 0
	;; [unrolled: 1-line block ×16, first 2 shown]
	s_wait_xcnt 0x0
	s_and_saveexec_b32 s3, vcc_lo
	s_cbranch_execz .LBB50_131
; %bb.100:
	s_clause 0x1
	global_load_u8 v40, v10, s[6:7]
	global_load_u8 v41, v10, s[8:9]
	v_or_b32_e32 v1, 0x100, v0
	v_dual_mov_b32 v39, 0 :: v_dual_mov_b32 v38, 0
	v_dual_mov_b32 v5, 0 :: v_dual_mov_b32 v37, 0
	s_delay_alu instid0(VALU_DEP_3)
	v_cmp_gt_u32_e64 s0, s1, v1
	v_dual_mov_b32 v6, 0 :: v_dual_mov_b32 v36, 0
	v_dual_mov_b32 v35, 0 :: v_dual_mov_b32 v34, 0
	;; [unrolled: 1-line block ×13, first 2 shown]
	s_wait_xcnt 0x0
	s_and_saveexec_b32 s10, s0
	s_cbranch_execz .LBB50_130
; %bb.101:
	v_dual_mov_b32 v5, 0 :: v_dual_add_nc_u32 v4, s2, v0
	v_or_b32_e32 v1, 0x200, v0
	v_dual_mov_b32 v37, 0 :: v_dual_mov_b32 v6, 0
	s_clause 0x1
	global_load_u8 v38, v4, s[6:7] offset:256
	global_load_u8 v39, v4, s[8:9] offset:256
	v_dual_mov_b32 v36, 0 :: v_dual_mov_b32 v35, 0
	v_cmp_gt_u32_e64 s0, s1, v1
	v_dual_mov_b32 v34, 0 :: v_dual_mov_b32 v33, 0
	v_dual_mov_b32 v32, 0 :: v_dual_mov_b32 v31, 0
	;; [unrolled: 1-line block ×11, first 2 shown]
	v_mov_b32_e32 v13, 0
	s_wait_xcnt 0x0
	s_and_saveexec_b32 s11, s0
	s_cbranch_execz .LBB50_129
; %bb.102:
	v_add_nc_u64_e32 v[6:7], s[6:7], v[4:5]
	v_add_nc_u64_e32 v[8:9], s[8:9], v[4:5]
	v_or_b32_e32 v3, 0x300, v0
	v_dual_mov_b32 v36, 0 :: v_dual_mov_b32 v35, 0
	v_dual_mov_b32 v34, 0 :: v_dual_mov_b32 v33, 0
	global_load_u8 v37, v[6:7], off offset:512
	global_load_u8 v1, v[8:9], off offset:512
	v_cmp_gt_u32_e64 s0, s1, v3
	v_dual_mov_b32 v32, 0 :: v_dual_mov_b32 v31, 0
	v_dual_mov_b32 v30, 0 :: v_dual_mov_b32 v29, 0
	v_dual_mov_b32 v28, 0 :: v_dual_mov_b32 v27, 0
	v_dual_mov_b32 v26, 0 :: v_dual_mov_b32 v24, 0
	v_dual_mov_b32 v25, 0 :: v_dual_mov_b32 v22, 0
	v_dual_mov_b32 v23, 0 :: v_dual_mov_b32 v20, 0
	v_dual_mov_b32 v21, 0 :: v_dual_mov_b32 v18, 0
	v_dual_mov_b32 v19, 0 :: v_dual_mov_b32 v16, 0
	v_dual_mov_b32 v17, 0 :: v_dual_mov_b32 v14, 0
	v_dual_mov_b32 v15, 0 :: v_dual_mov_b32 v12, 0
	v_mov_b32_e32 v13, 0
	s_wait_xcnt 0x0
	s_and_saveexec_b32 s6, s0
	s_cbranch_execz .LBB50_128
; %bb.103:
	global_load_u8 v36, v[6:7], off offset:768
	global_load_u8 v5, v[8:9], off offset:768
	v_or_b32_e32 v3, 0x400, v0
	v_dual_mov_b32 v35, 0 :: v_dual_mov_b32 v34, 0
	v_dual_mov_b32 v33, 0 :: v_dual_mov_b32 v32, 0
	s_delay_alu instid0(VALU_DEP_3)
	v_cmp_gt_u32_e64 s0, s1, v3
	v_dual_mov_b32 v31, 0 :: v_dual_mov_b32 v30, 0
	v_dual_mov_b32 v29, 0 :: v_dual_mov_b32 v28, 0
	;; [unrolled: 1-line block ×10, first 2 shown]
	s_wait_xcnt 0x0
	s_and_saveexec_b32 s7, s0
	s_cbranch_execz .LBB50_127
; %bb.104:
	global_load_u8 v34, v[6:7], off offset:1024
	global_load_u8 v35, v[8:9], off offset:1024
	v_or_b32_e32 v3, 0x500, v0
	v_dual_mov_b32 v33, 0 :: v_dual_mov_b32 v32, 0
	v_dual_mov_b32 v31, 0 :: v_dual_mov_b32 v30, 0
	s_delay_alu instid0(VALU_DEP_3)
	v_cmp_gt_u32_e64 s0, s1, v3
	v_dual_mov_b32 v29, 0 :: v_dual_mov_b32 v28, 0
	v_dual_mov_b32 v27, 0 :: v_dual_mov_b32 v26, 0
	;; [unrolled: 1-line block ×9, first 2 shown]
	s_wait_xcnt 0x0
	s_and_saveexec_b32 s8, s0
	s_cbranch_execz .LBB50_126
; %bb.105:
	global_load_u8 v32, v[6:7], off offset:1280
	global_load_u8 v33, v[8:9], off offset:1280
	v_or_b32_e32 v3, 0x600, v0
	v_dual_mov_b32 v31, 0 :: v_dual_mov_b32 v30, 0
	v_dual_mov_b32 v29, 0 :: v_dual_mov_b32 v28, 0
	s_delay_alu instid0(VALU_DEP_3)
	v_cmp_gt_u32_e64 s0, s1, v3
	v_dual_mov_b32 v27, 0 :: v_dual_mov_b32 v26, 0
	v_dual_mov_b32 v24, 0 :: v_dual_mov_b32 v25, 0
	;; [unrolled: 1-line block ×8, first 2 shown]
	s_wait_xcnt 0x0
	s_and_saveexec_b32 s9, s0
	s_cbranch_execz .LBB50_125
; %bb.106:
	global_load_u8 v30, v[6:7], off offset:1536
	global_load_u8 v31, v[8:9], off offset:1536
	v_or_b32_e32 v3, 0x700, v0
	v_dual_mov_b32 v29, 0 :: v_dual_mov_b32 v28, 0
	v_dual_mov_b32 v27, 0 :: v_dual_mov_b32 v26, 0
	;; [unrolled: 1-line block ×9, first 2 shown]
	s_mov_b32 s12, exec_lo
	s_wait_xcnt 0x0
	v_cmpx_gt_u32_e64 s1, v3
	s_cbranch_execz .LBB50_124
; %bb.107:
	global_load_u8 v28, v[6:7], off offset:1792
	global_load_u8 v29, v[8:9], off offset:1792
	v_or_b32_e32 v3, 0x800, v0
	v_dual_mov_b32 v27, 0 :: v_dual_mov_b32 v26, 0
	v_dual_mov_b32 v24, 0 :: v_dual_mov_b32 v25, 0
	;; [unrolled: 1-line block ×8, first 2 shown]
	s_mov_b32 s13, exec_lo
	s_wait_xcnt 0x0
	v_cmpx_gt_u32_e64 s1, v3
	s_cbranch_execz .LBB50_123
; %bb.108:
	global_load_u8 v26, v[6:7], off offset:2048
	global_load_u8 v27, v[8:9], off offset:2048
	v_or_b32_e32 v3, 0x900, v0
	v_dual_mov_b32 v24, 0 :: v_dual_mov_b32 v25, 0
	v_dual_mov_b32 v22, 0 :: v_dual_mov_b32 v23, 0
	;; [unrolled: 1-line block ×7, first 2 shown]
	s_mov_b32 s14, exec_lo
	s_wait_xcnt 0x0
	v_cmpx_gt_u32_e64 s1, v3
	s_cbranch_execz .LBB50_122
; %bb.109:
	global_load_u8 v25, v[6:7], off offset:2304
	global_load_u8 v24, v[8:9], off offset:2304
	v_or_b32_e32 v3, 0xa00, v0
	v_dual_mov_b32 v22, 0 :: v_dual_mov_b32 v23, 0
	v_dual_mov_b32 v20, 0 :: v_dual_mov_b32 v21, 0
	;; [unrolled: 1-line block ×6, first 2 shown]
	s_mov_b32 s15, exec_lo
	s_wait_xcnt 0x0
	v_cmpx_gt_u32_e64 s1, v3
	s_cbranch_execz .LBB50_121
; %bb.110:
	global_load_u8 v23, v[6:7], off offset:2560
	global_load_u8 v22, v[8:9], off offset:2560
	v_or_b32_e32 v3, 0xb00, v0
	v_dual_mov_b32 v20, 0 :: v_dual_mov_b32 v21, 0
	v_dual_mov_b32 v18, 0 :: v_dual_mov_b32 v19, 0
	;; [unrolled: 1-line block ×5, first 2 shown]
	s_mov_b32 s16, exec_lo
	s_wait_xcnt 0x0
	v_cmpx_gt_u32_e64 s1, v3
	s_cbranch_execz .LBB50_120
; %bb.111:
	global_load_u8 v21, v[6:7], off offset:2816
	global_load_u8 v20, v[8:9], off offset:2816
	v_or_b32_e32 v3, 0xc00, v0
	v_dual_mov_b32 v18, 0 :: v_dual_mov_b32 v19, 0
	v_dual_mov_b32 v16, 0 :: v_dual_mov_b32 v17, 0
	v_dual_mov_b32 v14, 0 :: v_dual_mov_b32 v15, 0
	v_dual_mov_b32 v12, 0 :: v_dual_mov_b32 v13, 0
	s_mov_b32 s17, exec_lo
	s_wait_xcnt 0x0
	v_cmpx_gt_u32_e64 s1, v3
	s_cbranch_execz .LBB50_119
; %bb.112:
	global_load_u8 v19, v[6:7], off offset:3072
	global_load_u8 v18, v[8:9], off offset:3072
	v_or_b32_e32 v3, 0xd00, v0
	v_dual_mov_b32 v16, 0 :: v_dual_mov_b32 v17, 0
	v_dual_mov_b32 v14, 0 :: v_dual_mov_b32 v15, 0
	;; [unrolled: 1-line block ×3, first 2 shown]
	s_mov_b32 s18, exec_lo
	s_wait_xcnt 0x0
	v_cmpx_gt_u32_e64 s1, v3
	s_cbranch_execz .LBB50_118
; %bb.113:
	global_load_u8 v17, v[6:7], off offset:3328
	global_load_u8 v16, v[8:9], off offset:3328
	v_or_b32_e32 v3, 0xe00, v0
	v_dual_mov_b32 v14, 0 :: v_dual_mov_b32 v15, 0
	v_dual_mov_b32 v12, 0 :: v_dual_mov_b32 v13, 0
	s_mov_b32 s19, exec_lo
	s_wait_xcnt 0x0
	v_cmpx_gt_u32_e64 s1, v3
	s_cbranch_execz .LBB50_117
; %bb.114:
	global_load_u8 v15, v[6:7], off offset:3584
	global_load_u8 v14, v[8:9], off offset:3584
	v_or_b32_e32 v3, 0xf00, v0
	v_dual_mov_b32 v12, 0 :: v_dual_mov_b32 v13, 0
	s_mov_b32 s20, exec_lo
	s_wait_xcnt 0x0
	s_delay_alu instid0(VALU_DEP_2)
	v_cmpx_gt_u32_e64 s1, v3
	s_cbranch_execz .LBB50_116
; %bb.115:
	global_load_u8 v13, v[6:7], off offset:3840
	global_load_u8 v12, v[8:9], off offset:3840
.LBB50_116:
	s_wait_xcnt 0x0
	s_or_b32 exec_lo, exec_lo, s20
.LBB50_117:
	s_delay_alu instid0(SALU_CYCLE_1)
	s_or_b32 exec_lo, exec_lo, s19
.LBB50_118:
	s_delay_alu instid0(SALU_CYCLE_1)
	s_or_b32 exec_lo, exec_lo, s18
.LBB50_119:
	s_delay_alu instid0(SALU_CYCLE_1)
	s_or_b32 exec_lo, exec_lo, s17
.LBB50_120:
	s_delay_alu instid0(SALU_CYCLE_1)
	s_or_b32 exec_lo, exec_lo, s16
.LBB50_121:
	s_delay_alu instid0(SALU_CYCLE_1)
	s_or_b32 exec_lo, exec_lo, s15
.LBB50_122:
	s_delay_alu instid0(SALU_CYCLE_1)
	s_or_b32 exec_lo, exec_lo, s14
.LBB50_123:
	s_delay_alu instid0(SALU_CYCLE_1)
	s_or_b32 exec_lo, exec_lo, s13
.LBB50_124:
	s_delay_alu instid0(SALU_CYCLE_1)
	s_or_b32 exec_lo, exec_lo, s12
.LBB50_125:
	s_delay_alu instid0(SALU_CYCLE_1)
	s_or_b32 exec_lo, exec_lo, s9
.LBB50_126:
	s_delay_alu instid0(SALU_CYCLE_1)
	s_or_b32 exec_lo, exec_lo, s8
.LBB50_127:
	s_delay_alu instid0(SALU_CYCLE_1)
	s_or_b32 exec_lo, exec_lo, s7
.LBB50_128:
	s_delay_alu instid0(SALU_CYCLE_1)
	s_or_b32 exec_lo, exec_lo, s6
	s_wait_loadcnt 0x0
	v_dual_mov_b32 v6, v5 :: v_dual_mov_b32 v5, v1
.LBB50_129:
	s_or_b32 exec_lo, exec_lo, s11
.LBB50_130:
	s_delay_alu instid0(SALU_CYCLE_1)
	s_or_b32 exec_lo, exec_lo, s10
.LBB50_131:
	s_delay_alu instid0(SALU_CYCLE_1)
	s_or_b32 exec_lo, exec_lo, s3
	v_dual_mov_b32 v1, v2 :: v_dual_mov_b32 v4, v2
	v_mov_b32_e32 v3, v2
	s_and_saveexec_b32 s3, vcc_lo
	s_cbranch_execz .LBB50_139
; %bb.132:
	s_wait_loadcnt 0x0
	v_bfe_i32 v2, v41, 0, 8
	v_and_b32_e32 v1, 0xff, v40
	s_mov_b32 s6, exec_lo
	s_delay_alu instid0(VALU_DEP_2) | instskip(NEXT) | instid1(VALU_DEP_1)
	v_sub_nc_u16 v3, 0, v2
	v_max_i16 v4, v2, v3
	v_bfe_i32 v3, v40, 0, 8
	v_cmpx_ne_u16_e32 0, v1
	s_cbranch_execz .LBB50_136
; %bb.133:
	s_delay_alu instid0(VALU_DEP_2) | instskip(SKIP_1) | instid1(VALU_DEP_1)
	v_sub_nc_u16 v1, 0, v3
	s_mov_b32 s7, 0
	v_max_i16 v7, v3, v1
	v_and_b32_e32 v1, 0xff, v4
	s_delay_alu instid0(VALU_DEP_2)
	v_and_b32_e32 v7, 0xffff, v7
.LBB50_134:                             ; =>This Inner Loop Header: Depth=1
	s_delay_alu instid0(VALU_DEP_2) | instskip(NEXT) | instid1(VALU_DEP_2)
	v_bfe_i32 v9, v1, 0, 8
	v_mov_b32_e32 v4, v7
	s_delay_alu instid0(VALU_DEP_2) | instskip(NEXT) | instid1(VALU_DEP_2)
	v_cvt_f32_i32_e32 v41, v9
	v_bfe_i32 v7, v4, 0, 8
	s_delay_alu instid0(VALU_DEP_1) | instskip(SKIP_1) | instid1(VALU_DEP_2)
	v_cvt_f32_i32_e32 v8, v7
	v_xor_b32_e32 v7, v9, v7
	v_rcp_iflag_f32_e32 v40, v8
	v_nop
	s_delay_alu instid0(TRANS32_DEP_1) | instskip(NEXT) | instid1(VALU_DEP_1)
	v_dual_ashrrev_i32 v7, 30, v7 :: v_dual_mul_f32 v9, v41, v40
	v_trunc_f32_e32 v9, v9
	s_delay_alu instid0(VALU_DEP_1) | instskip(SKIP_1) | instid1(VALU_DEP_2)
	v_dual_fma_f32 v40, -v9, v8, v41 :: v_dual_bitop2_b32 v7, 1, v7 bitop3:0x54
	v_cvt_i32_f32_e32 v9, v9
	v_cmp_ge_f32_e64 s0, |v40|, |v8|
	s_delay_alu instid0(VALU_DEP_1) | instskip(NEXT) | instid1(VALU_DEP_1)
	v_cndmask_b32_e64 v7, 0, v7, s0
	v_add_nc_u32_e32 v7, v9, v7
	s_delay_alu instid0(VALU_DEP_1) | instskip(NEXT) | instid1(VALU_DEP_1)
	v_mul_lo_u32 v7, v7, v4
	v_sub_nc_u32_e32 v1, v1, v7
	s_delay_alu instid0(VALU_DEP_1) | instskip(SKIP_1) | instid1(VALU_DEP_2)
	v_bfe_i32 v7, v1, 0, 8
	v_mov_b32_e32 v1, v4
	v_cmp_eq_u16_e64 s0, 0, v7
	v_and_b32_e32 v7, 0xffff, v7
	s_or_b32 s7, s0, s7
	s_delay_alu instid0(SALU_CYCLE_1)
	s_and_not1_b32 exec_lo, exec_lo, s7
	s_cbranch_execnz .LBB50_134
; %bb.135:
	s_or_b32 exec_lo, exec_lo, s7
.LBB50_136:
	s_delay_alu instid0(SALU_CYCLE_1) | instskip(SKIP_2) | instid1(VALU_DEP_2)
	s_or_b32 exec_lo, exec_lo, s6
	v_and_b32_e32 v7, 0xff, v4
	v_mov_b32_e32 v1, 0
	v_cmp_ne_u16_e64 s0, 0, v7
	v_mov_b32_e32 v7, 0
	s_and_saveexec_b32 s6, s0
	s_cbranch_execz .LBB50_138
; %bb.137:
	v_bfe_i32 v4, v4, 0, 8
	v_cvt_f32_i32_e32 v9, v3
	s_delay_alu instid0(VALU_DEP_2) | instskip(SKIP_1) | instid1(VALU_DEP_2)
	v_cvt_f32_i32_e32 v7, v4
	v_xor_b32_e32 v3, v3, v4
	v_rcp_iflag_f32_e32 v8, v7
	s_delay_alu instid0(VALU_DEP_1)
	v_ashrrev_i32_e32 v3, 30, v3
	s_delay_alu instid0(TRANS32_DEP_1) | instid1(VALU_DEP_1)
	v_dual_mul_f32 v8, v9, v8 :: v_dual_bitop2_b32 v3, 1, v3 bitop3:0x54
	s_delay_alu instid0(VALU_DEP_1) | instskip(NEXT) | instid1(VALU_DEP_1)
	v_trunc_f32_e32 v4, v8
	v_fma_f32 v8, -v4, v7, v9
	v_cvt_i32_f32_e32 v4, v4
	s_delay_alu instid0(VALU_DEP_2) | instskip(NEXT) | instid1(VALU_DEP_1)
	v_cmp_ge_f32_e64 s0, |v8|, |v7|
	v_cndmask_b32_e64 v3, 0, v3, s0
	s_delay_alu instid0(VALU_DEP_1) | instskip(NEXT) | instid1(VALU_DEP_1)
	v_add_nc_u32_e32 v3, v4, v3
	v_bfe_i32 v3, v3, 0, 8
	s_delay_alu instid0(VALU_DEP_1) | instskip(NEXT) | instid1(VALU_DEP_1)
	v_mul_i32_i24_e32 v2, v3, v2
	v_sub_nc_u32_e32 v3, 0, v2
	s_delay_alu instid0(VALU_DEP_1)
	v_max_i32_e32 v7, v2, v3
.LBB50_138:
	s_or_b32 exec_lo, exec_lo, s6
	s_delay_alu instid0(VALU_DEP_1) | instskip(SKIP_1) | instid1(VALU_DEP_2)
	v_and_b32_e32 v2, 0xff, v7
	v_dual_mov_b32 v4, v1 :: v_dual_mov_b32 v3, v1
	v_and_b32_e32 v2, 0xffff, v2
.LBB50_139:
	s_or_b32 exec_lo, exec_lo, s3
	s_delay_alu instid0(SALU_CYCLE_1)
	s_mov_b32 s3, exec_lo
	v_cmpx_gt_i32_e64 s1, v11
	s_cbranch_execz .LBB50_147
; %bb.140:
	s_wait_loadcnt 0x0
	v_bfe_i32 v7, v39, 0, 8
	v_and_b32_e32 v8, 0xff, v38
	s_mov_b32 s7, 0
	s_delay_alu instid0(VALU_DEP_2) | instskip(NEXT) | instid1(VALU_DEP_2)
	v_sub_nc_u16 v9, 0, v7
	v_cmp_ne_u16_e64 s0, 0, v8
	v_bfe_i32 v8, v38, 0, 8
	s_delay_alu instid0(VALU_DEP_3)
	v_max_i16 v9, v7, v9
	s_and_saveexec_b32 s6, s0
	s_cbranch_execz .LBB50_144
; %bb.141:
	s_delay_alu instid0(VALU_DEP_2) | instskip(NEXT) | instid1(VALU_DEP_1)
	v_sub_nc_u16 v38, 0, v8
	v_max_i16 v39, v8, v38
	v_and_b32_e32 v38, 0xff, v9
	s_delay_alu instid0(VALU_DEP_2)
	v_and_b32_e32 v39, 0xffff, v39
.LBB50_142:                             ; =>This Inner Loop Header: Depth=1
	s_delay_alu instid0(VALU_DEP_2) | instskip(NEXT) | instid1(VALU_DEP_2)
	v_bfe_i32 v41, v38, 0, 8
	v_mov_b32_e32 v9, v39
	s_delay_alu instid0(VALU_DEP_2) | instskip(NEXT) | instid1(VALU_DEP_2)
	v_cvt_f32_i32_e32 v43, v41
	v_bfe_i32 v39, v9, 0, 8
	s_delay_alu instid0(VALU_DEP_1) | instskip(SKIP_1) | instid1(VALU_DEP_2)
	v_cvt_f32_i32_e32 v40, v39
	v_xor_b32_e32 v39, v41, v39
	v_rcp_iflag_f32_e32 v42, v40
	v_nop
	s_delay_alu instid0(TRANS32_DEP_1) | instskip(NEXT) | instid1(VALU_DEP_1)
	v_dual_ashrrev_i32 v39, 30, v39 :: v_dual_mul_f32 v41, v43, v42
	v_trunc_f32_e32 v41, v41
	s_delay_alu instid0(VALU_DEP_1) | instskip(SKIP_1) | instid1(VALU_DEP_2)
	v_dual_fma_f32 v42, -v41, v40, v43 :: v_dual_bitop2_b32 v39, 1, v39 bitop3:0x54
	v_cvt_i32_f32_e32 v41, v41
	v_cmp_ge_f32_e64 s0, |v42|, |v40|
	s_delay_alu instid0(VALU_DEP_1) | instskip(NEXT) | instid1(VALU_DEP_1)
	v_cndmask_b32_e64 v39, 0, v39, s0
	v_add_nc_u32_e32 v39, v41, v39
	s_delay_alu instid0(VALU_DEP_1) | instskip(NEXT) | instid1(VALU_DEP_1)
	v_mul_lo_u32 v39, v39, v9
	v_sub_nc_u32_e32 v38, v38, v39
	s_delay_alu instid0(VALU_DEP_1) | instskip(SKIP_1) | instid1(VALU_DEP_2)
	v_bfe_i32 v39, v38, 0, 8
	v_mov_b32_e32 v38, v9
	v_cmp_eq_u16_e64 s0, 0, v39
	v_and_b32_e32 v39, 0xffff, v39
	s_or_b32 s7, s0, s7
	s_delay_alu instid0(SALU_CYCLE_1)
	s_and_not1_b32 exec_lo, exec_lo, s7
	s_cbranch_execnz .LBB50_142
; %bb.143:
	s_or_b32 exec_lo, exec_lo, s7
.LBB50_144:
	s_delay_alu instid0(SALU_CYCLE_1) | instskip(NEXT) | instid1(VALU_DEP_1)
	s_or_b32 exec_lo, exec_lo, s6
	v_and_b32_e32 v39, 0xff, v9
	v_mov_b32_e32 v38, 0
	s_mov_b32 s6, exec_lo
	s_delay_alu instid0(VALU_DEP_2)
	v_cmpx_ne_u16_e32 0, v39
	s_cbranch_execz .LBB50_146
; %bb.145:
	v_bfe_i32 v9, v9, 0, 8
	v_cvt_f32_i32_e32 v40, v8
	s_delay_alu instid0(VALU_DEP_2) | instskip(SKIP_1) | instid1(VALU_DEP_2)
	v_cvt_f32_i32_e32 v38, v9
	v_xor_b32_e32 v8, v8, v9
	v_rcp_iflag_f32_e32 v39, v38
	s_delay_alu instid0(VALU_DEP_1)
	v_ashrrev_i32_e32 v8, 30, v8
	s_delay_alu instid0(TRANS32_DEP_1) | instid1(VALU_DEP_1)
	v_dual_mul_f32 v39, v40, v39 :: v_dual_bitop2_b32 v8, 1, v8 bitop3:0x54
	s_delay_alu instid0(VALU_DEP_1) | instskip(NEXT) | instid1(VALU_DEP_1)
	v_trunc_f32_e32 v9, v39
	v_fma_f32 v39, -v9, v38, v40
	v_cvt_i32_f32_e32 v9, v9
	s_delay_alu instid0(VALU_DEP_2) | instskip(NEXT) | instid1(VALU_DEP_1)
	v_cmp_ge_f32_e64 s0, |v39|, |v38|
	v_cndmask_b32_e64 v8, 0, v8, s0
	s_delay_alu instid0(VALU_DEP_1) | instskip(NEXT) | instid1(VALU_DEP_1)
	v_add_nc_u32_e32 v8, v9, v8
	v_bfe_i32 v8, v8, 0, 8
	s_delay_alu instid0(VALU_DEP_1) | instskip(NEXT) | instid1(VALU_DEP_1)
	v_mul_i32_i24_e32 v7, v8, v7
	v_sub_nc_u32_e32 v8, 0, v7
	s_delay_alu instid0(VALU_DEP_1)
	v_max_i32_e32 v38, v7, v8
.LBB50_146:
	s_or_b32 exec_lo, exec_lo, s6
	s_delay_alu instid0(VALU_DEP_1)
	v_perm_b32 v2, v2, v38, 0x7060004
.LBB50_147:
	s_or_b32 exec_lo, exec_lo, s3
	v_or_b32_e32 v7, 0x200, v0
	s_mov_b32 s3, exec_lo
	s_delay_alu instid0(VALU_DEP_1)
	v_cmpx_gt_i32_e64 s1, v7
	s_cbranch_execz .LBB50_155
; %bb.148:
	v_bfe_i32 v5, v5, 0, 8
	v_and_b32_e32 v7, 0xff, v37
	s_mov_b32 s7, 0
	s_delay_alu instid0(VALU_DEP_2) | instskip(NEXT) | instid1(VALU_DEP_2)
	v_sub_nc_u16 v8, 0, v5
	v_cmp_ne_u16_e64 s0, 0, v7
	v_bfe_i32 v7, v37, 0, 8
	s_delay_alu instid0(VALU_DEP_3)
	v_max_i16 v8, v5, v8
	s_and_saveexec_b32 s6, s0
	s_cbranch_execz .LBB50_152
; %bb.149:
	s_delay_alu instid0(VALU_DEP_2) | instskip(NEXT) | instid1(VALU_DEP_1)
	v_sub_nc_u16 v9, 0, v7
	v_max_i16 v37, v7, v9
	v_and_b32_e32 v9, 0xff, v8
	s_delay_alu instid0(VALU_DEP_2)
	v_and_b32_e32 v37, 0xffff, v37
.LBB50_150:                             ; =>This Inner Loop Header: Depth=1
	s_wait_loadcnt 0x0
	s_delay_alu instid0(VALU_DEP_2) | instskip(NEXT) | instid1(VALU_DEP_2)
	v_bfe_i32 v39, v9, 0, 8
	v_mov_b32_e32 v8, v37
	s_delay_alu instid0(VALU_DEP_2) | instskip(NEXT) | instid1(VALU_DEP_2)
	v_cvt_f32_i32_e32 v41, v39
	v_bfe_i32 v37, v8, 0, 8
	s_delay_alu instid0(VALU_DEP_1) | instskip(SKIP_1) | instid1(VALU_DEP_2)
	v_cvt_f32_i32_e32 v38, v37
	v_xor_b32_e32 v37, v39, v37
	v_rcp_iflag_f32_e32 v40, v38
	v_nop
	s_delay_alu instid0(TRANS32_DEP_1) | instskip(NEXT) | instid1(VALU_DEP_1)
	v_dual_ashrrev_i32 v37, 30, v37 :: v_dual_mul_f32 v39, v41, v40
	v_trunc_f32_e32 v39, v39
	s_delay_alu instid0(VALU_DEP_1) | instskip(SKIP_1) | instid1(VALU_DEP_2)
	v_dual_fma_f32 v40, -v39, v38, v41 :: v_dual_bitop2_b32 v37, 1, v37 bitop3:0x54
	v_cvt_i32_f32_e32 v39, v39
	v_cmp_ge_f32_e64 s0, |v40|, |v38|
	s_delay_alu instid0(VALU_DEP_1) | instskip(NEXT) | instid1(VALU_DEP_1)
	v_cndmask_b32_e64 v37, 0, v37, s0
	v_add_nc_u32_e32 v37, v39, v37
	s_delay_alu instid0(VALU_DEP_1) | instskip(NEXT) | instid1(VALU_DEP_1)
	v_mul_lo_u32 v37, v37, v8
	v_sub_nc_u32_e32 v9, v9, v37
	s_delay_alu instid0(VALU_DEP_1) | instskip(SKIP_1) | instid1(VALU_DEP_2)
	v_bfe_i32 v37, v9, 0, 8
	v_mov_b32_e32 v9, v8
	v_cmp_eq_u16_e64 s0, 0, v37
	v_and_b32_e32 v37, 0xffff, v37
	s_or_b32 s7, s0, s7
	s_delay_alu instid0(SALU_CYCLE_1)
	s_and_not1_b32 exec_lo, exec_lo, s7
	s_cbranch_execnz .LBB50_150
; %bb.151:
	s_or_b32 exec_lo, exec_lo, s7
.LBB50_152:
	s_delay_alu instid0(SALU_CYCLE_1) | instskip(NEXT) | instid1(VALU_DEP_1)
	s_or_b32 exec_lo, exec_lo, s6
	v_and_b32_e32 v37, 0xff, v8
	v_mov_b32_e32 v9, 0
	s_mov_b32 s6, exec_lo
	s_delay_alu instid0(VALU_DEP_2)
	v_cmpx_ne_u16_e32 0, v37
	s_cbranch_execz .LBB50_154
; %bb.153:
	v_bfe_i32 v8, v8, 0, 8
	s_wait_loadcnt 0x1
	v_cvt_f32_i32_e32 v38, v7
	s_delay_alu instid0(VALU_DEP_2) | instskip(SKIP_1) | instid1(VALU_DEP_2)
	v_cvt_f32_i32_e32 v9, v8
	v_xor_b32_e32 v7, v7, v8
	v_rcp_iflag_f32_e32 v37, v9
	v_nop
	s_delay_alu instid0(TRANS32_DEP_1) | instskip(NEXT) | instid1(VALU_DEP_1)
	v_mul_f32_e32 v37, v38, v37
	v_trunc_f32_e32 v8, v37
	s_delay_alu instid0(VALU_DEP_1) | instskip(NEXT) | instid1(VALU_DEP_1)
	v_dual_ashrrev_i32 v7, 30, v7 :: v_dual_fma_f32 v37, -v8, v9, v38
	v_or_b32_e32 v7, 1, v7
	v_cvt_i32_f32_e32 v8, v8
	s_delay_alu instid0(VALU_DEP_3) | instskip(NEXT) | instid1(VALU_DEP_1)
	v_cmp_ge_f32_e64 s0, |v37|, |v9|
	v_cndmask_b32_e64 v7, 0, v7, s0
	s_delay_alu instid0(VALU_DEP_1) | instskip(NEXT) | instid1(VALU_DEP_1)
	v_add_nc_u32_e32 v7, v8, v7
	v_bfe_i32 v7, v7, 0, 8
	s_delay_alu instid0(VALU_DEP_1) | instskip(NEXT) | instid1(VALU_DEP_1)
	v_mul_i32_i24_e32 v5, v7, v5
	v_sub_nc_u32_e32 v7, 0, v5
	s_delay_alu instid0(VALU_DEP_1)
	v_max_i32_e32 v9, v5, v7
.LBB50_154:
	s_or_b32 exec_lo, exec_lo, s6
	s_delay_alu instid0(VALU_DEP_1)
	v_perm_b32 v2, v2, v9, 0x7000504
.LBB50_155:
	s_or_b32 exec_lo, exec_lo, s3
	v_or_b32_e32 v5, 0x300, v0
	s_mov_b32 s3, exec_lo
	s_delay_alu instid0(VALU_DEP_1)
	v_cmpx_gt_i32_e64 s1, v5
	s_cbranch_execz .LBB50_163
; %bb.156:
	v_bfe_i32 v5, v6, 0, 8
	v_and_b32_e32 v6, 0xff, v36
	s_mov_b32 s7, 0
	s_delay_alu instid0(VALU_DEP_2) | instskip(NEXT) | instid1(VALU_DEP_2)
	v_sub_nc_u16 v7, 0, v5
	v_cmp_ne_u16_e64 s0, 0, v6
	v_bfe_i32 v6, v36, 0, 8
	s_delay_alu instid0(VALU_DEP_3)
	v_max_i16 v7, v5, v7
	s_and_saveexec_b32 s6, s0
	s_cbranch_execz .LBB50_160
; %bb.157:
	s_delay_alu instid0(VALU_DEP_2) | instskip(NEXT) | instid1(VALU_DEP_1)
	v_sub_nc_u16 v8, 0, v6
	v_max_i16 v9, v6, v8
	v_and_b32_e32 v8, 0xff, v7
	s_delay_alu instid0(VALU_DEP_2)
	v_and_b32_e32 v9, 0xffff, v9
.LBB50_158:                             ; =>This Inner Loop Header: Depth=1
	s_delay_alu instid0(VALU_DEP_2) | instskip(SKIP_1) | instid1(VALU_DEP_1)
	v_bfe_i32 v37, v8, 0, 8
	s_wait_loadcnt 0x0
	v_cvt_f32_i32_e32 v39, v37
	s_delay_alu instid0(VALU_DEP_3) | instskip(NEXT) | instid1(VALU_DEP_1)
	v_mov_b32_e32 v7, v9
	v_bfe_i32 v9, v7, 0, 8
	s_delay_alu instid0(VALU_DEP_1) | instskip(SKIP_1) | instid1(VALU_DEP_2)
	v_cvt_f32_i32_e32 v36, v9
	v_xor_b32_e32 v9, v37, v9
	v_rcp_iflag_f32_e32 v38, v36
	v_nop
	s_delay_alu instid0(TRANS32_DEP_1) | instskip(NEXT) | instid1(VALU_DEP_1)
	v_mul_f32_e32 v37, v39, v38
	v_trunc_f32_e32 v37, v37
	s_delay_alu instid0(VALU_DEP_1) | instskip(SKIP_1) | instid1(VALU_DEP_2)
	v_dual_fma_f32 v38, -v37, v36, v39 :: v_dual_ashrrev_i32 v9, 30, v9
	v_cvt_i32_f32_e32 v37, v37
	v_cmp_ge_f32_e64 s0, |v38|, |v36|
	s_delay_alu instid0(VALU_DEP_3) | instskip(NEXT) | instid1(VALU_DEP_1)
	v_or_b32_e32 v9, 1, v9
	v_cndmask_b32_e64 v9, 0, v9, s0
	s_delay_alu instid0(VALU_DEP_1) | instskip(NEXT) | instid1(VALU_DEP_1)
	v_add_nc_u32_e32 v9, v37, v9
	v_mul_lo_u32 v9, v9, v7
	s_delay_alu instid0(VALU_DEP_1) | instskip(NEXT) | instid1(VALU_DEP_1)
	v_sub_nc_u32_e32 v8, v8, v9
	v_bfe_i32 v9, v8, 0, 8
	v_mov_b32_e32 v8, v7
	s_delay_alu instid0(VALU_DEP_2) | instskip(SKIP_2) | instid1(SALU_CYCLE_1)
	v_cmp_eq_u16_e64 s0, 0, v9
	v_and_b32_e32 v9, 0xffff, v9
	s_or_b32 s7, s0, s7
	s_and_not1_b32 exec_lo, exec_lo, s7
	s_cbranch_execnz .LBB50_158
; %bb.159:
	s_or_b32 exec_lo, exec_lo, s7
.LBB50_160:
	s_delay_alu instid0(SALU_CYCLE_1) | instskip(NEXT) | instid1(VALU_DEP_1)
	s_or_b32 exec_lo, exec_lo, s6
	v_and_b32_e32 v9, 0xff, v7
	v_mov_b32_e32 v8, 0
	s_mov_b32 s6, exec_lo
	s_delay_alu instid0(VALU_DEP_2)
	v_cmpx_ne_u16_e32 0, v9
	s_cbranch_execz .LBB50_162
; %bb.161:
	v_bfe_i32 v7, v7, 0, 8
	v_cvt_f32_i32_e32 v36, v6
	s_delay_alu instid0(VALU_DEP_2) | instskip(SKIP_1) | instid1(VALU_DEP_2)
	v_cvt_f32_i32_e32 v8, v7
	v_xor_b32_e32 v6, v6, v7
	v_rcp_iflag_f32_e32 v9, v8
	v_nop
	s_delay_alu instid0(TRANS32_DEP_1) | instskip(NEXT) | instid1(VALU_DEP_1)
	v_mul_f32_e32 v9, v36, v9
	v_trunc_f32_e32 v7, v9
	s_delay_alu instid0(VALU_DEP_1) | instskip(NEXT) | instid1(VALU_DEP_1)
	v_dual_ashrrev_i32 v6, 30, v6 :: v_dual_fma_f32 v9, -v7, v8, v36
	v_or_b32_e32 v6, 1, v6
	v_cvt_i32_f32_e32 v7, v7
	s_delay_alu instid0(VALU_DEP_3) | instskip(NEXT) | instid1(VALU_DEP_1)
	v_cmp_ge_f32_e64 s0, |v9|, |v8|
	v_cndmask_b32_e64 v6, 0, v6, s0
	s_delay_alu instid0(VALU_DEP_1) | instskip(NEXT) | instid1(VALU_DEP_1)
	v_add_nc_u32_e32 v6, v7, v6
	v_bfe_i32 v6, v6, 0, 8
	s_delay_alu instid0(VALU_DEP_1) | instskip(NEXT) | instid1(VALU_DEP_1)
	v_mul_i32_i24_e32 v5, v6, v5
	v_sub_nc_u32_e32 v6, 0, v5
	s_delay_alu instid0(VALU_DEP_1)
	v_max_i32_e32 v8, v5, v6
.LBB50_162:
	s_or_b32 exec_lo, exec_lo, s6
	s_delay_alu instid0(VALU_DEP_1)
	v_perm_b32 v2, v2, v8, 0x60504
.LBB50_163:
	s_or_b32 exec_lo, exec_lo, s3
	v_or_b32_e32 v5, 0x400, v0
	s_mov_b32 s3, exec_lo
	s_delay_alu instid0(VALU_DEP_1)
	v_cmpx_gt_i32_e64 s1, v5
	s_cbranch_execz .LBB50_171
; %bb.164:
	v_bfe_i32 v5, v35, 0, 8
	v_and_b32_e32 v6, 0xff, v34
	s_mov_b32 s7, 0
	s_delay_alu instid0(VALU_DEP_2) | instskip(NEXT) | instid1(VALU_DEP_2)
	v_sub_nc_u16 v7, 0, v5
	v_cmp_ne_u16_e64 s0, 0, v6
	v_bfe_i32 v6, v34, 0, 8
	s_delay_alu instid0(VALU_DEP_3)
	v_max_i16 v7, v5, v7
	s_and_saveexec_b32 s6, s0
	s_cbranch_execz .LBB50_168
; %bb.165:
	s_delay_alu instid0(VALU_DEP_2) | instskip(NEXT) | instid1(VALU_DEP_1)
	v_sub_nc_u16 v8, 0, v6
	v_max_i16 v9, v6, v8
	v_and_b32_e32 v8, 0xff, v7
	s_delay_alu instid0(VALU_DEP_2)
	v_and_b32_e32 v9, 0xffff, v9
.LBB50_166:                             ; =>This Inner Loop Header: Depth=1
	s_delay_alu instid0(VALU_DEP_2) | instskip(NEXT) | instid1(VALU_DEP_2)
	v_bfe_i32 v35, v8, 0, 8
	v_mov_b32_e32 v7, v9
	s_delay_alu instid0(VALU_DEP_2) | instskip(NEXT) | instid1(VALU_DEP_2)
	v_cvt_f32_i32_e32 v37, v35
	v_bfe_i32 v9, v7, 0, 8
	s_delay_alu instid0(VALU_DEP_1) | instskip(SKIP_1) | instid1(VALU_DEP_2)
	v_cvt_f32_i32_e32 v34, v9
	v_xor_b32_e32 v9, v35, v9
	v_rcp_iflag_f32_e32 v36, v34
	v_nop
	s_delay_alu instid0(TRANS32_DEP_1) | instskip(NEXT) | instid1(VALU_DEP_1)
	v_dual_ashrrev_i32 v9, 30, v9 :: v_dual_mul_f32 v35, v37, v36
	v_trunc_f32_e32 v35, v35
	s_delay_alu instid0(VALU_DEP_1) | instskip(SKIP_1) | instid1(VALU_DEP_2)
	v_dual_fma_f32 v36, -v35, v34, v37 :: v_dual_bitop2_b32 v9, 1, v9 bitop3:0x54
	v_cvt_i32_f32_e32 v35, v35
	v_cmp_ge_f32_e64 s0, |v36|, |v34|
	s_delay_alu instid0(VALU_DEP_1) | instskip(NEXT) | instid1(VALU_DEP_1)
	v_cndmask_b32_e64 v9, 0, v9, s0
	v_add_nc_u32_e32 v9, v35, v9
	s_delay_alu instid0(VALU_DEP_1) | instskip(NEXT) | instid1(VALU_DEP_1)
	v_mul_lo_u32 v9, v9, v7
	v_sub_nc_u32_e32 v8, v8, v9
	s_delay_alu instid0(VALU_DEP_1) | instskip(SKIP_1) | instid1(VALU_DEP_2)
	v_bfe_i32 v9, v8, 0, 8
	v_mov_b32_e32 v8, v7
	v_cmp_eq_u16_e64 s0, 0, v9
	v_and_b32_e32 v9, 0xffff, v9
	s_or_b32 s7, s0, s7
	s_delay_alu instid0(SALU_CYCLE_1)
	s_and_not1_b32 exec_lo, exec_lo, s7
	s_cbranch_execnz .LBB50_166
; %bb.167:
	s_or_b32 exec_lo, exec_lo, s7
.LBB50_168:
	s_delay_alu instid0(SALU_CYCLE_1) | instskip(NEXT) | instid1(VALU_DEP_1)
	s_or_b32 exec_lo, exec_lo, s6
	v_and_b32_e32 v9, 0xff, v7
	v_mov_b32_e32 v8, 0
	s_mov_b32 s6, exec_lo
	s_delay_alu instid0(VALU_DEP_2)
	v_cmpx_ne_u16_e32 0, v9
	s_cbranch_execz .LBB50_170
; %bb.169:
	v_bfe_i32 v7, v7, 0, 8
	v_cvt_f32_i32_e32 v34, v6
	s_delay_alu instid0(VALU_DEP_2) | instskip(SKIP_1) | instid1(VALU_DEP_2)
	v_cvt_f32_i32_e32 v8, v7
	v_xor_b32_e32 v6, v6, v7
	v_rcp_iflag_f32_e32 v9, v8
	s_delay_alu instid0(VALU_DEP_1)
	v_ashrrev_i32_e32 v6, 30, v6
	s_delay_alu instid0(TRANS32_DEP_1) | instid1(VALU_DEP_1)
	v_dual_mul_f32 v9, v34, v9 :: v_dual_bitop2_b32 v6, 1, v6 bitop3:0x54
	s_delay_alu instid0(VALU_DEP_1) | instskip(NEXT) | instid1(VALU_DEP_1)
	v_trunc_f32_e32 v7, v9
	v_fma_f32 v9, -v7, v8, v34
	v_cvt_i32_f32_e32 v7, v7
	s_delay_alu instid0(VALU_DEP_2) | instskip(NEXT) | instid1(VALU_DEP_1)
	v_cmp_ge_f32_e64 s0, |v9|, |v8|
	v_cndmask_b32_e64 v6, 0, v6, s0
	s_delay_alu instid0(VALU_DEP_1) | instskip(NEXT) | instid1(VALU_DEP_1)
	v_add_nc_u32_e32 v6, v7, v6
	v_bfe_i32 v6, v6, 0, 8
	s_delay_alu instid0(VALU_DEP_1) | instskip(NEXT) | instid1(VALU_DEP_1)
	v_mul_i32_i24_e32 v5, v6, v5
	v_sub_nc_u32_e32 v6, 0, v5
	s_delay_alu instid0(VALU_DEP_1)
	v_max_i32_e32 v8, v5, v6
.LBB50_170:
	s_or_b32 exec_lo, exec_lo, s6
	s_delay_alu instid0(VALU_DEP_1)
	v_perm_b32 v1, v8, v1, 0x3020104
.LBB50_171:
	s_or_b32 exec_lo, exec_lo, s3
	v_or_b32_e32 v5, 0x500, v0
	s_mov_b32 s3, exec_lo
	s_delay_alu instid0(VALU_DEP_1)
	v_cmpx_gt_i32_e64 s1, v5
	s_cbranch_execz .LBB50_179
; %bb.172:
	v_bfe_i32 v5, v33, 0, 8
	v_and_b32_e32 v6, 0xff, v32
	s_mov_b32 s7, 0
	s_delay_alu instid0(VALU_DEP_2) | instskip(NEXT) | instid1(VALU_DEP_2)
	v_sub_nc_u16 v7, 0, v5
	v_cmp_ne_u16_e64 s0, 0, v6
	v_bfe_i32 v6, v32, 0, 8
	s_delay_alu instid0(VALU_DEP_3)
	v_max_i16 v7, v5, v7
	s_and_saveexec_b32 s6, s0
	s_cbranch_execz .LBB50_176
; %bb.173:
	s_delay_alu instid0(VALU_DEP_2) | instskip(NEXT) | instid1(VALU_DEP_1)
	v_sub_nc_u16 v8, 0, v6
	v_max_i16 v9, v6, v8
	v_and_b32_e32 v8, 0xff, v7
	s_delay_alu instid0(VALU_DEP_2)
	v_and_b32_e32 v9, 0xffff, v9
.LBB50_174:                             ; =>This Inner Loop Header: Depth=1
	s_delay_alu instid0(VALU_DEP_2) | instskip(NEXT) | instid1(VALU_DEP_1)
	v_bfe_i32 v33, v8, 0, 8
	v_cvt_f32_i32_e32 v35, v33
	s_delay_alu instid0(VALU_DEP_3) | instskip(NEXT) | instid1(VALU_DEP_1)
	v_mov_b32_e32 v7, v9
	v_bfe_i32 v9, v7, 0, 8
	s_delay_alu instid0(VALU_DEP_1) | instskip(SKIP_1) | instid1(VALU_DEP_2)
	v_cvt_f32_i32_e32 v32, v9
	v_xor_b32_e32 v9, v33, v9
	v_rcp_iflag_f32_e32 v34, v32
	v_nop
	s_delay_alu instid0(TRANS32_DEP_1) | instskip(NEXT) | instid1(VALU_DEP_1)
	v_mul_f32_e32 v33, v35, v34
	v_trunc_f32_e32 v33, v33
	s_delay_alu instid0(VALU_DEP_1) | instskip(SKIP_1) | instid1(VALU_DEP_2)
	v_dual_fma_f32 v34, -v33, v32, v35 :: v_dual_ashrrev_i32 v9, 30, v9
	v_cvt_i32_f32_e32 v33, v33
	v_cmp_ge_f32_e64 s0, |v34|, |v32|
	s_delay_alu instid0(VALU_DEP_3) | instskip(NEXT) | instid1(VALU_DEP_1)
	v_or_b32_e32 v9, 1, v9
	v_cndmask_b32_e64 v9, 0, v9, s0
	s_delay_alu instid0(VALU_DEP_1) | instskip(NEXT) | instid1(VALU_DEP_1)
	v_add_nc_u32_e32 v9, v33, v9
	v_mul_lo_u32 v9, v9, v7
	s_delay_alu instid0(VALU_DEP_1) | instskip(NEXT) | instid1(VALU_DEP_1)
	v_sub_nc_u32_e32 v8, v8, v9
	v_bfe_i32 v9, v8, 0, 8
	v_mov_b32_e32 v8, v7
	s_delay_alu instid0(VALU_DEP_2) | instskip(SKIP_2) | instid1(SALU_CYCLE_1)
	v_cmp_eq_u16_e64 s0, 0, v9
	v_and_b32_e32 v9, 0xffff, v9
	s_or_b32 s7, s0, s7
	s_and_not1_b32 exec_lo, exec_lo, s7
	s_cbranch_execnz .LBB50_174
; %bb.175:
	s_or_b32 exec_lo, exec_lo, s7
.LBB50_176:
	s_delay_alu instid0(SALU_CYCLE_1) | instskip(NEXT) | instid1(VALU_DEP_1)
	s_or_b32 exec_lo, exec_lo, s6
	v_and_b32_e32 v9, 0xff, v7
	v_mov_b32_e32 v8, 0
	s_mov_b32 s6, exec_lo
	s_delay_alu instid0(VALU_DEP_2)
	v_cmpx_ne_u16_e32 0, v9
	s_cbranch_execz .LBB50_178
; %bb.177:
	v_bfe_i32 v7, v7, 0, 8
	v_cvt_f32_i32_e32 v32, v6
	s_delay_alu instid0(VALU_DEP_2) | instskip(SKIP_1) | instid1(VALU_DEP_2)
	v_cvt_f32_i32_e32 v8, v7
	v_xor_b32_e32 v6, v6, v7
	v_rcp_iflag_f32_e32 v9, v8
	v_nop
	s_delay_alu instid0(TRANS32_DEP_1) | instskip(NEXT) | instid1(VALU_DEP_1)
	v_mul_f32_e32 v9, v32, v9
	v_trunc_f32_e32 v7, v9
	s_delay_alu instid0(VALU_DEP_1) | instskip(NEXT) | instid1(VALU_DEP_1)
	v_dual_ashrrev_i32 v6, 30, v6 :: v_dual_fma_f32 v9, -v7, v8, v32
	v_or_b32_e32 v6, 1, v6
	v_cvt_i32_f32_e32 v7, v7
	s_delay_alu instid0(VALU_DEP_3) | instskip(NEXT) | instid1(VALU_DEP_1)
	v_cmp_ge_f32_e64 s0, |v9|, |v8|
	v_cndmask_b32_e64 v6, 0, v6, s0
	s_delay_alu instid0(VALU_DEP_1) | instskip(NEXT) | instid1(VALU_DEP_1)
	v_add_nc_u32_e32 v6, v7, v6
	v_bfe_i32 v6, v6, 0, 8
	s_delay_alu instid0(VALU_DEP_1) | instskip(NEXT) | instid1(VALU_DEP_1)
	v_mul_i32_i24_e32 v5, v6, v5
	v_sub_nc_u32_e32 v6, 0, v5
	s_delay_alu instid0(VALU_DEP_1)
	v_max_i32_e32 v8, v5, v6
.LBB50_178:
	s_or_b32 exec_lo, exec_lo, s6
	s_delay_alu instid0(VALU_DEP_1)
	v_perm_b32 v1, v1, v8, 0x7060004
.LBB50_179:
	s_or_b32 exec_lo, exec_lo, s3
	v_or_b32_e32 v5, 0x600, v0
	s_mov_b32 s3, exec_lo
	s_delay_alu instid0(VALU_DEP_1)
	v_cmpx_gt_i32_e64 s1, v5
	s_cbranch_execz .LBB50_187
; %bb.180:
	v_bfe_i32 v5, v31, 0, 8
	v_and_b32_e32 v6, 0xff, v30
	s_mov_b32 s7, 0
	s_delay_alu instid0(VALU_DEP_2) | instskip(NEXT) | instid1(VALU_DEP_2)
	v_sub_nc_u16 v7, 0, v5
	v_cmp_ne_u16_e64 s0, 0, v6
	v_bfe_i32 v6, v30, 0, 8
	s_delay_alu instid0(VALU_DEP_3)
	v_max_i16 v7, v5, v7
	s_and_saveexec_b32 s6, s0
	s_cbranch_execz .LBB50_184
; %bb.181:
	s_delay_alu instid0(VALU_DEP_2) | instskip(NEXT) | instid1(VALU_DEP_1)
	v_sub_nc_u16 v8, 0, v6
	v_max_i16 v9, v6, v8
	v_and_b32_e32 v8, 0xff, v7
	s_delay_alu instid0(VALU_DEP_2)
	v_and_b32_e32 v9, 0xffff, v9
.LBB50_182:                             ; =>This Inner Loop Header: Depth=1
	s_delay_alu instid0(VALU_DEP_2) | instskip(NEXT) | instid1(VALU_DEP_2)
	v_bfe_i32 v31, v8, 0, 8
	v_mov_b32_e32 v7, v9
	s_delay_alu instid0(VALU_DEP_2) | instskip(NEXT) | instid1(VALU_DEP_2)
	v_cvt_f32_i32_e32 v33, v31
	v_bfe_i32 v9, v7, 0, 8
	s_delay_alu instid0(VALU_DEP_1) | instskip(SKIP_1) | instid1(VALU_DEP_2)
	v_cvt_f32_i32_e32 v30, v9
	v_xor_b32_e32 v9, v31, v9
	v_rcp_iflag_f32_e32 v32, v30
	v_nop
	s_delay_alu instid0(TRANS32_DEP_1) | instskip(NEXT) | instid1(VALU_DEP_1)
	v_dual_ashrrev_i32 v9, 30, v9 :: v_dual_mul_f32 v31, v33, v32
	v_trunc_f32_e32 v31, v31
	s_delay_alu instid0(VALU_DEP_1) | instskip(SKIP_1) | instid1(VALU_DEP_2)
	v_dual_fma_f32 v32, -v31, v30, v33 :: v_dual_bitop2_b32 v9, 1, v9 bitop3:0x54
	v_cvt_i32_f32_e32 v31, v31
	v_cmp_ge_f32_e64 s0, |v32|, |v30|
	s_delay_alu instid0(VALU_DEP_1) | instskip(NEXT) | instid1(VALU_DEP_1)
	v_cndmask_b32_e64 v9, 0, v9, s0
	v_add_nc_u32_e32 v9, v31, v9
	s_delay_alu instid0(VALU_DEP_1) | instskip(NEXT) | instid1(VALU_DEP_1)
	v_mul_lo_u32 v9, v9, v7
	v_sub_nc_u32_e32 v8, v8, v9
	s_delay_alu instid0(VALU_DEP_1) | instskip(SKIP_1) | instid1(VALU_DEP_2)
	v_bfe_i32 v9, v8, 0, 8
	v_mov_b32_e32 v8, v7
	v_cmp_eq_u16_e64 s0, 0, v9
	v_and_b32_e32 v9, 0xffff, v9
	s_or_b32 s7, s0, s7
	s_delay_alu instid0(SALU_CYCLE_1)
	s_and_not1_b32 exec_lo, exec_lo, s7
	s_cbranch_execnz .LBB50_182
; %bb.183:
	s_or_b32 exec_lo, exec_lo, s7
.LBB50_184:
	s_delay_alu instid0(SALU_CYCLE_1) | instskip(NEXT) | instid1(VALU_DEP_1)
	s_or_b32 exec_lo, exec_lo, s6
	v_and_b32_e32 v9, 0xff, v7
	v_mov_b32_e32 v8, 0
	s_mov_b32 s6, exec_lo
	s_delay_alu instid0(VALU_DEP_2)
	v_cmpx_ne_u16_e32 0, v9
	s_cbranch_execz .LBB50_186
; %bb.185:
	v_bfe_i32 v7, v7, 0, 8
	v_cvt_f32_i32_e32 v30, v6
	s_delay_alu instid0(VALU_DEP_2) | instskip(SKIP_1) | instid1(VALU_DEP_2)
	v_cvt_f32_i32_e32 v8, v7
	v_xor_b32_e32 v6, v6, v7
	v_rcp_iflag_f32_e32 v9, v8
	s_delay_alu instid0(VALU_DEP_1)
	v_ashrrev_i32_e32 v6, 30, v6
	s_delay_alu instid0(TRANS32_DEP_1) | instid1(VALU_DEP_1)
	v_dual_mul_f32 v9, v30, v9 :: v_dual_bitop2_b32 v6, 1, v6 bitop3:0x54
	s_delay_alu instid0(VALU_DEP_1) | instskip(NEXT) | instid1(VALU_DEP_1)
	v_trunc_f32_e32 v7, v9
	v_fma_f32 v9, -v7, v8, v30
	v_cvt_i32_f32_e32 v7, v7
	s_delay_alu instid0(VALU_DEP_2) | instskip(NEXT) | instid1(VALU_DEP_1)
	v_cmp_ge_f32_e64 s0, |v9|, |v8|
	v_cndmask_b32_e64 v6, 0, v6, s0
	s_delay_alu instid0(VALU_DEP_1) | instskip(NEXT) | instid1(VALU_DEP_1)
	v_add_nc_u32_e32 v6, v7, v6
	v_bfe_i32 v6, v6, 0, 8
	s_delay_alu instid0(VALU_DEP_1) | instskip(NEXT) | instid1(VALU_DEP_1)
	v_mul_i32_i24_e32 v5, v6, v5
	v_sub_nc_u32_e32 v6, 0, v5
	s_delay_alu instid0(VALU_DEP_1)
	v_max_i32_e32 v8, v5, v6
.LBB50_186:
	s_or_b32 exec_lo, exec_lo, s6
	s_delay_alu instid0(VALU_DEP_1)
	v_perm_b32 v1, v1, v8, 0x7000504
.LBB50_187:
	s_or_b32 exec_lo, exec_lo, s3
	v_or_b32_e32 v5, 0x700, v0
	s_mov_b32 s3, exec_lo
	s_delay_alu instid0(VALU_DEP_1)
	v_cmpx_gt_i32_e64 s1, v5
	s_cbranch_execz .LBB50_195
; %bb.188:
	v_bfe_i32 v5, v29, 0, 8
	v_and_b32_e32 v6, 0xff, v28
	s_mov_b32 s7, 0
	s_delay_alu instid0(VALU_DEP_2) | instskip(NEXT) | instid1(VALU_DEP_2)
	v_sub_nc_u16 v7, 0, v5
	v_cmp_ne_u16_e64 s0, 0, v6
	v_bfe_i32 v6, v28, 0, 8
	s_delay_alu instid0(VALU_DEP_3)
	v_max_i16 v7, v5, v7
	s_and_saveexec_b32 s6, s0
	s_cbranch_execz .LBB50_192
; %bb.189:
	s_delay_alu instid0(VALU_DEP_2) | instskip(NEXT) | instid1(VALU_DEP_1)
	v_sub_nc_u16 v8, 0, v6
	v_max_i16 v9, v6, v8
	v_and_b32_e32 v8, 0xff, v7
	s_delay_alu instid0(VALU_DEP_2)
	v_and_b32_e32 v9, 0xffff, v9
.LBB50_190:                             ; =>This Inner Loop Header: Depth=1
	s_delay_alu instid0(VALU_DEP_2) | instskip(NEXT) | instid1(VALU_DEP_1)
	v_bfe_i32 v29, v8, 0, 8
	v_cvt_f32_i32_e32 v31, v29
	s_delay_alu instid0(VALU_DEP_3) | instskip(NEXT) | instid1(VALU_DEP_1)
	v_mov_b32_e32 v7, v9
	v_bfe_i32 v9, v7, 0, 8
	s_delay_alu instid0(VALU_DEP_1) | instskip(SKIP_1) | instid1(VALU_DEP_2)
	v_cvt_f32_i32_e32 v28, v9
	v_xor_b32_e32 v9, v29, v9
	v_rcp_iflag_f32_e32 v30, v28
	v_nop
	s_delay_alu instid0(TRANS32_DEP_1) | instskip(NEXT) | instid1(VALU_DEP_1)
	v_mul_f32_e32 v29, v31, v30
	v_trunc_f32_e32 v29, v29
	s_delay_alu instid0(VALU_DEP_1) | instskip(SKIP_1) | instid1(VALU_DEP_2)
	v_dual_fma_f32 v30, -v29, v28, v31 :: v_dual_ashrrev_i32 v9, 30, v9
	v_cvt_i32_f32_e32 v29, v29
	v_cmp_ge_f32_e64 s0, |v30|, |v28|
	s_delay_alu instid0(VALU_DEP_3) | instskip(NEXT) | instid1(VALU_DEP_1)
	v_or_b32_e32 v9, 1, v9
	v_cndmask_b32_e64 v9, 0, v9, s0
	s_delay_alu instid0(VALU_DEP_1) | instskip(NEXT) | instid1(VALU_DEP_1)
	v_add_nc_u32_e32 v9, v29, v9
	v_mul_lo_u32 v9, v9, v7
	s_delay_alu instid0(VALU_DEP_1) | instskip(NEXT) | instid1(VALU_DEP_1)
	v_sub_nc_u32_e32 v8, v8, v9
	v_bfe_i32 v9, v8, 0, 8
	v_mov_b32_e32 v8, v7
	s_delay_alu instid0(VALU_DEP_2) | instskip(SKIP_2) | instid1(SALU_CYCLE_1)
	v_cmp_eq_u16_e64 s0, 0, v9
	v_and_b32_e32 v9, 0xffff, v9
	s_or_b32 s7, s0, s7
	s_and_not1_b32 exec_lo, exec_lo, s7
	s_cbranch_execnz .LBB50_190
; %bb.191:
	s_or_b32 exec_lo, exec_lo, s7
.LBB50_192:
	s_delay_alu instid0(SALU_CYCLE_1) | instskip(NEXT) | instid1(VALU_DEP_1)
	s_or_b32 exec_lo, exec_lo, s6
	v_and_b32_e32 v9, 0xff, v7
	v_mov_b32_e32 v8, 0
	s_mov_b32 s6, exec_lo
	s_delay_alu instid0(VALU_DEP_2)
	v_cmpx_ne_u16_e32 0, v9
	s_cbranch_execz .LBB50_194
; %bb.193:
	v_bfe_i32 v7, v7, 0, 8
	v_cvt_f32_i32_e32 v28, v6
	s_delay_alu instid0(VALU_DEP_2) | instskip(SKIP_1) | instid1(VALU_DEP_2)
	v_cvt_f32_i32_e32 v8, v7
	v_xor_b32_e32 v6, v6, v7
	v_rcp_iflag_f32_e32 v9, v8
	v_nop
	s_delay_alu instid0(TRANS32_DEP_1) | instskip(NEXT) | instid1(VALU_DEP_1)
	v_mul_f32_e32 v9, v28, v9
	v_trunc_f32_e32 v7, v9
	s_delay_alu instid0(VALU_DEP_1) | instskip(NEXT) | instid1(VALU_DEP_1)
	v_dual_ashrrev_i32 v6, 30, v6 :: v_dual_fma_f32 v9, -v7, v8, v28
	v_or_b32_e32 v6, 1, v6
	v_cvt_i32_f32_e32 v7, v7
	s_delay_alu instid0(VALU_DEP_3) | instskip(NEXT) | instid1(VALU_DEP_1)
	v_cmp_ge_f32_e64 s0, |v9|, |v8|
	v_cndmask_b32_e64 v6, 0, v6, s0
	s_delay_alu instid0(VALU_DEP_1) | instskip(NEXT) | instid1(VALU_DEP_1)
	v_add_nc_u32_e32 v6, v7, v6
	v_bfe_i32 v6, v6, 0, 8
	s_delay_alu instid0(VALU_DEP_1) | instskip(NEXT) | instid1(VALU_DEP_1)
	v_mul_i32_i24_e32 v5, v6, v5
	v_sub_nc_u32_e32 v6, 0, v5
	s_delay_alu instid0(VALU_DEP_1)
	v_max_i32_e32 v8, v5, v6
.LBB50_194:
	s_or_b32 exec_lo, exec_lo, s6
	s_delay_alu instid0(VALU_DEP_1)
	v_perm_b32 v1, v1, v8, 0x60504
.LBB50_195:
	s_or_b32 exec_lo, exec_lo, s3
	v_or_b32_e32 v5, 0x800, v0
	s_mov_b32 s3, exec_lo
	s_delay_alu instid0(VALU_DEP_1)
	v_cmpx_gt_i32_e64 s1, v5
	s_cbranch_execz .LBB50_203
; %bb.196:
	v_bfe_i32 v5, v27, 0, 8
	v_and_b32_e32 v6, 0xff, v26
	s_mov_b32 s7, 0
	s_delay_alu instid0(VALU_DEP_2) | instskip(NEXT) | instid1(VALU_DEP_2)
	v_sub_nc_u16 v7, 0, v5
	v_cmp_ne_u16_e64 s0, 0, v6
	v_bfe_i32 v6, v26, 0, 8
	s_delay_alu instid0(VALU_DEP_3)
	v_max_i16 v7, v5, v7
	s_and_saveexec_b32 s6, s0
	s_cbranch_execz .LBB50_200
; %bb.197:
	s_delay_alu instid0(VALU_DEP_2) | instskip(NEXT) | instid1(VALU_DEP_1)
	v_sub_nc_u16 v8, 0, v6
	v_max_i16 v9, v6, v8
	v_and_b32_e32 v8, 0xff, v7
	s_delay_alu instid0(VALU_DEP_2)
	v_and_b32_e32 v9, 0xffff, v9
.LBB50_198:                             ; =>This Inner Loop Header: Depth=1
	s_delay_alu instid0(VALU_DEP_2) | instskip(NEXT) | instid1(VALU_DEP_2)
	v_bfe_i32 v27, v8, 0, 8
	v_mov_b32_e32 v7, v9
	s_delay_alu instid0(VALU_DEP_2) | instskip(NEXT) | instid1(VALU_DEP_2)
	v_cvt_f32_i32_e32 v29, v27
	v_bfe_i32 v9, v7, 0, 8
	s_delay_alu instid0(VALU_DEP_1) | instskip(SKIP_1) | instid1(VALU_DEP_2)
	v_cvt_f32_i32_e32 v26, v9
	v_xor_b32_e32 v9, v27, v9
	v_rcp_iflag_f32_e32 v28, v26
	v_nop
	s_delay_alu instid0(TRANS32_DEP_1) | instskip(NEXT) | instid1(VALU_DEP_1)
	v_dual_ashrrev_i32 v9, 30, v9 :: v_dual_mul_f32 v27, v29, v28
	v_trunc_f32_e32 v27, v27
	s_delay_alu instid0(VALU_DEP_1) | instskip(SKIP_1) | instid1(VALU_DEP_2)
	v_dual_fma_f32 v28, -v27, v26, v29 :: v_dual_bitop2_b32 v9, 1, v9 bitop3:0x54
	v_cvt_i32_f32_e32 v27, v27
	v_cmp_ge_f32_e64 s0, |v28|, |v26|
	s_delay_alu instid0(VALU_DEP_1) | instskip(NEXT) | instid1(VALU_DEP_1)
	v_cndmask_b32_e64 v9, 0, v9, s0
	v_add_nc_u32_e32 v9, v27, v9
	s_delay_alu instid0(VALU_DEP_1) | instskip(NEXT) | instid1(VALU_DEP_1)
	v_mul_lo_u32 v9, v9, v7
	v_sub_nc_u32_e32 v8, v8, v9
	s_delay_alu instid0(VALU_DEP_1) | instskip(SKIP_1) | instid1(VALU_DEP_2)
	v_bfe_i32 v9, v8, 0, 8
	v_mov_b32_e32 v8, v7
	v_cmp_eq_u16_e64 s0, 0, v9
	v_and_b32_e32 v9, 0xffff, v9
	s_or_b32 s7, s0, s7
	s_delay_alu instid0(SALU_CYCLE_1)
	s_and_not1_b32 exec_lo, exec_lo, s7
	s_cbranch_execnz .LBB50_198
; %bb.199:
	s_or_b32 exec_lo, exec_lo, s7
.LBB50_200:
	s_delay_alu instid0(SALU_CYCLE_1) | instskip(NEXT) | instid1(VALU_DEP_1)
	s_or_b32 exec_lo, exec_lo, s6
	v_and_b32_e32 v9, 0xff, v7
	v_mov_b32_e32 v8, 0
	s_mov_b32 s6, exec_lo
	s_delay_alu instid0(VALU_DEP_2)
	v_cmpx_ne_u16_e32 0, v9
	s_cbranch_execz .LBB50_202
; %bb.201:
	v_bfe_i32 v7, v7, 0, 8
	v_cvt_f32_i32_e32 v26, v6
	s_delay_alu instid0(VALU_DEP_2) | instskip(SKIP_1) | instid1(VALU_DEP_2)
	v_cvt_f32_i32_e32 v8, v7
	v_xor_b32_e32 v6, v6, v7
	v_rcp_iflag_f32_e32 v9, v8
	s_delay_alu instid0(VALU_DEP_1)
	v_ashrrev_i32_e32 v6, 30, v6
	s_delay_alu instid0(TRANS32_DEP_1) | instid1(VALU_DEP_1)
	v_dual_mul_f32 v9, v26, v9 :: v_dual_bitop2_b32 v6, 1, v6 bitop3:0x54
	s_delay_alu instid0(VALU_DEP_1) | instskip(NEXT) | instid1(VALU_DEP_1)
	v_trunc_f32_e32 v7, v9
	v_fma_f32 v9, -v7, v8, v26
	v_cvt_i32_f32_e32 v7, v7
	s_delay_alu instid0(VALU_DEP_2) | instskip(NEXT) | instid1(VALU_DEP_1)
	v_cmp_ge_f32_e64 s0, |v9|, |v8|
	v_cndmask_b32_e64 v6, 0, v6, s0
	s_delay_alu instid0(VALU_DEP_1) | instskip(NEXT) | instid1(VALU_DEP_1)
	v_add_nc_u32_e32 v6, v7, v6
	v_bfe_i32 v6, v6, 0, 8
	s_delay_alu instid0(VALU_DEP_1) | instskip(NEXT) | instid1(VALU_DEP_1)
	v_mul_i32_i24_e32 v5, v6, v5
	v_sub_nc_u32_e32 v6, 0, v5
	s_delay_alu instid0(VALU_DEP_1)
	v_max_i32_e32 v8, v5, v6
.LBB50_202:
	s_or_b32 exec_lo, exec_lo, s6
	s_delay_alu instid0(VALU_DEP_1)
	v_perm_b32 v4, v8, v4, 0x3020104
.LBB50_203:
	s_or_b32 exec_lo, exec_lo, s3
	v_or_b32_e32 v5, 0x900, v0
	s_mov_b32 s3, exec_lo
	s_delay_alu instid0(VALU_DEP_1)
	v_cmpx_gt_i32_e64 s1, v5
	s_cbranch_execz .LBB50_211
; %bb.204:
	v_bfe_i32 v5, v24, 0, 8
	v_and_b32_e32 v6, 0xff, v25
	s_mov_b32 s7, 0
	s_delay_alu instid0(VALU_DEP_2) | instskip(NEXT) | instid1(VALU_DEP_2)
	v_sub_nc_u16 v7, 0, v5
	v_cmp_ne_u16_e64 s0, 0, v6
	v_bfe_i32 v6, v25, 0, 8
	s_delay_alu instid0(VALU_DEP_3)
	v_max_i16 v7, v5, v7
	s_and_saveexec_b32 s6, s0
	s_cbranch_execz .LBB50_208
; %bb.205:
	s_delay_alu instid0(VALU_DEP_2) | instskip(NEXT) | instid1(VALU_DEP_1)
	v_sub_nc_u16 v8, 0, v6
	v_max_i16 v9, v6, v8
	v_and_b32_e32 v8, 0xff, v7
	s_delay_alu instid0(VALU_DEP_2)
	v_and_b32_e32 v9, 0xffff, v9
.LBB50_206:                             ; =>This Inner Loop Header: Depth=1
	s_delay_alu instid0(VALU_DEP_2) | instskip(NEXT) | instid1(VALU_DEP_1)
	v_bfe_i32 v25, v8, 0, 8
	v_cvt_f32_i32_e32 v27, v25
	s_delay_alu instid0(VALU_DEP_3) | instskip(NEXT) | instid1(VALU_DEP_1)
	v_mov_b32_e32 v7, v9
	v_bfe_i32 v9, v7, 0, 8
	s_delay_alu instid0(VALU_DEP_1) | instskip(SKIP_1) | instid1(VALU_DEP_2)
	v_cvt_f32_i32_e32 v24, v9
	v_xor_b32_e32 v9, v25, v9
	v_rcp_iflag_f32_e32 v26, v24
	v_nop
	s_delay_alu instid0(TRANS32_DEP_1) | instskip(NEXT) | instid1(VALU_DEP_1)
	v_mul_f32_e32 v25, v27, v26
	v_trunc_f32_e32 v25, v25
	s_delay_alu instid0(VALU_DEP_1) | instskip(SKIP_1) | instid1(VALU_DEP_2)
	v_dual_fma_f32 v26, -v25, v24, v27 :: v_dual_ashrrev_i32 v9, 30, v9
	v_cvt_i32_f32_e32 v25, v25
	v_cmp_ge_f32_e64 s0, |v26|, |v24|
	s_delay_alu instid0(VALU_DEP_3) | instskip(NEXT) | instid1(VALU_DEP_1)
	v_or_b32_e32 v9, 1, v9
	v_cndmask_b32_e64 v9, 0, v9, s0
	s_delay_alu instid0(VALU_DEP_1) | instskip(NEXT) | instid1(VALU_DEP_1)
	v_add_nc_u32_e32 v9, v25, v9
	v_mul_lo_u32 v9, v9, v7
	s_delay_alu instid0(VALU_DEP_1) | instskip(NEXT) | instid1(VALU_DEP_1)
	v_sub_nc_u32_e32 v8, v8, v9
	v_bfe_i32 v9, v8, 0, 8
	v_mov_b32_e32 v8, v7
	s_delay_alu instid0(VALU_DEP_2) | instskip(SKIP_2) | instid1(SALU_CYCLE_1)
	v_cmp_eq_u16_e64 s0, 0, v9
	v_and_b32_e32 v9, 0xffff, v9
	s_or_b32 s7, s0, s7
	s_and_not1_b32 exec_lo, exec_lo, s7
	s_cbranch_execnz .LBB50_206
; %bb.207:
	s_or_b32 exec_lo, exec_lo, s7
.LBB50_208:
	s_delay_alu instid0(SALU_CYCLE_1) | instskip(NEXT) | instid1(VALU_DEP_1)
	s_or_b32 exec_lo, exec_lo, s6
	v_and_b32_e32 v9, 0xff, v7
	v_mov_b32_e32 v8, 0
	s_mov_b32 s6, exec_lo
	s_delay_alu instid0(VALU_DEP_2)
	v_cmpx_ne_u16_e32 0, v9
	s_cbranch_execz .LBB50_210
; %bb.209:
	v_bfe_i32 v7, v7, 0, 8
	v_cvt_f32_i32_e32 v24, v6
	s_delay_alu instid0(VALU_DEP_2) | instskip(SKIP_1) | instid1(VALU_DEP_2)
	v_cvt_f32_i32_e32 v8, v7
	v_xor_b32_e32 v6, v6, v7
	v_rcp_iflag_f32_e32 v9, v8
	v_nop
	s_delay_alu instid0(TRANS32_DEP_1) | instskip(NEXT) | instid1(VALU_DEP_1)
	v_mul_f32_e32 v9, v24, v9
	v_trunc_f32_e32 v7, v9
	s_delay_alu instid0(VALU_DEP_1) | instskip(NEXT) | instid1(VALU_DEP_1)
	v_dual_ashrrev_i32 v6, 30, v6 :: v_dual_fma_f32 v9, -v7, v8, v24
	v_or_b32_e32 v6, 1, v6
	v_cvt_i32_f32_e32 v7, v7
	s_delay_alu instid0(VALU_DEP_3) | instskip(NEXT) | instid1(VALU_DEP_1)
	v_cmp_ge_f32_e64 s0, |v9|, |v8|
	v_cndmask_b32_e64 v6, 0, v6, s0
	s_delay_alu instid0(VALU_DEP_1) | instskip(NEXT) | instid1(VALU_DEP_1)
	v_add_nc_u32_e32 v6, v7, v6
	v_bfe_i32 v6, v6, 0, 8
	s_delay_alu instid0(VALU_DEP_1) | instskip(NEXT) | instid1(VALU_DEP_1)
	v_mul_i32_i24_e32 v5, v6, v5
	v_sub_nc_u32_e32 v6, 0, v5
	s_delay_alu instid0(VALU_DEP_1)
	v_max_i32_e32 v8, v5, v6
.LBB50_210:
	s_or_b32 exec_lo, exec_lo, s6
	s_delay_alu instid0(VALU_DEP_1)
	v_perm_b32 v4, v4, v8, 0x7060004
.LBB50_211:
	s_or_b32 exec_lo, exec_lo, s3
	v_or_b32_e32 v5, 0xa00, v0
	s_mov_b32 s3, exec_lo
	s_delay_alu instid0(VALU_DEP_1)
	v_cmpx_gt_i32_e64 s1, v5
	s_cbranch_execz .LBB50_219
; %bb.212:
	v_bfe_i32 v5, v22, 0, 8
	v_and_b32_e32 v6, 0xff, v23
	s_mov_b32 s7, 0
	s_delay_alu instid0(VALU_DEP_2) | instskip(NEXT) | instid1(VALU_DEP_2)
	v_sub_nc_u16 v7, 0, v5
	v_cmp_ne_u16_e64 s0, 0, v6
	v_bfe_i32 v6, v23, 0, 8
	s_delay_alu instid0(VALU_DEP_3)
	v_max_i16 v7, v5, v7
	s_and_saveexec_b32 s6, s0
	s_cbranch_execz .LBB50_216
; %bb.213:
	s_delay_alu instid0(VALU_DEP_2) | instskip(NEXT) | instid1(VALU_DEP_1)
	v_sub_nc_u16 v8, 0, v6
	v_max_i16 v9, v6, v8
	v_and_b32_e32 v8, 0xff, v7
	s_delay_alu instid0(VALU_DEP_2)
	v_and_b32_e32 v9, 0xffff, v9
.LBB50_214:                             ; =>This Inner Loop Header: Depth=1
	s_delay_alu instid0(VALU_DEP_2) | instskip(NEXT) | instid1(VALU_DEP_2)
	v_bfe_i32 v23, v8, 0, 8
	v_mov_b32_e32 v7, v9
	s_delay_alu instid0(VALU_DEP_2) | instskip(NEXT) | instid1(VALU_DEP_2)
	v_cvt_f32_i32_e32 v25, v23
	v_bfe_i32 v9, v7, 0, 8
	s_delay_alu instid0(VALU_DEP_1) | instskip(SKIP_1) | instid1(VALU_DEP_2)
	v_cvt_f32_i32_e32 v22, v9
	v_xor_b32_e32 v9, v23, v9
	v_rcp_iflag_f32_e32 v24, v22
	v_nop
	s_delay_alu instid0(TRANS32_DEP_1) | instskip(NEXT) | instid1(VALU_DEP_1)
	v_dual_ashrrev_i32 v9, 30, v9 :: v_dual_mul_f32 v23, v25, v24
	v_trunc_f32_e32 v23, v23
	s_delay_alu instid0(VALU_DEP_1) | instskip(SKIP_1) | instid1(VALU_DEP_2)
	v_dual_fma_f32 v24, -v23, v22, v25 :: v_dual_bitop2_b32 v9, 1, v9 bitop3:0x54
	v_cvt_i32_f32_e32 v23, v23
	v_cmp_ge_f32_e64 s0, |v24|, |v22|
	s_delay_alu instid0(VALU_DEP_1) | instskip(NEXT) | instid1(VALU_DEP_1)
	v_cndmask_b32_e64 v9, 0, v9, s0
	v_add_nc_u32_e32 v9, v23, v9
	s_delay_alu instid0(VALU_DEP_1) | instskip(NEXT) | instid1(VALU_DEP_1)
	v_mul_lo_u32 v9, v9, v7
	v_sub_nc_u32_e32 v8, v8, v9
	s_delay_alu instid0(VALU_DEP_1) | instskip(SKIP_1) | instid1(VALU_DEP_2)
	v_bfe_i32 v9, v8, 0, 8
	v_mov_b32_e32 v8, v7
	v_cmp_eq_u16_e64 s0, 0, v9
	v_and_b32_e32 v9, 0xffff, v9
	s_or_b32 s7, s0, s7
	s_delay_alu instid0(SALU_CYCLE_1)
	s_and_not1_b32 exec_lo, exec_lo, s7
	s_cbranch_execnz .LBB50_214
; %bb.215:
	s_or_b32 exec_lo, exec_lo, s7
.LBB50_216:
	s_delay_alu instid0(SALU_CYCLE_1) | instskip(NEXT) | instid1(VALU_DEP_1)
	s_or_b32 exec_lo, exec_lo, s6
	v_and_b32_e32 v9, 0xff, v7
	v_mov_b32_e32 v8, 0
	s_mov_b32 s6, exec_lo
	s_delay_alu instid0(VALU_DEP_2)
	v_cmpx_ne_u16_e32 0, v9
	s_cbranch_execz .LBB50_218
; %bb.217:
	v_bfe_i32 v7, v7, 0, 8
	v_cvt_f32_i32_e32 v22, v6
	s_delay_alu instid0(VALU_DEP_2) | instskip(SKIP_1) | instid1(VALU_DEP_2)
	v_cvt_f32_i32_e32 v8, v7
	v_xor_b32_e32 v6, v6, v7
	v_rcp_iflag_f32_e32 v9, v8
	s_delay_alu instid0(VALU_DEP_1)
	v_ashrrev_i32_e32 v6, 30, v6
	s_delay_alu instid0(TRANS32_DEP_1) | instid1(VALU_DEP_1)
	v_dual_mul_f32 v9, v22, v9 :: v_dual_bitop2_b32 v6, 1, v6 bitop3:0x54
	s_delay_alu instid0(VALU_DEP_1) | instskip(NEXT) | instid1(VALU_DEP_1)
	v_trunc_f32_e32 v7, v9
	v_fma_f32 v9, -v7, v8, v22
	v_cvt_i32_f32_e32 v7, v7
	s_delay_alu instid0(VALU_DEP_2) | instskip(NEXT) | instid1(VALU_DEP_1)
	v_cmp_ge_f32_e64 s0, |v9|, |v8|
	v_cndmask_b32_e64 v6, 0, v6, s0
	s_delay_alu instid0(VALU_DEP_1) | instskip(NEXT) | instid1(VALU_DEP_1)
	v_add_nc_u32_e32 v6, v7, v6
	v_bfe_i32 v6, v6, 0, 8
	s_delay_alu instid0(VALU_DEP_1) | instskip(NEXT) | instid1(VALU_DEP_1)
	v_mul_i32_i24_e32 v5, v6, v5
	v_sub_nc_u32_e32 v6, 0, v5
	s_delay_alu instid0(VALU_DEP_1)
	v_max_i32_e32 v8, v5, v6
.LBB50_218:
	s_or_b32 exec_lo, exec_lo, s6
	s_delay_alu instid0(VALU_DEP_1)
	v_perm_b32 v4, v4, v8, 0x7000504
.LBB50_219:
	s_or_b32 exec_lo, exec_lo, s3
	v_or_b32_e32 v5, 0xb00, v0
	s_mov_b32 s3, exec_lo
	s_delay_alu instid0(VALU_DEP_1)
	v_cmpx_gt_i32_e64 s1, v5
	s_cbranch_execz .LBB50_227
; %bb.220:
	v_bfe_i32 v5, v20, 0, 8
	v_and_b32_e32 v6, 0xff, v21
	s_mov_b32 s7, 0
	s_delay_alu instid0(VALU_DEP_2) | instskip(NEXT) | instid1(VALU_DEP_2)
	v_sub_nc_u16 v7, 0, v5
	v_cmp_ne_u16_e64 s0, 0, v6
	v_bfe_i32 v6, v21, 0, 8
	s_delay_alu instid0(VALU_DEP_3)
	v_max_i16 v7, v5, v7
	s_and_saveexec_b32 s6, s0
	s_cbranch_execz .LBB50_224
; %bb.221:
	s_delay_alu instid0(VALU_DEP_2) | instskip(NEXT) | instid1(VALU_DEP_1)
	v_sub_nc_u16 v8, 0, v6
	v_max_i16 v9, v6, v8
	v_and_b32_e32 v8, 0xff, v7
	s_delay_alu instid0(VALU_DEP_2)
	v_and_b32_e32 v9, 0xffff, v9
.LBB50_222:                             ; =>This Inner Loop Header: Depth=1
	s_delay_alu instid0(VALU_DEP_2) | instskip(NEXT) | instid1(VALU_DEP_1)
	v_bfe_i32 v21, v8, 0, 8
	v_cvt_f32_i32_e32 v23, v21
	s_delay_alu instid0(VALU_DEP_3) | instskip(NEXT) | instid1(VALU_DEP_1)
	v_mov_b32_e32 v7, v9
	v_bfe_i32 v9, v7, 0, 8
	s_delay_alu instid0(VALU_DEP_1) | instskip(SKIP_1) | instid1(VALU_DEP_2)
	v_cvt_f32_i32_e32 v20, v9
	v_xor_b32_e32 v9, v21, v9
	v_rcp_iflag_f32_e32 v22, v20
	v_nop
	s_delay_alu instid0(TRANS32_DEP_1) | instskip(NEXT) | instid1(VALU_DEP_1)
	v_mul_f32_e32 v21, v23, v22
	v_trunc_f32_e32 v21, v21
	s_delay_alu instid0(VALU_DEP_1) | instskip(SKIP_1) | instid1(VALU_DEP_2)
	v_dual_fma_f32 v22, -v21, v20, v23 :: v_dual_ashrrev_i32 v9, 30, v9
	v_cvt_i32_f32_e32 v21, v21
	v_cmp_ge_f32_e64 s0, |v22|, |v20|
	s_delay_alu instid0(VALU_DEP_3) | instskip(NEXT) | instid1(VALU_DEP_1)
	v_or_b32_e32 v9, 1, v9
	v_cndmask_b32_e64 v9, 0, v9, s0
	s_delay_alu instid0(VALU_DEP_1) | instskip(NEXT) | instid1(VALU_DEP_1)
	v_add_nc_u32_e32 v9, v21, v9
	v_mul_lo_u32 v9, v9, v7
	s_delay_alu instid0(VALU_DEP_1) | instskip(NEXT) | instid1(VALU_DEP_1)
	v_sub_nc_u32_e32 v8, v8, v9
	v_bfe_i32 v9, v8, 0, 8
	v_mov_b32_e32 v8, v7
	s_delay_alu instid0(VALU_DEP_2) | instskip(SKIP_2) | instid1(SALU_CYCLE_1)
	v_cmp_eq_u16_e64 s0, 0, v9
	v_and_b32_e32 v9, 0xffff, v9
	s_or_b32 s7, s0, s7
	s_and_not1_b32 exec_lo, exec_lo, s7
	s_cbranch_execnz .LBB50_222
; %bb.223:
	s_or_b32 exec_lo, exec_lo, s7
.LBB50_224:
	s_delay_alu instid0(SALU_CYCLE_1) | instskip(NEXT) | instid1(VALU_DEP_1)
	s_or_b32 exec_lo, exec_lo, s6
	v_and_b32_e32 v9, 0xff, v7
	v_mov_b32_e32 v8, 0
	s_mov_b32 s6, exec_lo
	s_delay_alu instid0(VALU_DEP_2)
	v_cmpx_ne_u16_e32 0, v9
	s_cbranch_execz .LBB50_226
; %bb.225:
	v_bfe_i32 v7, v7, 0, 8
	v_cvt_f32_i32_e32 v20, v6
	s_delay_alu instid0(VALU_DEP_2) | instskip(SKIP_1) | instid1(VALU_DEP_2)
	v_cvt_f32_i32_e32 v8, v7
	v_xor_b32_e32 v6, v6, v7
	v_rcp_iflag_f32_e32 v9, v8
	v_nop
	s_delay_alu instid0(TRANS32_DEP_1) | instskip(NEXT) | instid1(VALU_DEP_1)
	v_mul_f32_e32 v9, v20, v9
	v_trunc_f32_e32 v7, v9
	s_delay_alu instid0(VALU_DEP_1) | instskip(NEXT) | instid1(VALU_DEP_1)
	v_dual_ashrrev_i32 v6, 30, v6 :: v_dual_fma_f32 v9, -v7, v8, v20
	v_or_b32_e32 v6, 1, v6
	v_cvt_i32_f32_e32 v7, v7
	s_delay_alu instid0(VALU_DEP_3) | instskip(NEXT) | instid1(VALU_DEP_1)
	v_cmp_ge_f32_e64 s0, |v9|, |v8|
	v_cndmask_b32_e64 v6, 0, v6, s0
	s_delay_alu instid0(VALU_DEP_1) | instskip(NEXT) | instid1(VALU_DEP_1)
	v_add_nc_u32_e32 v6, v7, v6
	v_bfe_i32 v6, v6, 0, 8
	s_delay_alu instid0(VALU_DEP_1) | instskip(NEXT) | instid1(VALU_DEP_1)
	v_mul_i32_i24_e32 v5, v6, v5
	v_sub_nc_u32_e32 v6, 0, v5
	s_delay_alu instid0(VALU_DEP_1)
	v_max_i32_e32 v8, v5, v6
.LBB50_226:
	s_or_b32 exec_lo, exec_lo, s6
	s_delay_alu instid0(VALU_DEP_1)
	v_perm_b32 v4, v4, v8, 0x60504
.LBB50_227:
	s_or_b32 exec_lo, exec_lo, s3
	v_or_b32_e32 v5, 0xc00, v0
	s_mov_b32 s3, exec_lo
	s_delay_alu instid0(VALU_DEP_1)
	v_cmpx_gt_i32_e64 s1, v5
	s_cbranch_execz .LBB50_235
; %bb.228:
	v_bfe_i32 v5, v18, 0, 8
	v_and_b32_e32 v6, 0xff, v19
	s_mov_b32 s7, 0
	s_delay_alu instid0(VALU_DEP_2) | instskip(NEXT) | instid1(VALU_DEP_2)
	v_sub_nc_u16 v7, 0, v5
	v_cmp_ne_u16_e64 s0, 0, v6
	v_bfe_i32 v6, v19, 0, 8
	s_delay_alu instid0(VALU_DEP_3)
	v_max_i16 v7, v5, v7
	s_and_saveexec_b32 s6, s0
	s_cbranch_execz .LBB50_232
; %bb.229:
	s_delay_alu instid0(VALU_DEP_2) | instskip(NEXT) | instid1(VALU_DEP_1)
	v_sub_nc_u16 v8, 0, v6
	v_max_i16 v9, v6, v8
	v_and_b32_e32 v8, 0xff, v7
	s_delay_alu instid0(VALU_DEP_2)
	v_and_b32_e32 v9, 0xffff, v9
.LBB50_230:                             ; =>This Inner Loop Header: Depth=1
	s_delay_alu instid0(VALU_DEP_2) | instskip(NEXT) | instid1(VALU_DEP_2)
	v_bfe_i32 v19, v8, 0, 8
	v_mov_b32_e32 v7, v9
	s_delay_alu instid0(VALU_DEP_2) | instskip(NEXT) | instid1(VALU_DEP_2)
	v_cvt_f32_i32_e32 v21, v19
	v_bfe_i32 v9, v7, 0, 8
	s_delay_alu instid0(VALU_DEP_1) | instskip(SKIP_1) | instid1(VALU_DEP_2)
	v_cvt_f32_i32_e32 v18, v9
	v_xor_b32_e32 v9, v19, v9
	v_rcp_iflag_f32_e32 v20, v18
	v_nop
	s_delay_alu instid0(TRANS32_DEP_1) | instskip(NEXT) | instid1(VALU_DEP_1)
	v_dual_ashrrev_i32 v9, 30, v9 :: v_dual_mul_f32 v19, v21, v20
	v_trunc_f32_e32 v19, v19
	s_delay_alu instid0(VALU_DEP_1) | instskip(SKIP_1) | instid1(VALU_DEP_2)
	v_dual_fma_f32 v20, -v19, v18, v21 :: v_dual_bitop2_b32 v9, 1, v9 bitop3:0x54
	v_cvt_i32_f32_e32 v19, v19
	v_cmp_ge_f32_e64 s0, |v20|, |v18|
	s_delay_alu instid0(VALU_DEP_1) | instskip(NEXT) | instid1(VALU_DEP_1)
	v_cndmask_b32_e64 v9, 0, v9, s0
	v_add_nc_u32_e32 v9, v19, v9
	s_delay_alu instid0(VALU_DEP_1) | instskip(NEXT) | instid1(VALU_DEP_1)
	v_mul_lo_u32 v9, v9, v7
	v_sub_nc_u32_e32 v8, v8, v9
	s_delay_alu instid0(VALU_DEP_1) | instskip(SKIP_1) | instid1(VALU_DEP_2)
	v_bfe_i32 v9, v8, 0, 8
	v_mov_b32_e32 v8, v7
	v_cmp_eq_u16_e64 s0, 0, v9
	v_and_b32_e32 v9, 0xffff, v9
	s_or_b32 s7, s0, s7
	s_delay_alu instid0(SALU_CYCLE_1)
	s_and_not1_b32 exec_lo, exec_lo, s7
	s_cbranch_execnz .LBB50_230
; %bb.231:
	s_or_b32 exec_lo, exec_lo, s7
.LBB50_232:
	s_delay_alu instid0(SALU_CYCLE_1) | instskip(NEXT) | instid1(VALU_DEP_1)
	s_or_b32 exec_lo, exec_lo, s6
	v_and_b32_e32 v9, 0xff, v7
	v_mov_b32_e32 v8, 0
	s_mov_b32 s6, exec_lo
	s_delay_alu instid0(VALU_DEP_2)
	v_cmpx_ne_u16_e32 0, v9
	s_cbranch_execz .LBB50_234
; %bb.233:
	v_bfe_i32 v7, v7, 0, 8
	v_cvt_f32_i32_e32 v18, v6
	s_delay_alu instid0(VALU_DEP_2) | instskip(SKIP_1) | instid1(VALU_DEP_2)
	v_cvt_f32_i32_e32 v8, v7
	v_xor_b32_e32 v6, v6, v7
	v_rcp_iflag_f32_e32 v9, v8
	s_delay_alu instid0(VALU_DEP_1)
	v_ashrrev_i32_e32 v6, 30, v6
	s_delay_alu instid0(TRANS32_DEP_1) | instid1(VALU_DEP_1)
	v_dual_mul_f32 v9, v18, v9 :: v_dual_bitop2_b32 v6, 1, v6 bitop3:0x54
	s_delay_alu instid0(VALU_DEP_1) | instskip(NEXT) | instid1(VALU_DEP_1)
	v_trunc_f32_e32 v7, v9
	v_fma_f32 v9, -v7, v8, v18
	v_cvt_i32_f32_e32 v7, v7
	s_delay_alu instid0(VALU_DEP_2) | instskip(NEXT) | instid1(VALU_DEP_1)
	v_cmp_ge_f32_e64 s0, |v9|, |v8|
	v_cndmask_b32_e64 v6, 0, v6, s0
	s_delay_alu instid0(VALU_DEP_1) | instskip(NEXT) | instid1(VALU_DEP_1)
	v_add_nc_u32_e32 v6, v7, v6
	v_bfe_i32 v6, v6, 0, 8
	s_delay_alu instid0(VALU_DEP_1) | instskip(NEXT) | instid1(VALU_DEP_1)
	v_mul_i32_i24_e32 v5, v6, v5
	v_sub_nc_u32_e32 v6, 0, v5
	s_delay_alu instid0(VALU_DEP_1)
	v_max_i32_e32 v8, v5, v6
.LBB50_234:
	s_or_b32 exec_lo, exec_lo, s6
	s_delay_alu instid0(VALU_DEP_1)
	v_perm_b32 v3, v8, v3, 0x3020104
.LBB50_235:
	s_or_b32 exec_lo, exec_lo, s3
	v_or_b32_e32 v5, 0xd00, v0
	s_mov_b32 s3, exec_lo
	s_delay_alu instid0(VALU_DEP_1)
	v_cmpx_gt_i32_e64 s1, v5
	s_cbranch_execz .LBB50_243
; %bb.236:
	v_bfe_i32 v5, v16, 0, 8
	v_and_b32_e32 v6, 0xff, v17
	s_mov_b32 s7, 0
	s_delay_alu instid0(VALU_DEP_2) | instskip(NEXT) | instid1(VALU_DEP_2)
	v_sub_nc_u16 v7, 0, v5
	v_cmp_ne_u16_e64 s0, 0, v6
	v_bfe_i32 v6, v17, 0, 8
	s_delay_alu instid0(VALU_DEP_3)
	v_max_i16 v7, v5, v7
	s_and_saveexec_b32 s6, s0
	s_cbranch_execz .LBB50_240
; %bb.237:
	s_delay_alu instid0(VALU_DEP_2) | instskip(NEXT) | instid1(VALU_DEP_1)
	v_sub_nc_u16 v8, 0, v6
	v_max_i16 v9, v6, v8
	v_and_b32_e32 v8, 0xff, v7
	s_delay_alu instid0(VALU_DEP_2)
	v_and_b32_e32 v9, 0xffff, v9
.LBB50_238:                             ; =>This Inner Loop Header: Depth=1
	s_delay_alu instid0(VALU_DEP_2) | instskip(NEXT) | instid1(VALU_DEP_1)
	v_bfe_i32 v17, v8, 0, 8
	v_cvt_f32_i32_e32 v19, v17
	s_delay_alu instid0(VALU_DEP_3) | instskip(NEXT) | instid1(VALU_DEP_1)
	v_mov_b32_e32 v7, v9
	v_bfe_i32 v9, v7, 0, 8
	s_delay_alu instid0(VALU_DEP_1) | instskip(SKIP_1) | instid1(VALU_DEP_2)
	v_cvt_f32_i32_e32 v16, v9
	v_xor_b32_e32 v9, v17, v9
	v_rcp_iflag_f32_e32 v18, v16
	v_nop
	s_delay_alu instid0(TRANS32_DEP_1) | instskip(NEXT) | instid1(VALU_DEP_1)
	v_mul_f32_e32 v17, v19, v18
	v_trunc_f32_e32 v17, v17
	s_delay_alu instid0(VALU_DEP_1) | instskip(SKIP_1) | instid1(VALU_DEP_2)
	v_dual_fma_f32 v18, -v17, v16, v19 :: v_dual_ashrrev_i32 v9, 30, v9
	v_cvt_i32_f32_e32 v17, v17
	v_cmp_ge_f32_e64 s0, |v18|, |v16|
	s_delay_alu instid0(VALU_DEP_3) | instskip(NEXT) | instid1(VALU_DEP_1)
	v_or_b32_e32 v9, 1, v9
	v_cndmask_b32_e64 v9, 0, v9, s0
	s_delay_alu instid0(VALU_DEP_1) | instskip(NEXT) | instid1(VALU_DEP_1)
	v_add_nc_u32_e32 v9, v17, v9
	v_mul_lo_u32 v9, v9, v7
	s_delay_alu instid0(VALU_DEP_1) | instskip(NEXT) | instid1(VALU_DEP_1)
	v_sub_nc_u32_e32 v8, v8, v9
	v_bfe_i32 v9, v8, 0, 8
	v_mov_b32_e32 v8, v7
	s_delay_alu instid0(VALU_DEP_2) | instskip(SKIP_2) | instid1(SALU_CYCLE_1)
	v_cmp_eq_u16_e64 s0, 0, v9
	v_and_b32_e32 v9, 0xffff, v9
	s_or_b32 s7, s0, s7
	s_and_not1_b32 exec_lo, exec_lo, s7
	s_cbranch_execnz .LBB50_238
; %bb.239:
	s_or_b32 exec_lo, exec_lo, s7
.LBB50_240:
	s_delay_alu instid0(SALU_CYCLE_1) | instskip(NEXT) | instid1(VALU_DEP_1)
	s_or_b32 exec_lo, exec_lo, s6
	v_and_b32_e32 v9, 0xff, v7
	v_mov_b32_e32 v8, 0
	s_mov_b32 s6, exec_lo
	s_delay_alu instid0(VALU_DEP_2)
	v_cmpx_ne_u16_e32 0, v9
	s_cbranch_execz .LBB50_242
; %bb.241:
	v_bfe_i32 v7, v7, 0, 8
	v_cvt_f32_i32_e32 v16, v6
	s_delay_alu instid0(VALU_DEP_2) | instskip(SKIP_1) | instid1(VALU_DEP_2)
	v_cvt_f32_i32_e32 v8, v7
	v_xor_b32_e32 v6, v6, v7
	v_rcp_iflag_f32_e32 v9, v8
	v_nop
	s_delay_alu instid0(TRANS32_DEP_1) | instskip(NEXT) | instid1(VALU_DEP_1)
	v_mul_f32_e32 v9, v16, v9
	v_trunc_f32_e32 v7, v9
	s_delay_alu instid0(VALU_DEP_1) | instskip(NEXT) | instid1(VALU_DEP_1)
	v_dual_ashrrev_i32 v6, 30, v6 :: v_dual_fma_f32 v9, -v7, v8, v16
	v_or_b32_e32 v6, 1, v6
	v_cvt_i32_f32_e32 v7, v7
	s_delay_alu instid0(VALU_DEP_3) | instskip(NEXT) | instid1(VALU_DEP_1)
	v_cmp_ge_f32_e64 s0, |v9|, |v8|
	v_cndmask_b32_e64 v6, 0, v6, s0
	s_delay_alu instid0(VALU_DEP_1) | instskip(NEXT) | instid1(VALU_DEP_1)
	v_add_nc_u32_e32 v6, v7, v6
	v_bfe_i32 v6, v6, 0, 8
	s_delay_alu instid0(VALU_DEP_1) | instskip(NEXT) | instid1(VALU_DEP_1)
	v_mul_i32_i24_e32 v5, v6, v5
	v_sub_nc_u32_e32 v6, 0, v5
	s_delay_alu instid0(VALU_DEP_1)
	v_max_i32_e32 v8, v5, v6
.LBB50_242:
	s_or_b32 exec_lo, exec_lo, s6
	s_delay_alu instid0(VALU_DEP_1)
	v_perm_b32 v3, v3, v8, 0x7060004
.LBB50_243:
	s_or_b32 exec_lo, exec_lo, s3
	v_or_b32_e32 v5, 0xe00, v0
	s_mov_b32 s3, exec_lo
	s_delay_alu instid0(VALU_DEP_1)
	v_cmpx_gt_i32_e64 s1, v5
	s_cbranch_execz .LBB50_251
; %bb.244:
	v_bfe_i32 v5, v14, 0, 8
	v_and_b32_e32 v6, 0xff, v15
	s_mov_b32 s7, 0
	s_delay_alu instid0(VALU_DEP_2) | instskip(NEXT) | instid1(VALU_DEP_2)
	v_sub_nc_u16 v7, 0, v5
	v_cmp_ne_u16_e64 s0, 0, v6
	v_bfe_i32 v6, v15, 0, 8
	s_delay_alu instid0(VALU_DEP_3)
	v_max_i16 v7, v5, v7
	s_and_saveexec_b32 s6, s0
	s_cbranch_execz .LBB50_248
; %bb.245:
	s_delay_alu instid0(VALU_DEP_2) | instskip(NEXT) | instid1(VALU_DEP_1)
	v_sub_nc_u16 v8, 0, v6
	v_max_i16 v9, v6, v8
	v_and_b32_e32 v8, 0xff, v7
	s_delay_alu instid0(VALU_DEP_2)
	v_and_b32_e32 v9, 0xffff, v9
.LBB50_246:                             ; =>This Inner Loop Header: Depth=1
	s_delay_alu instid0(VALU_DEP_2) | instskip(NEXT) | instid1(VALU_DEP_2)
	v_bfe_i32 v15, v8, 0, 8
	v_mov_b32_e32 v7, v9
	s_delay_alu instid0(VALU_DEP_2) | instskip(NEXT) | instid1(VALU_DEP_2)
	v_cvt_f32_i32_e32 v17, v15
	v_bfe_i32 v9, v7, 0, 8
	s_delay_alu instid0(VALU_DEP_1) | instskip(SKIP_1) | instid1(VALU_DEP_2)
	v_cvt_f32_i32_e32 v14, v9
	v_xor_b32_e32 v9, v15, v9
	v_rcp_iflag_f32_e32 v16, v14
	v_nop
	s_delay_alu instid0(TRANS32_DEP_1) | instskip(NEXT) | instid1(VALU_DEP_1)
	v_dual_ashrrev_i32 v9, 30, v9 :: v_dual_mul_f32 v15, v17, v16
	v_trunc_f32_e32 v15, v15
	s_delay_alu instid0(VALU_DEP_1) | instskip(SKIP_1) | instid1(VALU_DEP_2)
	v_dual_fma_f32 v16, -v15, v14, v17 :: v_dual_bitop2_b32 v9, 1, v9 bitop3:0x54
	v_cvt_i32_f32_e32 v15, v15
	v_cmp_ge_f32_e64 s0, |v16|, |v14|
	s_delay_alu instid0(VALU_DEP_1) | instskip(NEXT) | instid1(VALU_DEP_1)
	v_cndmask_b32_e64 v9, 0, v9, s0
	v_add_nc_u32_e32 v9, v15, v9
	s_delay_alu instid0(VALU_DEP_1) | instskip(NEXT) | instid1(VALU_DEP_1)
	v_mul_lo_u32 v9, v9, v7
	v_sub_nc_u32_e32 v8, v8, v9
	s_delay_alu instid0(VALU_DEP_1) | instskip(SKIP_1) | instid1(VALU_DEP_2)
	v_bfe_i32 v9, v8, 0, 8
	v_mov_b32_e32 v8, v7
	v_cmp_eq_u16_e64 s0, 0, v9
	v_and_b32_e32 v9, 0xffff, v9
	s_or_b32 s7, s0, s7
	s_delay_alu instid0(SALU_CYCLE_1)
	s_and_not1_b32 exec_lo, exec_lo, s7
	s_cbranch_execnz .LBB50_246
; %bb.247:
	s_or_b32 exec_lo, exec_lo, s7
.LBB50_248:
	s_delay_alu instid0(SALU_CYCLE_1) | instskip(NEXT) | instid1(VALU_DEP_1)
	s_or_b32 exec_lo, exec_lo, s6
	v_and_b32_e32 v9, 0xff, v7
	v_mov_b32_e32 v8, 0
	s_mov_b32 s6, exec_lo
	s_delay_alu instid0(VALU_DEP_2)
	v_cmpx_ne_u16_e32 0, v9
	s_cbranch_execz .LBB50_250
; %bb.249:
	v_bfe_i32 v7, v7, 0, 8
	v_cvt_f32_i32_e32 v14, v6
	s_delay_alu instid0(VALU_DEP_2) | instskip(SKIP_1) | instid1(VALU_DEP_2)
	v_cvt_f32_i32_e32 v8, v7
	v_xor_b32_e32 v6, v6, v7
	v_rcp_iflag_f32_e32 v9, v8
	s_delay_alu instid0(VALU_DEP_1)
	v_ashrrev_i32_e32 v6, 30, v6
	s_delay_alu instid0(TRANS32_DEP_1) | instid1(VALU_DEP_1)
	v_dual_mul_f32 v9, v14, v9 :: v_dual_bitop2_b32 v6, 1, v6 bitop3:0x54
	s_delay_alu instid0(VALU_DEP_1) | instskip(NEXT) | instid1(VALU_DEP_1)
	v_trunc_f32_e32 v7, v9
	v_fma_f32 v9, -v7, v8, v14
	v_cvt_i32_f32_e32 v7, v7
	s_delay_alu instid0(VALU_DEP_2) | instskip(NEXT) | instid1(VALU_DEP_1)
	v_cmp_ge_f32_e64 s0, |v9|, |v8|
	v_cndmask_b32_e64 v6, 0, v6, s0
	s_delay_alu instid0(VALU_DEP_1) | instskip(NEXT) | instid1(VALU_DEP_1)
	v_add_nc_u32_e32 v6, v7, v6
	v_bfe_i32 v6, v6, 0, 8
	s_delay_alu instid0(VALU_DEP_1) | instskip(NEXT) | instid1(VALU_DEP_1)
	v_mul_i32_i24_e32 v5, v6, v5
	v_sub_nc_u32_e32 v6, 0, v5
	s_delay_alu instid0(VALU_DEP_1)
	v_max_i32_e32 v8, v5, v6
.LBB50_250:
	s_or_b32 exec_lo, exec_lo, s6
	s_delay_alu instid0(VALU_DEP_1)
	v_perm_b32 v3, v3, v8, 0x7000504
.LBB50_251:
	s_or_b32 exec_lo, exec_lo, s3
	v_or_b32_e32 v5, 0xf00, v0
	s_mov_b32 s3, exec_lo
	s_delay_alu instid0(VALU_DEP_1)
	v_cmpx_gt_i32_e64 s1, v5
	s_cbranch_execnz .LBB50_270
; %bb.252:
	s_or_b32 exec_lo, exec_lo, s3
	s_and_saveexec_b32 s0, vcc_lo
	s_delay_alu instid0(SALU_CYCLE_1)
	s_xor_b32 s0, exec_lo, s0
	s_cbranch_execnz .LBB50_277
.LBB50_253:
	s_or_b32 exec_lo, exec_lo, s0
	s_delay_alu instid0(SALU_CYCLE_1)
	s_mov_b32 s0, exec_lo
	v_cmpx_gt_i32_e64 s1, v0
	s_cbranch_execnz .LBB50_278
.LBB50_254:
	s_or_b32 exec_lo, exec_lo, s0
	s_delay_alu instid0(SALU_CYCLE_1)
	s_mov_b32 s0, exec_lo
	v_cmpx_gt_i32_e64 s1, v0
	s_cbranch_execnz .LBB50_279
.LBB50_255:
	s_or_b32 exec_lo, exec_lo, s0
	s_delay_alu instid0(SALU_CYCLE_1)
	s_mov_b32 s0, exec_lo
	v_cmpx_gt_i32_e64 s1, v0
	s_cbranch_execnz .LBB50_280
.LBB50_256:
	s_or_b32 exec_lo, exec_lo, s0
	s_delay_alu instid0(SALU_CYCLE_1)
	s_mov_b32 s0, exec_lo
	v_cmpx_gt_i32_e64 s1, v0
	s_cbranch_execnz .LBB50_281
.LBB50_257:
	s_or_b32 exec_lo, exec_lo, s0
	s_delay_alu instid0(SALU_CYCLE_1)
	s_mov_b32 s0, exec_lo
	v_cmpx_gt_i32_e64 s1, v0
	s_cbranch_execnz .LBB50_282
.LBB50_258:
	s_or_b32 exec_lo, exec_lo, s0
	s_delay_alu instid0(SALU_CYCLE_1)
	s_mov_b32 s0, exec_lo
	v_cmpx_gt_i32_e64 s1, v0
	s_cbranch_execnz .LBB50_283
.LBB50_259:
	s_or_b32 exec_lo, exec_lo, s0
	s_delay_alu instid0(SALU_CYCLE_1)
	s_mov_b32 s0, exec_lo
	v_cmpx_gt_i32_e64 s1, v0
	s_cbranch_execnz .LBB50_284
.LBB50_260:
	s_or_b32 exec_lo, exec_lo, s0
	s_delay_alu instid0(SALU_CYCLE_1)
	s_mov_b32 s0, exec_lo
	v_cmpx_gt_i32_e64 s1, v0
	s_cbranch_execnz .LBB50_285
.LBB50_261:
	s_or_b32 exec_lo, exec_lo, s0
	s_delay_alu instid0(SALU_CYCLE_1)
	s_mov_b32 s0, exec_lo
	v_cmpx_gt_i32_e64 s1, v0
	s_cbranch_execnz .LBB50_286
.LBB50_262:
	s_or_b32 exec_lo, exec_lo, s0
	s_delay_alu instid0(SALU_CYCLE_1)
	s_mov_b32 s0, exec_lo
	v_cmpx_gt_i32_e64 s1, v0
	s_cbranch_execnz .LBB50_287
.LBB50_263:
	s_or_b32 exec_lo, exec_lo, s0
	s_delay_alu instid0(SALU_CYCLE_1)
	s_mov_b32 s0, exec_lo
	v_cmpx_gt_i32_e64 s1, v0
	s_cbranch_execnz .LBB50_288
.LBB50_264:
	s_or_b32 exec_lo, exec_lo, s0
	s_delay_alu instid0(SALU_CYCLE_1)
	s_mov_b32 s0, exec_lo
	v_cmpx_gt_i32_e64 s1, v0
	s_cbranch_execnz .LBB50_289
.LBB50_265:
	s_or_b32 exec_lo, exec_lo, s0
	s_delay_alu instid0(SALU_CYCLE_1)
	s_mov_b32 s0, exec_lo
	v_cmpx_gt_i32_e64 s1, v0
	s_cbranch_execnz .LBB50_290
.LBB50_266:
	s_or_b32 exec_lo, exec_lo, s0
	s_delay_alu instid0(SALU_CYCLE_1)
	s_mov_b32 s0, exec_lo
	v_cmpx_gt_i32_e64 s1, v0
	s_cbranch_execnz .LBB50_291
.LBB50_267:
	s_or_b32 exec_lo, exec_lo, s0
	s_delay_alu instid0(SALU_CYCLE_1)
	s_mov_b32 s0, exec_lo
	v_cmpx_gt_i32_e64 s1, v0
	s_cbranch_execz .LBB50_269
.LBB50_268:
	v_dual_lshrrev_b32 v1, 24, v3 :: v_dual_add_nc_u32 v0, s2, v0
	global_store_b8 v0, v1, s[4:5]
.LBB50_269:
	s_endpgm
.LBB50_270:
	v_bfe_i32 v5, v12, 0, 8
	v_and_b32_e32 v6, 0xff, v13
	s_mov_b32 s7, 0
	s_delay_alu instid0(VALU_DEP_2) | instskip(NEXT) | instid1(VALU_DEP_2)
	v_sub_nc_u16 v7, 0, v5
	v_cmp_ne_u16_e64 s0, 0, v6
	v_bfe_i32 v6, v13, 0, 8
	s_delay_alu instid0(VALU_DEP_3)
	v_max_i16 v7, v5, v7
	s_and_saveexec_b32 s6, s0
	s_cbranch_execz .LBB50_274
; %bb.271:
	s_delay_alu instid0(VALU_DEP_2) | instskip(NEXT) | instid1(VALU_DEP_1)
	v_sub_nc_u16 v8, 0, v6
	v_max_i16 v9, v6, v8
	v_and_b32_e32 v8, 0xff, v7
	s_delay_alu instid0(VALU_DEP_2)
	v_and_b32_e32 v9, 0xffff, v9
.LBB50_272:                             ; =>This Inner Loop Header: Depth=1
	s_delay_alu instid0(VALU_DEP_2) | instskip(NEXT) | instid1(VALU_DEP_1)
	v_bfe_i32 v13, v8, 0, 8
	v_cvt_f32_i32_e32 v15, v13
	s_delay_alu instid0(VALU_DEP_3) | instskip(NEXT) | instid1(VALU_DEP_1)
	v_mov_b32_e32 v7, v9
	v_bfe_i32 v9, v7, 0, 8
	s_delay_alu instid0(VALU_DEP_1) | instskip(SKIP_1) | instid1(VALU_DEP_2)
	v_cvt_f32_i32_e32 v12, v9
	v_xor_b32_e32 v9, v13, v9
	v_rcp_iflag_f32_e32 v14, v12
	v_nop
	s_delay_alu instid0(TRANS32_DEP_1) | instskip(NEXT) | instid1(VALU_DEP_1)
	v_mul_f32_e32 v13, v15, v14
	v_trunc_f32_e32 v13, v13
	s_delay_alu instid0(VALU_DEP_1) | instskip(SKIP_1) | instid1(VALU_DEP_2)
	v_dual_fma_f32 v14, -v13, v12, v15 :: v_dual_ashrrev_i32 v9, 30, v9
	v_cvt_i32_f32_e32 v13, v13
	v_cmp_ge_f32_e64 s0, |v14|, |v12|
	s_delay_alu instid0(VALU_DEP_3) | instskip(NEXT) | instid1(VALU_DEP_1)
	v_or_b32_e32 v9, 1, v9
	v_cndmask_b32_e64 v9, 0, v9, s0
	s_delay_alu instid0(VALU_DEP_1) | instskip(NEXT) | instid1(VALU_DEP_1)
	v_add_nc_u32_e32 v9, v13, v9
	v_mul_lo_u32 v9, v9, v7
	s_delay_alu instid0(VALU_DEP_1) | instskip(NEXT) | instid1(VALU_DEP_1)
	v_sub_nc_u32_e32 v8, v8, v9
	v_bfe_i32 v9, v8, 0, 8
	v_mov_b32_e32 v8, v7
	s_delay_alu instid0(VALU_DEP_2) | instskip(SKIP_2) | instid1(SALU_CYCLE_1)
	v_cmp_eq_u16_e64 s0, 0, v9
	v_and_b32_e32 v9, 0xffff, v9
	s_or_b32 s7, s0, s7
	s_and_not1_b32 exec_lo, exec_lo, s7
	s_cbranch_execnz .LBB50_272
; %bb.273:
	s_or_b32 exec_lo, exec_lo, s7
.LBB50_274:
	s_delay_alu instid0(SALU_CYCLE_1) | instskip(NEXT) | instid1(VALU_DEP_1)
	s_or_b32 exec_lo, exec_lo, s6
	v_and_b32_e32 v9, 0xff, v7
	v_mov_b32_e32 v8, 0
	s_mov_b32 s6, exec_lo
	s_delay_alu instid0(VALU_DEP_2)
	v_cmpx_ne_u16_e32 0, v9
	s_cbranch_execz .LBB50_276
; %bb.275:
	v_bfe_i32 v7, v7, 0, 8
	v_cvt_f32_i32_e32 v12, v6
	s_delay_alu instid0(VALU_DEP_2) | instskip(SKIP_1) | instid1(VALU_DEP_2)
	v_cvt_f32_i32_e32 v8, v7
	v_xor_b32_e32 v6, v6, v7
	v_rcp_iflag_f32_e32 v9, v8
	v_nop
	s_delay_alu instid0(TRANS32_DEP_1) | instskip(NEXT) | instid1(VALU_DEP_1)
	v_mul_f32_e32 v9, v12, v9
	v_trunc_f32_e32 v7, v9
	s_delay_alu instid0(VALU_DEP_1) | instskip(NEXT) | instid1(VALU_DEP_1)
	v_dual_ashrrev_i32 v6, 30, v6 :: v_dual_fma_f32 v9, -v7, v8, v12
	v_or_b32_e32 v6, 1, v6
	v_cvt_i32_f32_e32 v7, v7
	s_delay_alu instid0(VALU_DEP_3) | instskip(NEXT) | instid1(VALU_DEP_1)
	v_cmp_ge_f32_e64 s0, |v9|, |v8|
	v_cndmask_b32_e64 v6, 0, v6, s0
	s_delay_alu instid0(VALU_DEP_1) | instskip(NEXT) | instid1(VALU_DEP_1)
	v_add_nc_u32_e32 v6, v7, v6
	v_bfe_i32 v6, v6, 0, 8
	s_delay_alu instid0(VALU_DEP_1) | instskip(NEXT) | instid1(VALU_DEP_1)
	v_mul_i32_i24_e32 v5, v6, v5
	v_sub_nc_u32_e32 v6, 0, v5
	s_delay_alu instid0(VALU_DEP_1)
	v_max_i32_e32 v8, v5, v6
.LBB50_276:
	s_or_b32 exec_lo, exec_lo, s6
	s_delay_alu instid0(VALU_DEP_1) | instskip(SKIP_2) | instid1(SALU_CYCLE_1)
	v_perm_b32 v3, v3, v8, 0x60504
	s_or_b32 exec_lo, exec_lo, s3
	s_and_saveexec_b32 s0, vcc_lo
	s_xor_b32 s0, exec_lo, s0
	s_cbranch_execz .LBB50_253
.LBB50_277:
	v_mov_b32_e32 v0, v11
	global_store_b8 v10, v2, s[4:5]
	s_wait_xcnt 0x0
	s_or_b32 exec_lo, exec_lo, s0
	s_delay_alu instid0(SALU_CYCLE_1)
	s_mov_b32 s0, exec_lo
	v_cmpx_gt_i32_e64 s1, v0
	s_cbranch_execz .LBB50_254
.LBB50_278:
	v_dual_lshrrev_b32 v5, 8, v2 :: v_dual_add_nc_u32 v6, s2, v0
	v_add_nc_u32_e32 v0, 0x100, v0
	global_store_b8 v6, v5, s[4:5]
	s_wait_xcnt 0x0
	s_or_b32 exec_lo, exec_lo, s0
	s_delay_alu instid0(SALU_CYCLE_1)
	s_mov_b32 s0, exec_lo
	v_cmpx_gt_i32_e64 s1, v0
	s_cbranch_execz .LBB50_255
.LBB50_279:
	v_add_nc_u32_e32 v5, s2, v0
	v_add_nc_u32_e32 v0, 0x100, v0
	global_store_d16_hi_b8 v5, v2, s[4:5]
	s_wait_xcnt 0x0
	s_or_b32 exec_lo, exec_lo, s0
	s_delay_alu instid0(SALU_CYCLE_1)
	s_mov_b32 s0, exec_lo
	v_cmpx_gt_i32_e64 s1, v0
	s_cbranch_execz .LBB50_256
.LBB50_280:
	v_dual_lshrrev_b32 v2, 24, v2 :: v_dual_add_nc_u32 v5, s2, v0
	v_add_nc_u32_e32 v0, 0x100, v0
	global_store_b8 v5, v2, s[4:5]
	s_wait_xcnt 0x0
	s_or_b32 exec_lo, exec_lo, s0
	s_delay_alu instid0(SALU_CYCLE_1)
	s_mov_b32 s0, exec_lo
	v_cmpx_gt_i32_e64 s1, v0
	s_cbranch_execz .LBB50_257
.LBB50_281:
	v_add_nc_u32_e32 v2, s2, v0
	v_add_nc_u32_e32 v0, 0x100, v0
	global_store_b8 v2, v1, s[4:5]
	s_wait_xcnt 0x0
	s_or_b32 exec_lo, exec_lo, s0
	s_delay_alu instid0(SALU_CYCLE_1)
	s_mov_b32 s0, exec_lo
	v_cmpx_gt_i32_e64 s1, v0
	s_cbranch_execz .LBB50_258
.LBB50_282:
	v_dual_lshrrev_b32 v2, 8, v1 :: v_dual_add_nc_u32 v5, s2, v0
	v_add_nc_u32_e32 v0, 0x100, v0
	global_store_b8 v5, v2, s[4:5]
	s_wait_xcnt 0x0
	s_or_b32 exec_lo, exec_lo, s0
	s_delay_alu instid0(SALU_CYCLE_1)
	s_mov_b32 s0, exec_lo
	v_cmpx_gt_i32_e64 s1, v0
	s_cbranch_execz .LBB50_259
.LBB50_283:
	v_add_nc_u32_e32 v2, s2, v0
	v_add_nc_u32_e32 v0, 0x100, v0
	global_store_d16_hi_b8 v2, v1, s[4:5]
	s_wait_xcnt 0x0
	s_or_b32 exec_lo, exec_lo, s0
	s_delay_alu instid0(SALU_CYCLE_1)
	s_mov_b32 s0, exec_lo
	v_cmpx_gt_i32_e64 s1, v0
	s_cbranch_execz .LBB50_260
.LBB50_284:
	v_dual_lshrrev_b32 v1, 24, v1 :: v_dual_add_nc_u32 v2, s2, v0
	v_add_nc_u32_e32 v0, 0x100, v0
	global_store_b8 v2, v1, s[4:5]
	s_wait_xcnt 0x0
	s_or_b32 exec_lo, exec_lo, s0
	s_delay_alu instid0(SALU_CYCLE_1)
	s_mov_b32 s0, exec_lo
	v_cmpx_gt_i32_e64 s1, v0
	s_cbranch_execz .LBB50_261
.LBB50_285:
	v_add_nc_u32_e32 v1, s2, v0
	v_add_nc_u32_e32 v0, 0x100, v0
	global_store_b8 v1, v4, s[4:5]
	s_wait_xcnt 0x0
	s_or_b32 exec_lo, exec_lo, s0
	s_delay_alu instid0(SALU_CYCLE_1)
	s_mov_b32 s0, exec_lo
	v_cmpx_gt_i32_e64 s1, v0
	s_cbranch_execz .LBB50_262
.LBB50_286:
	v_lshrrev_b32_e32 v1, 8, v4
	v_add_nc_u32_e32 v2, s2, v0
	v_add_nc_u32_e32 v0, 0x100, v0
	global_store_b8 v2, v1, s[4:5]
	s_wait_xcnt 0x0
	s_or_b32 exec_lo, exec_lo, s0
	s_delay_alu instid0(SALU_CYCLE_1)
	s_mov_b32 s0, exec_lo
	v_cmpx_gt_i32_e64 s1, v0
	s_cbranch_execz .LBB50_263
.LBB50_287:
	v_add_nc_u32_e32 v1, s2, v0
	v_add_nc_u32_e32 v0, 0x100, v0
	global_store_d16_hi_b8 v1, v4, s[4:5]
	s_wait_xcnt 0x0
	s_or_b32 exec_lo, exec_lo, s0
	s_delay_alu instid0(SALU_CYCLE_1)
	s_mov_b32 s0, exec_lo
	v_cmpx_gt_i32_e64 s1, v0
	s_cbranch_execz .LBB50_264
.LBB50_288:
	v_lshrrev_b32_e32 v1, 24, v4
	v_add_nc_u32_e32 v2, s2, v0
	v_add_nc_u32_e32 v0, 0x100, v0
	global_store_b8 v2, v1, s[4:5]
	s_wait_xcnt 0x0
	s_or_b32 exec_lo, exec_lo, s0
	s_delay_alu instid0(SALU_CYCLE_1)
	s_mov_b32 s0, exec_lo
	v_cmpx_gt_i32_e64 s1, v0
	s_cbranch_execz .LBB50_265
.LBB50_289:
	v_add_nc_u32_e32 v1, s2, v0
	v_add_nc_u32_e32 v0, 0x100, v0
	global_store_b8 v1, v3, s[4:5]
	s_wait_xcnt 0x0
	s_or_b32 exec_lo, exec_lo, s0
	s_delay_alu instid0(SALU_CYCLE_1)
	s_mov_b32 s0, exec_lo
	v_cmpx_gt_i32_e64 s1, v0
	s_cbranch_execz .LBB50_266
.LBB50_290:
	v_dual_lshrrev_b32 v1, 8, v3 :: v_dual_add_nc_u32 v2, s2, v0
	v_add_nc_u32_e32 v0, 0x100, v0
	global_store_b8 v2, v1, s[4:5]
	s_wait_xcnt 0x0
	s_or_b32 exec_lo, exec_lo, s0
	s_delay_alu instid0(SALU_CYCLE_1)
	s_mov_b32 s0, exec_lo
	v_cmpx_gt_i32_e64 s1, v0
	s_cbranch_execz .LBB50_267
.LBB50_291:
	v_add_nc_u32_e32 v1, s2, v0
	v_add_nc_u32_e32 v0, 0x100, v0
	global_store_d16_hi_b8 v1, v3, s[4:5]
	s_wait_xcnt 0x0
	s_or_b32 exec_lo, exec_lo, s0
	s_delay_alu instid0(SALU_CYCLE_1)
	s_mov_b32 s0, exec_lo
	v_cmpx_gt_i32_e64 s1, v0
	s_cbranch_execnz .LBB50_268
	s_branch .LBB50_269
	.section	.rodata,"a",@progbits
	.p2align	6, 0x0
	.amdhsa_kernel _ZN2at6native29vectorized_elementwise_kernelILi4EZZZNS0_15lcm_kernel_cudaERNS_18TensorIteratorBaseEENKUlvE_clEvENKUlvE0_clEvEUlaaE_St5arrayIPcLm3EEEEviT0_T1_
		.amdhsa_group_segment_fixed_size 0
		.amdhsa_private_segment_fixed_size 0
		.amdhsa_kernarg_size 32
		.amdhsa_user_sgpr_count 2
		.amdhsa_user_sgpr_dispatch_ptr 0
		.amdhsa_user_sgpr_queue_ptr 0
		.amdhsa_user_sgpr_kernarg_segment_ptr 1
		.amdhsa_user_sgpr_dispatch_id 0
		.amdhsa_user_sgpr_kernarg_preload_length 0
		.amdhsa_user_sgpr_kernarg_preload_offset 0
		.amdhsa_user_sgpr_private_segment_size 0
		.amdhsa_wavefront_size32 1
		.amdhsa_uses_dynamic_stack 0
		.amdhsa_enable_private_segment 0
		.amdhsa_system_sgpr_workgroup_id_x 1
		.amdhsa_system_sgpr_workgroup_id_y 0
		.amdhsa_system_sgpr_workgroup_id_z 0
		.amdhsa_system_sgpr_workgroup_info 0
		.amdhsa_system_vgpr_workitem_id 0
		.amdhsa_next_free_vgpr 44
		.amdhsa_next_free_sgpr 21
		.amdhsa_named_barrier_count 0
		.amdhsa_reserve_vcc 1
		.amdhsa_float_round_mode_32 0
		.amdhsa_float_round_mode_16_64 0
		.amdhsa_float_denorm_mode_32 3
		.amdhsa_float_denorm_mode_16_64 3
		.amdhsa_fp16_overflow 0
		.amdhsa_memory_ordered 1
		.amdhsa_forward_progress 1
		.amdhsa_inst_pref_size 150
		.amdhsa_round_robin_scheduling 0
		.amdhsa_exception_fp_ieee_invalid_op 0
		.amdhsa_exception_fp_denorm_src 0
		.amdhsa_exception_fp_ieee_div_zero 0
		.amdhsa_exception_fp_ieee_overflow 0
		.amdhsa_exception_fp_ieee_underflow 0
		.amdhsa_exception_fp_ieee_inexact 0
		.amdhsa_exception_int_div_zero 0
	.end_amdhsa_kernel
	.section	.text._ZN2at6native29vectorized_elementwise_kernelILi4EZZZNS0_15lcm_kernel_cudaERNS_18TensorIteratorBaseEENKUlvE_clEvENKUlvE0_clEvEUlaaE_St5arrayIPcLm3EEEEviT0_T1_,"axG",@progbits,_ZN2at6native29vectorized_elementwise_kernelILi4EZZZNS0_15lcm_kernel_cudaERNS_18TensorIteratorBaseEENKUlvE_clEvENKUlvE0_clEvEUlaaE_St5arrayIPcLm3EEEEviT0_T1_,comdat
.Lfunc_end50:
	.size	_ZN2at6native29vectorized_elementwise_kernelILi4EZZZNS0_15lcm_kernel_cudaERNS_18TensorIteratorBaseEENKUlvE_clEvENKUlvE0_clEvEUlaaE_St5arrayIPcLm3EEEEviT0_T1_, .Lfunc_end50-_ZN2at6native29vectorized_elementwise_kernelILi4EZZZNS0_15lcm_kernel_cudaERNS_18TensorIteratorBaseEENKUlvE_clEvENKUlvE0_clEvEUlaaE_St5arrayIPcLm3EEEEviT0_T1_
                                        ; -- End function
	.set _ZN2at6native29vectorized_elementwise_kernelILi4EZZZNS0_15lcm_kernel_cudaERNS_18TensorIteratorBaseEENKUlvE_clEvENKUlvE0_clEvEUlaaE_St5arrayIPcLm3EEEEviT0_T1_.num_vgpr, 44
	.set _ZN2at6native29vectorized_elementwise_kernelILi4EZZZNS0_15lcm_kernel_cudaERNS_18TensorIteratorBaseEENKUlvE_clEvENKUlvE0_clEvEUlaaE_St5arrayIPcLm3EEEEviT0_T1_.num_agpr, 0
	.set _ZN2at6native29vectorized_elementwise_kernelILi4EZZZNS0_15lcm_kernel_cudaERNS_18TensorIteratorBaseEENKUlvE_clEvENKUlvE0_clEvEUlaaE_St5arrayIPcLm3EEEEviT0_T1_.numbered_sgpr, 21
	.set _ZN2at6native29vectorized_elementwise_kernelILi4EZZZNS0_15lcm_kernel_cudaERNS_18TensorIteratorBaseEENKUlvE_clEvENKUlvE0_clEvEUlaaE_St5arrayIPcLm3EEEEviT0_T1_.num_named_barrier, 0
	.set _ZN2at6native29vectorized_elementwise_kernelILi4EZZZNS0_15lcm_kernel_cudaERNS_18TensorIteratorBaseEENKUlvE_clEvENKUlvE0_clEvEUlaaE_St5arrayIPcLm3EEEEviT0_T1_.private_seg_size, 0
	.set _ZN2at6native29vectorized_elementwise_kernelILi4EZZZNS0_15lcm_kernel_cudaERNS_18TensorIteratorBaseEENKUlvE_clEvENKUlvE0_clEvEUlaaE_St5arrayIPcLm3EEEEviT0_T1_.uses_vcc, 1
	.set _ZN2at6native29vectorized_elementwise_kernelILi4EZZZNS0_15lcm_kernel_cudaERNS_18TensorIteratorBaseEENKUlvE_clEvENKUlvE0_clEvEUlaaE_St5arrayIPcLm3EEEEviT0_T1_.uses_flat_scratch, 0
	.set _ZN2at6native29vectorized_elementwise_kernelILi4EZZZNS0_15lcm_kernel_cudaERNS_18TensorIteratorBaseEENKUlvE_clEvENKUlvE0_clEvEUlaaE_St5arrayIPcLm3EEEEviT0_T1_.has_dyn_sized_stack, 0
	.set _ZN2at6native29vectorized_elementwise_kernelILi4EZZZNS0_15lcm_kernel_cudaERNS_18TensorIteratorBaseEENKUlvE_clEvENKUlvE0_clEvEUlaaE_St5arrayIPcLm3EEEEviT0_T1_.has_recursion, 0
	.set _ZN2at6native29vectorized_elementwise_kernelILi4EZZZNS0_15lcm_kernel_cudaERNS_18TensorIteratorBaseEENKUlvE_clEvENKUlvE0_clEvEUlaaE_St5arrayIPcLm3EEEEviT0_T1_.has_indirect_call, 0
	.section	.AMDGPU.csdata,"",@progbits
; Kernel info:
; codeLenInByte = 19108
; TotalNumSgprs: 23
; NumVgprs: 44
; ScratchSize: 0
; MemoryBound: 0
; FloatMode: 240
; IeeeMode: 1
; LDSByteSize: 0 bytes/workgroup (compile time only)
; SGPRBlocks: 0
; VGPRBlocks: 2
; NumSGPRsForWavesPerEU: 23
; NumVGPRsForWavesPerEU: 44
; NamedBarCnt: 0
; Occupancy: 16
; WaveLimiterHint : 1
; COMPUTE_PGM_RSRC2:SCRATCH_EN: 0
; COMPUTE_PGM_RSRC2:USER_SGPR: 2
; COMPUTE_PGM_RSRC2:TRAP_HANDLER: 0
; COMPUTE_PGM_RSRC2:TGID_X_EN: 1
; COMPUTE_PGM_RSRC2:TGID_Y_EN: 0
; COMPUTE_PGM_RSRC2:TGID_Z_EN: 0
; COMPUTE_PGM_RSRC2:TIDIG_COMP_CNT: 0
	.section	.text._ZN2at6native29vectorized_elementwise_kernelILi2EZZZNS0_15lcm_kernel_cudaERNS_18TensorIteratorBaseEENKUlvE_clEvENKUlvE0_clEvEUlaaE_St5arrayIPcLm3EEEEviT0_T1_,"axG",@progbits,_ZN2at6native29vectorized_elementwise_kernelILi2EZZZNS0_15lcm_kernel_cudaERNS_18TensorIteratorBaseEENKUlvE_clEvENKUlvE0_clEvEUlaaE_St5arrayIPcLm3EEEEviT0_T1_,comdat
	.globl	_ZN2at6native29vectorized_elementwise_kernelILi2EZZZNS0_15lcm_kernel_cudaERNS_18TensorIteratorBaseEENKUlvE_clEvENKUlvE0_clEvEUlaaE_St5arrayIPcLm3EEEEviT0_T1_ ; -- Begin function _ZN2at6native29vectorized_elementwise_kernelILi2EZZZNS0_15lcm_kernel_cudaERNS_18TensorIteratorBaseEENKUlvE_clEvENKUlvE0_clEvEUlaaE_St5arrayIPcLm3EEEEviT0_T1_
	.p2align	8
	.type	_ZN2at6native29vectorized_elementwise_kernelILi2EZZZNS0_15lcm_kernel_cudaERNS_18TensorIteratorBaseEENKUlvE_clEvENKUlvE0_clEvEUlaaE_St5arrayIPcLm3EEEEviT0_T1_,@function
_ZN2at6native29vectorized_elementwise_kernelILi2EZZZNS0_15lcm_kernel_cudaERNS_18TensorIteratorBaseEENKUlvE_clEvENKUlvE0_clEvEUlaaE_St5arrayIPcLm3EEEEviT0_T1_: ; @_ZN2at6native29vectorized_elementwise_kernelILi2EZZZNS0_15lcm_kernel_cudaERNS_18TensorIteratorBaseEENKUlvE_clEvENKUlvE0_clEvEUlaaE_St5arrayIPcLm3EEEEviT0_T1_
; %bb.0:
	s_clause 0x2
	s_load_b32 s3, s[0:1], 0x0
	s_load_b128 s[4:7], s[0:1], 0x8
	s_load_b64 s[8:9], s[0:1], 0x18
	s_wait_xcnt 0x0
	s_bfe_u32 s0, ttmp6, 0x4000c
	s_and_b32 s1, ttmp6, 15
	s_add_co_i32 s0, s0, 1
	s_getreg_b32 s2, hwreg(HW_REG_IB_STS2, 6, 4)
	s_mul_i32 s0, ttmp9, s0
	s_delay_alu instid0(SALU_CYCLE_1) | instskip(SKIP_2) | instid1(SALU_CYCLE_1)
	s_add_co_i32 s1, s1, s0
	s_cmp_eq_u32 s2, 0
	s_cselect_b32 s0, ttmp9, s1
	s_lshl_b32 s2, s0, 12
	s_mov_b32 s0, -1
	s_wait_kmcnt 0x0
	s_sub_co_i32 s1, s3, s2
	s_delay_alu instid0(SALU_CYCLE_1)
	s_cmp_gt_i32 s1, 0xfff
	s_cbranch_scc0 .LBB51_98
; %bb.1:
	s_ashr_i32 s3, s2, 31
	s_mov_b32 s0, exec_lo
	s_add_nc_u64 s[10:11], s[8:9], s[2:3]
	s_add_nc_u64 s[12:13], s[6:7], s[2:3]
	s_clause 0xf
	global_load_u16 v6, v0, s[10:11] scale_offset
	global_load_u16 v4, v0, s[12:13] scale_offset
	global_load_u16 v8, v0, s[12:13] offset:512 scale_offset
	global_load_u16 v12, v0, s[12:13] offset:1024 scale_offset
	;; [unrolled: 1-line block ×13, first 2 shown]
	; meta instruction
	global_load_u16 v1, v0, s[10:11] offset:3584 scale_offset
	s_wait_loadcnt 0xf
	v_bfe_i32 v18, v6, 0, 8
	s_wait_loadcnt 0xe
	v_and_b32_e32 v2, 0xff, v4
	s_delay_alu instid0(VALU_DEP_2) | instskip(NEXT) | instid1(VALU_DEP_1)
	v_sub_nc_u16 v19, 0, v18
	v_max_i16 v20, v18, v19
	v_bfe_i32 v19, v4, 0, 8
	s_wait_xcnt 0x0
	v_cmpx_ne_u16_e32 0, v2
	s_cbranch_execz .LBB51_5
; %bb.2:
	s_delay_alu instid0(VALU_DEP_2) | instskip(SKIP_1) | instid1(VALU_DEP_1)
	v_sub_nc_u16 v2, 0, v19
	s_mov_b32 s10, 0
	v_max_i16 v21, v19, v2
	v_and_b32_e32 v2, 0xff, v20
	s_delay_alu instid0(VALU_DEP_2)
	v_and_b32_e32 v21, 0xffff, v21
.LBB51_3:                               ; =>This Inner Loop Header: Depth=1
	s_delay_alu instid0(VALU_DEP_2) | instskip(NEXT) | instid1(VALU_DEP_2)
	v_bfe_i32 v23, v2, 0, 8
	v_mov_b32_e32 v20, v21
	s_delay_alu instid0(VALU_DEP_2) | instskip(NEXT) | instid1(VALU_DEP_2)
	v_cvt_f32_i32_e32 v25, v23
	v_bfe_i32 v21, v20, 0, 8
	s_delay_alu instid0(VALU_DEP_1) | instskip(SKIP_1) | instid1(VALU_DEP_2)
	v_cvt_f32_i32_e32 v22, v21
	v_xor_b32_e32 v21, v23, v21
	v_rcp_iflag_f32_e32 v24, v22
	v_nop
	s_delay_alu instid0(TRANS32_DEP_1) | instskip(NEXT) | instid1(VALU_DEP_1)
	v_dual_ashrrev_i32 v21, 30, v21 :: v_dual_mul_f32 v23, v25, v24
	v_trunc_f32_e32 v23, v23
	s_delay_alu instid0(VALU_DEP_1) | instskip(SKIP_1) | instid1(VALU_DEP_2)
	v_dual_fma_f32 v24, -v23, v22, v25 :: v_dual_bitop2_b32 v21, 1, v21 bitop3:0x54
	v_cvt_i32_f32_e32 v23, v23
	v_cmp_ge_f32_e64 vcc_lo, |v24|, |v22|
	s_delay_alu instid0(VALU_DEP_3) | instskip(NEXT) | instid1(VALU_DEP_1)
	v_cndmask_b32_e32 v21, 0, v21, vcc_lo
	v_add_nc_u32_e32 v21, v23, v21
	s_delay_alu instid0(VALU_DEP_1) | instskip(NEXT) | instid1(VALU_DEP_1)
	v_mul_lo_u32 v21, v21, v20
	v_sub_nc_u32_e32 v2, v2, v21
	s_delay_alu instid0(VALU_DEP_1) | instskip(SKIP_1) | instid1(VALU_DEP_2)
	v_bfe_i32 v21, v2, 0, 8
	v_mov_b32_e32 v2, v20
	v_cmp_eq_u16_e32 vcc_lo, 0, v21
	v_and_b32_e32 v21, 0xffff, v21
	s_or_b32 s10, vcc_lo, s10
	s_delay_alu instid0(SALU_CYCLE_1)
	s_and_not1_b32 exec_lo, exec_lo, s10
	s_cbranch_execnz .LBB51_3
; %bb.4:
	s_or_b32 exec_lo, exec_lo, s10
.LBB51_5:
	s_delay_alu instid0(SALU_CYCLE_1) | instskip(SKIP_3) | instid1(VALU_DEP_2)
	s_or_b32 exec_lo, exec_lo, s0
	v_and_b32_e32 v21, 0xff, v20
	v_mov_b32_e32 v2, 0
	s_mov_b32 s0, exec_lo
	v_cmpx_ne_u16_e32 0, v21
	s_cbranch_execz .LBB51_7
; %bb.6:
	v_bfe_i32 v2, v20, 0, 8
	v_cvt_f32_i32_e32 v22, v19
	s_delay_alu instid0(VALU_DEP_2) | instskip(SKIP_1) | instid1(VALU_DEP_2)
	v_cvt_f32_i32_e32 v20, v2
	v_xor_b32_e32 v2, v19, v2
	v_rcp_iflag_f32_e32 v21, v20
	v_nop
	s_delay_alu instid0(TRANS32_DEP_1) | instskip(NEXT) | instid1(VALU_DEP_1)
	v_mul_f32_e32 v21, v22, v21
	v_trunc_f32_e32 v19, v21
	s_delay_alu instid0(VALU_DEP_1) | instskip(NEXT) | instid1(VALU_DEP_1)
	v_dual_ashrrev_i32 v2, 30, v2 :: v_dual_fma_f32 v21, -v19, v20, v22
	v_or_b32_e32 v2, 1, v2
	v_cvt_i32_f32_e32 v19, v19
	s_delay_alu instid0(VALU_DEP_3) | instskip(NEXT) | instid1(VALU_DEP_3)
	v_cmp_ge_f32_e64 vcc_lo, |v21|, |v20|
	v_cndmask_b32_e32 v2, 0, v2, vcc_lo
	s_delay_alu instid0(VALU_DEP_1) | instskip(NEXT) | instid1(VALU_DEP_1)
	v_add_nc_u32_e32 v2, v19, v2
	v_bfe_i32 v2, v2, 0, 8
	s_delay_alu instid0(VALU_DEP_1) | instskip(NEXT) | instid1(VALU_DEP_1)
	v_mul_i32_i24_e32 v2, v2, v18
	v_sub_nc_u32_e32 v18, 0, v2
	s_delay_alu instid0(VALU_DEP_1)
	v_max_i32_e32 v2, v2, v18
.LBB51_7:
	s_or_b32 exec_lo, exec_lo, s0
	v_ashrrev_i16 v19, 8, v6
	v_lshrrev_b16 v18, 8, v4
	s_mov_b32 s10, 0
	s_mov_b32 s0, exec_lo
	s_delay_alu instid0(VALU_DEP_2) | instskip(NEXT) | instid1(VALU_DEP_1)
	v_sub_nc_u16 v20, 0, v19
	v_max_i16 v19, v19, v20
	v_cmpx_ne_u16_e32 0, v18
	s_cbranch_execz .LBB51_11
; %bb.8:
	v_ashrrev_i16 v4, 8, v4
	s_delay_alu instid0(VALU_DEP_1) | instskip(NEXT) | instid1(VALU_DEP_1)
	v_sub_nc_u16 v20, 0, v4
	v_max_i16 v20, v4, v20
	v_and_b32_e32 v4, 0xff, v19
	s_delay_alu instid0(VALU_DEP_2)
	v_and_b32_e32 v20, 0xffff, v20
.LBB51_9:                               ; =>This Inner Loop Header: Depth=1
	s_delay_alu instid0(VALU_DEP_2) | instskip(NEXT) | instid1(VALU_DEP_2)
	v_bfe_i32 v22, v4, 0, 8
	v_mov_b32_e32 v19, v20
	s_delay_alu instid0(VALU_DEP_2) | instskip(NEXT) | instid1(VALU_DEP_2)
	v_cvt_f32_i32_e32 v24, v22
	v_bfe_i32 v20, v19, 0, 8
	s_delay_alu instid0(VALU_DEP_1) | instskip(SKIP_1) | instid1(VALU_DEP_2)
	v_cvt_f32_i32_e32 v21, v20
	v_xor_b32_e32 v20, v22, v20
	v_rcp_iflag_f32_e32 v23, v21
	v_nop
	s_delay_alu instid0(TRANS32_DEP_1) | instskip(NEXT) | instid1(VALU_DEP_1)
	v_dual_ashrrev_i32 v20, 30, v20 :: v_dual_mul_f32 v22, v24, v23
	v_trunc_f32_e32 v22, v22
	s_delay_alu instid0(VALU_DEP_1) | instskip(SKIP_1) | instid1(VALU_DEP_2)
	v_dual_fma_f32 v23, -v22, v21, v24 :: v_dual_bitop2_b32 v20, 1, v20 bitop3:0x54
	v_cvt_i32_f32_e32 v22, v22
	v_cmp_ge_f32_e64 vcc_lo, |v23|, |v21|
	s_delay_alu instid0(VALU_DEP_3) | instskip(NEXT) | instid1(VALU_DEP_1)
	v_cndmask_b32_e32 v20, 0, v20, vcc_lo
	v_add_nc_u32_e32 v20, v22, v20
	s_delay_alu instid0(VALU_DEP_1) | instskip(NEXT) | instid1(VALU_DEP_1)
	v_mul_lo_u32 v20, v20, v19
	v_sub_nc_u32_e32 v4, v4, v20
	s_delay_alu instid0(VALU_DEP_1) | instskip(SKIP_1) | instid1(VALU_DEP_2)
	v_bfe_i32 v20, v4, 0, 8
	v_mov_b32_e32 v4, v19
	v_cmp_eq_u16_e32 vcc_lo, 0, v20
	v_and_b32_e32 v20, 0xffff, v20
	s_or_b32 s10, vcc_lo, s10
	s_delay_alu instid0(SALU_CYCLE_1)
	s_and_not1_b32 exec_lo, exec_lo, s10
	s_cbranch_execnz .LBB51_9
; %bb.10:
	s_or_b32 exec_lo, exec_lo, s10
.LBB51_11:
	s_delay_alu instid0(SALU_CYCLE_1) | instskip(NEXT) | instid1(VALU_DEP_2)
	s_or_b32 exec_lo, exec_lo, s0
	v_and_b32_e32 v20, 0xff, v19
	v_mov_b32_e32 v4, 0
	s_mov_b32 s0, exec_lo
	s_delay_alu instid0(VALU_DEP_2)
	v_cmpx_ne_u16_e32 0, v20
	s_cbranch_execz .LBB51_13
; %bb.12:
	v_bfe_i32 v4, v19, 0, 8
	v_bfe_i32 v18, v18, 0, 8
	v_lshrrev_b16 v6, 8, v6
	s_delay_alu instid0(VALU_DEP_3) | instskip(NEXT) | instid1(VALU_DEP_3)
	v_cvt_f32_i32_e32 v19, v4
	v_cvt_f32_i32_e32 v21, v18
	v_xor_b32_e32 v4, v18, v4
	s_delay_alu instid0(VALU_DEP_4) | instskip(NEXT) | instid1(VALU_DEP_4)
	v_bfe_i32 v6, v6, 0, 8
	v_rcp_iflag_f32_e32 v20, v19
	v_nop
	s_delay_alu instid0(TRANS32_DEP_1) | instskip(NEXT) | instid1(VALU_DEP_1)
	v_mul_f32_e32 v20, v21, v20
	v_trunc_f32_e32 v18, v20
	s_delay_alu instid0(VALU_DEP_1) | instskip(SKIP_1) | instid1(VALU_DEP_2)
	v_dual_fma_f32 v20, -v18, v19, v21 :: v_dual_ashrrev_i32 v4, 30, v4
	v_cvt_i32_f32_e32 v18, v18
	v_cmp_ge_f32_e64 vcc_lo, |v20|, |v19|
	s_delay_alu instid0(VALU_DEP_3) | instskip(NEXT) | instid1(VALU_DEP_1)
	v_or_b32_e32 v4, 1, v4
	v_cndmask_b32_e32 v4, 0, v4, vcc_lo
	s_delay_alu instid0(VALU_DEP_1) | instskip(NEXT) | instid1(VALU_DEP_1)
	v_add_nc_u32_e32 v4, v18, v4
	v_bfe_i32 v4, v4, 0, 8
	s_delay_alu instid0(VALU_DEP_1) | instskip(NEXT) | instid1(VALU_DEP_1)
	v_mul_i32_i24_e32 v4, v4, v6
	v_sub_nc_u32_e32 v6, 0, v4
	s_delay_alu instid0(VALU_DEP_1)
	v_max_i32_e32 v4, v4, v6
.LBB51_13:
	s_or_b32 exec_lo, exec_lo, s0
	s_wait_loadcnt 0x6
	v_bfe_i32 v18, v10, 0, 8
	v_and_b32_e32 v6, 0xff, v8
	s_mov_b32 s10, 0
	s_mov_b32 s0, exec_lo
	s_delay_alu instid0(VALU_DEP_2) | instskip(NEXT) | instid1(VALU_DEP_1)
	v_sub_nc_u16 v19, 0, v18
	v_max_i16 v20, v18, v19
	v_bfe_i32 v19, v8, 0, 8
	v_cmpx_ne_u16_e32 0, v6
	s_cbranch_execz .LBB51_17
; %bb.14:
	s_delay_alu instid0(VALU_DEP_2) | instskip(NEXT) | instid1(VALU_DEP_1)
	v_sub_nc_u16 v6, 0, v19
	v_max_i16 v21, v19, v6
	v_and_b32_e32 v6, 0xff, v20
	s_delay_alu instid0(VALU_DEP_2)
	v_and_b32_e32 v21, 0xffff, v21
.LBB51_15:                              ; =>This Inner Loop Header: Depth=1
	s_delay_alu instid0(VALU_DEP_2) | instskip(NEXT) | instid1(VALU_DEP_2)
	v_bfe_i32 v23, v6, 0, 8
	v_mov_b32_e32 v20, v21
	s_delay_alu instid0(VALU_DEP_2) | instskip(NEXT) | instid1(VALU_DEP_2)
	v_cvt_f32_i32_e32 v25, v23
	v_bfe_i32 v21, v20, 0, 8
	s_delay_alu instid0(VALU_DEP_1) | instskip(SKIP_1) | instid1(VALU_DEP_2)
	v_cvt_f32_i32_e32 v22, v21
	v_xor_b32_e32 v21, v23, v21
	v_rcp_iflag_f32_e32 v24, v22
	v_nop
	s_delay_alu instid0(TRANS32_DEP_1) | instskip(NEXT) | instid1(VALU_DEP_1)
	v_dual_ashrrev_i32 v21, 30, v21 :: v_dual_mul_f32 v23, v25, v24
	v_trunc_f32_e32 v23, v23
	s_delay_alu instid0(VALU_DEP_1) | instskip(SKIP_1) | instid1(VALU_DEP_2)
	v_dual_fma_f32 v24, -v23, v22, v25 :: v_dual_bitop2_b32 v21, 1, v21 bitop3:0x54
	v_cvt_i32_f32_e32 v23, v23
	v_cmp_ge_f32_e64 vcc_lo, |v24|, |v22|
	s_delay_alu instid0(VALU_DEP_3) | instskip(NEXT) | instid1(VALU_DEP_1)
	v_cndmask_b32_e32 v21, 0, v21, vcc_lo
	v_add_nc_u32_e32 v21, v23, v21
	s_delay_alu instid0(VALU_DEP_1) | instskip(NEXT) | instid1(VALU_DEP_1)
	v_mul_lo_u32 v21, v21, v20
	v_sub_nc_u32_e32 v6, v6, v21
	s_delay_alu instid0(VALU_DEP_1) | instskip(SKIP_1) | instid1(VALU_DEP_2)
	v_bfe_i32 v21, v6, 0, 8
	v_mov_b32_e32 v6, v20
	v_cmp_eq_u16_e32 vcc_lo, 0, v21
	v_and_b32_e32 v21, 0xffff, v21
	s_or_b32 s10, vcc_lo, s10
	s_delay_alu instid0(SALU_CYCLE_1)
	s_and_not1_b32 exec_lo, exec_lo, s10
	s_cbranch_execnz .LBB51_15
; %bb.16:
	s_or_b32 exec_lo, exec_lo, s10
.LBB51_17:
	s_delay_alu instid0(SALU_CYCLE_1) | instskip(SKIP_3) | instid1(VALU_DEP_2)
	s_or_b32 exec_lo, exec_lo, s0
	v_and_b32_e32 v21, 0xff, v20
	v_mov_b32_e32 v6, 0
	s_mov_b32 s0, exec_lo
	v_cmpx_ne_u16_e32 0, v21
	s_cbranch_execz .LBB51_19
; %bb.18:
	v_bfe_i32 v6, v20, 0, 8
	v_cvt_f32_i32_e32 v22, v19
	s_delay_alu instid0(VALU_DEP_2) | instskip(SKIP_1) | instid1(VALU_DEP_2)
	v_cvt_f32_i32_e32 v20, v6
	v_xor_b32_e32 v6, v19, v6
	v_rcp_iflag_f32_e32 v21, v20
	v_nop
	s_delay_alu instid0(TRANS32_DEP_1) | instskip(NEXT) | instid1(VALU_DEP_1)
	v_mul_f32_e32 v21, v22, v21
	v_trunc_f32_e32 v19, v21
	s_delay_alu instid0(VALU_DEP_1) | instskip(NEXT) | instid1(VALU_DEP_1)
	v_dual_ashrrev_i32 v6, 30, v6 :: v_dual_fma_f32 v21, -v19, v20, v22
	v_or_b32_e32 v6, 1, v6
	v_cvt_i32_f32_e32 v19, v19
	s_delay_alu instid0(VALU_DEP_3) | instskip(NEXT) | instid1(VALU_DEP_3)
	v_cmp_ge_f32_e64 vcc_lo, |v21|, |v20|
	v_cndmask_b32_e32 v6, 0, v6, vcc_lo
	s_delay_alu instid0(VALU_DEP_1) | instskip(NEXT) | instid1(VALU_DEP_1)
	v_add_nc_u32_e32 v6, v19, v6
	v_bfe_i32 v6, v6, 0, 8
	s_delay_alu instid0(VALU_DEP_1) | instskip(NEXT) | instid1(VALU_DEP_1)
	v_mul_i32_i24_e32 v6, v6, v18
	v_sub_nc_u32_e32 v18, 0, v6
	s_delay_alu instid0(VALU_DEP_1)
	v_max_i32_e32 v6, v6, v18
.LBB51_19:
	s_or_b32 exec_lo, exec_lo, s0
	v_ashrrev_i16 v19, 8, v10
	v_lshrrev_b16 v18, 8, v8
	s_mov_b32 s10, 0
	s_mov_b32 s0, exec_lo
	s_delay_alu instid0(VALU_DEP_2) | instskip(NEXT) | instid1(VALU_DEP_1)
	v_sub_nc_u16 v20, 0, v19
	v_max_i16 v19, v19, v20
	v_cmpx_ne_u16_e32 0, v18
	s_cbranch_execz .LBB51_23
; %bb.20:
	v_ashrrev_i16 v8, 8, v8
	s_delay_alu instid0(VALU_DEP_1) | instskip(NEXT) | instid1(VALU_DEP_1)
	v_sub_nc_u16 v20, 0, v8
	v_max_i16 v20, v8, v20
	v_and_b32_e32 v8, 0xff, v19
	s_delay_alu instid0(VALU_DEP_2)
	v_and_b32_e32 v20, 0xffff, v20
.LBB51_21:                              ; =>This Inner Loop Header: Depth=1
	s_delay_alu instid0(VALU_DEP_2) | instskip(NEXT) | instid1(VALU_DEP_2)
	v_bfe_i32 v22, v8, 0, 8
	v_mov_b32_e32 v19, v20
	s_delay_alu instid0(VALU_DEP_2) | instskip(NEXT) | instid1(VALU_DEP_2)
	v_cvt_f32_i32_e32 v24, v22
	v_bfe_i32 v20, v19, 0, 8
	s_delay_alu instid0(VALU_DEP_1) | instskip(SKIP_1) | instid1(VALU_DEP_2)
	v_cvt_f32_i32_e32 v21, v20
	v_xor_b32_e32 v20, v22, v20
	v_rcp_iflag_f32_e32 v23, v21
	v_nop
	s_delay_alu instid0(TRANS32_DEP_1) | instskip(NEXT) | instid1(VALU_DEP_1)
	v_dual_ashrrev_i32 v20, 30, v20 :: v_dual_mul_f32 v22, v24, v23
	v_trunc_f32_e32 v22, v22
	s_delay_alu instid0(VALU_DEP_1) | instskip(SKIP_1) | instid1(VALU_DEP_2)
	v_dual_fma_f32 v23, -v22, v21, v24 :: v_dual_bitop2_b32 v20, 1, v20 bitop3:0x54
	v_cvt_i32_f32_e32 v22, v22
	v_cmp_ge_f32_e64 vcc_lo, |v23|, |v21|
	s_delay_alu instid0(VALU_DEP_3) | instskip(NEXT) | instid1(VALU_DEP_1)
	v_cndmask_b32_e32 v20, 0, v20, vcc_lo
	v_add_nc_u32_e32 v20, v22, v20
	s_delay_alu instid0(VALU_DEP_1) | instskip(NEXT) | instid1(VALU_DEP_1)
	v_mul_lo_u32 v20, v20, v19
	v_sub_nc_u32_e32 v8, v8, v20
	s_delay_alu instid0(VALU_DEP_1) | instskip(SKIP_1) | instid1(VALU_DEP_2)
	v_bfe_i32 v20, v8, 0, 8
	v_mov_b32_e32 v8, v19
	v_cmp_eq_u16_e32 vcc_lo, 0, v20
	v_and_b32_e32 v20, 0xffff, v20
	s_or_b32 s10, vcc_lo, s10
	s_delay_alu instid0(SALU_CYCLE_1)
	s_and_not1_b32 exec_lo, exec_lo, s10
	s_cbranch_execnz .LBB51_21
; %bb.22:
	s_or_b32 exec_lo, exec_lo, s10
.LBB51_23:
	s_delay_alu instid0(SALU_CYCLE_1) | instskip(NEXT) | instid1(VALU_DEP_2)
	s_or_b32 exec_lo, exec_lo, s0
	v_and_b32_e32 v20, 0xff, v19
	v_mov_b32_e32 v8, 0
	s_mov_b32 s0, exec_lo
	s_delay_alu instid0(VALU_DEP_2)
	v_cmpx_ne_u16_e32 0, v20
	s_cbranch_execz .LBB51_25
; %bb.24:
	v_bfe_i32 v8, v19, 0, 8
	v_bfe_i32 v18, v18, 0, 8
	v_lshrrev_b16 v10, 8, v10
	s_delay_alu instid0(VALU_DEP_3) | instskip(NEXT) | instid1(VALU_DEP_3)
	v_cvt_f32_i32_e32 v19, v8
	v_cvt_f32_i32_e32 v21, v18
	v_xor_b32_e32 v8, v18, v8
	s_delay_alu instid0(VALU_DEP_4) | instskip(NEXT) | instid1(VALU_DEP_4)
	v_bfe_i32 v10, v10, 0, 8
	v_rcp_iflag_f32_e32 v20, v19
	v_nop
	s_delay_alu instid0(TRANS32_DEP_1) | instskip(NEXT) | instid1(VALU_DEP_1)
	v_mul_f32_e32 v20, v21, v20
	v_trunc_f32_e32 v18, v20
	s_delay_alu instid0(VALU_DEP_1) | instskip(SKIP_1) | instid1(VALU_DEP_2)
	v_dual_fma_f32 v20, -v18, v19, v21 :: v_dual_ashrrev_i32 v8, 30, v8
	v_cvt_i32_f32_e32 v18, v18
	v_cmp_ge_f32_e64 vcc_lo, |v20|, |v19|
	s_delay_alu instid0(VALU_DEP_3) | instskip(NEXT) | instid1(VALU_DEP_1)
	v_or_b32_e32 v8, 1, v8
	v_cndmask_b32_e32 v8, 0, v8, vcc_lo
	s_delay_alu instid0(VALU_DEP_1) | instskip(NEXT) | instid1(VALU_DEP_1)
	v_add_nc_u32_e32 v8, v18, v8
	v_bfe_i32 v8, v8, 0, 8
	s_delay_alu instid0(VALU_DEP_1) | instskip(NEXT) | instid1(VALU_DEP_1)
	v_mul_i32_i24_e32 v8, v8, v10
	v_sub_nc_u32_e32 v10, 0, v8
	s_delay_alu instid0(VALU_DEP_1)
	v_max_i32_e32 v8, v8, v10
.LBB51_25:
	s_or_b32 exec_lo, exec_lo, s0
	s_wait_loadcnt 0x5
	v_bfe_i32 v18, v15, 0, 8
	v_and_b32_e32 v10, 0xff, v12
	s_mov_b32 s10, 0
	s_mov_b32 s0, exec_lo
	s_delay_alu instid0(VALU_DEP_2) | instskip(NEXT) | instid1(VALU_DEP_1)
	v_sub_nc_u16 v19, 0, v18
	v_max_i16 v20, v18, v19
	v_bfe_i32 v19, v12, 0, 8
	v_cmpx_ne_u16_e32 0, v10
	s_cbranch_execz .LBB51_29
; %bb.26:
	s_delay_alu instid0(VALU_DEP_2) | instskip(NEXT) | instid1(VALU_DEP_1)
	v_sub_nc_u16 v10, 0, v19
	v_max_i16 v21, v19, v10
	v_and_b32_e32 v10, 0xff, v20
	s_delay_alu instid0(VALU_DEP_2)
	v_and_b32_e32 v21, 0xffff, v21
.LBB51_27:                              ; =>This Inner Loop Header: Depth=1
	s_delay_alu instid0(VALU_DEP_2) | instskip(NEXT) | instid1(VALU_DEP_2)
	v_bfe_i32 v23, v10, 0, 8
	v_mov_b32_e32 v20, v21
	s_delay_alu instid0(VALU_DEP_2) | instskip(NEXT) | instid1(VALU_DEP_2)
	v_cvt_f32_i32_e32 v25, v23
	v_bfe_i32 v21, v20, 0, 8
	s_delay_alu instid0(VALU_DEP_1) | instskip(SKIP_1) | instid1(VALU_DEP_2)
	v_cvt_f32_i32_e32 v22, v21
	v_xor_b32_e32 v21, v23, v21
	v_rcp_iflag_f32_e32 v24, v22
	v_nop
	s_delay_alu instid0(TRANS32_DEP_1) | instskip(NEXT) | instid1(VALU_DEP_1)
	v_dual_ashrrev_i32 v21, 30, v21 :: v_dual_mul_f32 v23, v25, v24
	v_trunc_f32_e32 v23, v23
	s_delay_alu instid0(VALU_DEP_1) | instskip(SKIP_1) | instid1(VALU_DEP_2)
	v_dual_fma_f32 v24, -v23, v22, v25 :: v_dual_bitop2_b32 v21, 1, v21 bitop3:0x54
	v_cvt_i32_f32_e32 v23, v23
	v_cmp_ge_f32_e64 vcc_lo, |v24|, |v22|
	s_delay_alu instid0(VALU_DEP_3) | instskip(NEXT) | instid1(VALU_DEP_1)
	v_cndmask_b32_e32 v21, 0, v21, vcc_lo
	v_add_nc_u32_e32 v21, v23, v21
	s_delay_alu instid0(VALU_DEP_1) | instskip(NEXT) | instid1(VALU_DEP_1)
	v_mul_lo_u32 v21, v21, v20
	v_sub_nc_u32_e32 v10, v10, v21
	s_delay_alu instid0(VALU_DEP_1) | instskip(SKIP_1) | instid1(VALU_DEP_2)
	v_bfe_i32 v21, v10, 0, 8
	v_mov_b32_e32 v10, v20
	v_cmp_eq_u16_e32 vcc_lo, 0, v21
	v_and_b32_e32 v21, 0xffff, v21
	s_or_b32 s10, vcc_lo, s10
	s_delay_alu instid0(SALU_CYCLE_1)
	s_and_not1_b32 exec_lo, exec_lo, s10
	s_cbranch_execnz .LBB51_27
; %bb.28:
	s_or_b32 exec_lo, exec_lo, s10
.LBB51_29:
	s_delay_alu instid0(SALU_CYCLE_1) | instskip(SKIP_3) | instid1(VALU_DEP_2)
	s_or_b32 exec_lo, exec_lo, s0
	v_and_b32_e32 v21, 0xff, v20
	v_mov_b32_e32 v10, 0
	s_mov_b32 s0, exec_lo
	v_cmpx_ne_u16_e32 0, v21
	s_cbranch_execz .LBB51_31
; %bb.30:
	v_bfe_i32 v10, v20, 0, 8
	v_cvt_f32_i32_e32 v22, v19
	s_delay_alu instid0(VALU_DEP_2) | instskip(SKIP_1) | instid1(VALU_DEP_2)
	v_cvt_f32_i32_e32 v20, v10
	v_xor_b32_e32 v10, v19, v10
	v_rcp_iflag_f32_e32 v21, v20
	v_nop
	s_delay_alu instid0(TRANS32_DEP_1) | instskip(NEXT) | instid1(VALU_DEP_1)
	v_mul_f32_e32 v21, v22, v21
	v_trunc_f32_e32 v19, v21
	s_delay_alu instid0(VALU_DEP_1) | instskip(NEXT) | instid1(VALU_DEP_1)
	v_dual_ashrrev_i32 v10, 30, v10 :: v_dual_fma_f32 v21, -v19, v20, v22
	v_or_b32_e32 v10, 1, v10
	v_cvt_i32_f32_e32 v19, v19
	s_delay_alu instid0(VALU_DEP_3) | instskip(NEXT) | instid1(VALU_DEP_3)
	v_cmp_ge_f32_e64 vcc_lo, |v21|, |v20|
	v_cndmask_b32_e32 v10, 0, v10, vcc_lo
	s_delay_alu instid0(VALU_DEP_1) | instskip(NEXT) | instid1(VALU_DEP_1)
	v_add_nc_u32_e32 v10, v19, v10
	v_bfe_i32 v10, v10, 0, 8
	s_delay_alu instid0(VALU_DEP_1) | instskip(NEXT) | instid1(VALU_DEP_1)
	v_mul_i32_i24_e32 v10, v10, v18
	v_sub_nc_u32_e32 v18, 0, v10
	s_delay_alu instid0(VALU_DEP_1)
	v_max_i32_e32 v10, v10, v18
.LBB51_31:
	s_or_b32 exec_lo, exec_lo, s0
	v_ashrrev_i16 v19, 8, v15
	v_lshrrev_b16 v18, 8, v12
	s_mov_b32 s10, 0
	s_mov_b32 s0, exec_lo
	s_delay_alu instid0(VALU_DEP_2) | instskip(NEXT) | instid1(VALU_DEP_1)
	v_sub_nc_u16 v20, 0, v19
	v_max_i16 v19, v19, v20
	v_cmpx_ne_u16_e32 0, v18
	s_cbranch_execz .LBB51_35
; %bb.32:
	v_ashrrev_i16 v12, 8, v12
	s_delay_alu instid0(VALU_DEP_1) | instskip(NEXT) | instid1(VALU_DEP_1)
	v_sub_nc_u16 v20, 0, v12
	v_max_i16 v20, v12, v20
	v_and_b32_e32 v12, 0xff, v19
	s_delay_alu instid0(VALU_DEP_2)
	v_and_b32_e32 v20, 0xffff, v20
.LBB51_33:                              ; =>This Inner Loop Header: Depth=1
	s_delay_alu instid0(VALU_DEP_2) | instskip(NEXT) | instid1(VALU_DEP_2)
	v_bfe_i32 v22, v12, 0, 8
	v_mov_b32_e32 v19, v20
	s_delay_alu instid0(VALU_DEP_2) | instskip(NEXT) | instid1(VALU_DEP_2)
	v_cvt_f32_i32_e32 v24, v22
	v_bfe_i32 v20, v19, 0, 8
	s_delay_alu instid0(VALU_DEP_1) | instskip(SKIP_1) | instid1(VALU_DEP_2)
	v_cvt_f32_i32_e32 v21, v20
	v_xor_b32_e32 v20, v22, v20
	v_rcp_iflag_f32_e32 v23, v21
	v_nop
	s_delay_alu instid0(TRANS32_DEP_1) | instskip(NEXT) | instid1(VALU_DEP_1)
	v_dual_ashrrev_i32 v20, 30, v20 :: v_dual_mul_f32 v22, v24, v23
	v_trunc_f32_e32 v22, v22
	s_delay_alu instid0(VALU_DEP_1) | instskip(SKIP_1) | instid1(VALU_DEP_2)
	v_dual_fma_f32 v23, -v22, v21, v24 :: v_dual_bitop2_b32 v20, 1, v20 bitop3:0x54
	v_cvt_i32_f32_e32 v22, v22
	v_cmp_ge_f32_e64 vcc_lo, |v23|, |v21|
	s_delay_alu instid0(VALU_DEP_3) | instskip(NEXT) | instid1(VALU_DEP_1)
	v_cndmask_b32_e32 v20, 0, v20, vcc_lo
	v_add_nc_u32_e32 v20, v22, v20
	s_delay_alu instid0(VALU_DEP_1) | instskip(NEXT) | instid1(VALU_DEP_1)
	v_mul_lo_u32 v20, v20, v19
	v_sub_nc_u32_e32 v12, v12, v20
	s_delay_alu instid0(VALU_DEP_1) | instskip(SKIP_1) | instid1(VALU_DEP_2)
	v_bfe_i32 v20, v12, 0, 8
	v_mov_b32_e32 v12, v19
	v_cmp_eq_u16_e32 vcc_lo, 0, v20
	v_and_b32_e32 v20, 0xffff, v20
	s_or_b32 s10, vcc_lo, s10
	s_delay_alu instid0(SALU_CYCLE_1)
	s_and_not1_b32 exec_lo, exec_lo, s10
	s_cbranch_execnz .LBB51_33
; %bb.34:
	s_or_b32 exec_lo, exec_lo, s10
.LBB51_35:
	s_delay_alu instid0(SALU_CYCLE_1) | instskip(NEXT) | instid1(VALU_DEP_2)
	s_or_b32 exec_lo, exec_lo, s0
	v_and_b32_e32 v20, 0xff, v19
	v_mov_b32_e32 v12, 0
	s_mov_b32 s0, exec_lo
	s_delay_alu instid0(VALU_DEP_2)
	v_cmpx_ne_u16_e32 0, v20
	s_cbranch_execz .LBB51_37
; %bb.36:
	v_bfe_i32 v12, v19, 0, 8
	v_bfe_i32 v18, v18, 0, 8
	v_lshrrev_b16 v15, 8, v15
	s_delay_alu instid0(VALU_DEP_3) | instskip(NEXT) | instid1(VALU_DEP_3)
	v_cvt_f32_i32_e32 v19, v12
	v_cvt_f32_i32_e32 v21, v18
	v_xor_b32_e32 v12, v18, v12
	s_delay_alu instid0(VALU_DEP_4) | instskip(NEXT) | instid1(VALU_DEP_4)
	v_bfe_i32 v15, v15, 0, 8
	v_rcp_iflag_f32_e32 v20, v19
	v_nop
	s_delay_alu instid0(TRANS32_DEP_1) | instskip(NEXT) | instid1(VALU_DEP_1)
	v_mul_f32_e32 v20, v21, v20
	v_trunc_f32_e32 v18, v20
	s_delay_alu instid0(VALU_DEP_1) | instskip(SKIP_1) | instid1(VALU_DEP_2)
	v_dual_fma_f32 v20, -v18, v19, v21 :: v_dual_ashrrev_i32 v12, 30, v12
	v_cvt_i32_f32_e32 v18, v18
	v_cmp_ge_f32_e64 vcc_lo, |v20|, |v19|
	s_delay_alu instid0(VALU_DEP_3) | instskip(NEXT) | instid1(VALU_DEP_1)
	v_or_b32_e32 v12, 1, v12
	v_cndmask_b32_e32 v12, 0, v12, vcc_lo
	s_delay_alu instid0(VALU_DEP_1) | instskip(NEXT) | instid1(VALU_DEP_1)
	v_add_nc_u32_e32 v12, v18, v12
	v_bfe_i32 v12, v12, 0, 8
	s_delay_alu instid0(VALU_DEP_1) | instskip(NEXT) | instid1(VALU_DEP_1)
	v_mul_i32_i24_e32 v12, v12, v15
	v_sub_nc_u32_e32 v15, 0, v12
	s_delay_alu instid0(VALU_DEP_1)
	v_max_i32_e32 v12, v12, v15
.LBB51_37:
	s_or_b32 exec_lo, exec_lo, s0
	s_wait_loadcnt 0x4
	v_bfe_i32 v18, v17, 0, 8
	v_and_b32_e32 v15, 0xff, v16
	s_mov_b32 s10, 0
	s_mov_b32 s0, exec_lo
	s_delay_alu instid0(VALU_DEP_2) | instskip(NEXT) | instid1(VALU_DEP_1)
	v_sub_nc_u16 v19, 0, v18
	v_max_i16 v20, v18, v19
	v_bfe_i32 v19, v16, 0, 8
	v_cmpx_ne_u16_e32 0, v15
	s_cbranch_execz .LBB51_41
; %bb.38:
	s_delay_alu instid0(VALU_DEP_2) | instskip(NEXT) | instid1(VALU_DEP_1)
	v_sub_nc_u16 v15, 0, v19
	v_max_i16 v21, v19, v15
	v_and_b32_e32 v15, 0xff, v20
	s_delay_alu instid0(VALU_DEP_2)
	v_and_b32_e32 v21, 0xffff, v21
.LBB51_39:                              ; =>This Inner Loop Header: Depth=1
	s_delay_alu instid0(VALU_DEP_2) | instskip(NEXT) | instid1(VALU_DEP_2)
	v_bfe_i32 v23, v15, 0, 8
	v_mov_b32_e32 v20, v21
	s_delay_alu instid0(VALU_DEP_2) | instskip(NEXT) | instid1(VALU_DEP_2)
	v_cvt_f32_i32_e32 v25, v23
	v_bfe_i32 v21, v20, 0, 8
	s_delay_alu instid0(VALU_DEP_1) | instskip(SKIP_1) | instid1(VALU_DEP_2)
	v_cvt_f32_i32_e32 v22, v21
	v_xor_b32_e32 v21, v23, v21
	v_rcp_iflag_f32_e32 v24, v22
	v_nop
	s_delay_alu instid0(TRANS32_DEP_1) | instskip(NEXT) | instid1(VALU_DEP_1)
	v_dual_ashrrev_i32 v21, 30, v21 :: v_dual_mul_f32 v23, v25, v24
	v_trunc_f32_e32 v23, v23
	s_delay_alu instid0(VALU_DEP_1) | instskip(SKIP_1) | instid1(VALU_DEP_2)
	v_dual_fma_f32 v24, -v23, v22, v25 :: v_dual_bitop2_b32 v21, 1, v21 bitop3:0x54
	v_cvt_i32_f32_e32 v23, v23
	v_cmp_ge_f32_e64 vcc_lo, |v24|, |v22|
	s_delay_alu instid0(VALU_DEP_3) | instskip(NEXT) | instid1(VALU_DEP_1)
	v_cndmask_b32_e32 v21, 0, v21, vcc_lo
	v_add_nc_u32_e32 v21, v23, v21
	s_delay_alu instid0(VALU_DEP_1) | instskip(NEXT) | instid1(VALU_DEP_1)
	v_mul_lo_u32 v21, v21, v20
	v_sub_nc_u32_e32 v15, v15, v21
	s_delay_alu instid0(VALU_DEP_1) | instskip(SKIP_1) | instid1(VALU_DEP_2)
	v_bfe_i32 v21, v15, 0, 8
	v_mov_b32_e32 v15, v20
	v_cmp_eq_u16_e32 vcc_lo, 0, v21
	v_and_b32_e32 v21, 0xffff, v21
	s_or_b32 s10, vcc_lo, s10
	s_delay_alu instid0(SALU_CYCLE_1)
	s_and_not1_b32 exec_lo, exec_lo, s10
	s_cbranch_execnz .LBB51_39
; %bb.40:
	s_or_b32 exec_lo, exec_lo, s10
.LBB51_41:
	s_delay_alu instid0(SALU_CYCLE_1) | instskip(SKIP_3) | instid1(VALU_DEP_2)
	s_or_b32 exec_lo, exec_lo, s0
	v_and_b32_e32 v21, 0xff, v20
	v_mov_b32_e32 v15, 0
	s_mov_b32 s0, exec_lo
	v_cmpx_ne_u16_e32 0, v21
	s_cbranch_execz .LBB51_43
; %bb.42:
	v_bfe_i32 v15, v20, 0, 8
	v_cvt_f32_i32_e32 v22, v19
	s_delay_alu instid0(VALU_DEP_2) | instskip(SKIP_1) | instid1(VALU_DEP_2)
	v_cvt_f32_i32_e32 v20, v15
	v_xor_b32_e32 v15, v19, v15
	v_rcp_iflag_f32_e32 v21, v20
	v_nop
	s_delay_alu instid0(TRANS32_DEP_1) | instskip(NEXT) | instid1(VALU_DEP_1)
	v_mul_f32_e32 v21, v22, v21
	v_trunc_f32_e32 v19, v21
	s_delay_alu instid0(VALU_DEP_1) | instskip(NEXT) | instid1(VALU_DEP_1)
	v_dual_ashrrev_i32 v15, 30, v15 :: v_dual_fma_f32 v21, -v19, v20, v22
	v_or_b32_e32 v15, 1, v15
	v_cvt_i32_f32_e32 v19, v19
	s_delay_alu instid0(VALU_DEP_3) | instskip(NEXT) | instid1(VALU_DEP_3)
	v_cmp_ge_f32_e64 vcc_lo, |v21|, |v20|
	v_cndmask_b32_e32 v15, 0, v15, vcc_lo
	s_delay_alu instid0(VALU_DEP_1) | instskip(NEXT) | instid1(VALU_DEP_1)
	v_add_nc_u32_e32 v15, v19, v15
	v_bfe_i32 v15, v15, 0, 8
	s_delay_alu instid0(VALU_DEP_1) | instskip(NEXT) | instid1(VALU_DEP_1)
	v_mul_i32_i24_e32 v15, v15, v18
	v_sub_nc_u32_e32 v18, 0, v15
	s_delay_alu instid0(VALU_DEP_1)
	v_max_i32_e32 v15, v15, v18
.LBB51_43:
	s_or_b32 exec_lo, exec_lo, s0
	v_ashrrev_i16 v19, 8, v17
	v_lshrrev_b16 v18, 8, v16
	s_mov_b32 s10, 0
	s_mov_b32 s0, exec_lo
	s_delay_alu instid0(VALU_DEP_2) | instskip(NEXT) | instid1(VALU_DEP_1)
	v_sub_nc_u16 v20, 0, v19
	v_max_i16 v19, v19, v20
	v_cmpx_ne_u16_e32 0, v18
	s_cbranch_execz .LBB51_47
; %bb.44:
	v_ashrrev_i16 v16, 8, v16
	s_delay_alu instid0(VALU_DEP_1) | instskip(NEXT) | instid1(VALU_DEP_1)
	v_sub_nc_u16 v20, 0, v16
	v_max_i16 v20, v16, v20
	v_and_b32_e32 v16, 0xff, v19
	s_delay_alu instid0(VALU_DEP_2)
	v_and_b32_e32 v20, 0xffff, v20
.LBB51_45:                              ; =>This Inner Loop Header: Depth=1
	s_delay_alu instid0(VALU_DEP_2) | instskip(NEXT) | instid1(VALU_DEP_2)
	v_bfe_i32 v22, v16, 0, 8
	v_mov_b32_e32 v19, v20
	s_delay_alu instid0(VALU_DEP_2) | instskip(NEXT) | instid1(VALU_DEP_2)
	v_cvt_f32_i32_e32 v24, v22
	v_bfe_i32 v20, v19, 0, 8
	s_delay_alu instid0(VALU_DEP_1) | instskip(SKIP_1) | instid1(VALU_DEP_2)
	v_cvt_f32_i32_e32 v21, v20
	v_xor_b32_e32 v20, v22, v20
	v_rcp_iflag_f32_e32 v23, v21
	v_nop
	s_delay_alu instid0(TRANS32_DEP_1) | instskip(NEXT) | instid1(VALU_DEP_1)
	v_dual_ashrrev_i32 v20, 30, v20 :: v_dual_mul_f32 v22, v24, v23
	v_trunc_f32_e32 v22, v22
	s_delay_alu instid0(VALU_DEP_1) | instskip(SKIP_1) | instid1(VALU_DEP_2)
	v_dual_fma_f32 v23, -v22, v21, v24 :: v_dual_bitop2_b32 v20, 1, v20 bitop3:0x54
	v_cvt_i32_f32_e32 v22, v22
	v_cmp_ge_f32_e64 vcc_lo, |v23|, |v21|
	s_delay_alu instid0(VALU_DEP_3) | instskip(NEXT) | instid1(VALU_DEP_1)
	v_cndmask_b32_e32 v20, 0, v20, vcc_lo
	v_add_nc_u32_e32 v20, v22, v20
	s_delay_alu instid0(VALU_DEP_1) | instskip(NEXT) | instid1(VALU_DEP_1)
	v_mul_lo_u32 v20, v20, v19
	v_sub_nc_u32_e32 v16, v16, v20
	s_delay_alu instid0(VALU_DEP_1) | instskip(SKIP_1) | instid1(VALU_DEP_2)
	v_bfe_i32 v20, v16, 0, 8
	v_mov_b32_e32 v16, v19
	v_cmp_eq_u16_e32 vcc_lo, 0, v20
	v_and_b32_e32 v20, 0xffff, v20
	s_or_b32 s10, vcc_lo, s10
	s_delay_alu instid0(SALU_CYCLE_1)
	s_and_not1_b32 exec_lo, exec_lo, s10
	s_cbranch_execnz .LBB51_45
; %bb.46:
	s_or_b32 exec_lo, exec_lo, s10
.LBB51_47:
	s_delay_alu instid0(SALU_CYCLE_1) | instskip(NEXT) | instid1(VALU_DEP_2)
	s_or_b32 exec_lo, exec_lo, s0
	v_and_b32_e32 v20, 0xff, v19
	v_mov_b32_e32 v16, 0
	s_mov_b32 s0, exec_lo
	s_delay_alu instid0(VALU_DEP_2)
	v_cmpx_ne_u16_e32 0, v20
	s_cbranch_execz .LBB51_49
; %bb.48:
	v_bfe_i32 v16, v19, 0, 8
	v_bfe_i32 v18, v18, 0, 8
	v_lshrrev_b16 v17, 8, v17
	s_delay_alu instid0(VALU_DEP_3) | instskip(NEXT) | instid1(VALU_DEP_3)
	v_cvt_f32_i32_e32 v19, v16
	v_cvt_f32_i32_e32 v21, v18
	v_xor_b32_e32 v16, v18, v16
	s_delay_alu instid0(VALU_DEP_4) | instskip(NEXT) | instid1(VALU_DEP_4)
	v_bfe_i32 v17, v17, 0, 8
	v_rcp_iflag_f32_e32 v20, v19
	v_nop
	s_delay_alu instid0(TRANS32_DEP_1) | instskip(NEXT) | instid1(VALU_DEP_1)
	v_mul_f32_e32 v20, v21, v20
	v_trunc_f32_e32 v18, v20
	s_delay_alu instid0(VALU_DEP_1) | instskip(SKIP_1) | instid1(VALU_DEP_2)
	v_dual_fma_f32 v20, -v18, v19, v21 :: v_dual_ashrrev_i32 v16, 30, v16
	v_cvt_i32_f32_e32 v18, v18
	v_cmp_ge_f32_e64 vcc_lo, |v20|, |v19|
	s_delay_alu instid0(VALU_DEP_3) | instskip(NEXT) | instid1(VALU_DEP_1)
	v_or_b32_e32 v16, 1, v16
	v_cndmask_b32_e32 v16, 0, v16, vcc_lo
	s_delay_alu instid0(VALU_DEP_1) | instskip(NEXT) | instid1(VALU_DEP_1)
	v_add_nc_u32_e32 v16, v18, v16
	v_bfe_i32 v16, v16, 0, 8
	s_delay_alu instid0(VALU_DEP_1) | instskip(NEXT) | instid1(VALU_DEP_1)
	v_mul_i32_i24_e32 v16, v16, v17
	v_sub_nc_u32_e32 v17, 0, v16
	s_delay_alu instid0(VALU_DEP_1)
	v_max_i32_e32 v16, v16, v17
.LBB51_49:
	s_or_b32 exec_lo, exec_lo, s0
	s_wait_loadcnt 0x3
	v_bfe_i32 v18, v13, 0, 8
	v_and_b32_e32 v17, 0xff, v14
	s_mov_b32 s10, 0
	s_mov_b32 s0, exec_lo
	s_delay_alu instid0(VALU_DEP_2) | instskip(NEXT) | instid1(VALU_DEP_1)
	v_sub_nc_u16 v19, 0, v18
	v_max_i16 v20, v18, v19
	v_bfe_i32 v19, v14, 0, 8
	v_cmpx_ne_u16_e32 0, v17
	s_cbranch_execz .LBB51_53
; %bb.50:
	s_delay_alu instid0(VALU_DEP_2) | instskip(NEXT) | instid1(VALU_DEP_1)
	v_sub_nc_u16 v17, 0, v19
	v_max_i16 v21, v19, v17
	v_and_b32_e32 v17, 0xff, v20
	s_delay_alu instid0(VALU_DEP_2)
	v_and_b32_e32 v21, 0xffff, v21
.LBB51_51:                              ; =>This Inner Loop Header: Depth=1
	s_delay_alu instid0(VALU_DEP_2) | instskip(NEXT) | instid1(VALU_DEP_2)
	v_bfe_i32 v23, v17, 0, 8
	v_mov_b32_e32 v20, v21
	s_delay_alu instid0(VALU_DEP_2) | instskip(NEXT) | instid1(VALU_DEP_2)
	v_cvt_f32_i32_e32 v25, v23
	v_bfe_i32 v21, v20, 0, 8
	s_delay_alu instid0(VALU_DEP_1) | instskip(SKIP_1) | instid1(VALU_DEP_2)
	v_cvt_f32_i32_e32 v22, v21
	v_xor_b32_e32 v21, v23, v21
	v_rcp_iflag_f32_e32 v24, v22
	v_nop
	s_delay_alu instid0(TRANS32_DEP_1) | instskip(NEXT) | instid1(VALU_DEP_1)
	v_dual_ashrrev_i32 v21, 30, v21 :: v_dual_mul_f32 v23, v25, v24
	v_trunc_f32_e32 v23, v23
	s_delay_alu instid0(VALU_DEP_1) | instskip(SKIP_1) | instid1(VALU_DEP_2)
	v_dual_fma_f32 v24, -v23, v22, v25 :: v_dual_bitop2_b32 v21, 1, v21 bitop3:0x54
	v_cvt_i32_f32_e32 v23, v23
	v_cmp_ge_f32_e64 vcc_lo, |v24|, |v22|
	s_delay_alu instid0(VALU_DEP_3) | instskip(NEXT) | instid1(VALU_DEP_1)
	v_cndmask_b32_e32 v21, 0, v21, vcc_lo
	v_add_nc_u32_e32 v21, v23, v21
	s_delay_alu instid0(VALU_DEP_1) | instskip(NEXT) | instid1(VALU_DEP_1)
	v_mul_lo_u32 v21, v21, v20
	v_sub_nc_u32_e32 v17, v17, v21
	s_delay_alu instid0(VALU_DEP_1) | instskip(SKIP_1) | instid1(VALU_DEP_2)
	v_bfe_i32 v21, v17, 0, 8
	v_mov_b32_e32 v17, v20
	v_cmp_eq_u16_e32 vcc_lo, 0, v21
	v_and_b32_e32 v21, 0xffff, v21
	s_or_b32 s10, vcc_lo, s10
	s_delay_alu instid0(SALU_CYCLE_1)
	s_and_not1_b32 exec_lo, exec_lo, s10
	s_cbranch_execnz .LBB51_51
; %bb.52:
	s_or_b32 exec_lo, exec_lo, s10
.LBB51_53:
	s_delay_alu instid0(SALU_CYCLE_1) | instskip(SKIP_3) | instid1(VALU_DEP_2)
	s_or_b32 exec_lo, exec_lo, s0
	v_and_b32_e32 v21, 0xff, v20
	v_mov_b32_e32 v17, 0
	s_mov_b32 s0, exec_lo
	v_cmpx_ne_u16_e32 0, v21
	s_cbranch_execz .LBB51_55
; %bb.54:
	v_bfe_i32 v17, v20, 0, 8
	v_cvt_f32_i32_e32 v22, v19
	s_delay_alu instid0(VALU_DEP_2) | instskip(SKIP_1) | instid1(VALU_DEP_2)
	v_cvt_f32_i32_e32 v20, v17
	v_xor_b32_e32 v17, v19, v17
	v_rcp_iflag_f32_e32 v21, v20
	v_nop
	s_delay_alu instid0(TRANS32_DEP_1) | instskip(NEXT) | instid1(VALU_DEP_1)
	v_mul_f32_e32 v21, v22, v21
	v_trunc_f32_e32 v19, v21
	s_delay_alu instid0(VALU_DEP_1) | instskip(SKIP_1) | instid1(VALU_DEP_2)
	v_dual_fma_f32 v21, -v19, v20, v22 :: v_dual_ashrrev_i32 v17, 30, v17
	v_cvt_i32_f32_e32 v19, v19
	v_cmp_ge_f32_e64 vcc_lo, |v21|, |v20|
	s_delay_alu instid0(VALU_DEP_3) | instskip(NEXT) | instid1(VALU_DEP_1)
	v_or_b32_e32 v17, 1, v17
	v_cndmask_b32_e32 v17, 0, v17, vcc_lo
	s_delay_alu instid0(VALU_DEP_1) | instskip(NEXT) | instid1(VALU_DEP_1)
	v_add_nc_u32_e32 v17, v19, v17
	v_bfe_i32 v17, v17, 0, 8
	s_delay_alu instid0(VALU_DEP_1) | instskip(NEXT) | instid1(VALU_DEP_1)
	v_mul_i32_i24_e32 v17, v17, v18
	v_sub_nc_u32_e32 v18, 0, v17
	s_delay_alu instid0(VALU_DEP_1)
	v_max_i32_e32 v17, v17, v18
.LBB51_55:
	s_or_b32 exec_lo, exec_lo, s0
	v_ashrrev_i16 v19, 8, v13
	v_lshrrev_b16 v18, 8, v14
	s_mov_b32 s10, 0
	s_mov_b32 s0, exec_lo
	s_delay_alu instid0(VALU_DEP_2) | instskip(NEXT) | instid1(VALU_DEP_1)
	v_sub_nc_u16 v20, 0, v19
	v_max_i16 v19, v19, v20
	v_cmpx_ne_u16_e32 0, v18
	s_cbranch_execz .LBB51_59
; %bb.56:
	v_ashrrev_i16 v14, 8, v14
	s_delay_alu instid0(VALU_DEP_1) | instskip(NEXT) | instid1(VALU_DEP_1)
	v_sub_nc_u16 v20, 0, v14
	v_max_i16 v20, v14, v20
	v_and_b32_e32 v14, 0xff, v19
	s_delay_alu instid0(VALU_DEP_2)
	v_and_b32_e32 v20, 0xffff, v20
.LBB51_57:                              ; =>This Inner Loop Header: Depth=1
	s_delay_alu instid0(VALU_DEP_2) | instskip(NEXT) | instid1(VALU_DEP_2)
	v_bfe_i32 v22, v14, 0, 8
	v_mov_b32_e32 v19, v20
	s_delay_alu instid0(VALU_DEP_2) | instskip(NEXT) | instid1(VALU_DEP_2)
	v_cvt_f32_i32_e32 v24, v22
	v_bfe_i32 v20, v19, 0, 8
	s_delay_alu instid0(VALU_DEP_1) | instskip(SKIP_1) | instid1(VALU_DEP_2)
	v_cvt_f32_i32_e32 v21, v20
	v_xor_b32_e32 v20, v22, v20
	v_rcp_iflag_f32_e32 v23, v21
	v_nop
	s_delay_alu instid0(TRANS32_DEP_1) | instskip(NEXT) | instid1(VALU_DEP_1)
	v_dual_ashrrev_i32 v20, 30, v20 :: v_dual_mul_f32 v22, v24, v23
	v_trunc_f32_e32 v22, v22
	s_delay_alu instid0(VALU_DEP_1) | instskip(SKIP_1) | instid1(VALU_DEP_2)
	v_dual_fma_f32 v23, -v22, v21, v24 :: v_dual_bitop2_b32 v20, 1, v20 bitop3:0x54
	v_cvt_i32_f32_e32 v22, v22
	v_cmp_ge_f32_e64 vcc_lo, |v23|, |v21|
	s_delay_alu instid0(VALU_DEP_3) | instskip(NEXT) | instid1(VALU_DEP_1)
	v_cndmask_b32_e32 v20, 0, v20, vcc_lo
	v_add_nc_u32_e32 v20, v22, v20
	s_delay_alu instid0(VALU_DEP_1) | instskip(NEXT) | instid1(VALU_DEP_1)
	v_mul_lo_u32 v20, v20, v19
	v_sub_nc_u32_e32 v14, v14, v20
	s_delay_alu instid0(VALU_DEP_1) | instskip(SKIP_1) | instid1(VALU_DEP_2)
	v_bfe_i32 v20, v14, 0, 8
	v_mov_b32_e32 v14, v19
	v_cmp_eq_u16_e32 vcc_lo, 0, v20
	v_and_b32_e32 v20, 0xffff, v20
	s_or_b32 s10, vcc_lo, s10
	s_delay_alu instid0(SALU_CYCLE_1)
	s_and_not1_b32 exec_lo, exec_lo, s10
	s_cbranch_execnz .LBB51_57
; %bb.58:
	s_or_b32 exec_lo, exec_lo, s10
.LBB51_59:
	s_delay_alu instid0(SALU_CYCLE_1) | instskip(NEXT) | instid1(VALU_DEP_2)
	s_or_b32 exec_lo, exec_lo, s0
	v_and_b32_e32 v20, 0xff, v19
	v_mov_b32_e32 v14, 0
	s_mov_b32 s0, exec_lo
	s_delay_alu instid0(VALU_DEP_2)
	v_cmpx_ne_u16_e32 0, v20
	s_cbranch_execz .LBB51_61
; %bb.60:
	v_bfe_i32 v14, v19, 0, 8
	v_bfe_i32 v18, v18, 0, 8
	v_lshrrev_b16 v13, 8, v13
	s_delay_alu instid0(VALU_DEP_3) | instskip(NEXT) | instid1(VALU_DEP_3)
	v_cvt_f32_i32_e32 v19, v14
	v_cvt_f32_i32_e32 v21, v18
	s_delay_alu instid0(VALU_DEP_3) | instskip(SKIP_1) | instid1(VALU_DEP_4)
	v_bfe_i32 v13, v13, 0, 8
	v_xor_b32_e32 v14, v18, v14
	v_rcp_iflag_f32_e32 v20, v19
	v_nop
	s_delay_alu instid0(TRANS32_DEP_1) | instskip(NEXT) | instid1(VALU_DEP_1)
	v_mul_f32_e32 v20, v21, v20
	v_trunc_f32_e32 v18, v20
	s_delay_alu instid0(VALU_DEP_1) | instskip(NEXT) | instid1(VALU_DEP_1)
	v_dual_ashrrev_i32 v14, 30, v14 :: v_dual_fma_f32 v20, -v18, v19, v21
	v_or_b32_e32 v14, 1, v14
	v_cvt_i32_f32_e32 v18, v18
	s_delay_alu instid0(VALU_DEP_3) | instskip(NEXT) | instid1(VALU_DEP_3)
	v_cmp_ge_f32_e64 vcc_lo, |v20|, |v19|
	v_cndmask_b32_e32 v14, 0, v14, vcc_lo
	s_delay_alu instid0(VALU_DEP_1) | instskip(NEXT) | instid1(VALU_DEP_1)
	v_add_nc_u32_e32 v14, v18, v14
	v_bfe_i32 v14, v14, 0, 8
	s_delay_alu instid0(VALU_DEP_1) | instskip(NEXT) | instid1(VALU_DEP_1)
	v_mul_i32_i24_e32 v13, v14, v13
	v_sub_nc_u32_e32 v14, 0, v13
	s_delay_alu instid0(VALU_DEP_1)
	v_max_i32_e32 v14, v13, v14
.LBB51_61:
	s_or_b32 exec_lo, exec_lo, s0
	s_wait_loadcnt 0x2
	v_bfe_i32 v18, v9, 0, 8
	v_and_b32_e32 v13, 0xff, v11
	s_mov_b32 s10, 0
	s_mov_b32 s0, exec_lo
	s_delay_alu instid0(VALU_DEP_2) | instskip(NEXT) | instid1(VALU_DEP_1)
	v_sub_nc_u16 v19, 0, v18
	v_max_i16 v20, v18, v19
	v_bfe_i32 v19, v11, 0, 8
	v_cmpx_ne_u16_e32 0, v13
	s_cbranch_execz .LBB51_65
; %bb.62:
	s_delay_alu instid0(VALU_DEP_2) | instskip(NEXT) | instid1(VALU_DEP_1)
	v_sub_nc_u16 v13, 0, v19
	v_max_i16 v21, v19, v13
	v_and_b32_e32 v13, 0xff, v20
	s_delay_alu instid0(VALU_DEP_2)
	v_and_b32_e32 v21, 0xffff, v21
.LBB51_63:                              ; =>This Inner Loop Header: Depth=1
	s_delay_alu instid0(VALU_DEP_2) | instskip(NEXT) | instid1(VALU_DEP_2)
	v_bfe_i32 v23, v13, 0, 8
	v_mov_b32_e32 v20, v21
	s_delay_alu instid0(VALU_DEP_2) | instskip(NEXT) | instid1(VALU_DEP_2)
	v_cvt_f32_i32_e32 v25, v23
	v_bfe_i32 v21, v20, 0, 8
	s_delay_alu instid0(VALU_DEP_1) | instskip(SKIP_1) | instid1(VALU_DEP_2)
	v_cvt_f32_i32_e32 v22, v21
	v_xor_b32_e32 v21, v23, v21
	v_rcp_iflag_f32_e32 v24, v22
	v_nop
	s_delay_alu instid0(TRANS32_DEP_1) | instskip(NEXT) | instid1(VALU_DEP_1)
	v_dual_ashrrev_i32 v21, 30, v21 :: v_dual_mul_f32 v23, v25, v24
	v_trunc_f32_e32 v23, v23
	s_delay_alu instid0(VALU_DEP_1) | instskip(SKIP_1) | instid1(VALU_DEP_2)
	v_dual_fma_f32 v24, -v23, v22, v25 :: v_dual_bitop2_b32 v21, 1, v21 bitop3:0x54
	v_cvt_i32_f32_e32 v23, v23
	v_cmp_ge_f32_e64 vcc_lo, |v24|, |v22|
	s_delay_alu instid0(VALU_DEP_3) | instskip(NEXT) | instid1(VALU_DEP_1)
	v_cndmask_b32_e32 v21, 0, v21, vcc_lo
	v_add_nc_u32_e32 v21, v23, v21
	s_delay_alu instid0(VALU_DEP_1) | instskip(NEXT) | instid1(VALU_DEP_1)
	v_mul_lo_u32 v21, v21, v20
	v_sub_nc_u32_e32 v13, v13, v21
	s_delay_alu instid0(VALU_DEP_1) | instskip(SKIP_1) | instid1(VALU_DEP_2)
	v_bfe_i32 v21, v13, 0, 8
	v_mov_b32_e32 v13, v20
	v_cmp_eq_u16_e32 vcc_lo, 0, v21
	v_and_b32_e32 v21, 0xffff, v21
	s_or_b32 s10, vcc_lo, s10
	s_delay_alu instid0(SALU_CYCLE_1)
	s_and_not1_b32 exec_lo, exec_lo, s10
	s_cbranch_execnz .LBB51_63
; %bb.64:
	s_or_b32 exec_lo, exec_lo, s10
.LBB51_65:
	s_delay_alu instid0(SALU_CYCLE_1) | instskip(SKIP_3) | instid1(VALU_DEP_2)
	s_or_b32 exec_lo, exec_lo, s0
	v_and_b32_e32 v21, 0xff, v20
	v_mov_b32_e32 v13, 0
	s_mov_b32 s0, exec_lo
	v_cmpx_ne_u16_e32 0, v21
	s_cbranch_execz .LBB51_67
; %bb.66:
	v_bfe_i32 v13, v20, 0, 8
	v_cvt_f32_i32_e32 v22, v19
	s_delay_alu instid0(VALU_DEP_2) | instskip(SKIP_1) | instid1(VALU_DEP_2)
	v_cvt_f32_i32_e32 v20, v13
	v_xor_b32_e32 v13, v19, v13
	v_rcp_iflag_f32_e32 v21, v20
	v_nop
	s_delay_alu instid0(TRANS32_DEP_1) | instskip(NEXT) | instid1(VALU_DEP_1)
	v_mul_f32_e32 v21, v22, v21
	v_trunc_f32_e32 v19, v21
	s_delay_alu instid0(VALU_DEP_1) | instskip(SKIP_1) | instid1(VALU_DEP_2)
	v_dual_fma_f32 v21, -v19, v20, v22 :: v_dual_ashrrev_i32 v13, 30, v13
	v_cvt_i32_f32_e32 v19, v19
	v_cmp_ge_f32_e64 vcc_lo, |v21|, |v20|
	s_delay_alu instid0(VALU_DEP_3) | instskip(NEXT) | instid1(VALU_DEP_1)
	v_or_b32_e32 v13, 1, v13
	v_cndmask_b32_e32 v13, 0, v13, vcc_lo
	s_delay_alu instid0(VALU_DEP_1) | instskip(NEXT) | instid1(VALU_DEP_1)
	v_add_nc_u32_e32 v13, v19, v13
	v_bfe_i32 v13, v13, 0, 8
	s_delay_alu instid0(VALU_DEP_1) | instskip(NEXT) | instid1(VALU_DEP_1)
	v_mul_i32_i24_e32 v13, v13, v18
	v_sub_nc_u32_e32 v18, 0, v13
	s_delay_alu instid0(VALU_DEP_1)
	v_max_i32_e32 v13, v13, v18
.LBB51_67:
	s_or_b32 exec_lo, exec_lo, s0
	v_ashrrev_i16 v19, 8, v9
	v_lshrrev_b16 v18, 8, v11
	s_mov_b32 s10, 0
	s_mov_b32 s0, exec_lo
	s_delay_alu instid0(VALU_DEP_2) | instskip(NEXT) | instid1(VALU_DEP_1)
	v_sub_nc_u16 v20, 0, v19
	v_max_i16 v19, v19, v20
	v_cmpx_ne_u16_e32 0, v18
	s_cbranch_execz .LBB51_71
; %bb.68:
	v_ashrrev_i16 v11, 8, v11
	s_delay_alu instid0(VALU_DEP_1) | instskip(NEXT) | instid1(VALU_DEP_1)
	v_sub_nc_u16 v20, 0, v11
	v_max_i16 v20, v11, v20
	v_and_b32_e32 v11, 0xff, v19
	s_delay_alu instid0(VALU_DEP_2)
	v_and_b32_e32 v20, 0xffff, v20
.LBB51_69:                              ; =>This Inner Loop Header: Depth=1
	s_delay_alu instid0(VALU_DEP_2) | instskip(NEXT) | instid1(VALU_DEP_2)
	v_bfe_i32 v22, v11, 0, 8
	v_mov_b32_e32 v19, v20
	s_delay_alu instid0(VALU_DEP_2) | instskip(NEXT) | instid1(VALU_DEP_2)
	v_cvt_f32_i32_e32 v24, v22
	v_bfe_i32 v20, v19, 0, 8
	s_delay_alu instid0(VALU_DEP_1) | instskip(SKIP_1) | instid1(VALU_DEP_2)
	v_cvt_f32_i32_e32 v21, v20
	v_xor_b32_e32 v20, v22, v20
	v_rcp_iflag_f32_e32 v23, v21
	v_nop
	s_delay_alu instid0(TRANS32_DEP_1) | instskip(NEXT) | instid1(VALU_DEP_1)
	v_dual_ashrrev_i32 v20, 30, v20 :: v_dual_mul_f32 v22, v24, v23
	v_trunc_f32_e32 v22, v22
	s_delay_alu instid0(VALU_DEP_1) | instskip(SKIP_1) | instid1(VALU_DEP_2)
	v_dual_fma_f32 v23, -v22, v21, v24 :: v_dual_bitop2_b32 v20, 1, v20 bitop3:0x54
	v_cvt_i32_f32_e32 v22, v22
	v_cmp_ge_f32_e64 vcc_lo, |v23|, |v21|
	s_delay_alu instid0(VALU_DEP_3) | instskip(NEXT) | instid1(VALU_DEP_1)
	v_cndmask_b32_e32 v20, 0, v20, vcc_lo
	v_add_nc_u32_e32 v20, v22, v20
	s_delay_alu instid0(VALU_DEP_1) | instskip(NEXT) | instid1(VALU_DEP_1)
	v_mul_lo_u32 v20, v20, v19
	v_sub_nc_u32_e32 v11, v11, v20
	s_delay_alu instid0(VALU_DEP_1) | instskip(SKIP_1) | instid1(VALU_DEP_2)
	v_bfe_i32 v20, v11, 0, 8
	v_mov_b32_e32 v11, v19
	v_cmp_eq_u16_e32 vcc_lo, 0, v20
	v_and_b32_e32 v20, 0xffff, v20
	s_or_b32 s10, vcc_lo, s10
	s_delay_alu instid0(SALU_CYCLE_1)
	s_and_not1_b32 exec_lo, exec_lo, s10
	s_cbranch_execnz .LBB51_69
; %bb.70:
	s_or_b32 exec_lo, exec_lo, s10
.LBB51_71:
	s_delay_alu instid0(SALU_CYCLE_1) | instskip(NEXT) | instid1(VALU_DEP_2)
	s_or_b32 exec_lo, exec_lo, s0
	v_and_b32_e32 v20, 0xff, v19
	v_mov_b32_e32 v11, 0
	s_mov_b32 s0, exec_lo
	s_delay_alu instid0(VALU_DEP_2)
	v_cmpx_ne_u16_e32 0, v20
	s_cbranch_execz .LBB51_73
; %bb.72:
	v_bfe_i32 v11, v19, 0, 8
	v_bfe_i32 v18, v18, 0, 8
	v_lshrrev_b16 v9, 8, v9
	s_delay_alu instid0(VALU_DEP_3) | instskip(NEXT) | instid1(VALU_DEP_3)
	v_cvt_f32_i32_e32 v19, v11
	v_cvt_f32_i32_e32 v21, v18
	s_delay_alu instid0(VALU_DEP_3) | instskip(SKIP_1) | instid1(VALU_DEP_4)
	v_bfe_i32 v9, v9, 0, 8
	v_xor_b32_e32 v11, v18, v11
	v_rcp_iflag_f32_e32 v20, v19
	v_nop
	s_delay_alu instid0(TRANS32_DEP_1) | instskip(NEXT) | instid1(VALU_DEP_1)
	v_dual_mul_f32 v20, v21, v20 :: v_dual_ashrrev_i32 v11, 30, v11
	v_or_b32_e32 v11, 1, v11
	s_delay_alu instid0(VALU_DEP_2) | instskip(NEXT) | instid1(VALU_DEP_1)
	v_trunc_f32_e32 v18, v20
	v_fma_f32 v20, -v18, v19, v21
	v_cvt_i32_f32_e32 v18, v18
	s_delay_alu instid0(VALU_DEP_2) | instskip(SKIP_1) | instid1(VALU_DEP_1)
	v_cmp_ge_f32_e64 vcc_lo, |v20|, |v19|
	v_cndmask_b32_e32 v11, 0, v11, vcc_lo
	v_add_nc_u32_e32 v11, v18, v11
	s_delay_alu instid0(VALU_DEP_1) | instskip(NEXT) | instid1(VALU_DEP_1)
	v_bfe_i32 v11, v11, 0, 8
	v_mul_i32_i24_e32 v9, v11, v9
	s_delay_alu instid0(VALU_DEP_1) | instskip(NEXT) | instid1(VALU_DEP_1)
	v_sub_nc_u32_e32 v11, 0, v9
	v_max_i32_e32 v11, v9, v11
.LBB51_73:
	s_or_b32 exec_lo, exec_lo, s0
	s_wait_loadcnt 0x1
	v_bfe_i32 v18, v5, 0, 8
	v_and_b32_e32 v9, 0xff, v7
	s_mov_b32 s10, 0
	s_mov_b32 s0, exec_lo
	s_delay_alu instid0(VALU_DEP_2) | instskip(NEXT) | instid1(VALU_DEP_1)
	v_sub_nc_u16 v19, 0, v18
	v_max_i16 v20, v18, v19
	v_bfe_i32 v19, v7, 0, 8
	v_cmpx_ne_u16_e32 0, v9
	s_cbranch_execz .LBB51_77
; %bb.74:
	s_delay_alu instid0(VALU_DEP_2) | instskip(NEXT) | instid1(VALU_DEP_1)
	v_sub_nc_u16 v9, 0, v19
	v_max_i16 v21, v19, v9
	v_and_b32_e32 v9, 0xff, v20
	s_delay_alu instid0(VALU_DEP_2)
	v_and_b32_e32 v21, 0xffff, v21
.LBB51_75:                              ; =>This Inner Loop Header: Depth=1
	s_delay_alu instid0(VALU_DEP_2) | instskip(NEXT) | instid1(VALU_DEP_2)
	v_bfe_i32 v23, v9, 0, 8
	v_mov_b32_e32 v20, v21
	s_delay_alu instid0(VALU_DEP_2) | instskip(NEXT) | instid1(VALU_DEP_2)
	v_cvt_f32_i32_e32 v25, v23
	v_bfe_i32 v21, v20, 0, 8
	s_delay_alu instid0(VALU_DEP_1) | instskip(SKIP_1) | instid1(VALU_DEP_2)
	v_cvt_f32_i32_e32 v22, v21
	v_xor_b32_e32 v21, v23, v21
	v_rcp_iflag_f32_e32 v24, v22
	v_nop
	s_delay_alu instid0(TRANS32_DEP_1) | instskip(NEXT) | instid1(VALU_DEP_1)
	v_dual_ashrrev_i32 v21, 30, v21 :: v_dual_mul_f32 v23, v25, v24
	v_trunc_f32_e32 v23, v23
	s_delay_alu instid0(VALU_DEP_1) | instskip(SKIP_1) | instid1(VALU_DEP_2)
	v_dual_fma_f32 v24, -v23, v22, v25 :: v_dual_bitop2_b32 v21, 1, v21 bitop3:0x54
	v_cvt_i32_f32_e32 v23, v23
	v_cmp_ge_f32_e64 vcc_lo, |v24|, |v22|
	s_delay_alu instid0(VALU_DEP_3) | instskip(NEXT) | instid1(VALU_DEP_1)
	v_cndmask_b32_e32 v21, 0, v21, vcc_lo
	v_add_nc_u32_e32 v21, v23, v21
	s_delay_alu instid0(VALU_DEP_1) | instskip(NEXT) | instid1(VALU_DEP_1)
	v_mul_lo_u32 v21, v21, v20
	v_sub_nc_u32_e32 v9, v9, v21
	s_delay_alu instid0(VALU_DEP_1) | instskip(SKIP_1) | instid1(VALU_DEP_2)
	v_bfe_i32 v21, v9, 0, 8
	v_mov_b32_e32 v9, v20
	v_cmp_eq_u16_e32 vcc_lo, 0, v21
	v_and_b32_e32 v21, 0xffff, v21
	s_or_b32 s10, vcc_lo, s10
	s_delay_alu instid0(SALU_CYCLE_1)
	s_and_not1_b32 exec_lo, exec_lo, s10
	s_cbranch_execnz .LBB51_75
; %bb.76:
	s_or_b32 exec_lo, exec_lo, s10
.LBB51_77:
	s_delay_alu instid0(SALU_CYCLE_1) | instskip(SKIP_3) | instid1(VALU_DEP_2)
	s_or_b32 exec_lo, exec_lo, s0
	v_and_b32_e32 v21, 0xff, v20
	v_mov_b32_e32 v9, 0
	s_mov_b32 s0, exec_lo
	v_cmpx_ne_u16_e32 0, v21
	s_cbranch_execz .LBB51_79
; %bb.78:
	v_bfe_i32 v9, v20, 0, 8
	v_cvt_f32_i32_e32 v22, v19
	s_delay_alu instid0(VALU_DEP_2) | instskip(SKIP_1) | instid1(VALU_DEP_2)
	v_cvt_f32_i32_e32 v20, v9
	v_xor_b32_e32 v9, v19, v9
	v_rcp_iflag_f32_e32 v21, v20
	v_nop
	s_delay_alu instid0(TRANS32_DEP_1) | instskip(NEXT) | instid1(VALU_DEP_1)
	v_mul_f32_e32 v21, v22, v21
	v_trunc_f32_e32 v19, v21
	s_delay_alu instid0(VALU_DEP_1) | instskip(SKIP_1) | instid1(VALU_DEP_2)
	v_dual_fma_f32 v21, -v19, v20, v22 :: v_dual_ashrrev_i32 v9, 30, v9
	v_cvt_i32_f32_e32 v19, v19
	v_cmp_ge_f32_e64 vcc_lo, |v21|, |v20|
	s_delay_alu instid0(VALU_DEP_3) | instskip(NEXT) | instid1(VALU_DEP_1)
	v_or_b32_e32 v9, 1, v9
	v_cndmask_b32_e32 v9, 0, v9, vcc_lo
	s_delay_alu instid0(VALU_DEP_1) | instskip(NEXT) | instid1(VALU_DEP_1)
	v_add_nc_u32_e32 v9, v19, v9
	v_bfe_i32 v9, v9, 0, 8
	s_delay_alu instid0(VALU_DEP_1) | instskip(NEXT) | instid1(VALU_DEP_1)
	v_mul_i32_i24_e32 v9, v9, v18
	v_sub_nc_u32_e32 v18, 0, v9
	s_delay_alu instid0(VALU_DEP_1)
	v_max_i32_e32 v9, v9, v18
.LBB51_79:
	s_or_b32 exec_lo, exec_lo, s0
	v_ashrrev_i16 v19, 8, v5
	v_lshrrev_b16 v18, 8, v7
	s_mov_b32 s10, 0
	s_mov_b32 s0, exec_lo
	s_delay_alu instid0(VALU_DEP_2) | instskip(NEXT) | instid1(VALU_DEP_1)
	v_sub_nc_u16 v20, 0, v19
	v_max_i16 v19, v19, v20
	v_cmpx_ne_u16_e32 0, v18
	s_cbranch_execz .LBB51_83
; %bb.80:
	v_ashrrev_i16 v7, 8, v7
	s_delay_alu instid0(VALU_DEP_1) | instskip(NEXT) | instid1(VALU_DEP_1)
	v_sub_nc_u16 v20, 0, v7
	v_max_i16 v20, v7, v20
	v_and_b32_e32 v7, 0xff, v19
	s_delay_alu instid0(VALU_DEP_2)
	v_and_b32_e32 v20, 0xffff, v20
.LBB51_81:                              ; =>This Inner Loop Header: Depth=1
	s_delay_alu instid0(VALU_DEP_2) | instskip(NEXT) | instid1(VALU_DEP_2)
	v_bfe_i32 v22, v7, 0, 8
	v_mov_b32_e32 v19, v20
	s_delay_alu instid0(VALU_DEP_2) | instskip(NEXT) | instid1(VALU_DEP_2)
	v_cvt_f32_i32_e32 v24, v22
	v_bfe_i32 v20, v19, 0, 8
	s_delay_alu instid0(VALU_DEP_1) | instskip(SKIP_1) | instid1(VALU_DEP_2)
	v_cvt_f32_i32_e32 v21, v20
	v_xor_b32_e32 v20, v22, v20
	v_rcp_iflag_f32_e32 v23, v21
	v_nop
	s_delay_alu instid0(TRANS32_DEP_1) | instskip(NEXT) | instid1(VALU_DEP_1)
	v_dual_ashrrev_i32 v20, 30, v20 :: v_dual_mul_f32 v22, v24, v23
	v_trunc_f32_e32 v22, v22
	s_delay_alu instid0(VALU_DEP_1) | instskip(SKIP_1) | instid1(VALU_DEP_2)
	v_dual_fma_f32 v23, -v22, v21, v24 :: v_dual_bitop2_b32 v20, 1, v20 bitop3:0x54
	v_cvt_i32_f32_e32 v22, v22
	v_cmp_ge_f32_e64 vcc_lo, |v23|, |v21|
	s_delay_alu instid0(VALU_DEP_3) | instskip(NEXT) | instid1(VALU_DEP_1)
	v_cndmask_b32_e32 v20, 0, v20, vcc_lo
	v_add_nc_u32_e32 v20, v22, v20
	s_delay_alu instid0(VALU_DEP_1) | instskip(NEXT) | instid1(VALU_DEP_1)
	v_mul_lo_u32 v20, v20, v19
	v_sub_nc_u32_e32 v7, v7, v20
	s_delay_alu instid0(VALU_DEP_1) | instskip(SKIP_1) | instid1(VALU_DEP_2)
	v_bfe_i32 v20, v7, 0, 8
	v_mov_b32_e32 v7, v19
	v_cmp_eq_u16_e32 vcc_lo, 0, v20
	v_and_b32_e32 v20, 0xffff, v20
	s_or_b32 s10, vcc_lo, s10
	s_delay_alu instid0(SALU_CYCLE_1)
	s_and_not1_b32 exec_lo, exec_lo, s10
	s_cbranch_execnz .LBB51_81
; %bb.82:
	s_or_b32 exec_lo, exec_lo, s10
.LBB51_83:
	s_delay_alu instid0(SALU_CYCLE_1) | instskip(NEXT) | instid1(VALU_DEP_2)
	s_or_b32 exec_lo, exec_lo, s0
	v_and_b32_e32 v20, 0xff, v19
	v_mov_b32_e32 v7, 0
	s_mov_b32 s0, exec_lo
	s_delay_alu instid0(VALU_DEP_2)
	v_cmpx_ne_u16_e32 0, v20
	s_cbranch_execz .LBB51_85
; %bb.84:
	v_bfe_i32 v7, v19, 0, 8
	v_bfe_i32 v18, v18, 0, 8
	v_lshrrev_b16 v5, 8, v5
	s_delay_alu instid0(VALU_DEP_3) | instskip(NEXT) | instid1(VALU_DEP_3)
	v_cvt_f32_i32_e32 v19, v7
	v_cvt_f32_i32_e32 v21, v18
	s_delay_alu instid0(VALU_DEP_3) | instskip(SKIP_1) | instid1(VALU_DEP_4)
	v_bfe_i32 v5, v5, 0, 8
	v_xor_b32_e32 v7, v18, v7
	v_rcp_iflag_f32_e32 v20, v19
	v_nop
	s_delay_alu instid0(TRANS32_DEP_1) | instskip(NEXT) | instid1(VALU_DEP_1)
	v_dual_mul_f32 v20, v21, v20 :: v_dual_ashrrev_i32 v7, 30, v7
	v_or_b32_e32 v7, 1, v7
	s_delay_alu instid0(VALU_DEP_2) | instskip(NEXT) | instid1(VALU_DEP_1)
	v_trunc_f32_e32 v18, v20
	v_fma_f32 v20, -v18, v19, v21
	v_cvt_i32_f32_e32 v18, v18
	s_delay_alu instid0(VALU_DEP_2) | instskip(SKIP_1) | instid1(VALU_DEP_1)
	v_cmp_ge_f32_e64 vcc_lo, |v20|, |v19|
	v_cndmask_b32_e32 v7, 0, v7, vcc_lo
	v_add_nc_u32_e32 v7, v18, v7
	s_delay_alu instid0(VALU_DEP_1) | instskip(NEXT) | instid1(VALU_DEP_1)
	v_bfe_i32 v7, v7, 0, 8
	v_mul_i32_i24_e32 v5, v7, v5
	s_delay_alu instid0(VALU_DEP_1) | instskip(NEXT) | instid1(VALU_DEP_1)
	v_sub_nc_u32_e32 v7, 0, v5
	v_max_i32_e32 v7, v5, v7
.LBB51_85:
	s_or_b32 exec_lo, exec_lo, s0
	s_wait_loadcnt 0x0
	v_bfe_i32 v18, v1, 0, 8
	v_and_b32_e32 v5, 0xff, v3
	s_mov_b32 s10, 0
	s_mov_b32 s0, exec_lo
	s_delay_alu instid0(VALU_DEP_2) | instskip(NEXT) | instid1(VALU_DEP_1)
	v_sub_nc_u16 v19, 0, v18
	v_max_i16 v20, v18, v19
	v_bfe_i32 v19, v3, 0, 8
	v_cmpx_ne_u16_e32 0, v5
	s_cbranch_execz .LBB51_89
; %bb.86:
	s_delay_alu instid0(VALU_DEP_2) | instskip(NEXT) | instid1(VALU_DEP_1)
	v_sub_nc_u16 v5, 0, v19
	v_max_i16 v21, v19, v5
	v_and_b32_e32 v5, 0xff, v20
	s_delay_alu instid0(VALU_DEP_2)
	v_and_b32_e32 v21, 0xffff, v21
.LBB51_87:                              ; =>This Inner Loop Header: Depth=1
	s_delay_alu instid0(VALU_DEP_2) | instskip(NEXT) | instid1(VALU_DEP_2)
	v_bfe_i32 v23, v5, 0, 8
	v_mov_b32_e32 v20, v21
	s_delay_alu instid0(VALU_DEP_2) | instskip(NEXT) | instid1(VALU_DEP_2)
	v_cvt_f32_i32_e32 v25, v23
	v_bfe_i32 v21, v20, 0, 8
	s_delay_alu instid0(VALU_DEP_1) | instskip(SKIP_1) | instid1(VALU_DEP_2)
	v_cvt_f32_i32_e32 v22, v21
	v_xor_b32_e32 v21, v23, v21
	v_rcp_iflag_f32_e32 v24, v22
	v_nop
	s_delay_alu instid0(TRANS32_DEP_1) | instskip(NEXT) | instid1(VALU_DEP_1)
	v_dual_ashrrev_i32 v21, 30, v21 :: v_dual_mul_f32 v23, v25, v24
	v_trunc_f32_e32 v23, v23
	s_delay_alu instid0(VALU_DEP_1) | instskip(SKIP_1) | instid1(VALU_DEP_2)
	v_dual_fma_f32 v24, -v23, v22, v25 :: v_dual_bitop2_b32 v21, 1, v21 bitop3:0x54
	v_cvt_i32_f32_e32 v23, v23
	v_cmp_ge_f32_e64 vcc_lo, |v24|, |v22|
	s_delay_alu instid0(VALU_DEP_3) | instskip(NEXT) | instid1(VALU_DEP_1)
	v_cndmask_b32_e32 v21, 0, v21, vcc_lo
	v_add_nc_u32_e32 v21, v23, v21
	s_delay_alu instid0(VALU_DEP_1) | instskip(NEXT) | instid1(VALU_DEP_1)
	v_mul_lo_u32 v21, v21, v20
	v_sub_nc_u32_e32 v5, v5, v21
	s_delay_alu instid0(VALU_DEP_1) | instskip(SKIP_1) | instid1(VALU_DEP_2)
	v_bfe_i32 v21, v5, 0, 8
	v_mov_b32_e32 v5, v20
	v_cmp_eq_u16_e32 vcc_lo, 0, v21
	v_and_b32_e32 v21, 0xffff, v21
	s_or_b32 s10, vcc_lo, s10
	s_delay_alu instid0(SALU_CYCLE_1)
	s_and_not1_b32 exec_lo, exec_lo, s10
	s_cbranch_execnz .LBB51_87
; %bb.88:
	s_or_b32 exec_lo, exec_lo, s10
.LBB51_89:
	s_delay_alu instid0(SALU_CYCLE_1) | instskip(SKIP_3) | instid1(VALU_DEP_2)
	s_or_b32 exec_lo, exec_lo, s0
	v_and_b32_e32 v21, 0xff, v20
	v_mov_b32_e32 v5, 0
	s_mov_b32 s0, exec_lo
	v_cmpx_ne_u16_e32 0, v21
	s_cbranch_execz .LBB51_91
; %bb.90:
	v_bfe_i32 v5, v20, 0, 8
	v_cvt_f32_i32_e32 v22, v19
	s_delay_alu instid0(VALU_DEP_2) | instskip(SKIP_1) | instid1(VALU_DEP_2)
	v_cvt_f32_i32_e32 v20, v5
	v_xor_b32_e32 v5, v19, v5
	v_rcp_iflag_f32_e32 v21, v20
	v_nop
	s_delay_alu instid0(TRANS32_DEP_1) | instskip(NEXT) | instid1(VALU_DEP_1)
	v_mul_f32_e32 v21, v22, v21
	v_trunc_f32_e32 v19, v21
	s_delay_alu instid0(VALU_DEP_1) | instskip(SKIP_1) | instid1(VALU_DEP_2)
	v_dual_fma_f32 v21, -v19, v20, v22 :: v_dual_ashrrev_i32 v5, 30, v5
	v_cvt_i32_f32_e32 v19, v19
	v_cmp_ge_f32_e64 vcc_lo, |v21|, |v20|
	s_delay_alu instid0(VALU_DEP_3) | instskip(NEXT) | instid1(VALU_DEP_1)
	v_or_b32_e32 v5, 1, v5
	v_cndmask_b32_e32 v5, 0, v5, vcc_lo
	s_delay_alu instid0(VALU_DEP_1) | instskip(NEXT) | instid1(VALU_DEP_1)
	v_add_nc_u32_e32 v5, v19, v5
	v_bfe_i32 v5, v5, 0, 8
	s_delay_alu instid0(VALU_DEP_1) | instskip(NEXT) | instid1(VALU_DEP_1)
	v_mul_i32_i24_e32 v5, v5, v18
	v_sub_nc_u32_e32 v18, 0, v5
	s_delay_alu instid0(VALU_DEP_1)
	v_max_i32_e32 v5, v5, v18
.LBB51_91:
	s_or_b32 exec_lo, exec_lo, s0
	v_ashrrev_i16 v19, 8, v1
	v_lshrrev_b16 v18, 8, v3
	s_mov_b32 s10, 0
	s_mov_b32 s0, exec_lo
	s_delay_alu instid0(VALU_DEP_2) | instskip(NEXT) | instid1(VALU_DEP_1)
	v_sub_nc_u16 v20, 0, v19
	v_max_i16 v19, v19, v20
	v_cmpx_ne_u16_e32 0, v18
	s_cbranch_execz .LBB51_95
; %bb.92:
	v_ashrrev_i16 v3, 8, v3
	s_delay_alu instid0(VALU_DEP_1) | instskip(NEXT) | instid1(VALU_DEP_1)
	v_sub_nc_u16 v20, 0, v3
	v_max_i16 v20, v3, v20
	v_and_b32_e32 v3, 0xff, v19
	s_delay_alu instid0(VALU_DEP_2)
	v_and_b32_e32 v20, 0xffff, v20
.LBB51_93:                              ; =>This Inner Loop Header: Depth=1
	s_delay_alu instid0(VALU_DEP_2) | instskip(NEXT) | instid1(VALU_DEP_2)
	v_bfe_i32 v22, v3, 0, 8
	v_mov_b32_e32 v19, v20
	s_delay_alu instid0(VALU_DEP_2) | instskip(NEXT) | instid1(VALU_DEP_2)
	v_cvt_f32_i32_e32 v24, v22
	v_bfe_i32 v20, v19, 0, 8
	s_delay_alu instid0(VALU_DEP_1) | instskip(SKIP_1) | instid1(VALU_DEP_2)
	v_cvt_f32_i32_e32 v21, v20
	v_xor_b32_e32 v20, v22, v20
	v_rcp_iflag_f32_e32 v23, v21
	v_nop
	s_delay_alu instid0(TRANS32_DEP_1) | instskip(NEXT) | instid1(VALU_DEP_1)
	v_dual_ashrrev_i32 v20, 30, v20 :: v_dual_mul_f32 v22, v24, v23
	v_trunc_f32_e32 v22, v22
	s_delay_alu instid0(VALU_DEP_1) | instskip(SKIP_1) | instid1(VALU_DEP_2)
	v_dual_fma_f32 v23, -v22, v21, v24 :: v_dual_bitop2_b32 v20, 1, v20 bitop3:0x54
	v_cvt_i32_f32_e32 v22, v22
	v_cmp_ge_f32_e64 vcc_lo, |v23|, |v21|
	s_delay_alu instid0(VALU_DEP_3) | instskip(NEXT) | instid1(VALU_DEP_1)
	v_cndmask_b32_e32 v20, 0, v20, vcc_lo
	v_add_nc_u32_e32 v20, v22, v20
	s_delay_alu instid0(VALU_DEP_1) | instskip(NEXT) | instid1(VALU_DEP_1)
	v_mul_lo_u32 v20, v20, v19
	v_sub_nc_u32_e32 v3, v3, v20
	s_delay_alu instid0(VALU_DEP_1) | instskip(SKIP_1) | instid1(VALU_DEP_2)
	v_bfe_i32 v20, v3, 0, 8
	v_mov_b32_e32 v3, v19
	v_cmp_eq_u16_e32 vcc_lo, 0, v20
	v_and_b32_e32 v20, 0xffff, v20
	s_or_b32 s10, vcc_lo, s10
	s_delay_alu instid0(SALU_CYCLE_1)
	s_and_not1_b32 exec_lo, exec_lo, s10
	s_cbranch_execnz .LBB51_93
; %bb.94:
	s_or_b32 exec_lo, exec_lo, s10
.LBB51_95:
	s_delay_alu instid0(SALU_CYCLE_1) | instskip(NEXT) | instid1(VALU_DEP_2)
	s_or_b32 exec_lo, exec_lo, s0
	v_and_b32_e32 v20, 0xff, v19
	v_mov_b32_e32 v3, 0
	s_mov_b32 s0, exec_lo
	s_delay_alu instid0(VALU_DEP_2)
	v_cmpx_ne_u16_e32 0, v20
	s_cbranch_execz .LBB51_97
; %bb.96:
	v_bfe_i32 v3, v19, 0, 8
	v_bfe_i32 v18, v18, 0, 8
	v_lshrrev_b16 v1, 8, v1
	s_delay_alu instid0(VALU_DEP_3) | instskip(NEXT) | instid1(VALU_DEP_3)
	v_cvt_f32_i32_e32 v19, v3
	v_cvt_f32_i32_e32 v21, v18
	s_delay_alu instid0(VALU_DEP_3) | instskip(SKIP_1) | instid1(VALU_DEP_4)
	v_bfe_i32 v1, v1, 0, 8
	v_xor_b32_e32 v3, v18, v3
	v_rcp_iflag_f32_e32 v20, v19
	v_nop
	s_delay_alu instid0(TRANS32_DEP_1) | instskip(NEXT) | instid1(VALU_DEP_1)
	v_dual_mul_f32 v20, v21, v20 :: v_dual_ashrrev_i32 v3, 30, v3
	v_or_b32_e32 v3, 1, v3
	s_delay_alu instid0(VALU_DEP_2) | instskip(NEXT) | instid1(VALU_DEP_1)
	v_trunc_f32_e32 v18, v20
	v_fma_f32 v20, -v18, v19, v21
	v_cvt_i32_f32_e32 v18, v18
	s_delay_alu instid0(VALU_DEP_2) | instskip(SKIP_1) | instid1(VALU_DEP_1)
	v_cmp_ge_f32_e64 vcc_lo, |v20|, |v19|
	v_cndmask_b32_e32 v3, 0, v3, vcc_lo
	v_add_nc_u32_e32 v3, v18, v3
	s_delay_alu instid0(VALU_DEP_1) | instskip(NEXT) | instid1(VALU_DEP_1)
	v_bfe_i32 v3, v3, 0, 8
	v_mul_i32_i24_e32 v1, v3, v1
	s_delay_alu instid0(VALU_DEP_1) | instskip(NEXT) | instid1(VALU_DEP_1)
	v_sub_nc_u32_e32 v3, 0, v1
	v_max_i32_e32 v3, v1, v3
.LBB51_97:
	s_or_b32 exec_lo, exec_lo, s0
	v_perm_b32 v2, v2, v4, 0xc0c0004
	v_perm_b32 v4, v6, v8, 0xc0c0004
	;; [unrolled: 1-line block ×6, first 2 shown]
	s_add_nc_u64 s[10:11], s[4:5], s[2:3]
	s_mov_b32 s0, 0
	v_perm_b32 v7, v17, v14, 0xc0c0004
	v_perm_b32 v5, v13, v11, 0xc0c0004
	s_clause 0x7
	global_store_b16 v0, v2, s[10:11] scale_offset
	global_store_b16 v0, v4, s[10:11] offset:512 scale_offset
	global_store_b16 v0, v6, s[10:11] offset:1024 scale_offset
	;; [unrolled: 1-line block ×7, first 2 shown]
.LBB51_98:
	s_and_b32 vcc_lo, exec_lo, s0
	s_cbranch_vccz .LBB51_269
; %bb.99:
	v_cmp_gt_i32_e32 vcc_lo, s1, v0
	s_wait_xcnt 0x7
	v_dual_mov_b32 v2, 0 :: v_dual_bitop2_b32 v10, s2, v0 bitop3:0x54
	v_or_b32_e32 v11, 0x100, v0
	v_dual_mov_b32 v13, 0 :: v_dual_mov_b32 v12, 0
	v_dual_mov_b32 v15, 0 :: v_dual_mov_b32 v14, 0
	;; [unrolled: 1-line block ×12, first 2 shown]
	s_wait_xcnt 0x5
	v_dual_mov_b32 v36, 0 :: v_dual_mov_b32 v6, 0
	s_wait_xcnt 0x2
	v_dual_mov_b32 v37, 0 :: v_dual_mov_b32 v5, 0
	v_dual_mov_b32 v38, 0 :: v_dual_mov_b32 v39, 0
	;; [unrolled: 1-line block ×3, first 2 shown]
	s_wait_xcnt 0x0
	s_and_saveexec_b32 s3, vcc_lo
	s_cbranch_execz .LBB51_131
; %bb.100:
	s_clause 0x1
	global_load_u8 v40, v10, s[6:7]
	global_load_u8 v41, v10, s[8:9]
	v_or_b32_e32 v1, 0x100, v0
	v_dual_mov_b32 v39, 0 :: v_dual_mov_b32 v38, 0
	v_dual_mov_b32 v5, 0 :: v_dual_mov_b32 v37, 0
	s_delay_alu instid0(VALU_DEP_3)
	v_cmp_gt_u32_e64 s0, s1, v1
	v_dual_mov_b32 v6, 0 :: v_dual_mov_b32 v36, 0
	v_dual_mov_b32 v35, 0 :: v_dual_mov_b32 v34, 0
	;; [unrolled: 1-line block ×13, first 2 shown]
	s_wait_xcnt 0x0
	s_and_saveexec_b32 s10, s0
	s_cbranch_execz .LBB51_130
; %bb.101:
	v_dual_mov_b32 v5, 0 :: v_dual_add_nc_u32 v4, s2, v0
	v_or_b32_e32 v1, 0x200, v0
	v_dual_mov_b32 v37, 0 :: v_dual_mov_b32 v6, 0
	s_clause 0x1
	global_load_u8 v38, v4, s[6:7] offset:256
	global_load_u8 v39, v4, s[8:9] offset:256
	v_dual_mov_b32 v36, 0 :: v_dual_mov_b32 v35, 0
	v_cmp_gt_u32_e64 s0, s1, v1
	v_dual_mov_b32 v34, 0 :: v_dual_mov_b32 v33, 0
	v_dual_mov_b32 v32, 0 :: v_dual_mov_b32 v31, 0
	;; [unrolled: 1-line block ×11, first 2 shown]
	v_mov_b32_e32 v13, 0
	s_wait_xcnt 0x0
	s_and_saveexec_b32 s11, s0
	s_cbranch_execz .LBB51_129
; %bb.102:
	v_add_nc_u64_e32 v[6:7], s[6:7], v[4:5]
	v_add_nc_u64_e32 v[8:9], s[8:9], v[4:5]
	v_or_b32_e32 v3, 0x300, v0
	v_dual_mov_b32 v36, 0 :: v_dual_mov_b32 v35, 0
	v_dual_mov_b32 v34, 0 :: v_dual_mov_b32 v33, 0
	global_load_u8 v37, v[6:7], off offset:512
	global_load_u8 v1, v[8:9], off offset:512
	v_cmp_gt_u32_e64 s0, s1, v3
	v_dual_mov_b32 v32, 0 :: v_dual_mov_b32 v31, 0
	v_dual_mov_b32 v30, 0 :: v_dual_mov_b32 v29, 0
	;; [unrolled: 1-line block ×10, first 2 shown]
	v_mov_b32_e32 v13, 0
	s_wait_xcnt 0x0
	s_and_saveexec_b32 s6, s0
	s_cbranch_execz .LBB51_128
; %bb.103:
	global_load_u8 v36, v[6:7], off offset:768
	global_load_u8 v5, v[8:9], off offset:768
	v_or_b32_e32 v3, 0x400, v0
	v_dual_mov_b32 v35, 0 :: v_dual_mov_b32 v34, 0
	v_dual_mov_b32 v33, 0 :: v_dual_mov_b32 v32, 0
	s_delay_alu instid0(VALU_DEP_3)
	v_cmp_gt_u32_e64 s0, s1, v3
	v_dual_mov_b32 v31, 0 :: v_dual_mov_b32 v30, 0
	v_dual_mov_b32 v29, 0 :: v_dual_mov_b32 v28, 0
	;; [unrolled: 1-line block ×10, first 2 shown]
	s_wait_xcnt 0x0
	s_and_saveexec_b32 s7, s0
	s_cbranch_execz .LBB51_127
; %bb.104:
	global_load_u8 v34, v[6:7], off offset:1024
	global_load_u8 v35, v[8:9], off offset:1024
	v_or_b32_e32 v3, 0x500, v0
	v_dual_mov_b32 v33, 0 :: v_dual_mov_b32 v32, 0
	v_dual_mov_b32 v31, 0 :: v_dual_mov_b32 v30, 0
	s_delay_alu instid0(VALU_DEP_3)
	v_cmp_gt_u32_e64 s0, s1, v3
	v_dual_mov_b32 v29, 0 :: v_dual_mov_b32 v28, 0
	v_dual_mov_b32 v27, 0 :: v_dual_mov_b32 v26, 0
	;; [unrolled: 1-line block ×9, first 2 shown]
	s_wait_xcnt 0x0
	s_and_saveexec_b32 s8, s0
	s_cbranch_execz .LBB51_126
; %bb.105:
	global_load_u8 v32, v[6:7], off offset:1280
	global_load_u8 v33, v[8:9], off offset:1280
	v_or_b32_e32 v3, 0x600, v0
	v_dual_mov_b32 v31, 0 :: v_dual_mov_b32 v30, 0
	v_dual_mov_b32 v29, 0 :: v_dual_mov_b32 v28, 0
	s_delay_alu instid0(VALU_DEP_3)
	v_cmp_gt_u32_e64 s0, s1, v3
	v_dual_mov_b32 v27, 0 :: v_dual_mov_b32 v26, 0
	v_dual_mov_b32 v24, 0 :: v_dual_mov_b32 v25, 0
	;; [unrolled: 1-line block ×8, first 2 shown]
	s_wait_xcnt 0x0
	s_and_saveexec_b32 s9, s0
	s_cbranch_execz .LBB51_125
; %bb.106:
	global_load_u8 v30, v[6:7], off offset:1536
	global_load_u8 v31, v[8:9], off offset:1536
	v_or_b32_e32 v3, 0x700, v0
	v_dual_mov_b32 v29, 0 :: v_dual_mov_b32 v28, 0
	v_dual_mov_b32 v27, 0 :: v_dual_mov_b32 v26, 0
	;; [unrolled: 1-line block ×9, first 2 shown]
	s_mov_b32 s12, exec_lo
	s_wait_xcnt 0x0
	v_cmpx_gt_u32_e64 s1, v3
	s_cbranch_execz .LBB51_124
; %bb.107:
	global_load_u8 v28, v[6:7], off offset:1792
	global_load_u8 v29, v[8:9], off offset:1792
	v_or_b32_e32 v3, 0x800, v0
	v_dual_mov_b32 v27, 0 :: v_dual_mov_b32 v26, 0
	v_dual_mov_b32 v24, 0 :: v_dual_mov_b32 v25, 0
	;; [unrolled: 1-line block ×8, first 2 shown]
	s_mov_b32 s13, exec_lo
	s_wait_xcnt 0x0
	v_cmpx_gt_u32_e64 s1, v3
	s_cbranch_execz .LBB51_123
; %bb.108:
	global_load_u8 v26, v[6:7], off offset:2048
	global_load_u8 v27, v[8:9], off offset:2048
	v_or_b32_e32 v3, 0x900, v0
	v_dual_mov_b32 v24, 0 :: v_dual_mov_b32 v25, 0
	v_dual_mov_b32 v22, 0 :: v_dual_mov_b32 v23, 0
	;; [unrolled: 1-line block ×7, first 2 shown]
	s_mov_b32 s14, exec_lo
	s_wait_xcnt 0x0
	v_cmpx_gt_u32_e64 s1, v3
	s_cbranch_execz .LBB51_122
; %bb.109:
	global_load_u8 v25, v[6:7], off offset:2304
	global_load_u8 v24, v[8:9], off offset:2304
	v_or_b32_e32 v3, 0xa00, v0
	v_dual_mov_b32 v22, 0 :: v_dual_mov_b32 v23, 0
	v_dual_mov_b32 v20, 0 :: v_dual_mov_b32 v21, 0
	;; [unrolled: 1-line block ×6, first 2 shown]
	s_mov_b32 s15, exec_lo
	s_wait_xcnt 0x0
	v_cmpx_gt_u32_e64 s1, v3
	s_cbranch_execz .LBB51_121
; %bb.110:
	global_load_u8 v23, v[6:7], off offset:2560
	global_load_u8 v22, v[8:9], off offset:2560
	v_or_b32_e32 v3, 0xb00, v0
	v_dual_mov_b32 v20, 0 :: v_dual_mov_b32 v21, 0
	v_dual_mov_b32 v18, 0 :: v_dual_mov_b32 v19, 0
	;; [unrolled: 1-line block ×5, first 2 shown]
	s_mov_b32 s16, exec_lo
	s_wait_xcnt 0x0
	v_cmpx_gt_u32_e64 s1, v3
	s_cbranch_execz .LBB51_120
; %bb.111:
	global_load_u8 v21, v[6:7], off offset:2816
	global_load_u8 v20, v[8:9], off offset:2816
	v_or_b32_e32 v3, 0xc00, v0
	v_dual_mov_b32 v18, 0 :: v_dual_mov_b32 v19, 0
	v_dual_mov_b32 v16, 0 :: v_dual_mov_b32 v17, 0
	;; [unrolled: 1-line block ×4, first 2 shown]
	s_mov_b32 s17, exec_lo
	s_wait_xcnt 0x0
	v_cmpx_gt_u32_e64 s1, v3
	s_cbranch_execz .LBB51_119
; %bb.112:
	global_load_u8 v19, v[6:7], off offset:3072
	global_load_u8 v18, v[8:9], off offset:3072
	v_or_b32_e32 v3, 0xd00, v0
	v_dual_mov_b32 v16, 0 :: v_dual_mov_b32 v17, 0
	v_dual_mov_b32 v14, 0 :: v_dual_mov_b32 v15, 0
	;; [unrolled: 1-line block ×3, first 2 shown]
	s_mov_b32 s18, exec_lo
	s_wait_xcnt 0x0
	v_cmpx_gt_u32_e64 s1, v3
	s_cbranch_execz .LBB51_118
; %bb.113:
	global_load_u8 v17, v[6:7], off offset:3328
	global_load_u8 v16, v[8:9], off offset:3328
	v_or_b32_e32 v3, 0xe00, v0
	v_dual_mov_b32 v14, 0 :: v_dual_mov_b32 v15, 0
	v_dual_mov_b32 v12, 0 :: v_dual_mov_b32 v13, 0
	s_mov_b32 s19, exec_lo
	s_wait_xcnt 0x0
	v_cmpx_gt_u32_e64 s1, v3
	s_cbranch_execz .LBB51_117
; %bb.114:
	global_load_u8 v15, v[6:7], off offset:3584
	global_load_u8 v14, v[8:9], off offset:3584
	v_or_b32_e32 v3, 0xf00, v0
	v_dual_mov_b32 v12, 0 :: v_dual_mov_b32 v13, 0
	s_mov_b32 s20, exec_lo
	s_wait_xcnt 0x0
	s_delay_alu instid0(VALU_DEP_2)
	v_cmpx_gt_u32_e64 s1, v3
	s_cbranch_execz .LBB51_116
; %bb.115:
	global_load_u8 v13, v[6:7], off offset:3840
	global_load_u8 v12, v[8:9], off offset:3840
.LBB51_116:
	s_wait_xcnt 0x0
	s_or_b32 exec_lo, exec_lo, s20
.LBB51_117:
	s_delay_alu instid0(SALU_CYCLE_1)
	s_or_b32 exec_lo, exec_lo, s19
.LBB51_118:
	s_delay_alu instid0(SALU_CYCLE_1)
	s_or_b32 exec_lo, exec_lo, s18
.LBB51_119:
	s_delay_alu instid0(SALU_CYCLE_1)
	s_or_b32 exec_lo, exec_lo, s17
.LBB51_120:
	s_delay_alu instid0(SALU_CYCLE_1)
	s_or_b32 exec_lo, exec_lo, s16
.LBB51_121:
	s_delay_alu instid0(SALU_CYCLE_1)
	s_or_b32 exec_lo, exec_lo, s15
.LBB51_122:
	s_delay_alu instid0(SALU_CYCLE_1)
	s_or_b32 exec_lo, exec_lo, s14
.LBB51_123:
	s_delay_alu instid0(SALU_CYCLE_1)
	s_or_b32 exec_lo, exec_lo, s13
.LBB51_124:
	s_delay_alu instid0(SALU_CYCLE_1)
	s_or_b32 exec_lo, exec_lo, s12
.LBB51_125:
	s_delay_alu instid0(SALU_CYCLE_1)
	s_or_b32 exec_lo, exec_lo, s9
.LBB51_126:
	s_delay_alu instid0(SALU_CYCLE_1)
	s_or_b32 exec_lo, exec_lo, s8
.LBB51_127:
	s_delay_alu instid0(SALU_CYCLE_1)
	s_or_b32 exec_lo, exec_lo, s7
.LBB51_128:
	s_delay_alu instid0(SALU_CYCLE_1)
	s_or_b32 exec_lo, exec_lo, s6
	s_wait_loadcnt 0x0
	v_dual_mov_b32 v6, v5 :: v_dual_mov_b32 v5, v1
.LBB51_129:
	s_or_b32 exec_lo, exec_lo, s11
.LBB51_130:
	s_delay_alu instid0(SALU_CYCLE_1)
	s_or_b32 exec_lo, exec_lo, s10
.LBB51_131:
	s_delay_alu instid0(SALU_CYCLE_1)
	s_or_b32 exec_lo, exec_lo, s3
	v_dual_mov_b32 v1, v2 :: v_dual_mov_b32 v4, v2
	v_mov_b32_e32 v3, v2
	s_and_saveexec_b32 s3, vcc_lo
	s_cbranch_execz .LBB51_139
; %bb.132:
	s_wait_loadcnt 0x0
	v_bfe_i32 v2, v41, 0, 8
	v_and_b32_e32 v1, 0xff, v40
	s_mov_b32 s6, exec_lo
	s_delay_alu instid0(VALU_DEP_2) | instskip(NEXT) | instid1(VALU_DEP_1)
	v_sub_nc_u16 v3, 0, v2
	v_max_i16 v4, v2, v3
	v_bfe_i32 v3, v40, 0, 8
	v_cmpx_ne_u16_e32 0, v1
	s_cbranch_execz .LBB51_136
; %bb.133:
	s_delay_alu instid0(VALU_DEP_2) | instskip(SKIP_1) | instid1(VALU_DEP_1)
	v_sub_nc_u16 v1, 0, v3
	s_mov_b32 s7, 0
	v_max_i16 v7, v3, v1
	v_and_b32_e32 v1, 0xff, v4
	s_delay_alu instid0(VALU_DEP_2)
	v_and_b32_e32 v7, 0xffff, v7
.LBB51_134:                             ; =>This Inner Loop Header: Depth=1
	s_delay_alu instid0(VALU_DEP_2) | instskip(NEXT) | instid1(VALU_DEP_2)
	v_bfe_i32 v9, v1, 0, 8
	v_mov_b32_e32 v4, v7
	s_delay_alu instid0(VALU_DEP_2) | instskip(NEXT) | instid1(VALU_DEP_2)
	v_cvt_f32_i32_e32 v41, v9
	v_bfe_i32 v7, v4, 0, 8
	s_delay_alu instid0(VALU_DEP_1) | instskip(SKIP_1) | instid1(VALU_DEP_2)
	v_cvt_f32_i32_e32 v8, v7
	v_xor_b32_e32 v7, v9, v7
	v_rcp_iflag_f32_e32 v40, v8
	v_nop
	s_delay_alu instid0(TRANS32_DEP_1) | instskip(NEXT) | instid1(VALU_DEP_1)
	v_dual_ashrrev_i32 v7, 30, v7 :: v_dual_mul_f32 v9, v41, v40
	v_trunc_f32_e32 v9, v9
	s_delay_alu instid0(VALU_DEP_1) | instskip(SKIP_1) | instid1(VALU_DEP_2)
	v_dual_fma_f32 v40, -v9, v8, v41 :: v_dual_bitop2_b32 v7, 1, v7 bitop3:0x54
	v_cvt_i32_f32_e32 v9, v9
	v_cmp_ge_f32_e64 s0, |v40|, |v8|
	s_delay_alu instid0(VALU_DEP_1) | instskip(NEXT) | instid1(VALU_DEP_1)
	v_cndmask_b32_e64 v7, 0, v7, s0
	v_add_nc_u32_e32 v7, v9, v7
	s_delay_alu instid0(VALU_DEP_1) | instskip(NEXT) | instid1(VALU_DEP_1)
	v_mul_lo_u32 v7, v7, v4
	v_sub_nc_u32_e32 v1, v1, v7
	s_delay_alu instid0(VALU_DEP_1) | instskip(SKIP_1) | instid1(VALU_DEP_2)
	v_bfe_i32 v7, v1, 0, 8
	v_mov_b32_e32 v1, v4
	v_cmp_eq_u16_e64 s0, 0, v7
	v_and_b32_e32 v7, 0xffff, v7
	s_or_b32 s7, s0, s7
	s_delay_alu instid0(SALU_CYCLE_1)
	s_and_not1_b32 exec_lo, exec_lo, s7
	s_cbranch_execnz .LBB51_134
; %bb.135:
	s_or_b32 exec_lo, exec_lo, s7
.LBB51_136:
	s_delay_alu instid0(SALU_CYCLE_1) | instskip(SKIP_2) | instid1(VALU_DEP_2)
	s_or_b32 exec_lo, exec_lo, s6
	v_and_b32_e32 v7, 0xff, v4
	v_mov_b32_e32 v1, 0
	v_cmp_ne_u16_e64 s0, 0, v7
	v_mov_b32_e32 v7, 0
	s_and_saveexec_b32 s6, s0
	s_cbranch_execz .LBB51_138
; %bb.137:
	v_bfe_i32 v4, v4, 0, 8
	v_cvt_f32_i32_e32 v9, v3
	s_delay_alu instid0(VALU_DEP_2) | instskip(SKIP_1) | instid1(VALU_DEP_2)
	v_cvt_f32_i32_e32 v7, v4
	v_xor_b32_e32 v3, v3, v4
	v_rcp_iflag_f32_e32 v8, v7
	s_delay_alu instid0(VALU_DEP_1)
	v_ashrrev_i32_e32 v3, 30, v3
	s_delay_alu instid0(TRANS32_DEP_1) | instid1(VALU_DEP_1)
	v_dual_mul_f32 v8, v9, v8 :: v_dual_bitop2_b32 v3, 1, v3 bitop3:0x54
	s_delay_alu instid0(VALU_DEP_1) | instskip(NEXT) | instid1(VALU_DEP_1)
	v_trunc_f32_e32 v4, v8
	v_fma_f32 v8, -v4, v7, v9
	v_cvt_i32_f32_e32 v4, v4
	s_delay_alu instid0(VALU_DEP_2) | instskip(NEXT) | instid1(VALU_DEP_1)
	v_cmp_ge_f32_e64 s0, |v8|, |v7|
	v_cndmask_b32_e64 v3, 0, v3, s0
	s_delay_alu instid0(VALU_DEP_1) | instskip(NEXT) | instid1(VALU_DEP_1)
	v_add_nc_u32_e32 v3, v4, v3
	v_bfe_i32 v3, v3, 0, 8
	s_delay_alu instid0(VALU_DEP_1) | instskip(NEXT) | instid1(VALU_DEP_1)
	v_mul_i32_i24_e32 v2, v3, v2
	v_sub_nc_u32_e32 v3, 0, v2
	s_delay_alu instid0(VALU_DEP_1)
	v_max_i32_e32 v7, v2, v3
.LBB51_138:
	s_or_b32 exec_lo, exec_lo, s6
	s_delay_alu instid0(VALU_DEP_1) | instskip(SKIP_1) | instid1(VALU_DEP_2)
	v_and_b32_e32 v2, 0xff, v7
	v_dual_mov_b32 v4, v1 :: v_dual_mov_b32 v3, v1
	v_and_b32_e32 v2, 0xffff, v2
.LBB51_139:
	s_or_b32 exec_lo, exec_lo, s3
	s_delay_alu instid0(SALU_CYCLE_1)
	s_mov_b32 s3, exec_lo
	v_cmpx_gt_i32_e64 s1, v11
	s_cbranch_execz .LBB51_147
; %bb.140:
	s_wait_loadcnt 0x0
	v_bfe_i32 v7, v39, 0, 8
	v_and_b32_e32 v8, 0xff, v38
	s_mov_b32 s7, 0
	s_delay_alu instid0(VALU_DEP_2) | instskip(NEXT) | instid1(VALU_DEP_2)
	v_sub_nc_u16 v9, 0, v7
	v_cmp_ne_u16_e64 s0, 0, v8
	v_bfe_i32 v8, v38, 0, 8
	s_delay_alu instid0(VALU_DEP_3)
	v_max_i16 v9, v7, v9
	s_and_saveexec_b32 s6, s0
	s_cbranch_execz .LBB51_144
; %bb.141:
	s_delay_alu instid0(VALU_DEP_2) | instskip(NEXT) | instid1(VALU_DEP_1)
	v_sub_nc_u16 v38, 0, v8
	v_max_i16 v39, v8, v38
	v_and_b32_e32 v38, 0xff, v9
	s_delay_alu instid0(VALU_DEP_2)
	v_and_b32_e32 v39, 0xffff, v39
.LBB51_142:                             ; =>This Inner Loop Header: Depth=1
	s_delay_alu instid0(VALU_DEP_2) | instskip(NEXT) | instid1(VALU_DEP_2)
	v_bfe_i32 v41, v38, 0, 8
	v_mov_b32_e32 v9, v39
	s_delay_alu instid0(VALU_DEP_2) | instskip(NEXT) | instid1(VALU_DEP_2)
	v_cvt_f32_i32_e32 v43, v41
	v_bfe_i32 v39, v9, 0, 8
	s_delay_alu instid0(VALU_DEP_1) | instskip(SKIP_1) | instid1(VALU_DEP_2)
	v_cvt_f32_i32_e32 v40, v39
	v_xor_b32_e32 v39, v41, v39
	v_rcp_iflag_f32_e32 v42, v40
	v_nop
	s_delay_alu instid0(TRANS32_DEP_1) | instskip(NEXT) | instid1(VALU_DEP_1)
	v_dual_ashrrev_i32 v39, 30, v39 :: v_dual_mul_f32 v41, v43, v42
	v_trunc_f32_e32 v41, v41
	s_delay_alu instid0(VALU_DEP_1) | instskip(SKIP_1) | instid1(VALU_DEP_2)
	v_dual_fma_f32 v42, -v41, v40, v43 :: v_dual_bitop2_b32 v39, 1, v39 bitop3:0x54
	v_cvt_i32_f32_e32 v41, v41
	v_cmp_ge_f32_e64 s0, |v42|, |v40|
	s_delay_alu instid0(VALU_DEP_1) | instskip(NEXT) | instid1(VALU_DEP_1)
	v_cndmask_b32_e64 v39, 0, v39, s0
	v_add_nc_u32_e32 v39, v41, v39
	s_delay_alu instid0(VALU_DEP_1) | instskip(NEXT) | instid1(VALU_DEP_1)
	v_mul_lo_u32 v39, v39, v9
	v_sub_nc_u32_e32 v38, v38, v39
	s_delay_alu instid0(VALU_DEP_1) | instskip(SKIP_1) | instid1(VALU_DEP_2)
	v_bfe_i32 v39, v38, 0, 8
	v_mov_b32_e32 v38, v9
	v_cmp_eq_u16_e64 s0, 0, v39
	v_and_b32_e32 v39, 0xffff, v39
	s_or_b32 s7, s0, s7
	s_delay_alu instid0(SALU_CYCLE_1)
	s_and_not1_b32 exec_lo, exec_lo, s7
	s_cbranch_execnz .LBB51_142
; %bb.143:
	s_or_b32 exec_lo, exec_lo, s7
.LBB51_144:
	s_delay_alu instid0(SALU_CYCLE_1) | instskip(NEXT) | instid1(VALU_DEP_1)
	s_or_b32 exec_lo, exec_lo, s6
	v_and_b32_e32 v39, 0xff, v9
	v_mov_b32_e32 v38, 0
	s_mov_b32 s6, exec_lo
	s_delay_alu instid0(VALU_DEP_2)
	v_cmpx_ne_u16_e32 0, v39
	s_cbranch_execz .LBB51_146
; %bb.145:
	v_bfe_i32 v9, v9, 0, 8
	v_cvt_f32_i32_e32 v40, v8
	s_delay_alu instid0(VALU_DEP_2) | instskip(SKIP_1) | instid1(VALU_DEP_2)
	v_cvt_f32_i32_e32 v38, v9
	v_xor_b32_e32 v8, v8, v9
	v_rcp_iflag_f32_e32 v39, v38
	s_delay_alu instid0(VALU_DEP_1)
	v_ashrrev_i32_e32 v8, 30, v8
	s_delay_alu instid0(TRANS32_DEP_1) | instid1(VALU_DEP_1)
	v_dual_mul_f32 v39, v40, v39 :: v_dual_bitop2_b32 v8, 1, v8 bitop3:0x54
	s_delay_alu instid0(VALU_DEP_1) | instskip(NEXT) | instid1(VALU_DEP_1)
	v_trunc_f32_e32 v9, v39
	v_fma_f32 v39, -v9, v38, v40
	v_cvt_i32_f32_e32 v9, v9
	s_delay_alu instid0(VALU_DEP_2) | instskip(NEXT) | instid1(VALU_DEP_1)
	v_cmp_ge_f32_e64 s0, |v39|, |v38|
	v_cndmask_b32_e64 v8, 0, v8, s0
	s_delay_alu instid0(VALU_DEP_1) | instskip(NEXT) | instid1(VALU_DEP_1)
	v_add_nc_u32_e32 v8, v9, v8
	v_bfe_i32 v8, v8, 0, 8
	s_delay_alu instid0(VALU_DEP_1) | instskip(NEXT) | instid1(VALU_DEP_1)
	v_mul_i32_i24_e32 v7, v8, v7
	v_sub_nc_u32_e32 v8, 0, v7
	s_delay_alu instid0(VALU_DEP_1)
	v_max_i32_e32 v38, v7, v8
.LBB51_146:
	s_or_b32 exec_lo, exec_lo, s6
	s_delay_alu instid0(VALU_DEP_1)
	v_perm_b32 v2, v2, v38, 0x7060004
.LBB51_147:
	s_or_b32 exec_lo, exec_lo, s3
	v_or_b32_e32 v7, 0x200, v0
	s_mov_b32 s3, exec_lo
	s_delay_alu instid0(VALU_DEP_1)
	v_cmpx_gt_i32_e64 s1, v7
	s_cbranch_execz .LBB51_155
; %bb.148:
	v_bfe_i32 v5, v5, 0, 8
	v_and_b32_e32 v7, 0xff, v37
	s_mov_b32 s7, 0
	s_delay_alu instid0(VALU_DEP_2) | instskip(NEXT) | instid1(VALU_DEP_2)
	v_sub_nc_u16 v8, 0, v5
	v_cmp_ne_u16_e64 s0, 0, v7
	v_bfe_i32 v7, v37, 0, 8
	s_delay_alu instid0(VALU_DEP_3)
	v_max_i16 v8, v5, v8
	s_and_saveexec_b32 s6, s0
	s_cbranch_execz .LBB51_152
; %bb.149:
	s_delay_alu instid0(VALU_DEP_2) | instskip(NEXT) | instid1(VALU_DEP_1)
	v_sub_nc_u16 v9, 0, v7
	v_max_i16 v37, v7, v9
	v_and_b32_e32 v9, 0xff, v8
	s_delay_alu instid0(VALU_DEP_2)
	v_and_b32_e32 v37, 0xffff, v37
.LBB51_150:                             ; =>This Inner Loop Header: Depth=1
	s_wait_loadcnt 0x0
	s_delay_alu instid0(VALU_DEP_2) | instskip(NEXT) | instid1(VALU_DEP_2)
	v_bfe_i32 v39, v9, 0, 8
	v_mov_b32_e32 v8, v37
	s_delay_alu instid0(VALU_DEP_2) | instskip(NEXT) | instid1(VALU_DEP_2)
	v_cvt_f32_i32_e32 v41, v39
	v_bfe_i32 v37, v8, 0, 8
	s_delay_alu instid0(VALU_DEP_1) | instskip(SKIP_1) | instid1(VALU_DEP_2)
	v_cvt_f32_i32_e32 v38, v37
	v_xor_b32_e32 v37, v39, v37
	v_rcp_iflag_f32_e32 v40, v38
	v_nop
	s_delay_alu instid0(TRANS32_DEP_1) | instskip(NEXT) | instid1(VALU_DEP_1)
	v_dual_ashrrev_i32 v37, 30, v37 :: v_dual_mul_f32 v39, v41, v40
	v_trunc_f32_e32 v39, v39
	s_delay_alu instid0(VALU_DEP_1) | instskip(SKIP_1) | instid1(VALU_DEP_2)
	v_dual_fma_f32 v40, -v39, v38, v41 :: v_dual_bitop2_b32 v37, 1, v37 bitop3:0x54
	v_cvt_i32_f32_e32 v39, v39
	v_cmp_ge_f32_e64 s0, |v40|, |v38|
	s_delay_alu instid0(VALU_DEP_1) | instskip(NEXT) | instid1(VALU_DEP_1)
	v_cndmask_b32_e64 v37, 0, v37, s0
	v_add_nc_u32_e32 v37, v39, v37
	s_delay_alu instid0(VALU_DEP_1) | instskip(NEXT) | instid1(VALU_DEP_1)
	v_mul_lo_u32 v37, v37, v8
	v_sub_nc_u32_e32 v9, v9, v37
	s_delay_alu instid0(VALU_DEP_1) | instskip(SKIP_1) | instid1(VALU_DEP_2)
	v_bfe_i32 v37, v9, 0, 8
	v_mov_b32_e32 v9, v8
	v_cmp_eq_u16_e64 s0, 0, v37
	v_and_b32_e32 v37, 0xffff, v37
	s_or_b32 s7, s0, s7
	s_delay_alu instid0(SALU_CYCLE_1)
	s_and_not1_b32 exec_lo, exec_lo, s7
	s_cbranch_execnz .LBB51_150
; %bb.151:
	s_or_b32 exec_lo, exec_lo, s7
.LBB51_152:
	s_delay_alu instid0(SALU_CYCLE_1) | instskip(NEXT) | instid1(VALU_DEP_1)
	s_or_b32 exec_lo, exec_lo, s6
	v_and_b32_e32 v37, 0xff, v8
	v_mov_b32_e32 v9, 0
	s_mov_b32 s6, exec_lo
	s_delay_alu instid0(VALU_DEP_2)
	v_cmpx_ne_u16_e32 0, v37
	s_cbranch_execz .LBB51_154
; %bb.153:
	v_bfe_i32 v8, v8, 0, 8
	s_wait_loadcnt 0x1
	v_cvt_f32_i32_e32 v38, v7
	s_delay_alu instid0(VALU_DEP_2) | instskip(SKIP_1) | instid1(VALU_DEP_2)
	v_cvt_f32_i32_e32 v9, v8
	v_xor_b32_e32 v7, v7, v8
	v_rcp_iflag_f32_e32 v37, v9
	v_nop
	s_delay_alu instid0(TRANS32_DEP_1) | instskip(NEXT) | instid1(VALU_DEP_1)
	v_mul_f32_e32 v37, v38, v37
	v_trunc_f32_e32 v8, v37
	s_delay_alu instid0(VALU_DEP_1) | instskip(NEXT) | instid1(VALU_DEP_1)
	v_dual_ashrrev_i32 v7, 30, v7 :: v_dual_fma_f32 v37, -v8, v9, v38
	v_or_b32_e32 v7, 1, v7
	v_cvt_i32_f32_e32 v8, v8
	s_delay_alu instid0(VALU_DEP_3) | instskip(NEXT) | instid1(VALU_DEP_1)
	v_cmp_ge_f32_e64 s0, |v37|, |v9|
	v_cndmask_b32_e64 v7, 0, v7, s0
	s_delay_alu instid0(VALU_DEP_1) | instskip(NEXT) | instid1(VALU_DEP_1)
	v_add_nc_u32_e32 v7, v8, v7
	v_bfe_i32 v7, v7, 0, 8
	s_delay_alu instid0(VALU_DEP_1) | instskip(NEXT) | instid1(VALU_DEP_1)
	v_mul_i32_i24_e32 v5, v7, v5
	v_sub_nc_u32_e32 v7, 0, v5
	s_delay_alu instid0(VALU_DEP_1)
	v_max_i32_e32 v9, v5, v7
.LBB51_154:
	s_or_b32 exec_lo, exec_lo, s6
	s_delay_alu instid0(VALU_DEP_1)
	v_perm_b32 v2, v2, v9, 0x7000504
.LBB51_155:
	s_or_b32 exec_lo, exec_lo, s3
	v_or_b32_e32 v5, 0x300, v0
	s_mov_b32 s3, exec_lo
	s_delay_alu instid0(VALU_DEP_1)
	v_cmpx_gt_i32_e64 s1, v5
	s_cbranch_execz .LBB51_163
; %bb.156:
	v_bfe_i32 v5, v6, 0, 8
	v_and_b32_e32 v6, 0xff, v36
	s_mov_b32 s7, 0
	s_delay_alu instid0(VALU_DEP_2) | instskip(NEXT) | instid1(VALU_DEP_2)
	v_sub_nc_u16 v7, 0, v5
	v_cmp_ne_u16_e64 s0, 0, v6
	v_bfe_i32 v6, v36, 0, 8
	s_delay_alu instid0(VALU_DEP_3)
	v_max_i16 v7, v5, v7
	s_and_saveexec_b32 s6, s0
	s_cbranch_execz .LBB51_160
; %bb.157:
	s_delay_alu instid0(VALU_DEP_2) | instskip(NEXT) | instid1(VALU_DEP_1)
	v_sub_nc_u16 v8, 0, v6
	v_max_i16 v9, v6, v8
	v_and_b32_e32 v8, 0xff, v7
	s_delay_alu instid0(VALU_DEP_2)
	v_and_b32_e32 v9, 0xffff, v9
.LBB51_158:                             ; =>This Inner Loop Header: Depth=1
	s_delay_alu instid0(VALU_DEP_2) | instskip(SKIP_1) | instid1(VALU_DEP_1)
	v_bfe_i32 v37, v8, 0, 8
	s_wait_loadcnt 0x0
	v_cvt_f32_i32_e32 v39, v37
	s_delay_alu instid0(VALU_DEP_3) | instskip(NEXT) | instid1(VALU_DEP_1)
	v_mov_b32_e32 v7, v9
	v_bfe_i32 v9, v7, 0, 8
	s_delay_alu instid0(VALU_DEP_1) | instskip(SKIP_1) | instid1(VALU_DEP_2)
	v_cvt_f32_i32_e32 v36, v9
	v_xor_b32_e32 v9, v37, v9
	v_rcp_iflag_f32_e32 v38, v36
	v_nop
	s_delay_alu instid0(TRANS32_DEP_1) | instskip(NEXT) | instid1(VALU_DEP_1)
	v_mul_f32_e32 v37, v39, v38
	v_trunc_f32_e32 v37, v37
	s_delay_alu instid0(VALU_DEP_1) | instskip(SKIP_1) | instid1(VALU_DEP_2)
	v_dual_fma_f32 v38, -v37, v36, v39 :: v_dual_ashrrev_i32 v9, 30, v9
	v_cvt_i32_f32_e32 v37, v37
	v_cmp_ge_f32_e64 s0, |v38|, |v36|
	s_delay_alu instid0(VALU_DEP_3) | instskip(NEXT) | instid1(VALU_DEP_1)
	v_or_b32_e32 v9, 1, v9
	v_cndmask_b32_e64 v9, 0, v9, s0
	s_delay_alu instid0(VALU_DEP_1) | instskip(NEXT) | instid1(VALU_DEP_1)
	v_add_nc_u32_e32 v9, v37, v9
	v_mul_lo_u32 v9, v9, v7
	s_delay_alu instid0(VALU_DEP_1) | instskip(NEXT) | instid1(VALU_DEP_1)
	v_sub_nc_u32_e32 v8, v8, v9
	v_bfe_i32 v9, v8, 0, 8
	v_mov_b32_e32 v8, v7
	s_delay_alu instid0(VALU_DEP_2) | instskip(SKIP_2) | instid1(SALU_CYCLE_1)
	v_cmp_eq_u16_e64 s0, 0, v9
	v_and_b32_e32 v9, 0xffff, v9
	s_or_b32 s7, s0, s7
	s_and_not1_b32 exec_lo, exec_lo, s7
	s_cbranch_execnz .LBB51_158
; %bb.159:
	s_or_b32 exec_lo, exec_lo, s7
.LBB51_160:
	s_delay_alu instid0(SALU_CYCLE_1) | instskip(NEXT) | instid1(VALU_DEP_1)
	s_or_b32 exec_lo, exec_lo, s6
	v_and_b32_e32 v9, 0xff, v7
	v_mov_b32_e32 v8, 0
	s_mov_b32 s6, exec_lo
	s_delay_alu instid0(VALU_DEP_2)
	v_cmpx_ne_u16_e32 0, v9
	s_cbranch_execz .LBB51_162
; %bb.161:
	v_bfe_i32 v7, v7, 0, 8
	v_cvt_f32_i32_e32 v36, v6
	s_delay_alu instid0(VALU_DEP_2) | instskip(SKIP_1) | instid1(VALU_DEP_2)
	v_cvt_f32_i32_e32 v8, v7
	v_xor_b32_e32 v6, v6, v7
	v_rcp_iflag_f32_e32 v9, v8
	v_nop
	s_delay_alu instid0(TRANS32_DEP_1) | instskip(NEXT) | instid1(VALU_DEP_1)
	v_mul_f32_e32 v9, v36, v9
	v_trunc_f32_e32 v7, v9
	s_delay_alu instid0(VALU_DEP_1) | instskip(NEXT) | instid1(VALU_DEP_1)
	v_dual_ashrrev_i32 v6, 30, v6 :: v_dual_fma_f32 v9, -v7, v8, v36
	v_or_b32_e32 v6, 1, v6
	v_cvt_i32_f32_e32 v7, v7
	s_delay_alu instid0(VALU_DEP_3) | instskip(NEXT) | instid1(VALU_DEP_1)
	v_cmp_ge_f32_e64 s0, |v9|, |v8|
	v_cndmask_b32_e64 v6, 0, v6, s0
	s_delay_alu instid0(VALU_DEP_1) | instskip(NEXT) | instid1(VALU_DEP_1)
	v_add_nc_u32_e32 v6, v7, v6
	v_bfe_i32 v6, v6, 0, 8
	s_delay_alu instid0(VALU_DEP_1) | instskip(NEXT) | instid1(VALU_DEP_1)
	v_mul_i32_i24_e32 v5, v6, v5
	v_sub_nc_u32_e32 v6, 0, v5
	s_delay_alu instid0(VALU_DEP_1)
	v_max_i32_e32 v8, v5, v6
.LBB51_162:
	s_or_b32 exec_lo, exec_lo, s6
	s_delay_alu instid0(VALU_DEP_1)
	v_perm_b32 v2, v2, v8, 0x60504
.LBB51_163:
	s_or_b32 exec_lo, exec_lo, s3
	v_or_b32_e32 v5, 0x400, v0
	s_mov_b32 s3, exec_lo
	s_delay_alu instid0(VALU_DEP_1)
	v_cmpx_gt_i32_e64 s1, v5
	s_cbranch_execz .LBB51_171
; %bb.164:
	v_bfe_i32 v5, v35, 0, 8
	v_and_b32_e32 v6, 0xff, v34
	s_mov_b32 s7, 0
	s_delay_alu instid0(VALU_DEP_2) | instskip(NEXT) | instid1(VALU_DEP_2)
	v_sub_nc_u16 v7, 0, v5
	v_cmp_ne_u16_e64 s0, 0, v6
	v_bfe_i32 v6, v34, 0, 8
	s_delay_alu instid0(VALU_DEP_3)
	v_max_i16 v7, v5, v7
	s_and_saveexec_b32 s6, s0
	s_cbranch_execz .LBB51_168
; %bb.165:
	s_delay_alu instid0(VALU_DEP_2) | instskip(NEXT) | instid1(VALU_DEP_1)
	v_sub_nc_u16 v8, 0, v6
	v_max_i16 v9, v6, v8
	v_and_b32_e32 v8, 0xff, v7
	s_delay_alu instid0(VALU_DEP_2)
	v_and_b32_e32 v9, 0xffff, v9
.LBB51_166:                             ; =>This Inner Loop Header: Depth=1
	s_delay_alu instid0(VALU_DEP_2) | instskip(NEXT) | instid1(VALU_DEP_2)
	v_bfe_i32 v35, v8, 0, 8
	v_mov_b32_e32 v7, v9
	s_delay_alu instid0(VALU_DEP_2) | instskip(NEXT) | instid1(VALU_DEP_2)
	v_cvt_f32_i32_e32 v37, v35
	v_bfe_i32 v9, v7, 0, 8
	s_delay_alu instid0(VALU_DEP_1) | instskip(SKIP_1) | instid1(VALU_DEP_2)
	v_cvt_f32_i32_e32 v34, v9
	v_xor_b32_e32 v9, v35, v9
	v_rcp_iflag_f32_e32 v36, v34
	v_nop
	s_delay_alu instid0(TRANS32_DEP_1) | instskip(NEXT) | instid1(VALU_DEP_1)
	v_dual_ashrrev_i32 v9, 30, v9 :: v_dual_mul_f32 v35, v37, v36
	v_trunc_f32_e32 v35, v35
	s_delay_alu instid0(VALU_DEP_1) | instskip(SKIP_1) | instid1(VALU_DEP_2)
	v_dual_fma_f32 v36, -v35, v34, v37 :: v_dual_bitop2_b32 v9, 1, v9 bitop3:0x54
	v_cvt_i32_f32_e32 v35, v35
	v_cmp_ge_f32_e64 s0, |v36|, |v34|
	s_delay_alu instid0(VALU_DEP_1) | instskip(NEXT) | instid1(VALU_DEP_1)
	v_cndmask_b32_e64 v9, 0, v9, s0
	v_add_nc_u32_e32 v9, v35, v9
	s_delay_alu instid0(VALU_DEP_1) | instskip(NEXT) | instid1(VALU_DEP_1)
	v_mul_lo_u32 v9, v9, v7
	v_sub_nc_u32_e32 v8, v8, v9
	s_delay_alu instid0(VALU_DEP_1) | instskip(SKIP_1) | instid1(VALU_DEP_2)
	v_bfe_i32 v9, v8, 0, 8
	v_mov_b32_e32 v8, v7
	v_cmp_eq_u16_e64 s0, 0, v9
	v_and_b32_e32 v9, 0xffff, v9
	s_or_b32 s7, s0, s7
	s_delay_alu instid0(SALU_CYCLE_1)
	s_and_not1_b32 exec_lo, exec_lo, s7
	s_cbranch_execnz .LBB51_166
; %bb.167:
	s_or_b32 exec_lo, exec_lo, s7
.LBB51_168:
	s_delay_alu instid0(SALU_CYCLE_1) | instskip(NEXT) | instid1(VALU_DEP_1)
	s_or_b32 exec_lo, exec_lo, s6
	v_and_b32_e32 v9, 0xff, v7
	v_mov_b32_e32 v8, 0
	s_mov_b32 s6, exec_lo
	s_delay_alu instid0(VALU_DEP_2)
	v_cmpx_ne_u16_e32 0, v9
	s_cbranch_execz .LBB51_170
; %bb.169:
	v_bfe_i32 v7, v7, 0, 8
	v_cvt_f32_i32_e32 v34, v6
	s_delay_alu instid0(VALU_DEP_2) | instskip(SKIP_1) | instid1(VALU_DEP_2)
	v_cvt_f32_i32_e32 v8, v7
	v_xor_b32_e32 v6, v6, v7
	v_rcp_iflag_f32_e32 v9, v8
	s_delay_alu instid0(VALU_DEP_1)
	v_ashrrev_i32_e32 v6, 30, v6
	s_delay_alu instid0(TRANS32_DEP_1) | instid1(VALU_DEP_1)
	v_dual_mul_f32 v9, v34, v9 :: v_dual_bitop2_b32 v6, 1, v6 bitop3:0x54
	s_delay_alu instid0(VALU_DEP_1) | instskip(NEXT) | instid1(VALU_DEP_1)
	v_trunc_f32_e32 v7, v9
	v_fma_f32 v9, -v7, v8, v34
	v_cvt_i32_f32_e32 v7, v7
	s_delay_alu instid0(VALU_DEP_2) | instskip(NEXT) | instid1(VALU_DEP_1)
	v_cmp_ge_f32_e64 s0, |v9|, |v8|
	v_cndmask_b32_e64 v6, 0, v6, s0
	s_delay_alu instid0(VALU_DEP_1) | instskip(NEXT) | instid1(VALU_DEP_1)
	v_add_nc_u32_e32 v6, v7, v6
	v_bfe_i32 v6, v6, 0, 8
	s_delay_alu instid0(VALU_DEP_1) | instskip(NEXT) | instid1(VALU_DEP_1)
	v_mul_i32_i24_e32 v5, v6, v5
	v_sub_nc_u32_e32 v6, 0, v5
	s_delay_alu instid0(VALU_DEP_1)
	v_max_i32_e32 v8, v5, v6
.LBB51_170:
	s_or_b32 exec_lo, exec_lo, s6
	s_delay_alu instid0(VALU_DEP_1)
	v_perm_b32 v1, v8, v1, 0x3020104
.LBB51_171:
	s_or_b32 exec_lo, exec_lo, s3
	v_or_b32_e32 v5, 0x500, v0
	s_mov_b32 s3, exec_lo
	s_delay_alu instid0(VALU_DEP_1)
	v_cmpx_gt_i32_e64 s1, v5
	s_cbranch_execz .LBB51_179
; %bb.172:
	v_bfe_i32 v5, v33, 0, 8
	v_and_b32_e32 v6, 0xff, v32
	s_mov_b32 s7, 0
	s_delay_alu instid0(VALU_DEP_2) | instskip(NEXT) | instid1(VALU_DEP_2)
	v_sub_nc_u16 v7, 0, v5
	v_cmp_ne_u16_e64 s0, 0, v6
	v_bfe_i32 v6, v32, 0, 8
	s_delay_alu instid0(VALU_DEP_3)
	v_max_i16 v7, v5, v7
	s_and_saveexec_b32 s6, s0
	s_cbranch_execz .LBB51_176
; %bb.173:
	s_delay_alu instid0(VALU_DEP_2) | instskip(NEXT) | instid1(VALU_DEP_1)
	v_sub_nc_u16 v8, 0, v6
	v_max_i16 v9, v6, v8
	v_and_b32_e32 v8, 0xff, v7
	s_delay_alu instid0(VALU_DEP_2)
	v_and_b32_e32 v9, 0xffff, v9
.LBB51_174:                             ; =>This Inner Loop Header: Depth=1
	s_delay_alu instid0(VALU_DEP_2) | instskip(NEXT) | instid1(VALU_DEP_1)
	v_bfe_i32 v33, v8, 0, 8
	v_cvt_f32_i32_e32 v35, v33
	s_delay_alu instid0(VALU_DEP_3) | instskip(NEXT) | instid1(VALU_DEP_1)
	v_mov_b32_e32 v7, v9
	v_bfe_i32 v9, v7, 0, 8
	s_delay_alu instid0(VALU_DEP_1) | instskip(SKIP_1) | instid1(VALU_DEP_2)
	v_cvt_f32_i32_e32 v32, v9
	v_xor_b32_e32 v9, v33, v9
	v_rcp_iflag_f32_e32 v34, v32
	v_nop
	s_delay_alu instid0(TRANS32_DEP_1) | instskip(NEXT) | instid1(VALU_DEP_1)
	v_mul_f32_e32 v33, v35, v34
	v_trunc_f32_e32 v33, v33
	s_delay_alu instid0(VALU_DEP_1) | instskip(SKIP_1) | instid1(VALU_DEP_2)
	v_dual_fma_f32 v34, -v33, v32, v35 :: v_dual_ashrrev_i32 v9, 30, v9
	v_cvt_i32_f32_e32 v33, v33
	v_cmp_ge_f32_e64 s0, |v34|, |v32|
	s_delay_alu instid0(VALU_DEP_3) | instskip(NEXT) | instid1(VALU_DEP_1)
	v_or_b32_e32 v9, 1, v9
	v_cndmask_b32_e64 v9, 0, v9, s0
	s_delay_alu instid0(VALU_DEP_1) | instskip(NEXT) | instid1(VALU_DEP_1)
	v_add_nc_u32_e32 v9, v33, v9
	v_mul_lo_u32 v9, v9, v7
	s_delay_alu instid0(VALU_DEP_1) | instskip(NEXT) | instid1(VALU_DEP_1)
	v_sub_nc_u32_e32 v8, v8, v9
	v_bfe_i32 v9, v8, 0, 8
	v_mov_b32_e32 v8, v7
	s_delay_alu instid0(VALU_DEP_2) | instskip(SKIP_2) | instid1(SALU_CYCLE_1)
	v_cmp_eq_u16_e64 s0, 0, v9
	v_and_b32_e32 v9, 0xffff, v9
	s_or_b32 s7, s0, s7
	s_and_not1_b32 exec_lo, exec_lo, s7
	s_cbranch_execnz .LBB51_174
; %bb.175:
	s_or_b32 exec_lo, exec_lo, s7
.LBB51_176:
	s_delay_alu instid0(SALU_CYCLE_1) | instskip(NEXT) | instid1(VALU_DEP_1)
	s_or_b32 exec_lo, exec_lo, s6
	v_and_b32_e32 v9, 0xff, v7
	v_mov_b32_e32 v8, 0
	s_mov_b32 s6, exec_lo
	s_delay_alu instid0(VALU_DEP_2)
	v_cmpx_ne_u16_e32 0, v9
	s_cbranch_execz .LBB51_178
; %bb.177:
	v_bfe_i32 v7, v7, 0, 8
	v_cvt_f32_i32_e32 v32, v6
	s_delay_alu instid0(VALU_DEP_2) | instskip(SKIP_1) | instid1(VALU_DEP_2)
	v_cvt_f32_i32_e32 v8, v7
	v_xor_b32_e32 v6, v6, v7
	v_rcp_iflag_f32_e32 v9, v8
	v_nop
	s_delay_alu instid0(TRANS32_DEP_1) | instskip(NEXT) | instid1(VALU_DEP_1)
	v_mul_f32_e32 v9, v32, v9
	v_trunc_f32_e32 v7, v9
	s_delay_alu instid0(VALU_DEP_1) | instskip(NEXT) | instid1(VALU_DEP_1)
	v_dual_ashrrev_i32 v6, 30, v6 :: v_dual_fma_f32 v9, -v7, v8, v32
	v_or_b32_e32 v6, 1, v6
	v_cvt_i32_f32_e32 v7, v7
	s_delay_alu instid0(VALU_DEP_3) | instskip(NEXT) | instid1(VALU_DEP_1)
	v_cmp_ge_f32_e64 s0, |v9|, |v8|
	v_cndmask_b32_e64 v6, 0, v6, s0
	s_delay_alu instid0(VALU_DEP_1) | instskip(NEXT) | instid1(VALU_DEP_1)
	v_add_nc_u32_e32 v6, v7, v6
	v_bfe_i32 v6, v6, 0, 8
	s_delay_alu instid0(VALU_DEP_1) | instskip(NEXT) | instid1(VALU_DEP_1)
	v_mul_i32_i24_e32 v5, v6, v5
	v_sub_nc_u32_e32 v6, 0, v5
	s_delay_alu instid0(VALU_DEP_1)
	v_max_i32_e32 v8, v5, v6
.LBB51_178:
	s_or_b32 exec_lo, exec_lo, s6
	s_delay_alu instid0(VALU_DEP_1)
	v_perm_b32 v1, v1, v8, 0x7060004
.LBB51_179:
	s_or_b32 exec_lo, exec_lo, s3
	v_or_b32_e32 v5, 0x600, v0
	s_mov_b32 s3, exec_lo
	s_delay_alu instid0(VALU_DEP_1)
	v_cmpx_gt_i32_e64 s1, v5
	s_cbranch_execz .LBB51_187
; %bb.180:
	v_bfe_i32 v5, v31, 0, 8
	v_and_b32_e32 v6, 0xff, v30
	s_mov_b32 s7, 0
	s_delay_alu instid0(VALU_DEP_2) | instskip(NEXT) | instid1(VALU_DEP_2)
	v_sub_nc_u16 v7, 0, v5
	v_cmp_ne_u16_e64 s0, 0, v6
	v_bfe_i32 v6, v30, 0, 8
	s_delay_alu instid0(VALU_DEP_3)
	v_max_i16 v7, v5, v7
	s_and_saveexec_b32 s6, s0
	s_cbranch_execz .LBB51_184
; %bb.181:
	s_delay_alu instid0(VALU_DEP_2) | instskip(NEXT) | instid1(VALU_DEP_1)
	v_sub_nc_u16 v8, 0, v6
	v_max_i16 v9, v6, v8
	v_and_b32_e32 v8, 0xff, v7
	s_delay_alu instid0(VALU_DEP_2)
	v_and_b32_e32 v9, 0xffff, v9
.LBB51_182:                             ; =>This Inner Loop Header: Depth=1
	s_delay_alu instid0(VALU_DEP_2) | instskip(NEXT) | instid1(VALU_DEP_2)
	v_bfe_i32 v31, v8, 0, 8
	v_mov_b32_e32 v7, v9
	s_delay_alu instid0(VALU_DEP_2) | instskip(NEXT) | instid1(VALU_DEP_2)
	v_cvt_f32_i32_e32 v33, v31
	v_bfe_i32 v9, v7, 0, 8
	s_delay_alu instid0(VALU_DEP_1) | instskip(SKIP_1) | instid1(VALU_DEP_2)
	v_cvt_f32_i32_e32 v30, v9
	v_xor_b32_e32 v9, v31, v9
	v_rcp_iflag_f32_e32 v32, v30
	v_nop
	s_delay_alu instid0(TRANS32_DEP_1) | instskip(NEXT) | instid1(VALU_DEP_1)
	v_dual_ashrrev_i32 v9, 30, v9 :: v_dual_mul_f32 v31, v33, v32
	v_trunc_f32_e32 v31, v31
	s_delay_alu instid0(VALU_DEP_1) | instskip(SKIP_1) | instid1(VALU_DEP_2)
	v_dual_fma_f32 v32, -v31, v30, v33 :: v_dual_bitop2_b32 v9, 1, v9 bitop3:0x54
	v_cvt_i32_f32_e32 v31, v31
	v_cmp_ge_f32_e64 s0, |v32|, |v30|
	s_delay_alu instid0(VALU_DEP_1) | instskip(NEXT) | instid1(VALU_DEP_1)
	v_cndmask_b32_e64 v9, 0, v9, s0
	v_add_nc_u32_e32 v9, v31, v9
	s_delay_alu instid0(VALU_DEP_1) | instskip(NEXT) | instid1(VALU_DEP_1)
	v_mul_lo_u32 v9, v9, v7
	v_sub_nc_u32_e32 v8, v8, v9
	s_delay_alu instid0(VALU_DEP_1) | instskip(SKIP_1) | instid1(VALU_DEP_2)
	v_bfe_i32 v9, v8, 0, 8
	v_mov_b32_e32 v8, v7
	v_cmp_eq_u16_e64 s0, 0, v9
	v_and_b32_e32 v9, 0xffff, v9
	s_or_b32 s7, s0, s7
	s_delay_alu instid0(SALU_CYCLE_1)
	s_and_not1_b32 exec_lo, exec_lo, s7
	s_cbranch_execnz .LBB51_182
; %bb.183:
	s_or_b32 exec_lo, exec_lo, s7
.LBB51_184:
	s_delay_alu instid0(SALU_CYCLE_1) | instskip(NEXT) | instid1(VALU_DEP_1)
	s_or_b32 exec_lo, exec_lo, s6
	v_and_b32_e32 v9, 0xff, v7
	v_mov_b32_e32 v8, 0
	s_mov_b32 s6, exec_lo
	s_delay_alu instid0(VALU_DEP_2)
	v_cmpx_ne_u16_e32 0, v9
	s_cbranch_execz .LBB51_186
; %bb.185:
	v_bfe_i32 v7, v7, 0, 8
	v_cvt_f32_i32_e32 v30, v6
	s_delay_alu instid0(VALU_DEP_2) | instskip(SKIP_1) | instid1(VALU_DEP_2)
	v_cvt_f32_i32_e32 v8, v7
	v_xor_b32_e32 v6, v6, v7
	v_rcp_iflag_f32_e32 v9, v8
	s_delay_alu instid0(VALU_DEP_1)
	v_ashrrev_i32_e32 v6, 30, v6
	s_delay_alu instid0(TRANS32_DEP_1) | instid1(VALU_DEP_1)
	v_dual_mul_f32 v9, v30, v9 :: v_dual_bitop2_b32 v6, 1, v6 bitop3:0x54
	s_delay_alu instid0(VALU_DEP_1) | instskip(NEXT) | instid1(VALU_DEP_1)
	v_trunc_f32_e32 v7, v9
	v_fma_f32 v9, -v7, v8, v30
	v_cvt_i32_f32_e32 v7, v7
	s_delay_alu instid0(VALU_DEP_2) | instskip(NEXT) | instid1(VALU_DEP_1)
	v_cmp_ge_f32_e64 s0, |v9|, |v8|
	v_cndmask_b32_e64 v6, 0, v6, s0
	s_delay_alu instid0(VALU_DEP_1) | instskip(NEXT) | instid1(VALU_DEP_1)
	v_add_nc_u32_e32 v6, v7, v6
	v_bfe_i32 v6, v6, 0, 8
	s_delay_alu instid0(VALU_DEP_1) | instskip(NEXT) | instid1(VALU_DEP_1)
	v_mul_i32_i24_e32 v5, v6, v5
	v_sub_nc_u32_e32 v6, 0, v5
	s_delay_alu instid0(VALU_DEP_1)
	v_max_i32_e32 v8, v5, v6
.LBB51_186:
	s_or_b32 exec_lo, exec_lo, s6
	s_delay_alu instid0(VALU_DEP_1)
	v_perm_b32 v1, v1, v8, 0x7000504
.LBB51_187:
	s_or_b32 exec_lo, exec_lo, s3
	v_or_b32_e32 v5, 0x700, v0
	s_mov_b32 s3, exec_lo
	s_delay_alu instid0(VALU_DEP_1)
	v_cmpx_gt_i32_e64 s1, v5
	s_cbranch_execz .LBB51_195
; %bb.188:
	v_bfe_i32 v5, v29, 0, 8
	v_and_b32_e32 v6, 0xff, v28
	s_mov_b32 s7, 0
	s_delay_alu instid0(VALU_DEP_2) | instskip(NEXT) | instid1(VALU_DEP_2)
	v_sub_nc_u16 v7, 0, v5
	v_cmp_ne_u16_e64 s0, 0, v6
	v_bfe_i32 v6, v28, 0, 8
	s_delay_alu instid0(VALU_DEP_3)
	v_max_i16 v7, v5, v7
	s_and_saveexec_b32 s6, s0
	s_cbranch_execz .LBB51_192
; %bb.189:
	s_delay_alu instid0(VALU_DEP_2) | instskip(NEXT) | instid1(VALU_DEP_1)
	v_sub_nc_u16 v8, 0, v6
	v_max_i16 v9, v6, v8
	v_and_b32_e32 v8, 0xff, v7
	s_delay_alu instid0(VALU_DEP_2)
	v_and_b32_e32 v9, 0xffff, v9
.LBB51_190:                             ; =>This Inner Loop Header: Depth=1
	s_delay_alu instid0(VALU_DEP_2) | instskip(NEXT) | instid1(VALU_DEP_1)
	v_bfe_i32 v29, v8, 0, 8
	v_cvt_f32_i32_e32 v31, v29
	s_delay_alu instid0(VALU_DEP_3) | instskip(NEXT) | instid1(VALU_DEP_1)
	v_mov_b32_e32 v7, v9
	v_bfe_i32 v9, v7, 0, 8
	s_delay_alu instid0(VALU_DEP_1) | instskip(SKIP_1) | instid1(VALU_DEP_2)
	v_cvt_f32_i32_e32 v28, v9
	v_xor_b32_e32 v9, v29, v9
	v_rcp_iflag_f32_e32 v30, v28
	v_nop
	s_delay_alu instid0(TRANS32_DEP_1) | instskip(NEXT) | instid1(VALU_DEP_1)
	v_mul_f32_e32 v29, v31, v30
	v_trunc_f32_e32 v29, v29
	s_delay_alu instid0(VALU_DEP_1) | instskip(SKIP_1) | instid1(VALU_DEP_2)
	v_dual_fma_f32 v30, -v29, v28, v31 :: v_dual_ashrrev_i32 v9, 30, v9
	v_cvt_i32_f32_e32 v29, v29
	v_cmp_ge_f32_e64 s0, |v30|, |v28|
	s_delay_alu instid0(VALU_DEP_3) | instskip(NEXT) | instid1(VALU_DEP_1)
	v_or_b32_e32 v9, 1, v9
	v_cndmask_b32_e64 v9, 0, v9, s0
	s_delay_alu instid0(VALU_DEP_1) | instskip(NEXT) | instid1(VALU_DEP_1)
	v_add_nc_u32_e32 v9, v29, v9
	v_mul_lo_u32 v9, v9, v7
	s_delay_alu instid0(VALU_DEP_1) | instskip(NEXT) | instid1(VALU_DEP_1)
	v_sub_nc_u32_e32 v8, v8, v9
	v_bfe_i32 v9, v8, 0, 8
	v_mov_b32_e32 v8, v7
	s_delay_alu instid0(VALU_DEP_2) | instskip(SKIP_2) | instid1(SALU_CYCLE_1)
	v_cmp_eq_u16_e64 s0, 0, v9
	v_and_b32_e32 v9, 0xffff, v9
	s_or_b32 s7, s0, s7
	s_and_not1_b32 exec_lo, exec_lo, s7
	s_cbranch_execnz .LBB51_190
; %bb.191:
	s_or_b32 exec_lo, exec_lo, s7
.LBB51_192:
	s_delay_alu instid0(SALU_CYCLE_1) | instskip(NEXT) | instid1(VALU_DEP_1)
	s_or_b32 exec_lo, exec_lo, s6
	v_and_b32_e32 v9, 0xff, v7
	v_mov_b32_e32 v8, 0
	s_mov_b32 s6, exec_lo
	s_delay_alu instid0(VALU_DEP_2)
	v_cmpx_ne_u16_e32 0, v9
	s_cbranch_execz .LBB51_194
; %bb.193:
	v_bfe_i32 v7, v7, 0, 8
	v_cvt_f32_i32_e32 v28, v6
	s_delay_alu instid0(VALU_DEP_2) | instskip(SKIP_1) | instid1(VALU_DEP_2)
	v_cvt_f32_i32_e32 v8, v7
	v_xor_b32_e32 v6, v6, v7
	v_rcp_iflag_f32_e32 v9, v8
	v_nop
	s_delay_alu instid0(TRANS32_DEP_1) | instskip(NEXT) | instid1(VALU_DEP_1)
	v_mul_f32_e32 v9, v28, v9
	v_trunc_f32_e32 v7, v9
	s_delay_alu instid0(VALU_DEP_1) | instskip(NEXT) | instid1(VALU_DEP_1)
	v_dual_ashrrev_i32 v6, 30, v6 :: v_dual_fma_f32 v9, -v7, v8, v28
	v_or_b32_e32 v6, 1, v6
	v_cvt_i32_f32_e32 v7, v7
	s_delay_alu instid0(VALU_DEP_3) | instskip(NEXT) | instid1(VALU_DEP_1)
	v_cmp_ge_f32_e64 s0, |v9|, |v8|
	v_cndmask_b32_e64 v6, 0, v6, s0
	s_delay_alu instid0(VALU_DEP_1) | instskip(NEXT) | instid1(VALU_DEP_1)
	v_add_nc_u32_e32 v6, v7, v6
	v_bfe_i32 v6, v6, 0, 8
	s_delay_alu instid0(VALU_DEP_1) | instskip(NEXT) | instid1(VALU_DEP_1)
	v_mul_i32_i24_e32 v5, v6, v5
	v_sub_nc_u32_e32 v6, 0, v5
	s_delay_alu instid0(VALU_DEP_1)
	v_max_i32_e32 v8, v5, v6
.LBB51_194:
	s_or_b32 exec_lo, exec_lo, s6
	s_delay_alu instid0(VALU_DEP_1)
	v_perm_b32 v1, v1, v8, 0x60504
.LBB51_195:
	s_or_b32 exec_lo, exec_lo, s3
	v_or_b32_e32 v5, 0x800, v0
	s_mov_b32 s3, exec_lo
	s_delay_alu instid0(VALU_DEP_1)
	v_cmpx_gt_i32_e64 s1, v5
	s_cbranch_execz .LBB51_203
; %bb.196:
	v_bfe_i32 v5, v27, 0, 8
	v_and_b32_e32 v6, 0xff, v26
	s_mov_b32 s7, 0
	s_delay_alu instid0(VALU_DEP_2) | instskip(NEXT) | instid1(VALU_DEP_2)
	v_sub_nc_u16 v7, 0, v5
	v_cmp_ne_u16_e64 s0, 0, v6
	v_bfe_i32 v6, v26, 0, 8
	s_delay_alu instid0(VALU_DEP_3)
	v_max_i16 v7, v5, v7
	s_and_saveexec_b32 s6, s0
	s_cbranch_execz .LBB51_200
; %bb.197:
	s_delay_alu instid0(VALU_DEP_2) | instskip(NEXT) | instid1(VALU_DEP_1)
	v_sub_nc_u16 v8, 0, v6
	v_max_i16 v9, v6, v8
	v_and_b32_e32 v8, 0xff, v7
	s_delay_alu instid0(VALU_DEP_2)
	v_and_b32_e32 v9, 0xffff, v9
.LBB51_198:                             ; =>This Inner Loop Header: Depth=1
	s_delay_alu instid0(VALU_DEP_2) | instskip(NEXT) | instid1(VALU_DEP_2)
	v_bfe_i32 v27, v8, 0, 8
	v_mov_b32_e32 v7, v9
	s_delay_alu instid0(VALU_DEP_2) | instskip(NEXT) | instid1(VALU_DEP_2)
	v_cvt_f32_i32_e32 v29, v27
	v_bfe_i32 v9, v7, 0, 8
	s_delay_alu instid0(VALU_DEP_1) | instskip(SKIP_1) | instid1(VALU_DEP_2)
	v_cvt_f32_i32_e32 v26, v9
	v_xor_b32_e32 v9, v27, v9
	v_rcp_iflag_f32_e32 v28, v26
	v_nop
	s_delay_alu instid0(TRANS32_DEP_1) | instskip(NEXT) | instid1(VALU_DEP_1)
	v_dual_ashrrev_i32 v9, 30, v9 :: v_dual_mul_f32 v27, v29, v28
	v_trunc_f32_e32 v27, v27
	s_delay_alu instid0(VALU_DEP_1) | instskip(SKIP_1) | instid1(VALU_DEP_2)
	v_dual_fma_f32 v28, -v27, v26, v29 :: v_dual_bitop2_b32 v9, 1, v9 bitop3:0x54
	v_cvt_i32_f32_e32 v27, v27
	v_cmp_ge_f32_e64 s0, |v28|, |v26|
	s_delay_alu instid0(VALU_DEP_1) | instskip(NEXT) | instid1(VALU_DEP_1)
	v_cndmask_b32_e64 v9, 0, v9, s0
	v_add_nc_u32_e32 v9, v27, v9
	s_delay_alu instid0(VALU_DEP_1) | instskip(NEXT) | instid1(VALU_DEP_1)
	v_mul_lo_u32 v9, v9, v7
	v_sub_nc_u32_e32 v8, v8, v9
	s_delay_alu instid0(VALU_DEP_1) | instskip(SKIP_1) | instid1(VALU_DEP_2)
	v_bfe_i32 v9, v8, 0, 8
	v_mov_b32_e32 v8, v7
	v_cmp_eq_u16_e64 s0, 0, v9
	v_and_b32_e32 v9, 0xffff, v9
	s_or_b32 s7, s0, s7
	s_delay_alu instid0(SALU_CYCLE_1)
	s_and_not1_b32 exec_lo, exec_lo, s7
	s_cbranch_execnz .LBB51_198
; %bb.199:
	s_or_b32 exec_lo, exec_lo, s7
.LBB51_200:
	s_delay_alu instid0(SALU_CYCLE_1) | instskip(NEXT) | instid1(VALU_DEP_1)
	s_or_b32 exec_lo, exec_lo, s6
	v_and_b32_e32 v9, 0xff, v7
	v_mov_b32_e32 v8, 0
	s_mov_b32 s6, exec_lo
	s_delay_alu instid0(VALU_DEP_2)
	v_cmpx_ne_u16_e32 0, v9
	s_cbranch_execz .LBB51_202
; %bb.201:
	v_bfe_i32 v7, v7, 0, 8
	v_cvt_f32_i32_e32 v26, v6
	s_delay_alu instid0(VALU_DEP_2) | instskip(SKIP_1) | instid1(VALU_DEP_2)
	v_cvt_f32_i32_e32 v8, v7
	v_xor_b32_e32 v6, v6, v7
	v_rcp_iflag_f32_e32 v9, v8
	s_delay_alu instid0(VALU_DEP_1)
	v_ashrrev_i32_e32 v6, 30, v6
	s_delay_alu instid0(TRANS32_DEP_1) | instid1(VALU_DEP_1)
	v_dual_mul_f32 v9, v26, v9 :: v_dual_bitop2_b32 v6, 1, v6 bitop3:0x54
	s_delay_alu instid0(VALU_DEP_1) | instskip(NEXT) | instid1(VALU_DEP_1)
	v_trunc_f32_e32 v7, v9
	v_fma_f32 v9, -v7, v8, v26
	v_cvt_i32_f32_e32 v7, v7
	s_delay_alu instid0(VALU_DEP_2) | instskip(NEXT) | instid1(VALU_DEP_1)
	v_cmp_ge_f32_e64 s0, |v9|, |v8|
	v_cndmask_b32_e64 v6, 0, v6, s0
	s_delay_alu instid0(VALU_DEP_1) | instskip(NEXT) | instid1(VALU_DEP_1)
	v_add_nc_u32_e32 v6, v7, v6
	v_bfe_i32 v6, v6, 0, 8
	s_delay_alu instid0(VALU_DEP_1) | instskip(NEXT) | instid1(VALU_DEP_1)
	v_mul_i32_i24_e32 v5, v6, v5
	v_sub_nc_u32_e32 v6, 0, v5
	s_delay_alu instid0(VALU_DEP_1)
	v_max_i32_e32 v8, v5, v6
.LBB51_202:
	s_or_b32 exec_lo, exec_lo, s6
	s_delay_alu instid0(VALU_DEP_1)
	v_perm_b32 v4, v8, v4, 0x3020104
.LBB51_203:
	s_or_b32 exec_lo, exec_lo, s3
	v_or_b32_e32 v5, 0x900, v0
	s_mov_b32 s3, exec_lo
	s_delay_alu instid0(VALU_DEP_1)
	v_cmpx_gt_i32_e64 s1, v5
	s_cbranch_execz .LBB51_211
; %bb.204:
	v_bfe_i32 v5, v24, 0, 8
	v_and_b32_e32 v6, 0xff, v25
	s_mov_b32 s7, 0
	s_delay_alu instid0(VALU_DEP_2) | instskip(NEXT) | instid1(VALU_DEP_2)
	v_sub_nc_u16 v7, 0, v5
	v_cmp_ne_u16_e64 s0, 0, v6
	v_bfe_i32 v6, v25, 0, 8
	s_delay_alu instid0(VALU_DEP_3)
	v_max_i16 v7, v5, v7
	s_and_saveexec_b32 s6, s0
	s_cbranch_execz .LBB51_208
; %bb.205:
	s_delay_alu instid0(VALU_DEP_2) | instskip(NEXT) | instid1(VALU_DEP_1)
	v_sub_nc_u16 v8, 0, v6
	v_max_i16 v9, v6, v8
	v_and_b32_e32 v8, 0xff, v7
	s_delay_alu instid0(VALU_DEP_2)
	v_and_b32_e32 v9, 0xffff, v9
.LBB51_206:                             ; =>This Inner Loop Header: Depth=1
	s_delay_alu instid0(VALU_DEP_2) | instskip(NEXT) | instid1(VALU_DEP_1)
	v_bfe_i32 v25, v8, 0, 8
	v_cvt_f32_i32_e32 v27, v25
	s_delay_alu instid0(VALU_DEP_3) | instskip(NEXT) | instid1(VALU_DEP_1)
	v_mov_b32_e32 v7, v9
	v_bfe_i32 v9, v7, 0, 8
	s_delay_alu instid0(VALU_DEP_1) | instskip(SKIP_1) | instid1(VALU_DEP_2)
	v_cvt_f32_i32_e32 v24, v9
	v_xor_b32_e32 v9, v25, v9
	v_rcp_iflag_f32_e32 v26, v24
	v_nop
	s_delay_alu instid0(TRANS32_DEP_1) | instskip(NEXT) | instid1(VALU_DEP_1)
	v_mul_f32_e32 v25, v27, v26
	v_trunc_f32_e32 v25, v25
	s_delay_alu instid0(VALU_DEP_1) | instskip(SKIP_1) | instid1(VALU_DEP_2)
	v_dual_fma_f32 v26, -v25, v24, v27 :: v_dual_ashrrev_i32 v9, 30, v9
	v_cvt_i32_f32_e32 v25, v25
	v_cmp_ge_f32_e64 s0, |v26|, |v24|
	s_delay_alu instid0(VALU_DEP_3) | instskip(NEXT) | instid1(VALU_DEP_1)
	v_or_b32_e32 v9, 1, v9
	v_cndmask_b32_e64 v9, 0, v9, s0
	s_delay_alu instid0(VALU_DEP_1) | instskip(NEXT) | instid1(VALU_DEP_1)
	v_add_nc_u32_e32 v9, v25, v9
	v_mul_lo_u32 v9, v9, v7
	s_delay_alu instid0(VALU_DEP_1) | instskip(NEXT) | instid1(VALU_DEP_1)
	v_sub_nc_u32_e32 v8, v8, v9
	v_bfe_i32 v9, v8, 0, 8
	v_mov_b32_e32 v8, v7
	s_delay_alu instid0(VALU_DEP_2) | instskip(SKIP_2) | instid1(SALU_CYCLE_1)
	v_cmp_eq_u16_e64 s0, 0, v9
	v_and_b32_e32 v9, 0xffff, v9
	s_or_b32 s7, s0, s7
	s_and_not1_b32 exec_lo, exec_lo, s7
	s_cbranch_execnz .LBB51_206
; %bb.207:
	s_or_b32 exec_lo, exec_lo, s7
.LBB51_208:
	s_delay_alu instid0(SALU_CYCLE_1) | instskip(NEXT) | instid1(VALU_DEP_1)
	s_or_b32 exec_lo, exec_lo, s6
	v_and_b32_e32 v9, 0xff, v7
	v_mov_b32_e32 v8, 0
	s_mov_b32 s6, exec_lo
	s_delay_alu instid0(VALU_DEP_2)
	v_cmpx_ne_u16_e32 0, v9
	s_cbranch_execz .LBB51_210
; %bb.209:
	v_bfe_i32 v7, v7, 0, 8
	v_cvt_f32_i32_e32 v24, v6
	s_delay_alu instid0(VALU_DEP_2) | instskip(SKIP_1) | instid1(VALU_DEP_2)
	v_cvt_f32_i32_e32 v8, v7
	v_xor_b32_e32 v6, v6, v7
	v_rcp_iflag_f32_e32 v9, v8
	v_nop
	s_delay_alu instid0(TRANS32_DEP_1) | instskip(NEXT) | instid1(VALU_DEP_1)
	v_mul_f32_e32 v9, v24, v9
	v_trunc_f32_e32 v7, v9
	s_delay_alu instid0(VALU_DEP_1) | instskip(NEXT) | instid1(VALU_DEP_1)
	v_dual_ashrrev_i32 v6, 30, v6 :: v_dual_fma_f32 v9, -v7, v8, v24
	v_or_b32_e32 v6, 1, v6
	v_cvt_i32_f32_e32 v7, v7
	s_delay_alu instid0(VALU_DEP_3) | instskip(NEXT) | instid1(VALU_DEP_1)
	v_cmp_ge_f32_e64 s0, |v9|, |v8|
	v_cndmask_b32_e64 v6, 0, v6, s0
	s_delay_alu instid0(VALU_DEP_1) | instskip(NEXT) | instid1(VALU_DEP_1)
	v_add_nc_u32_e32 v6, v7, v6
	v_bfe_i32 v6, v6, 0, 8
	s_delay_alu instid0(VALU_DEP_1) | instskip(NEXT) | instid1(VALU_DEP_1)
	v_mul_i32_i24_e32 v5, v6, v5
	v_sub_nc_u32_e32 v6, 0, v5
	s_delay_alu instid0(VALU_DEP_1)
	v_max_i32_e32 v8, v5, v6
.LBB51_210:
	s_or_b32 exec_lo, exec_lo, s6
	s_delay_alu instid0(VALU_DEP_1)
	v_perm_b32 v4, v4, v8, 0x7060004
.LBB51_211:
	s_or_b32 exec_lo, exec_lo, s3
	v_or_b32_e32 v5, 0xa00, v0
	s_mov_b32 s3, exec_lo
	s_delay_alu instid0(VALU_DEP_1)
	v_cmpx_gt_i32_e64 s1, v5
	s_cbranch_execz .LBB51_219
; %bb.212:
	v_bfe_i32 v5, v22, 0, 8
	v_and_b32_e32 v6, 0xff, v23
	s_mov_b32 s7, 0
	s_delay_alu instid0(VALU_DEP_2) | instskip(NEXT) | instid1(VALU_DEP_2)
	v_sub_nc_u16 v7, 0, v5
	v_cmp_ne_u16_e64 s0, 0, v6
	v_bfe_i32 v6, v23, 0, 8
	s_delay_alu instid0(VALU_DEP_3)
	v_max_i16 v7, v5, v7
	s_and_saveexec_b32 s6, s0
	s_cbranch_execz .LBB51_216
; %bb.213:
	s_delay_alu instid0(VALU_DEP_2) | instskip(NEXT) | instid1(VALU_DEP_1)
	v_sub_nc_u16 v8, 0, v6
	v_max_i16 v9, v6, v8
	v_and_b32_e32 v8, 0xff, v7
	s_delay_alu instid0(VALU_DEP_2)
	v_and_b32_e32 v9, 0xffff, v9
.LBB51_214:                             ; =>This Inner Loop Header: Depth=1
	s_delay_alu instid0(VALU_DEP_2) | instskip(NEXT) | instid1(VALU_DEP_2)
	v_bfe_i32 v23, v8, 0, 8
	v_mov_b32_e32 v7, v9
	s_delay_alu instid0(VALU_DEP_2) | instskip(NEXT) | instid1(VALU_DEP_2)
	v_cvt_f32_i32_e32 v25, v23
	v_bfe_i32 v9, v7, 0, 8
	s_delay_alu instid0(VALU_DEP_1) | instskip(SKIP_1) | instid1(VALU_DEP_2)
	v_cvt_f32_i32_e32 v22, v9
	v_xor_b32_e32 v9, v23, v9
	v_rcp_iflag_f32_e32 v24, v22
	v_nop
	s_delay_alu instid0(TRANS32_DEP_1) | instskip(NEXT) | instid1(VALU_DEP_1)
	v_dual_ashrrev_i32 v9, 30, v9 :: v_dual_mul_f32 v23, v25, v24
	v_trunc_f32_e32 v23, v23
	s_delay_alu instid0(VALU_DEP_1) | instskip(SKIP_1) | instid1(VALU_DEP_2)
	v_dual_fma_f32 v24, -v23, v22, v25 :: v_dual_bitop2_b32 v9, 1, v9 bitop3:0x54
	v_cvt_i32_f32_e32 v23, v23
	v_cmp_ge_f32_e64 s0, |v24|, |v22|
	s_delay_alu instid0(VALU_DEP_1) | instskip(NEXT) | instid1(VALU_DEP_1)
	v_cndmask_b32_e64 v9, 0, v9, s0
	v_add_nc_u32_e32 v9, v23, v9
	s_delay_alu instid0(VALU_DEP_1) | instskip(NEXT) | instid1(VALU_DEP_1)
	v_mul_lo_u32 v9, v9, v7
	v_sub_nc_u32_e32 v8, v8, v9
	s_delay_alu instid0(VALU_DEP_1) | instskip(SKIP_1) | instid1(VALU_DEP_2)
	v_bfe_i32 v9, v8, 0, 8
	v_mov_b32_e32 v8, v7
	v_cmp_eq_u16_e64 s0, 0, v9
	v_and_b32_e32 v9, 0xffff, v9
	s_or_b32 s7, s0, s7
	s_delay_alu instid0(SALU_CYCLE_1)
	s_and_not1_b32 exec_lo, exec_lo, s7
	s_cbranch_execnz .LBB51_214
; %bb.215:
	s_or_b32 exec_lo, exec_lo, s7
.LBB51_216:
	s_delay_alu instid0(SALU_CYCLE_1) | instskip(NEXT) | instid1(VALU_DEP_1)
	s_or_b32 exec_lo, exec_lo, s6
	v_and_b32_e32 v9, 0xff, v7
	v_mov_b32_e32 v8, 0
	s_mov_b32 s6, exec_lo
	s_delay_alu instid0(VALU_DEP_2)
	v_cmpx_ne_u16_e32 0, v9
	s_cbranch_execz .LBB51_218
; %bb.217:
	v_bfe_i32 v7, v7, 0, 8
	v_cvt_f32_i32_e32 v22, v6
	s_delay_alu instid0(VALU_DEP_2) | instskip(SKIP_1) | instid1(VALU_DEP_2)
	v_cvt_f32_i32_e32 v8, v7
	v_xor_b32_e32 v6, v6, v7
	v_rcp_iflag_f32_e32 v9, v8
	s_delay_alu instid0(VALU_DEP_1)
	v_ashrrev_i32_e32 v6, 30, v6
	s_delay_alu instid0(TRANS32_DEP_1) | instid1(VALU_DEP_1)
	v_dual_mul_f32 v9, v22, v9 :: v_dual_bitop2_b32 v6, 1, v6 bitop3:0x54
	s_delay_alu instid0(VALU_DEP_1) | instskip(NEXT) | instid1(VALU_DEP_1)
	v_trunc_f32_e32 v7, v9
	v_fma_f32 v9, -v7, v8, v22
	v_cvt_i32_f32_e32 v7, v7
	s_delay_alu instid0(VALU_DEP_2) | instskip(NEXT) | instid1(VALU_DEP_1)
	v_cmp_ge_f32_e64 s0, |v9|, |v8|
	v_cndmask_b32_e64 v6, 0, v6, s0
	s_delay_alu instid0(VALU_DEP_1) | instskip(NEXT) | instid1(VALU_DEP_1)
	v_add_nc_u32_e32 v6, v7, v6
	v_bfe_i32 v6, v6, 0, 8
	s_delay_alu instid0(VALU_DEP_1) | instskip(NEXT) | instid1(VALU_DEP_1)
	v_mul_i32_i24_e32 v5, v6, v5
	v_sub_nc_u32_e32 v6, 0, v5
	s_delay_alu instid0(VALU_DEP_1)
	v_max_i32_e32 v8, v5, v6
.LBB51_218:
	s_or_b32 exec_lo, exec_lo, s6
	s_delay_alu instid0(VALU_DEP_1)
	v_perm_b32 v4, v4, v8, 0x7000504
.LBB51_219:
	s_or_b32 exec_lo, exec_lo, s3
	v_or_b32_e32 v5, 0xb00, v0
	s_mov_b32 s3, exec_lo
	s_delay_alu instid0(VALU_DEP_1)
	v_cmpx_gt_i32_e64 s1, v5
	s_cbranch_execz .LBB51_227
; %bb.220:
	v_bfe_i32 v5, v20, 0, 8
	v_and_b32_e32 v6, 0xff, v21
	s_mov_b32 s7, 0
	s_delay_alu instid0(VALU_DEP_2) | instskip(NEXT) | instid1(VALU_DEP_2)
	v_sub_nc_u16 v7, 0, v5
	v_cmp_ne_u16_e64 s0, 0, v6
	v_bfe_i32 v6, v21, 0, 8
	s_delay_alu instid0(VALU_DEP_3)
	v_max_i16 v7, v5, v7
	s_and_saveexec_b32 s6, s0
	s_cbranch_execz .LBB51_224
; %bb.221:
	s_delay_alu instid0(VALU_DEP_2) | instskip(NEXT) | instid1(VALU_DEP_1)
	v_sub_nc_u16 v8, 0, v6
	v_max_i16 v9, v6, v8
	v_and_b32_e32 v8, 0xff, v7
	s_delay_alu instid0(VALU_DEP_2)
	v_and_b32_e32 v9, 0xffff, v9
.LBB51_222:                             ; =>This Inner Loop Header: Depth=1
	s_delay_alu instid0(VALU_DEP_2) | instskip(NEXT) | instid1(VALU_DEP_1)
	v_bfe_i32 v21, v8, 0, 8
	v_cvt_f32_i32_e32 v23, v21
	s_delay_alu instid0(VALU_DEP_3) | instskip(NEXT) | instid1(VALU_DEP_1)
	v_mov_b32_e32 v7, v9
	v_bfe_i32 v9, v7, 0, 8
	s_delay_alu instid0(VALU_DEP_1) | instskip(SKIP_1) | instid1(VALU_DEP_2)
	v_cvt_f32_i32_e32 v20, v9
	v_xor_b32_e32 v9, v21, v9
	v_rcp_iflag_f32_e32 v22, v20
	v_nop
	s_delay_alu instid0(TRANS32_DEP_1) | instskip(NEXT) | instid1(VALU_DEP_1)
	v_mul_f32_e32 v21, v23, v22
	v_trunc_f32_e32 v21, v21
	s_delay_alu instid0(VALU_DEP_1) | instskip(SKIP_1) | instid1(VALU_DEP_2)
	v_dual_fma_f32 v22, -v21, v20, v23 :: v_dual_ashrrev_i32 v9, 30, v9
	v_cvt_i32_f32_e32 v21, v21
	v_cmp_ge_f32_e64 s0, |v22|, |v20|
	s_delay_alu instid0(VALU_DEP_3) | instskip(NEXT) | instid1(VALU_DEP_1)
	v_or_b32_e32 v9, 1, v9
	v_cndmask_b32_e64 v9, 0, v9, s0
	s_delay_alu instid0(VALU_DEP_1) | instskip(NEXT) | instid1(VALU_DEP_1)
	v_add_nc_u32_e32 v9, v21, v9
	v_mul_lo_u32 v9, v9, v7
	s_delay_alu instid0(VALU_DEP_1) | instskip(NEXT) | instid1(VALU_DEP_1)
	v_sub_nc_u32_e32 v8, v8, v9
	v_bfe_i32 v9, v8, 0, 8
	v_mov_b32_e32 v8, v7
	s_delay_alu instid0(VALU_DEP_2) | instskip(SKIP_2) | instid1(SALU_CYCLE_1)
	v_cmp_eq_u16_e64 s0, 0, v9
	v_and_b32_e32 v9, 0xffff, v9
	s_or_b32 s7, s0, s7
	s_and_not1_b32 exec_lo, exec_lo, s7
	s_cbranch_execnz .LBB51_222
; %bb.223:
	s_or_b32 exec_lo, exec_lo, s7
.LBB51_224:
	s_delay_alu instid0(SALU_CYCLE_1) | instskip(NEXT) | instid1(VALU_DEP_1)
	s_or_b32 exec_lo, exec_lo, s6
	v_and_b32_e32 v9, 0xff, v7
	v_mov_b32_e32 v8, 0
	s_mov_b32 s6, exec_lo
	s_delay_alu instid0(VALU_DEP_2)
	v_cmpx_ne_u16_e32 0, v9
	s_cbranch_execz .LBB51_226
; %bb.225:
	v_bfe_i32 v7, v7, 0, 8
	v_cvt_f32_i32_e32 v20, v6
	s_delay_alu instid0(VALU_DEP_2) | instskip(SKIP_1) | instid1(VALU_DEP_2)
	v_cvt_f32_i32_e32 v8, v7
	v_xor_b32_e32 v6, v6, v7
	v_rcp_iflag_f32_e32 v9, v8
	v_nop
	s_delay_alu instid0(TRANS32_DEP_1) | instskip(NEXT) | instid1(VALU_DEP_1)
	v_mul_f32_e32 v9, v20, v9
	v_trunc_f32_e32 v7, v9
	s_delay_alu instid0(VALU_DEP_1) | instskip(NEXT) | instid1(VALU_DEP_1)
	v_dual_ashrrev_i32 v6, 30, v6 :: v_dual_fma_f32 v9, -v7, v8, v20
	v_or_b32_e32 v6, 1, v6
	v_cvt_i32_f32_e32 v7, v7
	s_delay_alu instid0(VALU_DEP_3) | instskip(NEXT) | instid1(VALU_DEP_1)
	v_cmp_ge_f32_e64 s0, |v9|, |v8|
	v_cndmask_b32_e64 v6, 0, v6, s0
	s_delay_alu instid0(VALU_DEP_1) | instskip(NEXT) | instid1(VALU_DEP_1)
	v_add_nc_u32_e32 v6, v7, v6
	v_bfe_i32 v6, v6, 0, 8
	s_delay_alu instid0(VALU_DEP_1) | instskip(NEXT) | instid1(VALU_DEP_1)
	v_mul_i32_i24_e32 v5, v6, v5
	v_sub_nc_u32_e32 v6, 0, v5
	s_delay_alu instid0(VALU_DEP_1)
	v_max_i32_e32 v8, v5, v6
.LBB51_226:
	s_or_b32 exec_lo, exec_lo, s6
	s_delay_alu instid0(VALU_DEP_1)
	v_perm_b32 v4, v4, v8, 0x60504
.LBB51_227:
	s_or_b32 exec_lo, exec_lo, s3
	v_or_b32_e32 v5, 0xc00, v0
	s_mov_b32 s3, exec_lo
	s_delay_alu instid0(VALU_DEP_1)
	v_cmpx_gt_i32_e64 s1, v5
	s_cbranch_execz .LBB51_235
; %bb.228:
	v_bfe_i32 v5, v18, 0, 8
	v_and_b32_e32 v6, 0xff, v19
	s_mov_b32 s7, 0
	s_delay_alu instid0(VALU_DEP_2) | instskip(NEXT) | instid1(VALU_DEP_2)
	v_sub_nc_u16 v7, 0, v5
	v_cmp_ne_u16_e64 s0, 0, v6
	v_bfe_i32 v6, v19, 0, 8
	s_delay_alu instid0(VALU_DEP_3)
	v_max_i16 v7, v5, v7
	s_and_saveexec_b32 s6, s0
	s_cbranch_execz .LBB51_232
; %bb.229:
	s_delay_alu instid0(VALU_DEP_2) | instskip(NEXT) | instid1(VALU_DEP_1)
	v_sub_nc_u16 v8, 0, v6
	v_max_i16 v9, v6, v8
	v_and_b32_e32 v8, 0xff, v7
	s_delay_alu instid0(VALU_DEP_2)
	v_and_b32_e32 v9, 0xffff, v9
.LBB51_230:                             ; =>This Inner Loop Header: Depth=1
	s_delay_alu instid0(VALU_DEP_2) | instskip(NEXT) | instid1(VALU_DEP_2)
	v_bfe_i32 v19, v8, 0, 8
	v_mov_b32_e32 v7, v9
	s_delay_alu instid0(VALU_DEP_2) | instskip(NEXT) | instid1(VALU_DEP_2)
	v_cvt_f32_i32_e32 v21, v19
	v_bfe_i32 v9, v7, 0, 8
	s_delay_alu instid0(VALU_DEP_1) | instskip(SKIP_1) | instid1(VALU_DEP_2)
	v_cvt_f32_i32_e32 v18, v9
	v_xor_b32_e32 v9, v19, v9
	v_rcp_iflag_f32_e32 v20, v18
	v_nop
	s_delay_alu instid0(TRANS32_DEP_1) | instskip(NEXT) | instid1(VALU_DEP_1)
	v_dual_ashrrev_i32 v9, 30, v9 :: v_dual_mul_f32 v19, v21, v20
	v_trunc_f32_e32 v19, v19
	s_delay_alu instid0(VALU_DEP_1) | instskip(SKIP_1) | instid1(VALU_DEP_2)
	v_dual_fma_f32 v20, -v19, v18, v21 :: v_dual_bitop2_b32 v9, 1, v9 bitop3:0x54
	v_cvt_i32_f32_e32 v19, v19
	v_cmp_ge_f32_e64 s0, |v20|, |v18|
	s_delay_alu instid0(VALU_DEP_1) | instskip(NEXT) | instid1(VALU_DEP_1)
	v_cndmask_b32_e64 v9, 0, v9, s0
	v_add_nc_u32_e32 v9, v19, v9
	s_delay_alu instid0(VALU_DEP_1) | instskip(NEXT) | instid1(VALU_DEP_1)
	v_mul_lo_u32 v9, v9, v7
	v_sub_nc_u32_e32 v8, v8, v9
	s_delay_alu instid0(VALU_DEP_1) | instskip(SKIP_1) | instid1(VALU_DEP_2)
	v_bfe_i32 v9, v8, 0, 8
	v_mov_b32_e32 v8, v7
	v_cmp_eq_u16_e64 s0, 0, v9
	v_and_b32_e32 v9, 0xffff, v9
	s_or_b32 s7, s0, s7
	s_delay_alu instid0(SALU_CYCLE_1)
	s_and_not1_b32 exec_lo, exec_lo, s7
	s_cbranch_execnz .LBB51_230
; %bb.231:
	s_or_b32 exec_lo, exec_lo, s7
.LBB51_232:
	s_delay_alu instid0(SALU_CYCLE_1) | instskip(NEXT) | instid1(VALU_DEP_1)
	s_or_b32 exec_lo, exec_lo, s6
	v_and_b32_e32 v9, 0xff, v7
	v_mov_b32_e32 v8, 0
	s_mov_b32 s6, exec_lo
	s_delay_alu instid0(VALU_DEP_2)
	v_cmpx_ne_u16_e32 0, v9
	s_cbranch_execz .LBB51_234
; %bb.233:
	v_bfe_i32 v7, v7, 0, 8
	v_cvt_f32_i32_e32 v18, v6
	s_delay_alu instid0(VALU_DEP_2) | instskip(SKIP_1) | instid1(VALU_DEP_2)
	v_cvt_f32_i32_e32 v8, v7
	v_xor_b32_e32 v6, v6, v7
	v_rcp_iflag_f32_e32 v9, v8
	s_delay_alu instid0(VALU_DEP_1)
	v_ashrrev_i32_e32 v6, 30, v6
	s_delay_alu instid0(TRANS32_DEP_1) | instid1(VALU_DEP_1)
	v_dual_mul_f32 v9, v18, v9 :: v_dual_bitop2_b32 v6, 1, v6 bitop3:0x54
	s_delay_alu instid0(VALU_DEP_1) | instskip(NEXT) | instid1(VALU_DEP_1)
	v_trunc_f32_e32 v7, v9
	v_fma_f32 v9, -v7, v8, v18
	v_cvt_i32_f32_e32 v7, v7
	s_delay_alu instid0(VALU_DEP_2) | instskip(NEXT) | instid1(VALU_DEP_1)
	v_cmp_ge_f32_e64 s0, |v9|, |v8|
	v_cndmask_b32_e64 v6, 0, v6, s0
	s_delay_alu instid0(VALU_DEP_1) | instskip(NEXT) | instid1(VALU_DEP_1)
	v_add_nc_u32_e32 v6, v7, v6
	v_bfe_i32 v6, v6, 0, 8
	s_delay_alu instid0(VALU_DEP_1) | instskip(NEXT) | instid1(VALU_DEP_1)
	v_mul_i32_i24_e32 v5, v6, v5
	v_sub_nc_u32_e32 v6, 0, v5
	s_delay_alu instid0(VALU_DEP_1)
	v_max_i32_e32 v8, v5, v6
.LBB51_234:
	s_or_b32 exec_lo, exec_lo, s6
	s_delay_alu instid0(VALU_DEP_1)
	v_perm_b32 v3, v8, v3, 0x3020104
.LBB51_235:
	s_or_b32 exec_lo, exec_lo, s3
	v_or_b32_e32 v5, 0xd00, v0
	s_mov_b32 s3, exec_lo
	s_delay_alu instid0(VALU_DEP_1)
	v_cmpx_gt_i32_e64 s1, v5
	s_cbranch_execz .LBB51_243
; %bb.236:
	v_bfe_i32 v5, v16, 0, 8
	v_and_b32_e32 v6, 0xff, v17
	s_mov_b32 s7, 0
	s_delay_alu instid0(VALU_DEP_2) | instskip(NEXT) | instid1(VALU_DEP_2)
	v_sub_nc_u16 v7, 0, v5
	v_cmp_ne_u16_e64 s0, 0, v6
	v_bfe_i32 v6, v17, 0, 8
	s_delay_alu instid0(VALU_DEP_3)
	v_max_i16 v7, v5, v7
	s_and_saveexec_b32 s6, s0
	s_cbranch_execz .LBB51_240
; %bb.237:
	s_delay_alu instid0(VALU_DEP_2) | instskip(NEXT) | instid1(VALU_DEP_1)
	v_sub_nc_u16 v8, 0, v6
	v_max_i16 v9, v6, v8
	v_and_b32_e32 v8, 0xff, v7
	s_delay_alu instid0(VALU_DEP_2)
	v_and_b32_e32 v9, 0xffff, v9
.LBB51_238:                             ; =>This Inner Loop Header: Depth=1
	s_delay_alu instid0(VALU_DEP_2) | instskip(NEXT) | instid1(VALU_DEP_1)
	v_bfe_i32 v17, v8, 0, 8
	v_cvt_f32_i32_e32 v19, v17
	s_delay_alu instid0(VALU_DEP_3) | instskip(NEXT) | instid1(VALU_DEP_1)
	v_mov_b32_e32 v7, v9
	v_bfe_i32 v9, v7, 0, 8
	s_delay_alu instid0(VALU_DEP_1) | instskip(SKIP_1) | instid1(VALU_DEP_2)
	v_cvt_f32_i32_e32 v16, v9
	v_xor_b32_e32 v9, v17, v9
	v_rcp_iflag_f32_e32 v18, v16
	v_nop
	s_delay_alu instid0(TRANS32_DEP_1) | instskip(NEXT) | instid1(VALU_DEP_1)
	v_mul_f32_e32 v17, v19, v18
	v_trunc_f32_e32 v17, v17
	s_delay_alu instid0(VALU_DEP_1) | instskip(SKIP_1) | instid1(VALU_DEP_2)
	v_dual_fma_f32 v18, -v17, v16, v19 :: v_dual_ashrrev_i32 v9, 30, v9
	v_cvt_i32_f32_e32 v17, v17
	v_cmp_ge_f32_e64 s0, |v18|, |v16|
	s_delay_alu instid0(VALU_DEP_3) | instskip(NEXT) | instid1(VALU_DEP_1)
	v_or_b32_e32 v9, 1, v9
	v_cndmask_b32_e64 v9, 0, v9, s0
	s_delay_alu instid0(VALU_DEP_1) | instskip(NEXT) | instid1(VALU_DEP_1)
	v_add_nc_u32_e32 v9, v17, v9
	v_mul_lo_u32 v9, v9, v7
	s_delay_alu instid0(VALU_DEP_1) | instskip(NEXT) | instid1(VALU_DEP_1)
	v_sub_nc_u32_e32 v8, v8, v9
	v_bfe_i32 v9, v8, 0, 8
	v_mov_b32_e32 v8, v7
	s_delay_alu instid0(VALU_DEP_2) | instskip(SKIP_2) | instid1(SALU_CYCLE_1)
	v_cmp_eq_u16_e64 s0, 0, v9
	v_and_b32_e32 v9, 0xffff, v9
	s_or_b32 s7, s0, s7
	s_and_not1_b32 exec_lo, exec_lo, s7
	s_cbranch_execnz .LBB51_238
; %bb.239:
	s_or_b32 exec_lo, exec_lo, s7
.LBB51_240:
	s_delay_alu instid0(SALU_CYCLE_1) | instskip(NEXT) | instid1(VALU_DEP_1)
	s_or_b32 exec_lo, exec_lo, s6
	v_and_b32_e32 v9, 0xff, v7
	v_mov_b32_e32 v8, 0
	s_mov_b32 s6, exec_lo
	s_delay_alu instid0(VALU_DEP_2)
	v_cmpx_ne_u16_e32 0, v9
	s_cbranch_execz .LBB51_242
; %bb.241:
	v_bfe_i32 v7, v7, 0, 8
	v_cvt_f32_i32_e32 v16, v6
	s_delay_alu instid0(VALU_DEP_2) | instskip(SKIP_1) | instid1(VALU_DEP_2)
	v_cvt_f32_i32_e32 v8, v7
	v_xor_b32_e32 v6, v6, v7
	v_rcp_iflag_f32_e32 v9, v8
	v_nop
	s_delay_alu instid0(TRANS32_DEP_1) | instskip(NEXT) | instid1(VALU_DEP_1)
	v_mul_f32_e32 v9, v16, v9
	v_trunc_f32_e32 v7, v9
	s_delay_alu instid0(VALU_DEP_1) | instskip(NEXT) | instid1(VALU_DEP_1)
	v_dual_ashrrev_i32 v6, 30, v6 :: v_dual_fma_f32 v9, -v7, v8, v16
	v_or_b32_e32 v6, 1, v6
	v_cvt_i32_f32_e32 v7, v7
	s_delay_alu instid0(VALU_DEP_3) | instskip(NEXT) | instid1(VALU_DEP_1)
	v_cmp_ge_f32_e64 s0, |v9|, |v8|
	v_cndmask_b32_e64 v6, 0, v6, s0
	s_delay_alu instid0(VALU_DEP_1) | instskip(NEXT) | instid1(VALU_DEP_1)
	v_add_nc_u32_e32 v6, v7, v6
	v_bfe_i32 v6, v6, 0, 8
	s_delay_alu instid0(VALU_DEP_1) | instskip(NEXT) | instid1(VALU_DEP_1)
	v_mul_i32_i24_e32 v5, v6, v5
	v_sub_nc_u32_e32 v6, 0, v5
	s_delay_alu instid0(VALU_DEP_1)
	v_max_i32_e32 v8, v5, v6
.LBB51_242:
	s_or_b32 exec_lo, exec_lo, s6
	s_delay_alu instid0(VALU_DEP_1)
	v_perm_b32 v3, v3, v8, 0x7060004
.LBB51_243:
	s_or_b32 exec_lo, exec_lo, s3
	v_or_b32_e32 v5, 0xe00, v0
	s_mov_b32 s3, exec_lo
	s_delay_alu instid0(VALU_DEP_1)
	v_cmpx_gt_i32_e64 s1, v5
	s_cbranch_execz .LBB51_251
; %bb.244:
	v_bfe_i32 v5, v14, 0, 8
	v_and_b32_e32 v6, 0xff, v15
	s_mov_b32 s7, 0
	s_delay_alu instid0(VALU_DEP_2) | instskip(NEXT) | instid1(VALU_DEP_2)
	v_sub_nc_u16 v7, 0, v5
	v_cmp_ne_u16_e64 s0, 0, v6
	v_bfe_i32 v6, v15, 0, 8
	s_delay_alu instid0(VALU_DEP_3)
	v_max_i16 v7, v5, v7
	s_and_saveexec_b32 s6, s0
	s_cbranch_execz .LBB51_248
; %bb.245:
	s_delay_alu instid0(VALU_DEP_2) | instskip(NEXT) | instid1(VALU_DEP_1)
	v_sub_nc_u16 v8, 0, v6
	v_max_i16 v9, v6, v8
	v_and_b32_e32 v8, 0xff, v7
	s_delay_alu instid0(VALU_DEP_2)
	v_and_b32_e32 v9, 0xffff, v9
.LBB51_246:                             ; =>This Inner Loop Header: Depth=1
	s_delay_alu instid0(VALU_DEP_2) | instskip(NEXT) | instid1(VALU_DEP_2)
	v_bfe_i32 v15, v8, 0, 8
	v_mov_b32_e32 v7, v9
	s_delay_alu instid0(VALU_DEP_2) | instskip(NEXT) | instid1(VALU_DEP_2)
	v_cvt_f32_i32_e32 v17, v15
	v_bfe_i32 v9, v7, 0, 8
	s_delay_alu instid0(VALU_DEP_1) | instskip(SKIP_1) | instid1(VALU_DEP_2)
	v_cvt_f32_i32_e32 v14, v9
	v_xor_b32_e32 v9, v15, v9
	v_rcp_iflag_f32_e32 v16, v14
	v_nop
	s_delay_alu instid0(TRANS32_DEP_1) | instskip(NEXT) | instid1(VALU_DEP_1)
	v_dual_ashrrev_i32 v9, 30, v9 :: v_dual_mul_f32 v15, v17, v16
	v_trunc_f32_e32 v15, v15
	s_delay_alu instid0(VALU_DEP_1) | instskip(SKIP_1) | instid1(VALU_DEP_2)
	v_dual_fma_f32 v16, -v15, v14, v17 :: v_dual_bitop2_b32 v9, 1, v9 bitop3:0x54
	v_cvt_i32_f32_e32 v15, v15
	v_cmp_ge_f32_e64 s0, |v16|, |v14|
	s_delay_alu instid0(VALU_DEP_1) | instskip(NEXT) | instid1(VALU_DEP_1)
	v_cndmask_b32_e64 v9, 0, v9, s0
	v_add_nc_u32_e32 v9, v15, v9
	s_delay_alu instid0(VALU_DEP_1) | instskip(NEXT) | instid1(VALU_DEP_1)
	v_mul_lo_u32 v9, v9, v7
	v_sub_nc_u32_e32 v8, v8, v9
	s_delay_alu instid0(VALU_DEP_1) | instskip(SKIP_1) | instid1(VALU_DEP_2)
	v_bfe_i32 v9, v8, 0, 8
	v_mov_b32_e32 v8, v7
	v_cmp_eq_u16_e64 s0, 0, v9
	v_and_b32_e32 v9, 0xffff, v9
	s_or_b32 s7, s0, s7
	s_delay_alu instid0(SALU_CYCLE_1)
	s_and_not1_b32 exec_lo, exec_lo, s7
	s_cbranch_execnz .LBB51_246
; %bb.247:
	s_or_b32 exec_lo, exec_lo, s7
.LBB51_248:
	s_delay_alu instid0(SALU_CYCLE_1) | instskip(NEXT) | instid1(VALU_DEP_1)
	s_or_b32 exec_lo, exec_lo, s6
	v_and_b32_e32 v9, 0xff, v7
	v_mov_b32_e32 v8, 0
	s_mov_b32 s6, exec_lo
	s_delay_alu instid0(VALU_DEP_2)
	v_cmpx_ne_u16_e32 0, v9
	s_cbranch_execz .LBB51_250
; %bb.249:
	v_bfe_i32 v7, v7, 0, 8
	v_cvt_f32_i32_e32 v14, v6
	s_delay_alu instid0(VALU_DEP_2) | instskip(SKIP_1) | instid1(VALU_DEP_2)
	v_cvt_f32_i32_e32 v8, v7
	v_xor_b32_e32 v6, v6, v7
	v_rcp_iflag_f32_e32 v9, v8
	s_delay_alu instid0(VALU_DEP_1)
	v_ashrrev_i32_e32 v6, 30, v6
	s_delay_alu instid0(TRANS32_DEP_1) | instid1(VALU_DEP_1)
	v_dual_mul_f32 v9, v14, v9 :: v_dual_bitop2_b32 v6, 1, v6 bitop3:0x54
	s_delay_alu instid0(VALU_DEP_1) | instskip(NEXT) | instid1(VALU_DEP_1)
	v_trunc_f32_e32 v7, v9
	v_fma_f32 v9, -v7, v8, v14
	v_cvt_i32_f32_e32 v7, v7
	s_delay_alu instid0(VALU_DEP_2) | instskip(NEXT) | instid1(VALU_DEP_1)
	v_cmp_ge_f32_e64 s0, |v9|, |v8|
	v_cndmask_b32_e64 v6, 0, v6, s0
	s_delay_alu instid0(VALU_DEP_1) | instskip(NEXT) | instid1(VALU_DEP_1)
	v_add_nc_u32_e32 v6, v7, v6
	v_bfe_i32 v6, v6, 0, 8
	s_delay_alu instid0(VALU_DEP_1) | instskip(NEXT) | instid1(VALU_DEP_1)
	v_mul_i32_i24_e32 v5, v6, v5
	v_sub_nc_u32_e32 v6, 0, v5
	s_delay_alu instid0(VALU_DEP_1)
	v_max_i32_e32 v8, v5, v6
.LBB51_250:
	s_or_b32 exec_lo, exec_lo, s6
	s_delay_alu instid0(VALU_DEP_1)
	v_perm_b32 v3, v3, v8, 0x7000504
.LBB51_251:
	s_or_b32 exec_lo, exec_lo, s3
	v_or_b32_e32 v5, 0xf00, v0
	s_mov_b32 s3, exec_lo
	s_delay_alu instid0(VALU_DEP_1)
	v_cmpx_gt_i32_e64 s1, v5
	s_cbranch_execnz .LBB51_270
; %bb.252:
	s_or_b32 exec_lo, exec_lo, s3
	s_and_saveexec_b32 s0, vcc_lo
	s_delay_alu instid0(SALU_CYCLE_1)
	s_xor_b32 s0, exec_lo, s0
	s_cbranch_execnz .LBB51_277
.LBB51_253:
	s_or_b32 exec_lo, exec_lo, s0
	s_delay_alu instid0(SALU_CYCLE_1)
	s_mov_b32 s0, exec_lo
	v_cmpx_gt_i32_e64 s1, v0
	s_cbranch_execnz .LBB51_278
.LBB51_254:
	s_or_b32 exec_lo, exec_lo, s0
	s_delay_alu instid0(SALU_CYCLE_1)
	s_mov_b32 s0, exec_lo
	v_cmpx_gt_i32_e64 s1, v0
	s_cbranch_execnz .LBB51_279
.LBB51_255:
	s_or_b32 exec_lo, exec_lo, s0
	s_delay_alu instid0(SALU_CYCLE_1)
	s_mov_b32 s0, exec_lo
	v_cmpx_gt_i32_e64 s1, v0
	s_cbranch_execnz .LBB51_280
.LBB51_256:
	s_or_b32 exec_lo, exec_lo, s0
	s_delay_alu instid0(SALU_CYCLE_1)
	s_mov_b32 s0, exec_lo
	v_cmpx_gt_i32_e64 s1, v0
	s_cbranch_execnz .LBB51_281
.LBB51_257:
	s_or_b32 exec_lo, exec_lo, s0
	s_delay_alu instid0(SALU_CYCLE_1)
	s_mov_b32 s0, exec_lo
	v_cmpx_gt_i32_e64 s1, v0
	s_cbranch_execnz .LBB51_282
.LBB51_258:
	s_or_b32 exec_lo, exec_lo, s0
	s_delay_alu instid0(SALU_CYCLE_1)
	s_mov_b32 s0, exec_lo
	v_cmpx_gt_i32_e64 s1, v0
	s_cbranch_execnz .LBB51_283
.LBB51_259:
	s_or_b32 exec_lo, exec_lo, s0
	s_delay_alu instid0(SALU_CYCLE_1)
	s_mov_b32 s0, exec_lo
	v_cmpx_gt_i32_e64 s1, v0
	s_cbranch_execnz .LBB51_284
.LBB51_260:
	s_or_b32 exec_lo, exec_lo, s0
	s_delay_alu instid0(SALU_CYCLE_1)
	s_mov_b32 s0, exec_lo
	v_cmpx_gt_i32_e64 s1, v0
	s_cbranch_execnz .LBB51_285
.LBB51_261:
	s_or_b32 exec_lo, exec_lo, s0
	s_delay_alu instid0(SALU_CYCLE_1)
	s_mov_b32 s0, exec_lo
	v_cmpx_gt_i32_e64 s1, v0
	s_cbranch_execnz .LBB51_286
.LBB51_262:
	s_or_b32 exec_lo, exec_lo, s0
	s_delay_alu instid0(SALU_CYCLE_1)
	s_mov_b32 s0, exec_lo
	v_cmpx_gt_i32_e64 s1, v0
	s_cbranch_execnz .LBB51_287
.LBB51_263:
	s_or_b32 exec_lo, exec_lo, s0
	s_delay_alu instid0(SALU_CYCLE_1)
	s_mov_b32 s0, exec_lo
	v_cmpx_gt_i32_e64 s1, v0
	s_cbranch_execnz .LBB51_288
.LBB51_264:
	s_or_b32 exec_lo, exec_lo, s0
	s_delay_alu instid0(SALU_CYCLE_1)
	s_mov_b32 s0, exec_lo
	v_cmpx_gt_i32_e64 s1, v0
	s_cbranch_execnz .LBB51_289
.LBB51_265:
	s_or_b32 exec_lo, exec_lo, s0
	s_delay_alu instid0(SALU_CYCLE_1)
	s_mov_b32 s0, exec_lo
	v_cmpx_gt_i32_e64 s1, v0
	s_cbranch_execnz .LBB51_290
.LBB51_266:
	s_or_b32 exec_lo, exec_lo, s0
	s_delay_alu instid0(SALU_CYCLE_1)
	s_mov_b32 s0, exec_lo
	v_cmpx_gt_i32_e64 s1, v0
	s_cbranch_execnz .LBB51_291
.LBB51_267:
	s_or_b32 exec_lo, exec_lo, s0
	s_delay_alu instid0(SALU_CYCLE_1)
	s_mov_b32 s0, exec_lo
	v_cmpx_gt_i32_e64 s1, v0
	s_cbranch_execz .LBB51_269
.LBB51_268:
	v_dual_lshrrev_b32 v1, 24, v3 :: v_dual_add_nc_u32 v0, s2, v0
	global_store_b8 v0, v1, s[4:5]
.LBB51_269:
	s_endpgm
.LBB51_270:
	v_bfe_i32 v5, v12, 0, 8
	v_and_b32_e32 v6, 0xff, v13
	s_mov_b32 s7, 0
	s_delay_alu instid0(VALU_DEP_2) | instskip(NEXT) | instid1(VALU_DEP_2)
	v_sub_nc_u16 v7, 0, v5
	v_cmp_ne_u16_e64 s0, 0, v6
	v_bfe_i32 v6, v13, 0, 8
	s_delay_alu instid0(VALU_DEP_3)
	v_max_i16 v7, v5, v7
	s_and_saveexec_b32 s6, s0
	s_cbranch_execz .LBB51_274
; %bb.271:
	s_delay_alu instid0(VALU_DEP_2) | instskip(NEXT) | instid1(VALU_DEP_1)
	v_sub_nc_u16 v8, 0, v6
	v_max_i16 v9, v6, v8
	v_and_b32_e32 v8, 0xff, v7
	s_delay_alu instid0(VALU_DEP_2)
	v_and_b32_e32 v9, 0xffff, v9
.LBB51_272:                             ; =>This Inner Loop Header: Depth=1
	s_delay_alu instid0(VALU_DEP_2) | instskip(NEXT) | instid1(VALU_DEP_1)
	v_bfe_i32 v13, v8, 0, 8
	v_cvt_f32_i32_e32 v15, v13
	s_delay_alu instid0(VALU_DEP_3) | instskip(NEXT) | instid1(VALU_DEP_1)
	v_mov_b32_e32 v7, v9
	v_bfe_i32 v9, v7, 0, 8
	s_delay_alu instid0(VALU_DEP_1) | instskip(SKIP_1) | instid1(VALU_DEP_2)
	v_cvt_f32_i32_e32 v12, v9
	v_xor_b32_e32 v9, v13, v9
	v_rcp_iflag_f32_e32 v14, v12
	v_nop
	s_delay_alu instid0(TRANS32_DEP_1) | instskip(NEXT) | instid1(VALU_DEP_1)
	v_mul_f32_e32 v13, v15, v14
	v_trunc_f32_e32 v13, v13
	s_delay_alu instid0(VALU_DEP_1) | instskip(SKIP_1) | instid1(VALU_DEP_2)
	v_dual_fma_f32 v14, -v13, v12, v15 :: v_dual_ashrrev_i32 v9, 30, v9
	v_cvt_i32_f32_e32 v13, v13
	v_cmp_ge_f32_e64 s0, |v14|, |v12|
	s_delay_alu instid0(VALU_DEP_3) | instskip(NEXT) | instid1(VALU_DEP_1)
	v_or_b32_e32 v9, 1, v9
	v_cndmask_b32_e64 v9, 0, v9, s0
	s_delay_alu instid0(VALU_DEP_1) | instskip(NEXT) | instid1(VALU_DEP_1)
	v_add_nc_u32_e32 v9, v13, v9
	v_mul_lo_u32 v9, v9, v7
	s_delay_alu instid0(VALU_DEP_1) | instskip(NEXT) | instid1(VALU_DEP_1)
	v_sub_nc_u32_e32 v8, v8, v9
	v_bfe_i32 v9, v8, 0, 8
	v_mov_b32_e32 v8, v7
	s_delay_alu instid0(VALU_DEP_2) | instskip(SKIP_2) | instid1(SALU_CYCLE_1)
	v_cmp_eq_u16_e64 s0, 0, v9
	v_and_b32_e32 v9, 0xffff, v9
	s_or_b32 s7, s0, s7
	s_and_not1_b32 exec_lo, exec_lo, s7
	s_cbranch_execnz .LBB51_272
; %bb.273:
	s_or_b32 exec_lo, exec_lo, s7
.LBB51_274:
	s_delay_alu instid0(SALU_CYCLE_1) | instskip(NEXT) | instid1(VALU_DEP_1)
	s_or_b32 exec_lo, exec_lo, s6
	v_and_b32_e32 v9, 0xff, v7
	v_mov_b32_e32 v8, 0
	s_mov_b32 s6, exec_lo
	s_delay_alu instid0(VALU_DEP_2)
	v_cmpx_ne_u16_e32 0, v9
	s_cbranch_execz .LBB51_276
; %bb.275:
	v_bfe_i32 v7, v7, 0, 8
	v_cvt_f32_i32_e32 v12, v6
	s_delay_alu instid0(VALU_DEP_2) | instskip(SKIP_1) | instid1(VALU_DEP_2)
	v_cvt_f32_i32_e32 v8, v7
	v_xor_b32_e32 v6, v6, v7
	v_rcp_iflag_f32_e32 v9, v8
	v_nop
	s_delay_alu instid0(TRANS32_DEP_1) | instskip(NEXT) | instid1(VALU_DEP_1)
	v_mul_f32_e32 v9, v12, v9
	v_trunc_f32_e32 v7, v9
	s_delay_alu instid0(VALU_DEP_1) | instskip(NEXT) | instid1(VALU_DEP_1)
	v_dual_ashrrev_i32 v6, 30, v6 :: v_dual_fma_f32 v9, -v7, v8, v12
	v_or_b32_e32 v6, 1, v6
	v_cvt_i32_f32_e32 v7, v7
	s_delay_alu instid0(VALU_DEP_3) | instskip(NEXT) | instid1(VALU_DEP_1)
	v_cmp_ge_f32_e64 s0, |v9|, |v8|
	v_cndmask_b32_e64 v6, 0, v6, s0
	s_delay_alu instid0(VALU_DEP_1) | instskip(NEXT) | instid1(VALU_DEP_1)
	v_add_nc_u32_e32 v6, v7, v6
	v_bfe_i32 v6, v6, 0, 8
	s_delay_alu instid0(VALU_DEP_1) | instskip(NEXT) | instid1(VALU_DEP_1)
	v_mul_i32_i24_e32 v5, v6, v5
	v_sub_nc_u32_e32 v6, 0, v5
	s_delay_alu instid0(VALU_DEP_1)
	v_max_i32_e32 v8, v5, v6
.LBB51_276:
	s_or_b32 exec_lo, exec_lo, s6
	s_delay_alu instid0(VALU_DEP_1) | instskip(SKIP_2) | instid1(SALU_CYCLE_1)
	v_perm_b32 v3, v3, v8, 0x60504
	s_or_b32 exec_lo, exec_lo, s3
	s_and_saveexec_b32 s0, vcc_lo
	s_xor_b32 s0, exec_lo, s0
	s_cbranch_execz .LBB51_253
.LBB51_277:
	v_mov_b32_e32 v0, v11
	global_store_b8 v10, v2, s[4:5]
	s_wait_xcnt 0x0
	s_or_b32 exec_lo, exec_lo, s0
	s_delay_alu instid0(SALU_CYCLE_1)
	s_mov_b32 s0, exec_lo
	v_cmpx_gt_i32_e64 s1, v0
	s_cbranch_execz .LBB51_254
.LBB51_278:
	v_dual_lshrrev_b32 v5, 8, v2 :: v_dual_add_nc_u32 v6, s2, v0
	v_add_nc_u32_e32 v0, 0x100, v0
	global_store_b8 v6, v5, s[4:5]
	s_wait_xcnt 0x0
	s_or_b32 exec_lo, exec_lo, s0
	s_delay_alu instid0(SALU_CYCLE_1)
	s_mov_b32 s0, exec_lo
	v_cmpx_gt_i32_e64 s1, v0
	s_cbranch_execz .LBB51_255
.LBB51_279:
	v_add_nc_u32_e32 v5, s2, v0
	v_add_nc_u32_e32 v0, 0x100, v0
	global_store_d16_hi_b8 v5, v2, s[4:5]
	s_wait_xcnt 0x0
	s_or_b32 exec_lo, exec_lo, s0
	s_delay_alu instid0(SALU_CYCLE_1)
	s_mov_b32 s0, exec_lo
	v_cmpx_gt_i32_e64 s1, v0
	s_cbranch_execz .LBB51_256
.LBB51_280:
	v_dual_lshrrev_b32 v2, 24, v2 :: v_dual_add_nc_u32 v5, s2, v0
	v_add_nc_u32_e32 v0, 0x100, v0
	global_store_b8 v5, v2, s[4:5]
	s_wait_xcnt 0x0
	s_or_b32 exec_lo, exec_lo, s0
	s_delay_alu instid0(SALU_CYCLE_1)
	s_mov_b32 s0, exec_lo
	v_cmpx_gt_i32_e64 s1, v0
	s_cbranch_execz .LBB51_257
.LBB51_281:
	v_add_nc_u32_e32 v2, s2, v0
	v_add_nc_u32_e32 v0, 0x100, v0
	global_store_b8 v2, v1, s[4:5]
	s_wait_xcnt 0x0
	s_or_b32 exec_lo, exec_lo, s0
	s_delay_alu instid0(SALU_CYCLE_1)
	s_mov_b32 s0, exec_lo
	v_cmpx_gt_i32_e64 s1, v0
	s_cbranch_execz .LBB51_258
.LBB51_282:
	v_dual_lshrrev_b32 v2, 8, v1 :: v_dual_add_nc_u32 v5, s2, v0
	v_add_nc_u32_e32 v0, 0x100, v0
	global_store_b8 v5, v2, s[4:5]
	s_wait_xcnt 0x0
	s_or_b32 exec_lo, exec_lo, s0
	s_delay_alu instid0(SALU_CYCLE_1)
	s_mov_b32 s0, exec_lo
	v_cmpx_gt_i32_e64 s1, v0
	s_cbranch_execz .LBB51_259
.LBB51_283:
	v_add_nc_u32_e32 v2, s2, v0
	v_add_nc_u32_e32 v0, 0x100, v0
	global_store_d16_hi_b8 v2, v1, s[4:5]
	s_wait_xcnt 0x0
	s_or_b32 exec_lo, exec_lo, s0
	s_delay_alu instid0(SALU_CYCLE_1)
	s_mov_b32 s0, exec_lo
	v_cmpx_gt_i32_e64 s1, v0
	s_cbranch_execz .LBB51_260
.LBB51_284:
	v_dual_lshrrev_b32 v1, 24, v1 :: v_dual_add_nc_u32 v2, s2, v0
	v_add_nc_u32_e32 v0, 0x100, v0
	global_store_b8 v2, v1, s[4:5]
	s_wait_xcnt 0x0
	s_or_b32 exec_lo, exec_lo, s0
	s_delay_alu instid0(SALU_CYCLE_1)
	s_mov_b32 s0, exec_lo
	v_cmpx_gt_i32_e64 s1, v0
	s_cbranch_execz .LBB51_261
.LBB51_285:
	v_add_nc_u32_e32 v1, s2, v0
	v_add_nc_u32_e32 v0, 0x100, v0
	global_store_b8 v1, v4, s[4:5]
	s_wait_xcnt 0x0
	s_or_b32 exec_lo, exec_lo, s0
	s_delay_alu instid0(SALU_CYCLE_1)
	s_mov_b32 s0, exec_lo
	v_cmpx_gt_i32_e64 s1, v0
	s_cbranch_execz .LBB51_262
.LBB51_286:
	v_lshrrev_b32_e32 v1, 8, v4
	v_add_nc_u32_e32 v2, s2, v0
	v_add_nc_u32_e32 v0, 0x100, v0
	global_store_b8 v2, v1, s[4:5]
	s_wait_xcnt 0x0
	s_or_b32 exec_lo, exec_lo, s0
	s_delay_alu instid0(SALU_CYCLE_1)
	s_mov_b32 s0, exec_lo
	v_cmpx_gt_i32_e64 s1, v0
	s_cbranch_execz .LBB51_263
.LBB51_287:
	v_add_nc_u32_e32 v1, s2, v0
	v_add_nc_u32_e32 v0, 0x100, v0
	global_store_d16_hi_b8 v1, v4, s[4:5]
	s_wait_xcnt 0x0
	s_or_b32 exec_lo, exec_lo, s0
	s_delay_alu instid0(SALU_CYCLE_1)
	s_mov_b32 s0, exec_lo
	v_cmpx_gt_i32_e64 s1, v0
	s_cbranch_execz .LBB51_264
.LBB51_288:
	v_lshrrev_b32_e32 v1, 24, v4
	v_add_nc_u32_e32 v2, s2, v0
	v_add_nc_u32_e32 v0, 0x100, v0
	global_store_b8 v2, v1, s[4:5]
	s_wait_xcnt 0x0
	s_or_b32 exec_lo, exec_lo, s0
	s_delay_alu instid0(SALU_CYCLE_1)
	s_mov_b32 s0, exec_lo
	v_cmpx_gt_i32_e64 s1, v0
	s_cbranch_execz .LBB51_265
.LBB51_289:
	v_add_nc_u32_e32 v1, s2, v0
	v_add_nc_u32_e32 v0, 0x100, v0
	global_store_b8 v1, v3, s[4:5]
	s_wait_xcnt 0x0
	s_or_b32 exec_lo, exec_lo, s0
	s_delay_alu instid0(SALU_CYCLE_1)
	s_mov_b32 s0, exec_lo
	v_cmpx_gt_i32_e64 s1, v0
	s_cbranch_execz .LBB51_266
.LBB51_290:
	v_dual_lshrrev_b32 v1, 8, v3 :: v_dual_add_nc_u32 v2, s2, v0
	v_add_nc_u32_e32 v0, 0x100, v0
	global_store_b8 v2, v1, s[4:5]
	s_wait_xcnt 0x0
	s_or_b32 exec_lo, exec_lo, s0
	s_delay_alu instid0(SALU_CYCLE_1)
	s_mov_b32 s0, exec_lo
	v_cmpx_gt_i32_e64 s1, v0
	s_cbranch_execz .LBB51_267
.LBB51_291:
	v_add_nc_u32_e32 v1, s2, v0
	v_add_nc_u32_e32 v0, 0x100, v0
	global_store_d16_hi_b8 v1, v3, s[4:5]
	s_wait_xcnt 0x0
	s_or_b32 exec_lo, exec_lo, s0
	s_delay_alu instid0(SALU_CYCLE_1)
	s_mov_b32 s0, exec_lo
	v_cmpx_gt_i32_e64 s1, v0
	s_cbranch_execnz .LBB51_268
	s_branch .LBB51_269
	.section	.rodata,"a",@progbits
	.p2align	6, 0x0
	.amdhsa_kernel _ZN2at6native29vectorized_elementwise_kernelILi2EZZZNS0_15lcm_kernel_cudaERNS_18TensorIteratorBaseEENKUlvE_clEvENKUlvE0_clEvEUlaaE_St5arrayIPcLm3EEEEviT0_T1_
		.amdhsa_group_segment_fixed_size 0
		.amdhsa_private_segment_fixed_size 0
		.amdhsa_kernarg_size 32
		.amdhsa_user_sgpr_count 2
		.amdhsa_user_sgpr_dispatch_ptr 0
		.amdhsa_user_sgpr_queue_ptr 0
		.amdhsa_user_sgpr_kernarg_segment_ptr 1
		.amdhsa_user_sgpr_dispatch_id 0
		.amdhsa_user_sgpr_kernarg_preload_length 0
		.amdhsa_user_sgpr_kernarg_preload_offset 0
		.amdhsa_user_sgpr_private_segment_size 0
		.amdhsa_wavefront_size32 1
		.amdhsa_uses_dynamic_stack 0
		.amdhsa_enable_private_segment 0
		.amdhsa_system_sgpr_workgroup_id_x 1
		.amdhsa_system_sgpr_workgroup_id_y 0
		.amdhsa_system_sgpr_workgroup_id_z 0
		.amdhsa_system_sgpr_workgroup_info 0
		.amdhsa_system_vgpr_workitem_id 0
		.amdhsa_next_free_vgpr 44
		.amdhsa_next_free_sgpr 21
		.amdhsa_named_barrier_count 0
		.amdhsa_reserve_vcc 1
		.amdhsa_float_round_mode_32 0
		.amdhsa_float_round_mode_16_64 0
		.amdhsa_float_denorm_mode_32 3
		.amdhsa_float_denorm_mode_16_64 3
		.amdhsa_fp16_overflow 0
		.amdhsa_memory_ordered 1
		.amdhsa_forward_progress 1
		.amdhsa_inst_pref_size 150
		.amdhsa_round_robin_scheduling 0
		.amdhsa_exception_fp_ieee_invalid_op 0
		.amdhsa_exception_fp_denorm_src 0
		.amdhsa_exception_fp_ieee_div_zero 0
		.amdhsa_exception_fp_ieee_overflow 0
		.amdhsa_exception_fp_ieee_underflow 0
		.amdhsa_exception_fp_ieee_inexact 0
		.amdhsa_exception_int_div_zero 0
	.end_amdhsa_kernel
	.section	.text._ZN2at6native29vectorized_elementwise_kernelILi2EZZZNS0_15lcm_kernel_cudaERNS_18TensorIteratorBaseEENKUlvE_clEvENKUlvE0_clEvEUlaaE_St5arrayIPcLm3EEEEviT0_T1_,"axG",@progbits,_ZN2at6native29vectorized_elementwise_kernelILi2EZZZNS0_15lcm_kernel_cudaERNS_18TensorIteratorBaseEENKUlvE_clEvENKUlvE0_clEvEUlaaE_St5arrayIPcLm3EEEEviT0_T1_,comdat
.Lfunc_end51:
	.size	_ZN2at6native29vectorized_elementwise_kernelILi2EZZZNS0_15lcm_kernel_cudaERNS_18TensorIteratorBaseEENKUlvE_clEvENKUlvE0_clEvEUlaaE_St5arrayIPcLm3EEEEviT0_T1_, .Lfunc_end51-_ZN2at6native29vectorized_elementwise_kernelILi2EZZZNS0_15lcm_kernel_cudaERNS_18TensorIteratorBaseEENKUlvE_clEvENKUlvE0_clEvEUlaaE_St5arrayIPcLm3EEEEviT0_T1_
                                        ; -- End function
	.set _ZN2at6native29vectorized_elementwise_kernelILi2EZZZNS0_15lcm_kernel_cudaERNS_18TensorIteratorBaseEENKUlvE_clEvENKUlvE0_clEvEUlaaE_St5arrayIPcLm3EEEEviT0_T1_.num_vgpr, 44
	.set _ZN2at6native29vectorized_elementwise_kernelILi2EZZZNS0_15lcm_kernel_cudaERNS_18TensorIteratorBaseEENKUlvE_clEvENKUlvE0_clEvEUlaaE_St5arrayIPcLm3EEEEviT0_T1_.num_agpr, 0
	.set _ZN2at6native29vectorized_elementwise_kernelILi2EZZZNS0_15lcm_kernel_cudaERNS_18TensorIteratorBaseEENKUlvE_clEvENKUlvE0_clEvEUlaaE_St5arrayIPcLm3EEEEviT0_T1_.numbered_sgpr, 21
	.set _ZN2at6native29vectorized_elementwise_kernelILi2EZZZNS0_15lcm_kernel_cudaERNS_18TensorIteratorBaseEENKUlvE_clEvENKUlvE0_clEvEUlaaE_St5arrayIPcLm3EEEEviT0_T1_.num_named_barrier, 0
	.set _ZN2at6native29vectorized_elementwise_kernelILi2EZZZNS0_15lcm_kernel_cudaERNS_18TensorIteratorBaseEENKUlvE_clEvENKUlvE0_clEvEUlaaE_St5arrayIPcLm3EEEEviT0_T1_.private_seg_size, 0
	.set _ZN2at6native29vectorized_elementwise_kernelILi2EZZZNS0_15lcm_kernel_cudaERNS_18TensorIteratorBaseEENKUlvE_clEvENKUlvE0_clEvEUlaaE_St5arrayIPcLm3EEEEviT0_T1_.uses_vcc, 1
	.set _ZN2at6native29vectorized_elementwise_kernelILi2EZZZNS0_15lcm_kernel_cudaERNS_18TensorIteratorBaseEENKUlvE_clEvENKUlvE0_clEvEUlaaE_St5arrayIPcLm3EEEEviT0_T1_.uses_flat_scratch, 0
	.set _ZN2at6native29vectorized_elementwise_kernelILi2EZZZNS0_15lcm_kernel_cudaERNS_18TensorIteratorBaseEENKUlvE_clEvENKUlvE0_clEvEUlaaE_St5arrayIPcLm3EEEEviT0_T1_.has_dyn_sized_stack, 0
	.set _ZN2at6native29vectorized_elementwise_kernelILi2EZZZNS0_15lcm_kernel_cudaERNS_18TensorIteratorBaseEENKUlvE_clEvENKUlvE0_clEvEUlaaE_St5arrayIPcLm3EEEEviT0_T1_.has_recursion, 0
	.set _ZN2at6native29vectorized_elementwise_kernelILi2EZZZNS0_15lcm_kernel_cudaERNS_18TensorIteratorBaseEENKUlvE_clEvENKUlvE0_clEvEUlaaE_St5arrayIPcLm3EEEEviT0_T1_.has_indirect_call, 0
	.section	.AMDGPU.csdata,"",@progbits
; Kernel info:
; codeLenInByte = 19180
; TotalNumSgprs: 23
; NumVgprs: 44
; ScratchSize: 0
; MemoryBound: 0
; FloatMode: 240
; IeeeMode: 1
; LDSByteSize: 0 bytes/workgroup (compile time only)
; SGPRBlocks: 0
; VGPRBlocks: 2
; NumSGPRsForWavesPerEU: 23
; NumVGPRsForWavesPerEU: 44
; NamedBarCnt: 0
; Occupancy: 16
; WaveLimiterHint : 1
; COMPUTE_PGM_RSRC2:SCRATCH_EN: 0
; COMPUTE_PGM_RSRC2:USER_SGPR: 2
; COMPUTE_PGM_RSRC2:TRAP_HANDLER: 0
; COMPUTE_PGM_RSRC2:TGID_X_EN: 1
; COMPUTE_PGM_RSRC2:TGID_Y_EN: 0
; COMPUTE_PGM_RSRC2:TGID_Z_EN: 0
; COMPUTE_PGM_RSRC2:TIDIG_COMP_CNT: 0
	.section	.text._ZN2at6native27unrolled_elementwise_kernelIZZZNS0_15lcm_kernel_cudaERNS_18TensorIteratorBaseEENKUlvE_clEvENKUlvE0_clEvEUlaaE_St5arrayIPcLm3EELi4E23TrivialOffsetCalculatorILi2EjESA_ILi1EjENS0_6memory15LoadWithoutCastENSD_16StoreWithoutCastEEEviT_T0_T2_T3_T4_T5_,"axG",@progbits,_ZN2at6native27unrolled_elementwise_kernelIZZZNS0_15lcm_kernel_cudaERNS_18TensorIteratorBaseEENKUlvE_clEvENKUlvE0_clEvEUlaaE_St5arrayIPcLm3EELi4E23TrivialOffsetCalculatorILi2EjESA_ILi1EjENS0_6memory15LoadWithoutCastENSD_16StoreWithoutCastEEEviT_T0_T2_T3_T4_T5_,comdat
	.globl	_ZN2at6native27unrolled_elementwise_kernelIZZZNS0_15lcm_kernel_cudaERNS_18TensorIteratorBaseEENKUlvE_clEvENKUlvE0_clEvEUlaaE_St5arrayIPcLm3EELi4E23TrivialOffsetCalculatorILi2EjESA_ILi1EjENS0_6memory15LoadWithoutCastENSD_16StoreWithoutCastEEEviT_T0_T2_T3_T4_T5_ ; -- Begin function _ZN2at6native27unrolled_elementwise_kernelIZZZNS0_15lcm_kernel_cudaERNS_18TensorIteratorBaseEENKUlvE_clEvENKUlvE0_clEvEUlaaE_St5arrayIPcLm3EELi4E23TrivialOffsetCalculatorILi2EjESA_ILi1EjENS0_6memory15LoadWithoutCastENSD_16StoreWithoutCastEEEviT_T0_T2_T3_T4_T5_
	.p2align	8
	.type	_ZN2at6native27unrolled_elementwise_kernelIZZZNS0_15lcm_kernel_cudaERNS_18TensorIteratorBaseEENKUlvE_clEvENKUlvE0_clEvEUlaaE_St5arrayIPcLm3EELi4E23TrivialOffsetCalculatorILi2EjESA_ILi1EjENS0_6memory15LoadWithoutCastENSD_16StoreWithoutCastEEEviT_T0_T2_T3_T4_T5_,@function
_ZN2at6native27unrolled_elementwise_kernelIZZZNS0_15lcm_kernel_cudaERNS_18TensorIteratorBaseEENKUlvE_clEvENKUlvE0_clEvEUlaaE_St5arrayIPcLm3EELi4E23TrivialOffsetCalculatorILi2EjESA_ILi1EjENS0_6memory15LoadWithoutCastENSD_16StoreWithoutCastEEEviT_T0_T2_T3_T4_T5_: ; @_ZN2at6native27unrolled_elementwise_kernelIZZZNS0_15lcm_kernel_cudaERNS_18TensorIteratorBaseEENKUlvE_clEvENKUlvE0_clEvEUlaaE_St5arrayIPcLm3EELi4E23TrivialOffsetCalculatorILi2EjESA_ILi1EjENS0_6memory15LoadWithoutCastENSD_16StoreWithoutCastEEEviT_T0_T2_T3_T4_T5_
; %bb.0:
	s_load_b32 s8, s[0:1], 0x0
	s_bfe_u32 s10, ttmp6, 0x4000c
	s_clause 0x1
	s_load_b128 s[4:7], s[0:1], 0x8
	s_load_b64 s[2:3], s[0:1], 0x18
	s_add_co_i32 s10, s10, 1
	s_and_b32 s9, ttmp6, 15
	s_wait_xcnt 0x0
	s_mul_i32 s0, ttmp9, s10
	s_getreg_b32 s11, hwreg(HW_REG_IB_STS2, 6, 4)
	s_add_co_i32 s9, s9, s0
	s_cmp_eq_u32 s11, 0
	v_dual_mov_b32 v3, 0 :: v_dual_mov_b32 v4, 0
	s_cselect_b32 s0, ttmp9, s9
	v_dual_mov_b32 v5, 0 :: v_dual_mov_b32 v6, 0
	s_lshl_b32 s1, s0, 10
	v_dual_mov_b32 v7, 0 :: v_dual_mov_b32 v8, 0
	v_dual_mov_b32 v9, 0 :: v_dual_bitop2_b32 v2, s1, v0 bitop3:0x54
	v_or_b32_e32 v1, 0x100, v0
	s_wait_kmcnt 0x0
	s_sub_co_i32 s8, s8, s1
	v_dual_mov_b32 v10, 0 :: v_dual_mov_b32 v11, 0
	v_cmp_gt_i32_e32 vcc_lo, s8, v0
	s_and_saveexec_b32 s9, vcc_lo
	s_cbranch_execnz .LBB52_3
; %bb.1:
	s_or_b32 exec_lo, exec_lo, s9
	s_and_saveexec_b32 s2, vcc_lo
	s_cbranch_execnz .LBB52_10
.LBB52_2:
	s_or_b32 exec_lo, exec_lo, s2
	s_delay_alu instid0(SALU_CYCLE_1)
	s_mov_b32 s2, exec_lo
	v_cmpx_gt_i32_e64 s8, v1
	s_cbranch_execnz .LBB52_17
	s_branch .LBB52_24
.LBB52_3:
	s_clause 0x1
	global_load_u8 v10, v2, s[6:7]
	global_load_u8 v11, v2, s[2:3]
	v_or_b32_e32 v12, 0x100, v0
	v_dual_mov_b32 v9, 0 :: v_dual_mov_b32 v8, 0
	v_dual_mov_b32 v7, 0 :: v_dual_mov_b32 v6, 0
	;; [unrolled: 1-line block ×3, first 2 shown]
	s_mov_b32 s10, exec_lo
	s_wait_xcnt 0x0
	v_cmpx_gt_u32_e64 s8, v12
	s_cbranch_execz .LBB52_9
; %bb.4:
	v_dual_mov_b32 v7, 0 :: v_dual_add_nc_u32 v4, s1, v12
	v_or_b32_e32 v12, 0x200, v0
	v_dual_mov_b32 v6, 0 :: v_dual_mov_b32 v5, 0
	s_clause 0x1
	global_load_u8 v8, v4, s[6:7]
	global_load_u8 v9, v4, s[2:3]
	s_wait_xcnt 0x0
	v_mov_b32_e32 v4, 0
	s_mov_b32 s11, exec_lo
	v_cmpx_gt_u32_e64 s8, v12
	s_cbranch_execz .LBB52_8
; %bb.5:
	v_dual_mov_b32 v5, 0 :: v_dual_add_nc_u32 v4, s1, v12
	v_or_b32_e32 v12, 0x300, v0
	s_mov_b32 s12, exec_lo
	s_clause 0x1
	global_load_u8 v6, v4, s[6:7]
	global_load_u8 v7, v4, s[2:3]
	s_wait_xcnt 0x0
	v_mov_b32_e32 v4, 0
	v_cmpx_gt_u32_e64 s8, v12
	s_cbranch_execz .LBB52_7
; %bb.6:
	v_add_nc_u32_e32 v12, s1, v12
	s_clause 0x1
	global_load_u8 v4, v12, s[6:7]
	global_load_u8 v5, v12, s[2:3]
.LBB52_7:
	s_wait_xcnt 0x0
	s_or_b32 exec_lo, exec_lo, s12
.LBB52_8:
	s_delay_alu instid0(SALU_CYCLE_1)
	s_or_b32 exec_lo, exec_lo, s11
.LBB52_9:
	s_delay_alu instid0(SALU_CYCLE_1) | instskip(NEXT) | instid1(SALU_CYCLE_1)
	s_or_b32 exec_lo, exec_lo, s10
	s_or_b32 exec_lo, exec_lo, s9
	s_and_saveexec_b32 s2, vcc_lo
	s_cbranch_execz .LBB52_2
.LBB52_10:
	s_wait_loadcnt 0x0
	v_bfe_i32 v3, v11, 0, 8
	v_and_b32_e32 v11, 0xff, v10
	v_bfe_i32 v10, v10, 0, 8
	s_mov_b32 s6, 0
	s_delay_alu instid0(VALU_DEP_3) | instskip(NEXT) | instid1(VALU_DEP_3)
	v_sub_nc_u16 v12, 0, v3
	v_cmp_ne_u16_e64 s0, 0, v11
	s_delay_alu instid0(VALU_DEP_2)
	v_max_i16 v11, v3, v12
	s_and_saveexec_b32 s3, s0
	s_cbranch_execz .LBB52_14
; %bb.11:
	v_sub_nc_u16 v12, 0, v10
	s_delay_alu instid0(VALU_DEP_1) | instskip(SKIP_1) | instid1(VALU_DEP_2)
	v_max_i16 v13, v10, v12
	v_and_b32_e32 v12, 0xff, v11
	v_and_b32_e32 v13, 0xffff, v13
.LBB52_12:                              ; =>This Inner Loop Header: Depth=1
	s_delay_alu instid0(VALU_DEP_2) | instskip(NEXT) | instid1(VALU_DEP_2)
	v_bfe_i32 v15, v12, 0, 8
	v_mov_b32_e32 v11, v13
	s_delay_alu instid0(VALU_DEP_2) | instskip(NEXT) | instid1(VALU_DEP_2)
	v_cvt_f32_i32_e32 v17, v15
	v_bfe_i32 v13, v11, 0, 8
	s_delay_alu instid0(VALU_DEP_1) | instskip(SKIP_1) | instid1(VALU_DEP_2)
	v_cvt_f32_i32_e32 v14, v13
	v_xor_b32_e32 v13, v15, v13
	v_rcp_iflag_f32_e32 v16, v14
	v_nop
	s_delay_alu instid0(TRANS32_DEP_1) | instskip(NEXT) | instid1(VALU_DEP_1)
	v_dual_ashrrev_i32 v13, 30, v13 :: v_dual_mul_f32 v15, v17, v16
	v_trunc_f32_e32 v15, v15
	s_delay_alu instid0(VALU_DEP_1) | instskip(SKIP_1) | instid1(VALU_DEP_2)
	v_dual_fma_f32 v16, -v15, v14, v17 :: v_dual_bitop2_b32 v13, 1, v13 bitop3:0x54
	v_cvt_i32_f32_e32 v15, v15
	v_cmp_ge_f32_e64 s0, |v16|, |v14|
	s_delay_alu instid0(VALU_DEP_1) | instskip(NEXT) | instid1(VALU_DEP_1)
	v_cndmask_b32_e64 v13, 0, v13, s0
	v_add_nc_u32_e32 v13, v15, v13
	s_delay_alu instid0(VALU_DEP_1) | instskip(NEXT) | instid1(VALU_DEP_1)
	v_mul_lo_u32 v13, v13, v11
	v_sub_nc_u32_e32 v12, v12, v13
	s_delay_alu instid0(VALU_DEP_1) | instskip(SKIP_1) | instid1(VALU_DEP_2)
	v_bfe_i32 v13, v12, 0, 8
	v_mov_b32_e32 v12, v11
	v_cmp_eq_u16_e64 s0, 0, v13
	v_and_b32_e32 v13, 0xffff, v13
	s_or_b32 s6, s0, s6
	s_delay_alu instid0(SALU_CYCLE_1)
	s_and_not1_b32 exec_lo, exec_lo, s6
	s_cbranch_execnz .LBB52_12
; %bb.13:
	s_or_b32 exec_lo, exec_lo, s6
.LBB52_14:
	s_delay_alu instid0(SALU_CYCLE_1) | instskip(NEXT) | instid1(VALU_DEP_1)
	s_or_b32 exec_lo, exec_lo, s3
	v_and_b32_e32 v13, 0xff, v11
	v_mov_b32_e32 v12, 0
	s_mov_b32 s3, exec_lo
	s_delay_alu instid0(VALU_DEP_2)
	v_cmpx_ne_u16_e32 0, v13
	s_cbranch_execz .LBB52_16
; %bb.15:
	v_bfe_i32 v11, v11, 0, 8
	v_cvt_f32_i32_e32 v14, v10
	s_delay_alu instid0(VALU_DEP_2) | instskip(SKIP_1) | instid1(VALU_DEP_2)
	v_cvt_f32_i32_e32 v12, v11
	v_xor_b32_e32 v10, v10, v11
	v_rcp_iflag_f32_e32 v13, v12
	s_delay_alu instid0(VALU_DEP_1)
	v_ashrrev_i32_e32 v10, 30, v10
	s_delay_alu instid0(TRANS32_DEP_1) | instid1(VALU_DEP_1)
	v_dual_mul_f32 v13, v14, v13 :: v_dual_bitop2_b32 v10, 1, v10 bitop3:0x54
	s_delay_alu instid0(VALU_DEP_1) | instskip(NEXT) | instid1(VALU_DEP_1)
	v_trunc_f32_e32 v11, v13
	v_fma_f32 v13, -v11, v12, v14
	v_cvt_i32_f32_e32 v11, v11
	s_delay_alu instid0(VALU_DEP_2) | instskip(NEXT) | instid1(VALU_DEP_1)
	v_cmp_ge_f32_e64 s0, |v13|, |v12|
	v_cndmask_b32_e64 v10, 0, v10, s0
	s_delay_alu instid0(VALU_DEP_1) | instskip(NEXT) | instid1(VALU_DEP_1)
	v_add_nc_u32_e32 v10, v11, v10
	v_bfe_i32 v10, v10, 0, 8
	s_delay_alu instid0(VALU_DEP_1) | instskip(NEXT) | instid1(VALU_DEP_1)
	v_mul_i32_i24_e32 v3, v10, v3
	v_sub_nc_u32_e32 v10, 0, v3
	s_delay_alu instid0(VALU_DEP_1)
	v_max_i32_e32 v12, v3, v10
.LBB52_16:
	s_or_b32 exec_lo, exec_lo, s3
	s_delay_alu instid0(VALU_DEP_1) | instskip(NEXT) | instid1(VALU_DEP_1)
	v_and_b32_e32 v3, 0xff, v12
	v_and_b32_e32 v3, 0xffff, v3
	s_or_b32 exec_lo, exec_lo, s2
	s_delay_alu instid0(SALU_CYCLE_1)
	s_mov_b32 s2, exec_lo
	v_cmpx_gt_i32_e64 s8, v1
	s_cbranch_execz .LBB52_24
.LBB52_17:
	s_wait_loadcnt 0x0
	v_bfe_i32 v9, v9, 0, 8
	v_and_b32_e32 v10, 0xff, v8
	v_bfe_i32 v8, v8, 0, 8
	s_mov_b32 s6, 0
	s_delay_alu instid0(VALU_DEP_3) | instskip(NEXT) | instid1(VALU_DEP_3)
	v_sub_nc_u16 v11, 0, v9
	v_cmp_ne_u16_e64 s0, 0, v10
	s_delay_alu instid0(VALU_DEP_2)
	v_max_i16 v10, v9, v11
	s_and_saveexec_b32 s3, s0
	s_cbranch_execz .LBB52_21
; %bb.18:
	v_sub_nc_u16 v11, 0, v8
	s_delay_alu instid0(VALU_DEP_1) | instskip(SKIP_1) | instid1(VALU_DEP_2)
	v_max_i16 v12, v8, v11
	v_and_b32_e32 v11, 0xff, v10
	v_and_b32_e32 v12, 0xffff, v12
.LBB52_19:                              ; =>This Inner Loop Header: Depth=1
	s_delay_alu instid0(VALU_DEP_2) | instskip(NEXT) | instid1(VALU_DEP_2)
	v_bfe_i32 v14, v11, 0, 8
	v_mov_b32_e32 v10, v12
	s_delay_alu instid0(VALU_DEP_2) | instskip(NEXT) | instid1(VALU_DEP_2)
	v_cvt_f32_i32_e32 v16, v14
	v_bfe_i32 v12, v10, 0, 8
	s_delay_alu instid0(VALU_DEP_1) | instskip(SKIP_1) | instid1(VALU_DEP_2)
	v_cvt_f32_i32_e32 v13, v12
	v_xor_b32_e32 v12, v14, v12
	v_rcp_iflag_f32_e32 v15, v13
	v_nop
	s_delay_alu instid0(TRANS32_DEP_1) | instskip(NEXT) | instid1(VALU_DEP_1)
	v_dual_ashrrev_i32 v12, 30, v12 :: v_dual_mul_f32 v14, v16, v15
	v_trunc_f32_e32 v14, v14
	s_delay_alu instid0(VALU_DEP_1) | instskip(SKIP_1) | instid1(VALU_DEP_2)
	v_dual_fma_f32 v15, -v14, v13, v16 :: v_dual_bitop2_b32 v12, 1, v12 bitop3:0x54
	v_cvt_i32_f32_e32 v14, v14
	v_cmp_ge_f32_e64 s0, |v15|, |v13|
	s_delay_alu instid0(VALU_DEP_1) | instskip(NEXT) | instid1(VALU_DEP_1)
	v_cndmask_b32_e64 v12, 0, v12, s0
	v_add_nc_u32_e32 v12, v14, v12
	s_delay_alu instid0(VALU_DEP_1) | instskip(NEXT) | instid1(VALU_DEP_1)
	v_mul_lo_u32 v12, v12, v10
	v_sub_nc_u32_e32 v11, v11, v12
	s_delay_alu instid0(VALU_DEP_1) | instskip(SKIP_1) | instid1(VALU_DEP_2)
	v_bfe_i32 v12, v11, 0, 8
	v_mov_b32_e32 v11, v10
	v_cmp_eq_u16_e64 s0, 0, v12
	v_and_b32_e32 v12, 0xffff, v12
	s_or_b32 s6, s0, s6
	s_delay_alu instid0(SALU_CYCLE_1)
	s_and_not1_b32 exec_lo, exec_lo, s6
	s_cbranch_execnz .LBB52_19
; %bb.20:
	s_or_b32 exec_lo, exec_lo, s6
.LBB52_21:
	s_delay_alu instid0(SALU_CYCLE_1) | instskip(NEXT) | instid1(VALU_DEP_1)
	s_or_b32 exec_lo, exec_lo, s3
	v_and_b32_e32 v12, 0xff, v10
	v_mov_b32_e32 v11, 0
	s_mov_b32 s3, exec_lo
	s_delay_alu instid0(VALU_DEP_2)
	v_cmpx_ne_u16_e32 0, v12
	s_cbranch_execz .LBB52_23
; %bb.22:
	v_bfe_i32 v10, v10, 0, 8
	v_cvt_f32_i32_e32 v13, v8
	s_delay_alu instid0(VALU_DEP_2) | instskip(SKIP_1) | instid1(VALU_DEP_2)
	v_cvt_f32_i32_e32 v11, v10
	v_xor_b32_e32 v8, v8, v10
	v_rcp_iflag_f32_e32 v12, v11
	v_nop
	s_delay_alu instid0(TRANS32_DEP_1) | instskip(NEXT) | instid1(VALU_DEP_1)
	v_mul_f32_e32 v12, v13, v12
	v_trunc_f32_e32 v10, v12
	s_delay_alu instid0(VALU_DEP_1) | instskip(NEXT) | instid1(VALU_DEP_1)
	v_dual_ashrrev_i32 v8, 30, v8 :: v_dual_fma_f32 v12, -v10, v11, v13
	v_or_b32_e32 v8, 1, v8
	v_cvt_i32_f32_e32 v10, v10
	s_delay_alu instid0(VALU_DEP_3) | instskip(NEXT) | instid1(VALU_DEP_1)
	v_cmp_ge_f32_e64 s0, |v12|, |v11|
	v_cndmask_b32_e64 v8, 0, v8, s0
	s_delay_alu instid0(VALU_DEP_1) | instskip(NEXT) | instid1(VALU_DEP_1)
	v_add_nc_u32_e32 v8, v10, v8
	v_bfe_i32 v8, v8, 0, 8
	s_delay_alu instid0(VALU_DEP_1) | instskip(NEXT) | instid1(VALU_DEP_1)
	v_mul_i32_i24_e32 v8, v8, v9
	v_sub_nc_u32_e32 v9, 0, v8
	s_delay_alu instid0(VALU_DEP_1)
	v_max_i32_e32 v11, v8, v9
.LBB52_23:
	s_or_b32 exec_lo, exec_lo, s3
	s_delay_alu instid0(VALU_DEP_1) | instskip(NEXT) | instid1(VALU_DEP_1)
	v_lshlrev_b16 v8, 8, v11
	v_or_b32_e32 v3, v3, v8
	s_delay_alu instid0(VALU_DEP_1)
	v_and_b32_e32 v3, 0xffff, v3
.LBB52_24:
	s_or_b32 exec_lo, exec_lo, s2
	s_wait_loadcnt 0x1
	v_or_b32_e32 v8, 0x200, v0
	s_mov_b32 s2, exec_lo
	s_delay_alu instid0(VALU_DEP_1)
	v_cmpx_gt_i32_e64 s8, v8
	s_cbranch_execz .LBB52_32
; %bb.25:
	s_wait_loadcnt 0x0
	v_bfe_i32 v7, v7, 0, 8
	v_and_b32_e32 v8, 0xff, v6
	v_bfe_i32 v6, v6, 0, 8
	s_mov_b32 s6, 0
	s_delay_alu instid0(VALU_DEP_3) | instskip(NEXT) | instid1(VALU_DEP_3)
	v_sub_nc_u16 v9, 0, v7
	v_cmp_ne_u16_e64 s0, 0, v8
	s_delay_alu instid0(VALU_DEP_2)
	v_max_i16 v8, v7, v9
	s_and_saveexec_b32 s3, s0
	s_cbranch_execz .LBB52_29
; %bb.26:
	v_sub_nc_u16 v9, 0, v6
	s_delay_alu instid0(VALU_DEP_1) | instskip(SKIP_1) | instid1(VALU_DEP_2)
	v_max_i16 v10, v6, v9
	v_and_b32_e32 v9, 0xff, v8
	v_and_b32_e32 v10, 0xffff, v10
.LBB52_27:                              ; =>This Inner Loop Header: Depth=1
	s_delay_alu instid0(VALU_DEP_2) | instskip(NEXT) | instid1(VALU_DEP_2)
	v_bfe_i32 v12, v9, 0, 8
	v_mov_b32_e32 v8, v10
	s_delay_alu instid0(VALU_DEP_2) | instskip(NEXT) | instid1(VALU_DEP_2)
	v_cvt_f32_i32_e32 v14, v12
	v_bfe_i32 v10, v8, 0, 8
	s_delay_alu instid0(VALU_DEP_1) | instskip(SKIP_1) | instid1(VALU_DEP_2)
	v_cvt_f32_i32_e32 v11, v10
	v_xor_b32_e32 v10, v12, v10
	v_rcp_iflag_f32_e32 v13, v11
	v_nop
	s_delay_alu instid0(TRANS32_DEP_1) | instskip(NEXT) | instid1(VALU_DEP_1)
	v_dual_ashrrev_i32 v10, 30, v10 :: v_dual_mul_f32 v12, v14, v13
	v_trunc_f32_e32 v12, v12
	s_delay_alu instid0(VALU_DEP_1) | instskip(SKIP_1) | instid1(VALU_DEP_2)
	v_dual_fma_f32 v13, -v12, v11, v14 :: v_dual_bitop2_b32 v10, 1, v10 bitop3:0x54
	v_cvt_i32_f32_e32 v12, v12
	v_cmp_ge_f32_e64 s0, |v13|, |v11|
	s_delay_alu instid0(VALU_DEP_1) | instskip(NEXT) | instid1(VALU_DEP_1)
	v_cndmask_b32_e64 v10, 0, v10, s0
	v_add_nc_u32_e32 v10, v12, v10
	s_delay_alu instid0(VALU_DEP_1) | instskip(NEXT) | instid1(VALU_DEP_1)
	v_mul_lo_u32 v10, v10, v8
	v_sub_nc_u32_e32 v9, v9, v10
	s_delay_alu instid0(VALU_DEP_1) | instskip(SKIP_1) | instid1(VALU_DEP_2)
	v_bfe_i32 v10, v9, 0, 8
	v_mov_b32_e32 v9, v8
	v_cmp_eq_u16_e64 s0, 0, v10
	v_and_b32_e32 v10, 0xffff, v10
	s_or_b32 s6, s0, s6
	s_delay_alu instid0(SALU_CYCLE_1)
	s_and_not1_b32 exec_lo, exec_lo, s6
	s_cbranch_execnz .LBB52_27
; %bb.28:
	s_or_b32 exec_lo, exec_lo, s6
.LBB52_29:
	s_delay_alu instid0(SALU_CYCLE_1) | instskip(NEXT) | instid1(VALU_DEP_1)
	s_or_b32 exec_lo, exec_lo, s3
	v_and_b32_e32 v10, 0xff, v8
	v_mov_b32_e32 v9, 0
	s_mov_b32 s3, exec_lo
	s_delay_alu instid0(VALU_DEP_2)
	v_cmpx_ne_u16_e32 0, v10
	s_cbranch_execz .LBB52_31
; %bb.30:
	v_bfe_i32 v8, v8, 0, 8
	v_cvt_f32_i32_e32 v11, v6
	s_delay_alu instid0(VALU_DEP_2) | instskip(SKIP_1) | instid1(VALU_DEP_2)
	v_cvt_f32_i32_e32 v9, v8
	v_xor_b32_e32 v6, v6, v8
	v_rcp_iflag_f32_e32 v10, v9
	v_nop
	s_delay_alu instid0(TRANS32_DEP_1) | instskip(NEXT) | instid1(VALU_DEP_1)
	v_mul_f32_e32 v10, v11, v10
	v_trunc_f32_e32 v8, v10
	s_delay_alu instid0(VALU_DEP_1) | instskip(NEXT) | instid1(VALU_DEP_1)
	v_dual_ashrrev_i32 v6, 30, v6 :: v_dual_fma_f32 v10, -v8, v9, v11
	v_or_b32_e32 v6, 1, v6
	v_cvt_i32_f32_e32 v8, v8
	s_delay_alu instid0(VALU_DEP_3) | instskip(NEXT) | instid1(VALU_DEP_1)
	v_cmp_ge_f32_e64 s0, |v10|, |v9|
	v_cndmask_b32_e64 v6, 0, v6, s0
	s_delay_alu instid0(VALU_DEP_1) | instskip(NEXT) | instid1(VALU_DEP_1)
	v_add_nc_u32_e32 v6, v8, v6
	v_bfe_i32 v6, v6, 0, 8
	s_delay_alu instid0(VALU_DEP_1) | instskip(NEXT) | instid1(VALU_DEP_1)
	v_mul_i32_i24_e32 v6, v6, v7
	v_sub_nc_u32_e32 v7, 0, v6
	s_delay_alu instid0(VALU_DEP_1)
	v_max_i32_e32 v9, v6, v7
.LBB52_31:
	s_or_b32 exec_lo, exec_lo, s3
	s_delay_alu instid0(VALU_DEP_1) | instskip(NEXT) | instid1(VALU_DEP_1)
	v_and_b32_e32 v6, 0xff, v9
	v_lshlrev_b32_e32 v6, 16, v6
	s_delay_alu instid0(VALU_DEP_1)
	v_or_b32_e32 v3, v3, v6
.LBB52_32:
	s_or_b32 exec_lo, exec_lo, s2
	v_or_b32_e32 v6, 0x300, v0
	s_mov_b32 s2, exec_lo
	s_delay_alu instid0(VALU_DEP_1)
	v_cmpx_gt_i32_e64 s8, v6
	s_cbranch_execnz .LBB52_38
; %bb.33:
	s_or_b32 exec_lo, exec_lo, s2
	s_and_saveexec_b32 s0, vcc_lo
	s_delay_alu instid0(SALU_CYCLE_1)
	s_xor_b32 s0, exec_lo, s0
	s_cbranch_execnz .LBB52_45
.LBB52_34:
	s_or_b32 exec_lo, exec_lo, s0
	s_delay_alu instid0(SALU_CYCLE_1)
	s_mov_b32 s0, exec_lo
	v_cmpx_gt_i32_e64 s8, v0
	s_cbranch_execnz .LBB52_46
.LBB52_35:
	s_or_b32 exec_lo, exec_lo, s0
	s_delay_alu instid0(SALU_CYCLE_1)
	s_mov_b32 s0, exec_lo
	v_cmpx_gt_i32_e64 s8, v0
	s_cbranch_execnz .LBB52_47
.LBB52_36:
	s_or_b32 exec_lo, exec_lo, s0
	s_delay_alu instid0(SALU_CYCLE_1)
	s_mov_b32 s0, exec_lo
	v_cmpx_gt_i32_e64 s8, v0
	s_cbranch_execnz .LBB52_48
.LBB52_37:
	s_endpgm
.LBB52_38:
	s_wait_loadcnt 0x0
	v_bfe_i32 v5, v5, 0, 8
	v_and_b32_e32 v6, 0xff, v4
	v_bfe_i32 v4, v4, 0, 8
	s_mov_b32 s6, 0
	s_delay_alu instid0(VALU_DEP_3) | instskip(NEXT) | instid1(VALU_DEP_3)
	v_sub_nc_u16 v7, 0, v5
	v_cmp_ne_u16_e64 s0, 0, v6
	s_delay_alu instid0(VALU_DEP_2)
	v_max_i16 v6, v5, v7
	s_and_saveexec_b32 s3, s0
	s_cbranch_execz .LBB52_42
; %bb.39:
	v_sub_nc_u16 v7, 0, v4
	s_delay_alu instid0(VALU_DEP_1) | instskip(SKIP_1) | instid1(VALU_DEP_2)
	v_max_i16 v8, v4, v7
	v_and_b32_e32 v7, 0xff, v6
	v_and_b32_e32 v8, 0xffff, v8
.LBB52_40:                              ; =>This Inner Loop Header: Depth=1
	s_delay_alu instid0(VALU_DEP_2) | instskip(NEXT) | instid1(VALU_DEP_2)
	v_bfe_i32 v10, v7, 0, 8
	v_mov_b32_e32 v6, v8
	s_delay_alu instid0(VALU_DEP_2) | instskip(NEXT) | instid1(VALU_DEP_2)
	v_cvt_f32_i32_e32 v12, v10
	v_bfe_i32 v8, v6, 0, 8
	s_delay_alu instid0(VALU_DEP_1) | instskip(SKIP_1) | instid1(VALU_DEP_2)
	v_cvt_f32_i32_e32 v9, v8
	v_xor_b32_e32 v8, v10, v8
	v_rcp_iflag_f32_e32 v11, v9
	v_nop
	s_delay_alu instid0(TRANS32_DEP_1) | instskip(NEXT) | instid1(VALU_DEP_1)
	v_dual_ashrrev_i32 v8, 30, v8 :: v_dual_mul_f32 v10, v12, v11
	v_trunc_f32_e32 v10, v10
	s_delay_alu instid0(VALU_DEP_1) | instskip(SKIP_1) | instid1(VALU_DEP_2)
	v_dual_fma_f32 v11, -v10, v9, v12 :: v_dual_bitop2_b32 v8, 1, v8 bitop3:0x54
	v_cvt_i32_f32_e32 v10, v10
	v_cmp_ge_f32_e64 s0, |v11|, |v9|
	s_delay_alu instid0(VALU_DEP_1) | instskip(NEXT) | instid1(VALU_DEP_1)
	v_cndmask_b32_e64 v8, 0, v8, s0
	v_add_nc_u32_e32 v8, v10, v8
	s_delay_alu instid0(VALU_DEP_1) | instskip(NEXT) | instid1(VALU_DEP_1)
	v_mul_lo_u32 v8, v8, v6
	v_sub_nc_u32_e32 v7, v7, v8
	s_delay_alu instid0(VALU_DEP_1) | instskip(SKIP_1) | instid1(VALU_DEP_2)
	v_bfe_i32 v8, v7, 0, 8
	v_mov_b32_e32 v7, v6
	v_cmp_eq_u16_e64 s0, 0, v8
	v_and_b32_e32 v8, 0xffff, v8
	s_or_b32 s6, s0, s6
	s_delay_alu instid0(SALU_CYCLE_1)
	s_and_not1_b32 exec_lo, exec_lo, s6
	s_cbranch_execnz .LBB52_40
; %bb.41:
	s_or_b32 exec_lo, exec_lo, s6
.LBB52_42:
	s_delay_alu instid0(SALU_CYCLE_1) | instskip(NEXT) | instid1(VALU_DEP_1)
	s_or_b32 exec_lo, exec_lo, s3
	v_and_b32_e32 v8, 0xff, v6
	v_mov_b32_e32 v7, 0
	s_mov_b32 s3, exec_lo
	s_delay_alu instid0(VALU_DEP_2)
	v_cmpx_ne_u16_e32 0, v8
	s_cbranch_execz .LBB52_44
; %bb.43:
	v_bfe_i32 v6, v6, 0, 8
	v_cvt_f32_i32_e32 v9, v4
	s_delay_alu instid0(VALU_DEP_2) | instskip(SKIP_1) | instid1(VALU_DEP_2)
	v_cvt_f32_i32_e32 v7, v6
	v_xor_b32_e32 v4, v4, v6
	v_rcp_iflag_f32_e32 v8, v7
	v_nop
	s_delay_alu instid0(TRANS32_DEP_1) | instskip(NEXT) | instid1(VALU_DEP_1)
	v_mul_f32_e32 v8, v9, v8
	v_trunc_f32_e32 v6, v8
	s_delay_alu instid0(VALU_DEP_1) | instskip(NEXT) | instid1(VALU_DEP_1)
	v_dual_ashrrev_i32 v4, 30, v4 :: v_dual_fma_f32 v8, -v6, v7, v9
	v_or_b32_e32 v4, 1, v4
	v_cvt_i32_f32_e32 v6, v6
	s_delay_alu instid0(VALU_DEP_3) | instskip(NEXT) | instid1(VALU_DEP_1)
	v_cmp_ge_f32_e64 s0, |v8|, |v7|
	v_cndmask_b32_e64 v4, 0, v4, s0
	s_delay_alu instid0(VALU_DEP_1) | instskip(NEXT) | instid1(VALU_DEP_1)
	v_add_nc_u32_e32 v4, v6, v4
	v_bfe_i32 v4, v4, 0, 8
	s_delay_alu instid0(VALU_DEP_1) | instskip(NEXT) | instid1(VALU_DEP_1)
	v_mul_i32_i24_e32 v4, v4, v5
	v_sub_nc_u32_e32 v5, 0, v4
	s_delay_alu instid0(VALU_DEP_1)
	v_max_i32_e32 v7, v4, v5
.LBB52_44:
	s_or_b32 exec_lo, exec_lo, s3
	v_lshrrev_b32_e32 v4, 16, v3
	s_delay_alu instid0(VALU_DEP_2) | instskip(NEXT) | instid1(VALU_DEP_1)
	v_lshlrev_b16 v5, 8, v7
	v_or_b32_e32 v4, v4, v5
	s_delay_alu instid0(VALU_DEP_1) | instskip(NEXT) | instid1(VALU_DEP_1)
	v_lshlrev_b32_e32 v4, 16, v4
	v_and_or_b32 v3, 0xffff, v3, v4
	s_or_b32 exec_lo, exec_lo, s2
	s_and_saveexec_b32 s0, vcc_lo
	s_delay_alu instid0(SALU_CYCLE_1)
	s_xor_b32 s0, exec_lo, s0
	s_cbranch_execz .LBB52_34
.LBB52_45:
	v_mov_b32_e32 v0, v1
	global_store_b8 v2, v3, s[4:5]
	s_wait_xcnt 0x0
	s_or_b32 exec_lo, exec_lo, s0
	s_delay_alu instid0(SALU_CYCLE_1)
	s_mov_b32 s0, exec_lo
	v_cmpx_gt_i32_e64 s8, v0
	s_cbranch_execz .LBB52_35
.LBB52_46:
	v_add_nc_u32_e32 v1, 0x100, v0
	v_dual_add_nc_u32 v2, s1, v0 :: v_dual_lshrrev_b32 v4, 8, v3
	s_delay_alu instid0(VALU_DEP_2) | instskip(SKIP_3) | instid1(SALU_CYCLE_1)
	v_mov_b32_e32 v0, v1
	global_store_b8 v2, v4, s[4:5]
	s_wait_xcnt 0x0
	s_or_b32 exec_lo, exec_lo, s0
	s_mov_b32 s0, exec_lo
	v_cmpx_gt_i32_e64 s8, v0
	s_cbranch_execz .LBB52_36
.LBB52_47:
	v_add_nc_u32_e32 v1, 0x100, v0
	s_delay_alu instid0(VALU_DEP_1) | instskip(SKIP_3) | instid1(SALU_CYCLE_1)
	v_dual_add_nc_u32 v2, s1, v0 :: v_dual_mov_b32 v0, v1
	global_store_d16_hi_b8 v2, v3, s[4:5]
	s_wait_xcnt 0x0
	s_or_b32 exec_lo, exec_lo, s0
	s_mov_b32 s0, exec_lo
	v_cmpx_gt_i32_e64 s8, v0
	s_cbranch_execz .LBB52_37
.LBB52_48:
	v_dual_add_nc_u32 v0, s1, v0 :: v_dual_lshrrev_b32 v1, 24, v3
	global_store_b8 v0, v1, s[4:5]
	s_endpgm
	.section	.rodata,"a",@progbits
	.p2align	6, 0x0
	.amdhsa_kernel _ZN2at6native27unrolled_elementwise_kernelIZZZNS0_15lcm_kernel_cudaERNS_18TensorIteratorBaseEENKUlvE_clEvENKUlvE0_clEvEUlaaE_St5arrayIPcLm3EELi4E23TrivialOffsetCalculatorILi2EjESA_ILi1EjENS0_6memory15LoadWithoutCastENSD_16StoreWithoutCastEEEviT_T0_T2_T3_T4_T5_
		.amdhsa_group_segment_fixed_size 0
		.amdhsa_private_segment_fixed_size 0
		.amdhsa_kernarg_size 36
		.amdhsa_user_sgpr_count 2
		.amdhsa_user_sgpr_dispatch_ptr 0
		.amdhsa_user_sgpr_queue_ptr 0
		.amdhsa_user_sgpr_kernarg_segment_ptr 1
		.amdhsa_user_sgpr_dispatch_id 0
		.amdhsa_user_sgpr_kernarg_preload_length 0
		.amdhsa_user_sgpr_kernarg_preload_offset 0
		.amdhsa_user_sgpr_private_segment_size 0
		.amdhsa_wavefront_size32 1
		.amdhsa_uses_dynamic_stack 0
		.amdhsa_enable_private_segment 0
		.amdhsa_system_sgpr_workgroup_id_x 1
		.amdhsa_system_sgpr_workgroup_id_y 0
		.amdhsa_system_sgpr_workgroup_id_z 0
		.amdhsa_system_sgpr_workgroup_info 0
		.amdhsa_system_vgpr_workitem_id 0
		.amdhsa_next_free_vgpr 18
		.amdhsa_next_free_sgpr 13
		.amdhsa_named_barrier_count 0
		.amdhsa_reserve_vcc 1
		.amdhsa_float_round_mode_32 0
		.amdhsa_float_round_mode_16_64 0
		.amdhsa_float_denorm_mode_32 3
		.amdhsa_float_denorm_mode_16_64 3
		.amdhsa_fp16_overflow 0
		.amdhsa_memory_ordered 1
		.amdhsa_forward_progress 1
		.amdhsa_inst_pref_size 23
		.amdhsa_round_robin_scheduling 0
		.amdhsa_exception_fp_ieee_invalid_op 0
		.amdhsa_exception_fp_denorm_src 0
		.amdhsa_exception_fp_ieee_div_zero 0
		.amdhsa_exception_fp_ieee_overflow 0
		.amdhsa_exception_fp_ieee_underflow 0
		.amdhsa_exception_fp_ieee_inexact 0
		.amdhsa_exception_int_div_zero 0
	.end_amdhsa_kernel
	.section	.text._ZN2at6native27unrolled_elementwise_kernelIZZZNS0_15lcm_kernel_cudaERNS_18TensorIteratorBaseEENKUlvE_clEvENKUlvE0_clEvEUlaaE_St5arrayIPcLm3EELi4E23TrivialOffsetCalculatorILi2EjESA_ILi1EjENS0_6memory15LoadWithoutCastENSD_16StoreWithoutCastEEEviT_T0_T2_T3_T4_T5_,"axG",@progbits,_ZN2at6native27unrolled_elementwise_kernelIZZZNS0_15lcm_kernel_cudaERNS_18TensorIteratorBaseEENKUlvE_clEvENKUlvE0_clEvEUlaaE_St5arrayIPcLm3EELi4E23TrivialOffsetCalculatorILi2EjESA_ILi1EjENS0_6memory15LoadWithoutCastENSD_16StoreWithoutCastEEEviT_T0_T2_T3_T4_T5_,comdat
.Lfunc_end52:
	.size	_ZN2at6native27unrolled_elementwise_kernelIZZZNS0_15lcm_kernel_cudaERNS_18TensorIteratorBaseEENKUlvE_clEvENKUlvE0_clEvEUlaaE_St5arrayIPcLm3EELi4E23TrivialOffsetCalculatorILi2EjESA_ILi1EjENS0_6memory15LoadWithoutCastENSD_16StoreWithoutCastEEEviT_T0_T2_T3_T4_T5_, .Lfunc_end52-_ZN2at6native27unrolled_elementwise_kernelIZZZNS0_15lcm_kernel_cudaERNS_18TensorIteratorBaseEENKUlvE_clEvENKUlvE0_clEvEUlaaE_St5arrayIPcLm3EELi4E23TrivialOffsetCalculatorILi2EjESA_ILi1EjENS0_6memory15LoadWithoutCastENSD_16StoreWithoutCastEEEviT_T0_T2_T3_T4_T5_
                                        ; -- End function
	.set _ZN2at6native27unrolled_elementwise_kernelIZZZNS0_15lcm_kernel_cudaERNS_18TensorIteratorBaseEENKUlvE_clEvENKUlvE0_clEvEUlaaE_St5arrayIPcLm3EELi4E23TrivialOffsetCalculatorILi2EjESA_ILi1EjENS0_6memory15LoadWithoutCastENSD_16StoreWithoutCastEEEviT_T0_T2_T3_T4_T5_.num_vgpr, 18
	.set _ZN2at6native27unrolled_elementwise_kernelIZZZNS0_15lcm_kernel_cudaERNS_18TensorIteratorBaseEENKUlvE_clEvENKUlvE0_clEvEUlaaE_St5arrayIPcLm3EELi4E23TrivialOffsetCalculatorILi2EjESA_ILi1EjENS0_6memory15LoadWithoutCastENSD_16StoreWithoutCastEEEviT_T0_T2_T3_T4_T5_.num_agpr, 0
	.set _ZN2at6native27unrolled_elementwise_kernelIZZZNS0_15lcm_kernel_cudaERNS_18TensorIteratorBaseEENKUlvE_clEvENKUlvE0_clEvEUlaaE_St5arrayIPcLm3EELi4E23TrivialOffsetCalculatorILi2EjESA_ILi1EjENS0_6memory15LoadWithoutCastENSD_16StoreWithoutCastEEEviT_T0_T2_T3_T4_T5_.numbered_sgpr, 13
	.set _ZN2at6native27unrolled_elementwise_kernelIZZZNS0_15lcm_kernel_cudaERNS_18TensorIteratorBaseEENKUlvE_clEvENKUlvE0_clEvEUlaaE_St5arrayIPcLm3EELi4E23TrivialOffsetCalculatorILi2EjESA_ILi1EjENS0_6memory15LoadWithoutCastENSD_16StoreWithoutCastEEEviT_T0_T2_T3_T4_T5_.num_named_barrier, 0
	.set _ZN2at6native27unrolled_elementwise_kernelIZZZNS0_15lcm_kernel_cudaERNS_18TensorIteratorBaseEENKUlvE_clEvENKUlvE0_clEvEUlaaE_St5arrayIPcLm3EELi4E23TrivialOffsetCalculatorILi2EjESA_ILi1EjENS0_6memory15LoadWithoutCastENSD_16StoreWithoutCastEEEviT_T0_T2_T3_T4_T5_.private_seg_size, 0
	.set _ZN2at6native27unrolled_elementwise_kernelIZZZNS0_15lcm_kernel_cudaERNS_18TensorIteratorBaseEENKUlvE_clEvENKUlvE0_clEvEUlaaE_St5arrayIPcLm3EELi4E23TrivialOffsetCalculatorILi2EjESA_ILi1EjENS0_6memory15LoadWithoutCastENSD_16StoreWithoutCastEEEviT_T0_T2_T3_T4_T5_.uses_vcc, 1
	.set _ZN2at6native27unrolled_elementwise_kernelIZZZNS0_15lcm_kernel_cudaERNS_18TensorIteratorBaseEENKUlvE_clEvENKUlvE0_clEvEUlaaE_St5arrayIPcLm3EELi4E23TrivialOffsetCalculatorILi2EjESA_ILi1EjENS0_6memory15LoadWithoutCastENSD_16StoreWithoutCastEEEviT_T0_T2_T3_T4_T5_.uses_flat_scratch, 0
	.set _ZN2at6native27unrolled_elementwise_kernelIZZZNS0_15lcm_kernel_cudaERNS_18TensorIteratorBaseEENKUlvE_clEvENKUlvE0_clEvEUlaaE_St5arrayIPcLm3EELi4E23TrivialOffsetCalculatorILi2EjESA_ILi1EjENS0_6memory15LoadWithoutCastENSD_16StoreWithoutCastEEEviT_T0_T2_T3_T4_T5_.has_dyn_sized_stack, 0
	.set _ZN2at6native27unrolled_elementwise_kernelIZZZNS0_15lcm_kernel_cudaERNS_18TensorIteratorBaseEENKUlvE_clEvENKUlvE0_clEvEUlaaE_St5arrayIPcLm3EELi4E23TrivialOffsetCalculatorILi2EjESA_ILi1EjENS0_6memory15LoadWithoutCastENSD_16StoreWithoutCastEEEviT_T0_T2_T3_T4_T5_.has_recursion, 0
	.set _ZN2at6native27unrolled_elementwise_kernelIZZZNS0_15lcm_kernel_cudaERNS_18TensorIteratorBaseEENKUlvE_clEvENKUlvE0_clEvEUlaaE_St5arrayIPcLm3EELi4E23TrivialOffsetCalculatorILi2EjESA_ILi1EjENS0_6memory15LoadWithoutCastENSD_16StoreWithoutCastEEEviT_T0_T2_T3_T4_T5_.has_indirect_call, 0
	.section	.AMDGPU.csdata,"",@progbits
; Kernel info:
; codeLenInByte = 2820
; TotalNumSgprs: 15
; NumVgprs: 18
; ScratchSize: 0
; MemoryBound: 0
; FloatMode: 240
; IeeeMode: 1
; LDSByteSize: 0 bytes/workgroup (compile time only)
; SGPRBlocks: 0
; VGPRBlocks: 1
; NumSGPRsForWavesPerEU: 15
; NumVGPRsForWavesPerEU: 18
; NamedBarCnt: 0
; Occupancy: 16
; WaveLimiterHint : 0
; COMPUTE_PGM_RSRC2:SCRATCH_EN: 0
; COMPUTE_PGM_RSRC2:USER_SGPR: 2
; COMPUTE_PGM_RSRC2:TRAP_HANDLER: 0
; COMPUTE_PGM_RSRC2:TGID_X_EN: 1
; COMPUTE_PGM_RSRC2:TGID_Y_EN: 0
; COMPUTE_PGM_RSRC2:TGID_Z_EN: 0
; COMPUTE_PGM_RSRC2:TIDIG_COMP_CNT: 0
	.section	.text._ZN2at6native32elementwise_kernel_manual_unrollILi128ELi8EZNS0_22gpu_kernel_impl_nocastIZZZNS0_15lcm_kernel_cudaERNS_18TensorIteratorBaseEENKUlvE_clEvENKUlvE0_clEvEUlaaE_EEvS4_RKT_EUlibE_EEviT1_,"axG",@progbits,_ZN2at6native32elementwise_kernel_manual_unrollILi128ELi8EZNS0_22gpu_kernel_impl_nocastIZZZNS0_15lcm_kernel_cudaERNS_18TensorIteratorBaseEENKUlvE_clEvENKUlvE0_clEvEUlaaE_EEvS4_RKT_EUlibE_EEviT1_,comdat
	.globl	_ZN2at6native32elementwise_kernel_manual_unrollILi128ELi8EZNS0_22gpu_kernel_impl_nocastIZZZNS0_15lcm_kernel_cudaERNS_18TensorIteratorBaseEENKUlvE_clEvENKUlvE0_clEvEUlaaE_EEvS4_RKT_EUlibE_EEviT1_ ; -- Begin function _ZN2at6native32elementwise_kernel_manual_unrollILi128ELi8EZNS0_22gpu_kernel_impl_nocastIZZZNS0_15lcm_kernel_cudaERNS_18TensorIteratorBaseEENKUlvE_clEvENKUlvE0_clEvEUlaaE_EEvS4_RKT_EUlibE_EEviT1_
	.p2align	8
	.type	_ZN2at6native32elementwise_kernel_manual_unrollILi128ELi8EZNS0_22gpu_kernel_impl_nocastIZZZNS0_15lcm_kernel_cudaERNS_18TensorIteratorBaseEENKUlvE_clEvENKUlvE0_clEvEUlaaE_EEvS4_RKT_EUlibE_EEviT1_,@function
_ZN2at6native32elementwise_kernel_manual_unrollILi128ELi8EZNS0_22gpu_kernel_impl_nocastIZZZNS0_15lcm_kernel_cudaERNS_18TensorIteratorBaseEENKUlvE_clEvENKUlvE0_clEvEUlaaE_EEvS4_RKT_EUlibE_EEviT1_: ; @_ZN2at6native32elementwise_kernel_manual_unrollILi128ELi8EZNS0_22gpu_kernel_impl_nocastIZZZNS0_15lcm_kernel_cudaERNS_18TensorIteratorBaseEENKUlvE_clEvENKUlvE0_clEvEUlaaE_EEvS4_RKT_EUlibE_EEviT1_
; %bb.0:
	s_clause 0x1
	s_load_b32 s26, s[0:1], 0x8
	s_load_b32 s33, s[0:1], 0x0
	s_bfe_u32 s2, ttmp6, 0x4000c
	s_and_b32 s3, ttmp6, 15
	s_add_co_i32 s2, s2, 1
	s_getreg_b32 s4, hwreg(HW_REG_IB_STS2, 6, 4)
	s_mul_i32 s2, ttmp9, s2
	s_add_nc_u64 s[12:13], s[0:1], 8
	s_add_co_i32 s3, s3, s2
	s_cmp_eq_u32 s4, 0
	s_mov_b32 s21, 0
	s_cselect_b32 s2, ttmp9, s3
	s_wait_xcnt 0x0
	s_mov_b32 s0, exec_lo
	v_lshl_or_b32 v0, s2, 10, v0
	s_delay_alu instid0(VALU_DEP_1) | instskip(SKIP_2) | instid1(SALU_CYCLE_1)
	v_or_b32_e32 v6, 0x380, v0
	s_wait_kmcnt 0x0
	s_add_co_i32 s27, s26, -1
	s_cmp_gt_u32 s27, 1
	s_cselect_b32 s28, -1, 0
	v_cmpx_le_i32_e64 s33, v6
	s_xor_b32 s29, exec_lo, s0
	s_cbranch_execz .LBB53_154
; %bb.1:
	s_clause 0x5
	s_load_b128 s[4:7], s[12:13], 0x4
	s_load_b64 s[16:17], s[12:13], 0x14
	s_load_b128 s[8:11], s[12:13], 0xc4
	s_load_b64 s[18:19], s[12:13], 0xd4
	s_load_b64 s[14:15], s[12:13], 0x198
	s_load_b128 s[0:3], s[12:13], 0x188
	s_cmp_lg_u32 s26, 0
	s_mov_b32 s23, s21
	s_cselect_b32 s34, -1, 0
	s_min_u32 s31, s27, 15
	s_cmp_gt_u32 s26, 1
	s_cselect_b32 s30, -1, 0
	s_wait_kmcnt 0x0
	s_mov_b32 s20, s5
	s_mov_b32 s22, s16
	s_mov_b32 s5, exec_lo
	v_cmpx_gt_i32_e64 s33, v0
	s_cbranch_execnz .LBB53_9
; %bb.2:
	s_or_b32 exec_lo, exec_lo, s5
	s_delay_alu instid0(SALU_CYCLE_1)
	s_mov_b32 s5, exec_lo
	v_cmpx_gt_i32_e64 s33, v0
	s_cbranch_execnz .LBB53_27
.LBB53_3:
	s_or_b32 exec_lo, exec_lo, s5
	s_delay_alu instid0(SALU_CYCLE_1)
	s_mov_b32 s5, exec_lo
	v_cmpx_gt_i32_e64 s33, v0
	s_cbranch_execnz .LBB53_45
.LBB53_4:
	s_or_b32 exec_lo, exec_lo, s5
	s_delay_alu instid0(SALU_CYCLE_1)
	s_mov_b32 s5, exec_lo
	v_cmpx_gt_i32_e64 s33, v0
	s_cbranch_execnz .LBB53_63
.LBB53_5:
	s_or_b32 exec_lo, exec_lo, s5
	s_delay_alu instid0(SALU_CYCLE_1)
	s_mov_b32 s5, exec_lo
	v_cmpx_gt_i32_e64 s33, v0
	s_cbranch_execnz .LBB53_81
.LBB53_6:
	s_or_b32 exec_lo, exec_lo, s5
	s_delay_alu instid0(SALU_CYCLE_1)
	s_mov_b32 s5, exec_lo
	v_cmpx_gt_i32_e64 s33, v0
	s_cbranch_execnz .LBB53_99
.LBB53_7:
	s_or_b32 exec_lo, exec_lo, s5
	s_delay_alu instid0(SALU_CYCLE_1)
	s_mov_b32 s5, exec_lo
	v_cmpx_gt_i32_e64 s33, v0
	s_cbranch_execnz .LBB53_117
.LBB53_8:
	s_or_b32 exec_lo, exec_lo, s5
	s_delay_alu instid0(SALU_CYCLE_1)
	s_mov_b32 s5, exec_lo
	v_cmpx_gt_i32_e64 s33, v0
	s_cbranch_execnz .LBB53_135
	s_branch .LBB53_153
.LBB53_9:
	s_and_not1_b32 vcc_lo, exec_lo, s28
	s_cbranch_vccnz .LBB53_15
; %bb.10:
	s_and_not1_b32 vcc_lo, exec_lo, s34
	s_cbranch_vccnz .LBB53_16
; %bb.11:
	v_dual_mov_b32 v4, 0 :: v_dual_mov_b32 v1, v0
	v_dual_mov_b32 v6, 0 :: v_dual_mov_b32 v5, 0
	s_add_co_i32 s16, s31, 1
	s_mov_b64 s[24:25], 0xffffffffffffffe8
	s_and_b32 s16, s16, 30
	s_add_nc_u64 s[24:25], s[12:13], s[24:25]
.LBB53_12:                              ; =>This Inner Loop Header: Depth=1
	s_clause 0x1
	s_load_b128 s[36:39], s[24:25], 0x1c
	s_load_b64 s[44:45], s[24:25], 0x2c
	s_add_co_i32 s16, s16, -2
	s_delay_alu instid0(SALU_CYCLE_1) | instskip(SKIP_2) | instid1(VALU_DEP_1)
	s_cmp_lg_u32 s16, 0
	s_wait_kmcnt 0x0
	v_mul_hi_u32 v2, s37, v1
	v_add_nc_u32_e32 v2, v1, v2
	s_delay_alu instid0(VALU_DEP_1) | instskip(NEXT) | instid1(VALU_DEP_1)
	v_lshrrev_b32_e32 v2, s38, v2
	v_mul_hi_u32 v3, s44, v2
	v_mul_lo_u32 v7, v2, s36
	s_clause 0x1
	s_load_b128 s[40:43], s[24:25], 0xdc
	s_load_b64 s[36:37], s[24:25], 0xec
	s_wait_xcnt 0x0
	s_add_nc_u64 s[24:25], s[24:25], 24
	s_delay_alu instid0(VALU_DEP_2) | instskip(NEXT) | instid1(VALU_DEP_2)
	v_add_nc_u32_e32 v3, v2, v3
	v_sub_nc_u32_e32 v7, v1, v7
	s_delay_alu instid0(VALU_DEP_2) | instskip(SKIP_1) | instid1(VALU_DEP_2)
	v_lshrrev_b32_e32 v1, s45, v3
	s_wait_kmcnt 0x0
	v_mad_u32 v4, v7, s40, v4
	s_delay_alu instid0(VALU_DEP_2) | instskip(SKIP_2) | instid1(VALU_DEP_3)
	v_mul_lo_u32 v3, v1, s39
	v_mad_u32 v5, v7, s42, v5
	v_mad_u32 v6, v7, s41, v6
	v_sub_nc_u32_e32 v2, v2, v3
	s_delay_alu instid0(VALU_DEP_1) | instskip(NEXT) | instid1(VALU_DEP_4)
	v_mad_u32 v4, v2, s43, v4
	v_mad_u32 v5, v2, s37, v5
	s_delay_alu instid0(VALU_DEP_4)
	v_mad_u32 v6, v2, s36, v6
	s_cbranch_scc1 .LBB53_12
; %bb.13:
	s_bitcmp1_b32 s31, 0
	s_cselect_b32 s16, -1, 0
	s_delay_alu instid0(SALU_CYCLE_1)
	s_and_b32 vcc_lo, exec_lo, s16
	s_cbranch_vccnz .LBB53_17
; %bb.14:
	s_clause 0x1
	s_load_b96 s[36:38], s[24:25], 0x1c
	s_load_b96 s[40:42], s[24:25], 0xdc
	s_wait_kmcnt 0x0
	v_mul_hi_u32 v2, s37, v1
	s_delay_alu instid0(VALU_DEP_1) | instskip(NEXT) | instid1(VALU_DEP_1)
	v_add_nc_u32_e32 v2, v1, v2
	v_lshrrev_b32_e32 v2, s38, v2
	s_delay_alu instid0(VALU_DEP_1) | instskip(NEXT) | instid1(VALU_DEP_1)
	v_mul_lo_u32 v2, v2, s36
	v_sub_nc_u32_e32 v1, v1, v2
	s_delay_alu instid0(VALU_DEP_1)
	v_mad_u32 v4, v1, s40, v4
	v_mad_u32 v6, v1, s41, v6
	;; [unrolled: 1-line block ×3, first 2 shown]
	s_cbranch_execz .LBB53_18
	s_branch .LBB53_20
.LBB53_15:
                                        ; implicit-def: $vgpr5
                                        ; implicit-def: $vgpr6
                                        ; implicit-def: $vgpr4
	s_branch .LBB53_18
.LBB53_16:
	v_dual_mov_b32 v5, 0 :: v_dual_mov_b32 v6, 0
	v_mov_b32_e32 v4, 0
.LBB53_17:
	s_cbranch_execnz .LBB53_20
.LBB53_18:
	v_mov_b32_e32 v1, 0
	s_and_not1_b32 vcc_lo, exec_lo, s30
	s_delay_alu instid0(VALU_DEP_1) | instskip(NEXT) | instid1(VALU_DEP_1)
	v_mul_u64_e32 v[2:3], s[20:21], v[0:1]
	v_add_nc_u32_e32 v2, v0, v3
	s_delay_alu instid0(VALU_DEP_1) | instskip(NEXT) | instid1(VALU_DEP_1)
	v_lshrrev_b32_e32 v2, s6, v2
	v_mul_lo_u32 v3, v2, s4
	s_delay_alu instid0(VALU_DEP_1) | instskip(NEXT) | instid1(VALU_DEP_1)
	v_sub_nc_u32_e32 v3, v0, v3
	v_mul_lo_u32 v4, v3, s8
	v_mul_lo_u32 v5, v3, s10
	;; [unrolled: 1-line block ×3, first 2 shown]
	s_cbranch_vccnz .LBB53_20
; %bb.19:
	v_mov_b32_e32 v3, v1
	s_delay_alu instid0(VALU_DEP_1) | instskip(NEXT) | instid1(VALU_DEP_1)
	v_mul_u64_e32 v[8:9], s[22:23], v[2:3]
	v_add_nc_u32_e32 v1, v2, v9
	s_delay_alu instid0(VALU_DEP_1) | instskip(NEXT) | instid1(VALU_DEP_1)
	v_lshrrev_b32_e32 v1, s17, v1
	v_mul_lo_u32 v1, v1, s7
	s_delay_alu instid0(VALU_DEP_1) | instskip(NEXT) | instid1(VALU_DEP_1)
	v_sub_nc_u32_e32 v1, v2, v1
	v_mad_u32 v4, v1, s11, v4
	v_mad_u32 v6, v1, s18, v6
	;; [unrolled: 1-line block ×3, first 2 shown]
.LBB53_20:
	global_load_i8 v1, v5, s[14:15]
	global_load_u8 v2, v6, s[2:3]
	s_mov_b32 s24, 0
	s_wait_loadcnt 0x1
	v_sub_nc_u16 v3, 0, v1
	s_wait_loadcnt 0x0
	v_cmp_ne_u16_e32 vcc_lo, 0, v2
	v_bfe_i32 v2, v2, 0, 8
	s_delay_alu instid0(VALU_DEP_3)
	v_max_i16 v3, v1, v3
	s_and_saveexec_b32 s16, vcc_lo
	s_cbranch_execz .LBB53_24
; %bb.21:
	s_delay_alu instid0(VALU_DEP_2) | instskip(NEXT) | instid1(VALU_DEP_1)
	v_sub_nc_u16 v5, 0, v2
	v_max_i16 v6, v2, v5
	v_and_b32_e32 v5, 0xff, v3
	s_delay_alu instid0(VALU_DEP_2)
	v_and_b32_e32 v6, 0xffff, v6
.LBB53_22:                              ; =>This Inner Loop Header: Depth=1
	s_delay_alu instid0(VALU_DEP_2) | instskip(NEXT) | instid1(VALU_DEP_2)
	v_bfe_i32 v8, v5, 0, 8
	v_mov_b32_e32 v3, v6
	s_delay_alu instid0(VALU_DEP_2) | instskip(NEXT) | instid1(VALU_DEP_2)
	v_cvt_f32_i32_e32 v10, v8
	v_bfe_i32 v6, v3, 0, 8
	s_delay_alu instid0(VALU_DEP_1) | instskip(SKIP_1) | instid1(VALU_DEP_2)
	v_cvt_f32_i32_e32 v7, v6
	v_xor_b32_e32 v6, v8, v6
	v_rcp_iflag_f32_e32 v9, v7
	v_nop
	s_delay_alu instid0(TRANS32_DEP_1) | instskip(NEXT) | instid1(VALU_DEP_1)
	v_dual_ashrrev_i32 v6, 30, v6 :: v_dual_mul_f32 v8, v10, v9
	v_trunc_f32_e32 v8, v8
	s_delay_alu instid0(VALU_DEP_1) | instskip(SKIP_1) | instid1(VALU_DEP_2)
	v_dual_fma_f32 v9, -v8, v7, v10 :: v_dual_bitop2_b32 v6, 1, v6 bitop3:0x54
	v_cvt_i32_f32_e32 v8, v8
	v_cmp_ge_f32_e64 vcc_lo, |v9|, |v7|
	s_delay_alu instid0(VALU_DEP_3) | instskip(NEXT) | instid1(VALU_DEP_1)
	v_cndmask_b32_e32 v6, 0, v6, vcc_lo
	v_add_nc_u32_e32 v6, v8, v6
	s_delay_alu instid0(VALU_DEP_1) | instskip(NEXT) | instid1(VALU_DEP_1)
	v_mul_lo_u32 v6, v6, v3
	v_sub_nc_u32_e32 v5, v5, v6
	s_delay_alu instid0(VALU_DEP_1) | instskip(SKIP_1) | instid1(VALU_DEP_2)
	v_bfe_i32 v6, v5, 0, 8
	v_mov_b32_e32 v5, v3
	v_cmp_eq_u16_e32 vcc_lo, 0, v6
	v_and_b32_e32 v6, 0xffff, v6
	s_or_b32 s24, vcc_lo, s24
	s_delay_alu instid0(SALU_CYCLE_1)
	s_and_not1_b32 exec_lo, exec_lo, s24
	s_cbranch_execnz .LBB53_22
; %bb.23:
	s_or_b32 exec_lo, exec_lo, s24
.LBB53_24:
	s_delay_alu instid0(SALU_CYCLE_1) | instskip(NEXT) | instid1(VALU_DEP_1)
	s_or_b32 exec_lo, exec_lo, s16
	v_and_b32_e32 v6, 0xff, v3
	v_mov_b32_e32 v5, 0
	s_mov_b32 s16, exec_lo
	s_delay_alu instid0(VALU_DEP_2)
	v_cmpx_ne_u16_e32 0, v6
	s_cbranch_execz .LBB53_26
; %bb.25:
	v_bfe_i32 v3, v3, 0, 8
	v_cvt_f32_i32_e32 v7, v2
	v_bfe_i32 v1, v1, 0, 8
	s_delay_alu instid0(VALU_DEP_3) | instskip(SKIP_1) | instid1(VALU_DEP_2)
	v_cvt_f32_i32_e32 v5, v3
	v_xor_b32_e32 v2, v2, v3
	v_rcp_iflag_f32_e32 v6, v5
	v_nop
	s_delay_alu instid0(TRANS32_DEP_1) | instskip(NEXT) | instid1(VALU_DEP_1)
	v_mul_f32_e32 v6, v7, v6
	v_trunc_f32_e32 v3, v6
	s_delay_alu instid0(VALU_DEP_1) | instskip(NEXT) | instid1(VALU_DEP_1)
	v_dual_ashrrev_i32 v2, 30, v2 :: v_dual_fma_f32 v6, -v3, v5, v7
	v_or_b32_e32 v2, 1, v2
	v_cvt_i32_f32_e32 v3, v3
	s_delay_alu instid0(VALU_DEP_3) | instskip(NEXT) | instid1(VALU_DEP_3)
	v_cmp_ge_f32_e64 vcc_lo, |v6|, |v5|
	v_cndmask_b32_e32 v2, 0, v2, vcc_lo
	s_delay_alu instid0(VALU_DEP_1) | instskip(NEXT) | instid1(VALU_DEP_1)
	v_add_nc_u32_e32 v2, v3, v2
	v_bfe_i32 v2, v2, 0, 8
	s_delay_alu instid0(VALU_DEP_1) | instskip(NEXT) | instid1(VALU_DEP_1)
	v_mul_i32_i24_e32 v1, v2, v1
	v_sub_nc_u32_e32 v2, 0, v1
	s_delay_alu instid0(VALU_DEP_1)
	v_max_i32_e32 v5, v1, v2
.LBB53_26:
	s_or_b32 exec_lo, exec_lo, s16
	v_add_nc_u32_e32 v0, 0x80, v0
	global_store_b8 v4, v5, s[0:1]
	s_wait_xcnt 0x0
	s_or_b32 exec_lo, exec_lo, s5
	s_delay_alu instid0(SALU_CYCLE_1)
	s_mov_b32 s5, exec_lo
	v_cmpx_gt_i32_e64 s33, v0
	s_cbranch_execz .LBB53_3
.LBB53_27:
	s_and_not1_b32 vcc_lo, exec_lo, s28
	s_cbranch_vccnz .LBB53_33
; %bb.28:
	s_and_not1_b32 vcc_lo, exec_lo, s34
	s_cbranch_vccnz .LBB53_34
; %bb.29:
	v_dual_mov_b32 v4, 0 :: v_dual_mov_b32 v1, v0
	v_dual_mov_b32 v6, 0 :: v_dual_mov_b32 v5, 0
	s_add_co_i32 s16, s31, 1
	s_mov_b64 s[24:25], 0xffffffffffffffe8
	s_and_b32 s16, s16, 30
	s_add_nc_u64 s[24:25], s[12:13], s[24:25]
.LBB53_30:                              ; =>This Inner Loop Header: Depth=1
	s_clause 0x1
	s_load_b128 s[36:39], s[24:25], 0x1c
	s_load_b64 s[44:45], s[24:25], 0x2c
	s_add_co_i32 s16, s16, -2
	s_delay_alu instid0(SALU_CYCLE_1) | instskip(SKIP_2) | instid1(VALU_DEP_1)
	s_cmp_eq_u32 s16, 0
	s_wait_kmcnt 0x0
	v_mul_hi_u32 v2, s37, v1
	v_add_nc_u32_e32 v2, v1, v2
	s_delay_alu instid0(VALU_DEP_1) | instskip(NEXT) | instid1(VALU_DEP_1)
	v_lshrrev_b32_e32 v2, s38, v2
	v_mul_hi_u32 v3, s44, v2
	v_mul_lo_u32 v7, v2, s36
	s_clause 0x1
	s_load_b128 s[40:43], s[24:25], 0xdc
	s_load_b64 s[36:37], s[24:25], 0xec
	s_wait_xcnt 0x0
	s_add_nc_u64 s[24:25], s[24:25], 24
	s_delay_alu instid0(VALU_DEP_2) | instskip(NEXT) | instid1(VALU_DEP_2)
	v_add_nc_u32_e32 v3, v2, v3
	v_sub_nc_u32_e32 v7, v1, v7
	s_delay_alu instid0(VALU_DEP_2) | instskip(SKIP_1) | instid1(VALU_DEP_2)
	v_lshrrev_b32_e32 v1, s45, v3
	s_wait_kmcnt 0x0
	v_mad_u32 v4, v7, s40, v4
	s_delay_alu instid0(VALU_DEP_2) | instskip(SKIP_2) | instid1(VALU_DEP_3)
	v_mul_lo_u32 v3, v1, s39
	v_mad_u32 v5, v7, s42, v5
	v_mad_u32 v6, v7, s41, v6
	v_sub_nc_u32_e32 v2, v2, v3
	s_delay_alu instid0(VALU_DEP_1) | instskip(NEXT) | instid1(VALU_DEP_4)
	v_mad_u32 v4, v2, s43, v4
	v_mad_u32 v5, v2, s37, v5
	s_delay_alu instid0(VALU_DEP_4)
	v_mad_u32 v6, v2, s36, v6
	s_cbranch_scc0 .LBB53_30
; %bb.31:
	s_bitcmp1_b32 s31, 0
	s_cselect_b32 s16, -1, 0
	s_delay_alu instid0(SALU_CYCLE_1)
	s_and_b32 vcc_lo, exec_lo, s16
	s_cbranch_vccnz .LBB53_35
; %bb.32:
	s_clause 0x1
	s_load_b96 s[36:38], s[24:25], 0x1c
	s_load_b96 s[40:42], s[24:25], 0xdc
	s_wait_kmcnt 0x0
	v_mul_hi_u32 v2, s37, v1
	s_delay_alu instid0(VALU_DEP_1) | instskip(NEXT) | instid1(VALU_DEP_1)
	v_add_nc_u32_e32 v2, v1, v2
	v_lshrrev_b32_e32 v2, s38, v2
	s_delay_alu instid0(VALU_DEP_1) | instskip(NEXT) | instid1(VALU_DEP_1)
	v_mul_lo_u32 v2, v2, s36
	v_sub_nc_u32_e32 v1, v1, v2
	s_delay_alu instid0(VALU_DEP_1)
	v_mad_u32 v4, v1, s40, v4
	v_mad_u32 v6, v1, s41, v6
	v_mad_u32 v5, v1, s42, v5
	s_branch .LBB53_35
.LBB53_33:
                                        ; implicit-def: $vgpr5
                                        ; implicit-def: $vgpr6
                                        ; implicit-def: $vgpr4
	s_branch .LBB53_36
.LBB53_34:
	v_dual_mov_b32 v5, 0 :: v_dual_mov_b32 v6, 0
	v_mov_b32_e32 v4, 0
.LBB53_35:
	s_cbranch_execnz .LBB53_38
.LBB53_36:
	v_mov_b32_e32 v1, 0
	s_and_not1_b32 vcc_lo, exec_lo, s30
	s_delay_alu instid0(VALU_DEP_1) | instskip(NEXT) | instid1(VALU_DEP_1)
	v_mul_u64_e32 v[2:3], s[20:21], v[0:1]
	v_add_nc_u32_e32 v2, v0, v3
	s_delay_alu instid0(VALU_DEP_1) | instskip(NEXT) | instid1(VALU_DEP_1)
	v_lshrrev_b32_e32 v2, s6, v2
	v_mul_lo_u32 v3, v2, s4
	s_delay_alu instid0(VALU_DEP_1) | instskip(NEXT) | instid1(VALU_DEP_1)
	v_sub_nc_u32_e32 v3, v0, v3
	v_mul_lo_u32 v4, v3, s8
	v_mul_lo_u32 v5, v3, s10
	;; [unrolled: 1-line block ×3, first 2 shown]
	s_cbranch_vccnz .LBB53_38
; %bb.37:
	v_mov_b32_e32 v3, v1
	s_delay_alu instid0(VALU_DEP_1) | instskip(NEXT) | instid1(VALU_DEP_1)
	v_mul_u64_e32 v[8:9], s[22:23], v[2:3]
	v_add_nc_u32_e32 v1, v2, v9
	s_delay_alu instid0(VALU_DEP_1) | instskip(NEXT) | instid1(VALU_DEP_1)
	v_lshrrev_b32_e32 v1, s17, v1
	v_mul_lo_u32 v1, v1, s7
	s_delay_alu instid0(VALU_DEP_1) | instskip(NEXT) | instid1(VALU_DEP_1)
	v_sub_nc_u32_e32 v1, v2, v1
	v_mad_u32 v4, v1, s11, v4
	v_mad_u32 v6, v1, s18, v6
	;; [unrolled: 1-line block ×3, first 2 shown]
.LBB53_38:
	global_load_i8 v1, v5, s[14:15]
	global_load_u8 v2, v6, s[2:3]
	s_mov_b32 s24, 0
	s_wait_loadcnt 0x1
	v_sub_nc_u16 v3, 0, v1
	s_wait_loadcnt 0x0
	v_cmp_ne_u16_e32 vcc_lo, 0, v2
	v_bfe_i32 v2, v2, 0, 8
	s_delay_alu instid0(VALU_DEP_3)
	v_max_i16 v3, v1, v3
	s_wait_xcnt 0x0
	s_and_saveexec_b32 s16, vcc_lo
	s_cbranch_execz .LBB53_42
; %bb.39:
	v_sub_nc_u16 v5, 0, v2
	s_delay_alu instid0(VALU_DEP_1) | instskip(SKIP_1) | instid1(VALU_DEP_2)
	v_max_i16 v6, v2, v5
	v_and_b32_e32 v5, 0xff, v3
	v_and_b32_e32 v6, 0xffff, v6
.LBB53_40:                              ; =>This Inner Loop Header: Depth=1
	s_delay_alu instid0(VALU_DEP_2) | instskip(NEXT) | instid1(VALU_DEP_2)
	v_bfe_i32 v8, v5, 0, 8
	v_mov_b32_e32 v3, v6
	s_delay_alu instid0(VALU_DEP_2) | instskip(NEXT) | instid1(VALU_DEP_2)
	v_cvt_f32_i32_e32 v10, v8
	v_bfe_i32 v6, v3, 0, 8
	s_delay_alu instid0(VALU_DEP_1) | instskip(SKIP_1) | instid1(VALU_DEP_2)
	v_cvt_f32_i32_e32 v7, v6
	v_xor_b32_e32 v6, v8, v6
	v_rcp_iflag_f32_e32 v9, v7
	v_nop
	s_delay_alu instid0(TRANS32_DEP_1) | instskip(NEXT) | instid1(VALU_DEP_1)
	v_dual_ashrrev_i32 v6, 30, v6 :: v_dual_mul_f32 v8, v10, v9
	v_trunc_f32_e32 v8, v8
	s_delay_alu instid0(VALU_DEP_1) | instskip(SKIP_1) | instid1(VALU_DEP_2)
	v_dual_fma_f32 v9, -v8, v7, v10 :: v_dual_bitop2_b32 v6, 1, v6 bitop3:0x54
	v_cvt_i32_f32_e32 v8, v8
	v_cmp_ge_f32_e64 vcc_lo, |v9|, |v7|
	s_delay_alu instid0(VALU_DEP_3) | instskip(NEXT) | instid1(VALU_DEP_1)
	v_cndmask_b32_e32 v6, 0, v6, vcc_lo
	v_add_nc_u32_e32 v6, v8, v6
	s_delay_alu instid0(VALU_DEP_1) | instskip(NEXT) | instid1(VALU_DEP_1)
	v_mul_lo_u32 v6, v6, v3
	v_sub_nc_u32_e32 v5, v5, v6
	s_delay_alu instid0(VALU_DEP_1) | instskip(SKIP_1) | instid1(VALU_DEP_2)
	v_bfe_i32 v6, v5, 0, 8
	v_mov_b32_e32 v5, v3
	v_cmp_eq_u16_e32 vcc_lo, 0, v6
	v_and_b32_e32 v6, 0xffff, v6
	s_or_b32 s24, vcc_lo, s24
	s_delay_alu instid0(SALU_CYCLE_1)
	s_and_not1_b32 exec_lo, exec_lo, s24
	s_cbranch_execnz .LBB53_40
; %bb.41:
	s_or_b32 exec_lo, exec_lo, s24
.LBB53_42:
	s_delay_alu instid0(SALU_CYCLE_1) | instskip(SKIP_3) | instid1(VALU_DEP_2)
	s_or_b32 exec_lo, exec_lo, s16
	v_and_b32_e32 v6, 0xff, v3
	v_mov_b32_e32 v5, 0
	s_mov_b32 s16, exec_lo
	v_cmpx_ne_u16_e32 0, v6
	s_cbranch_execz .LBB53_44
; %bb.43:
	v_bfe_i32 v3, v3, 0, 8
	v_cvt_f32_i32_e32 v7, v2
	v_bfe_i32 v1, v1, 0, 8
	s_delay_alu instid0(VALU_DEP_3) | instskip(SKIP_1) | instid1(VALU_DEP_2)
	v_cvt_f32_i32_e32 v5, v3
	v_xor_b32_e32 v2, v2, v3
	v_rcp_iflag_f32_e32 v6, v5
	v_nop
	s_delay_alu instid0(TRANS32_DEP_1) | instskip(NEXT) | instid1(VALU_DEP_1)
	v_mul_f32_e32 v6, v7, v6
	v_trunc_f32_e32 v3, v6
	s_delay_alu instid0(VALU_DEP_1) | instskip(NEXT) | instid1(VALU_DEP_1)
	v_dual_ashrrev_i32 v2, 30, v2 :: v_dual_fma_f32 v6, -v3, v5, v7
	v_or_b32_e32 v2, 1, v2
	v_cvt_i32_f32_e32 v3, v3
	s_delay_alu instid0(VALU_DEP_3) | instskip(NEXT) | instid1(VALU_DEP_3)
	v_cmp_ge_f32_e64 vcc_lo, |v6|, |v5|
	v_cndmask_b32_e32 v2, 0, v2, vcc_lo
	s_delay_alu instid0(VALU_DEP_1) | instskip(NEXT) | instid1(VALU_DEP_1)
	v_add_nc_u32_e32 v2, v3, v2
	v_bfe_i32 v2, v2, 0, 8
	s_delay_alu instid0(VALU_DEP_1) | instskip(NEXT) | instid1(VALU_DEP_1)
	v_mul_i32_i24_e32 v1, v2, v1
	v_sub_nc_u32_e32 v2, 0, v1
	s_delay_alu instid0(VALU_DEP_1)
	v_max_i32_e32 v5, v1, v2
.LBB53_44:
	s_or_b32 exec_lo, exec_lo, s16
	v_add_nc_u32_e32 v0, 0x80, v0
	global_store_b8 v4, v5, s[0:1]
	s_wait_xcnt 0x0
	s_or_b32 exec_lo, exec_lo, s5
	s_delay_alu instid0(SALU_CYCLE_1)
	s_mov_b32 s5, exec_lo
	v_cmpx_gt_i32_e64 s33, v0
	s_cbranch_execz .LBB53_4
.LBB53_45:
	s_and_not1_b32 vcc_lo, exec_lo, s28
	s_cbranch_vccnz .LBB53_51
; %bb.46:
	s_and_not1_b32 vcc_lo, exec_lo, s34
	s_cbranch_vccnz .LBB53_52
; %bb.47:
	v_dual_mov_b32 v4, 0 :: v_dual_mov_b32 v1, v0
	v_dual_mov_b32 v6, 0 :: v_dual_mov_b32 v5, 0
	s_add_co_i32 s16, s31, 1
	s_mov_b64 s[24:25], 0xffffffffffffffe8
	s_and_b32 s16, s16, 30
	s_add_nc_u64 s[24:25], s[12:13], s[24:25]
.LBB53_48:                              ; =>This Inner Loop Header: Depth=1
	s_clause 0x1
	s_load_b128 s[36:39], s[24:25], 0x1c
	s_load_b64 s[44:45], s[24:25], 0x2c
	s_add_co_i32 s16, s16, -2
	s_delay_alu instid0(SALU_CYCLE_1) | instskip(SKIP_2) | instid1(VALU_DEP_1)
	s_cmp_eq_u32 s16, 0
	s_wait_kmcnt 0x0
	v_mul_hi_u32 v2, s37, v1
	v_add_nc_u32_e32 v2, v1, v2
	s_delay_alu instid0(VALU_DEP_1) | instskip(NEXT) | instid1(VALU_DEP_1)
	v_lshrrev_b32_e32 v2, s38, v2
	v_mul_hi_u32 v3, s44, v2
	v_mul_lo_u32 v7, v2, s36
	s_clause 0x1
	s_load_b128 s[40:43], s[24:25], 0xdc
	s_load_b64 s[36:37], s[24:25], 0xec
	s_wait_xcnt 0x0
	s_add_nc_u64 s[24:25], s[24:25], 24
	s_delay_alu instid0(VALU_DEP_2) | instskip(NEXT) | instid1(VALU_DEP_2)
	v_add_nc_u32_e32 v3, v2, v3
	v_sub_nc_u32_e32 v7, v1, v7
	s_delay_alu instid0(VALU_DEP_2) | instskip(SKIP_1) | instid1(VALU_DEP_2)
	v_lshrrev_b32_e32 v1, s45, v3
	s_wait_kmcnt 0x0
	v_mad_u32 v4, v7, s40, v4
	s_delay_alu instid0(VALU_DEP_2) | instskip(SKIP_2) | instid1(VALU_DEP_3)
	v_mul_lo_u32 v3, v1, s39
	v_mad_u32 v5, v7, s42, v5
	v_mad_u32 v6, v7, s41, v6
	v_sub_nc_u32_e32 v2, v2, v3
	s_delay_alu instid0(VALU_DEP_1) | instskip(NEXT) | instid1(VALU_DEP_4)
	v_mad_u32 v4, v2, s43, v4
	v_mad_u32 v5, v2, s37, v5
	s_delay_alu instid0(VALU_DEP_4)
	v_mad_u32 v6, v2, s36, v6
	s_cbranch_scc0 .LBB53_48
; %bb.49:
	s_bitcmp1_b32 s31, 0
	s_cselect_b32 s16, -1, 0
	s_delay_alu instid0(SALU_CYCLE_1)
	s_and_b32 vcc_lo, exec_lo, s16
	s_cbranch_vccnz .LBB53_53
; %bb.50:
	s_clause 0x1
	s_load_b96 s[36:38], s[24:25], 0x1c
	s_load_b96 s[40:42], s[24:25], 0xdc
	s_wait_kmcnt 0x0
	v_mul_hi_u32 v2, s37, v1
	s_delay_alu instid0(VALU_DEP_1) | instskip(NEXT) | instid1(VALU_DEP_1)
	v_add_nc_u32_e32 v2, v1, v2
	v_lshrrev_b32_e32 v2, s38, v2
	s_delay_alu instid0(VALU_DEP_1) | instskip(NEXT) | instid1(VALU_DEP_1)
	v_mul_lo_u32 v2, v2, s36
	v_sub_nc_u32_e32 v1, v1, v2
	s_delay_alu instid0(VALU_DEP_1)
	v_mad_u32 v4, v1, s40, v4
	v_mad_u32 v6, v1, s41, v6
	;; [unrolled: 1-line block ×3, first 2 shown]
	s_branch .LBB53_53
.LBB53_51:
                                        ; implicit-def: $vgpr5
                                        ; implicit-def: $vgpr6
                                        ; implicit-def: $vgpr4
	s_branch .LBB53_54
.LBB53_52:
	v_dual_mov_b32 v5, 0 :: v_dual_mov_b32 v6, 0
	v_mov_b32_e32 v4, 0
.LBB53_53:
	s_cbranch_execnz .LBB53_56
.LBB53_54:
	v_mov_b32_e32 v1, 0
	s_and_not1_b32 vcc_lo, exec_lo, s30
	s_delay_alu instid0(VALU_DEP_1) | instskip(NEXT) | instid1(VALU_DEP_1)
	v_mul_u64_e32 v[2:3], s[20:21], v[0:1]
	v_add_nc_u32_e32 v2, v0, v3
	s_delay_alu instid0(VALU_DEP_1) | instskip(NEXT) | instid1(VALU_DEP_1)
	v_lshrrev_b32_e32 v2, s6, v2
	v_mul_lo_u32 v3, v2, s4
	s_delay_alu instid0(VALU_DEP_1) | instskip(NEXT) | instid1(VALU_DEP_1)
	v_sub_nc_u32_e32 v3, v0, v3
	v_mul_lo_u32 v4, v3, s8
	v_mul_lo_u32 v5, v3, s10
	;; [unrolled: 1-line block ×3, first 2 shown]
	s_cbranch_vccnz .LBB53_56
; %bb.55:
	v_mov_b32_e32 v3, v1
	s_delay_alu instid0(VALU_DEP_1) | instskip(NEXT) | instid1(VALU_DEP_1)
	v_mul_u64_e32 v[8:9], s[22:23], v[2:3]
	v_add_nc_u32_e32 v1, v2, v9
	s_delay_alu instid0(VALU_DEP_1) | instskip(NEXT) | instid1(VALU_DEP_1)
	v_lshrrev_b32_e32 v1, s17, v1
	v_mul_lo_u32 v1, v1, s7
	s_delay_alu instid0(VALU_DEP_1) | instskip(NEXT) | instid1(VALU_DEP_1)
	v_sub_nc_u32_e32 v1, v2, v1
	v_mad_u32 v4, v1, s11, v4
	v_mad_u32 v6, v1, s18, v6
	;; [unrolled: 1-line block ×3, first 2 shown]
.LBB53_56:
	global_load_i8 v1, v5, s[14:15]
	global_load_u8 v2, v6, s[2:3]
	s_mov_b32 s24, 0
	s_wait_loadcnt 0x1
	v_sub_nc_u16 v3, 0, v1
	s_wait_loadcnt 0x0
	v_cmp_ne_u16_e32 vcc_lo, 0, v2
	v_bfe_i32 v2, v2, 0, 8
	s_delay_alu instid0(VALU_DEP_3)
	v_max_i16 v3, v1, v3
	s_wait_xcnt 0x0
	s_and_saveexec_b32 s16, vcc_lo
	s_cbranch_execz .LBB53_60
; %bb.57:
	v_sub_nc_u16 v5, 0, v2
	s_delay_alu instid0(VALU_DEP_1) | instskip(SKIP_1) | instid1(VALU_DEP_2)
	v_max_i16 v6, v2, v5
	v_and_b32_e32 v5, 0xff, v3
	v_and_b32_e32 v6, 0xffff, v6
.LBB53_58:                              ; =>This Inner Loop Header: Depth=1
	s_delay_alu instid0(VALU_DEP_2) | instskip(NEXT) | instid1(VALU_DEP_2)
	v_bfe_i32 v8, v5, 0, 8
	v_mov_b32_e32 v3, v6
	s_delay_alu instid0(VALU_DEP_2) | instskip(NEXT) | instid1(VALU_DEP_2)
	v_cvt_f32_i32_e32 v10, v8
	v_bfe_i32 v6, v3, 0, 8
	s_delay_alu instid0(VALU_DEP_1) | instskip(SKIP_1) | instid1(VALU_DEP_2)
	v_cvt_f32_i32_e32 v7, v6
	v_xor_b32_e32 v6, v8, v6
	v_rcp_iflag_f32_e32 v9, v7
	v_nop
	s_delay_alu instid0(TRANS32_DEP_1) | instskip(NEXT) | instid1(VALU_DEP_1)
	v_dual_ashrrev_i32 v6, 30, v6 :: v_dual_mul_f32 v8, v10, v9
	v_trunc_f32_e32 v8, v8
	s_delay_alu instid0(VALU_DEP_1) | instskip(SKIP_1) | instid1(VALU_DEP_2)
	v_dual_fma_f32 v9, -v8, v7, v10 :: v_dual_bitop2_b32 v6, 1, v6 bitop3:0x54
	v_cvt_i32_f32_e32 v8, v8
	v_cmp_ge_f32_e64 vcc_lo, |v9|, |v7|
	s_delay_alu instid0(VALU_DEP_3) | instskip(NEXT) | instid1(VALU_DEP_1)
	v_cndmask_b32_e32 v6, 0, v6, vcc_lo
	v_add_nc_u32_e32 v6, v8, v6
	s_delay_alu instid0(VALU_DEP_1) | instskip(NEXT) | instid1(VALU_DEP_1)
	v_mul_lo_u32 v6, v6, v3
	v_sub_nc_u32_e32 v5, v5, v6
	s_delay_alu instid0(VALU_DEP_1) | instskip(SKIP_1) | instid1(VALU_DEP_2)
	v_bfe_i32 v6, v5, 0, 8
	v_mov_b32_e32 v5, v3
	v_cmp_eq_u16_e32 vcc_lo, 0, v6
	v_and_b32_e32 v6, 0xffff, v6
	s_or_b32 s24, vcc_lo, s24
	s_delay_alu instid0(SALU_CYCLE_1)
	s_and_not1_b32 exec_lo, exec_lo, s24
	s_cbranch_execnz .LBB53_58
; %bb.59:
	s_or_b32 exec_lo, exec_lo, s24
.LBB53_60:
	s_delay_alu instid0(SALU_CYCLE_1) | instskip(SKIP_3) | instid1(VALU_DEP_2)
	s_or_b32 exec_lo, exec_lo, s16
	v_and_b32_e32 v6, 0xff, v3
	v_mov_b32_e32 v5, 0
	s_mov_b32 s16, exec_lo
	v_cmpx_ne_u16_e32 0, v6
	s_cbranch_execz .LBB53_62
; %bb.61:
	v_bfe_i32 v3, v3, 0, 8
	v_cvt_f32_i32_e32 v7, v2
	v_bfe_i32 v1, v1, 0, 8
	s_delay_alu instid0(VALU_DEP_3) | instskip(SKIP_1) | instid1(VALU_DEP_2)
	v_cvt_f32_i32_e32 v5, v3
	v_xor_b32_e32 v2, v2, v3
	v_rcp_iflag_f32_e32 v6, v5
	v_nop
	s_delay_alu instid0(TRANS32_DEP_1) | instskip(NEXT) | instid1(VALU_DEP_1)
	v_mul_f32_e32 v6, v7, v6
	v_trunc_f32_e32 v3, v6
	s_delay_alu instid0(VALU_DEP_1) | instskip(NEXT) | instid1(VALU_DEP_1)
	v_dual_ashrrev_i32 v2, 30, v2 :: v_dual_fma_f32 v6, -v3, v5, v7
	v_or_b32_e32 v2, 1, v2
	v_cvt_i32_f32_e32 v3, v3
	s_delay_alu instid0(VALU_DEP_3) | instskip(NEXT) | instid1(VALU_DEP_3)
	v_cmp_ge_f32_e64 vcc_lo, |v6|, |v5|
	v_cndmask_b32_e32 v2, 0, v2, vcc_lo
	s_delay_alu instid0(VALU_DEP_1) | instskip(NEXT) | instid1(VALU_DEP_1)
	v_add_nc_u32_e32 v2, v3, v2
	v_bfe_i32 v2, v2, 0, 8
	s_delay_alu instid0(VALU_DEP_1) | instskip(NEXT) | instid1(VALU_DEP_1)
	v_mul_i32_i24_e32 v1, v2, v1
	v_sub_nc_u32_e32 v2, 0, v1
	s_delay_alu instid0(VALU_DEP_1)
	v_max_i32_e32 v5, v1, v2
.LBB53_62:
	s_or_b32 exec_lo, exec_lo, s16
	v_add_nc_u32_e32 v0, 0x80, v0
	global_store_b8 v4, v5, s[0:1]
	s_wait_xcnt 0x0
	s_or_b32 exec_lo, exec_lo, s5
	s_delay_alu instid0(SALU_CYCLE_1)
	s_mov_b32 s5, exec_lo
	v_cmpx_gt_i32_e64 s33, v0
	s_cbranch_execz .LBB53_5
.LBB53_63:
	s_and_not1_b32 vcc_lo, exec_lo, s28
	s_cbranch_vccnz .LBB53_69
; %bb.64:
	s_and_not1_b32 vcc_lo, exec_lo, s34
	s_cbranch_vccnz .LBB53_70
; %bb.65:
	v_dual_mov_b32 v4, 0 :: v_dual_mov_b32 v1, v0
	v_dual_mov_b32 v6, 0 :: v_dual_mov_b32 v5, 0
	s_add_co_i32 s16, s31, 1
	s_mov_b64 s[24:25], 0xffffffffffffffe8
	s_and_b32 s16, s16, 30
	s_add_nc_u64 s[24:25], s[12:13], s[24:25]
.LBB53_66:                              ; =>This Inner Loop Header: Depth=1
	s_clause 0x1
	s_load_b128 s[36:39], s[24:25], 0x1c
	s_load_b64 s[44:45], s[24:25], 0x2c
	s_add_co_i32 s16, s16, -2
	s_delay_alu instid0(SALU_CYCLE_1) | instskip(SKIP_2) | instid1(VALU_DEP_1)
	s_cmp_eq_u32 s16, 0
	s_wait_kmcnt 0x0
	v_mul_hi_u32 v2, s37, v1
	v_add_nc_u32_e32 v2, v1, v2
	s_delay_alu instid0(VALU_DEP_1) | instskip(NEXT) | instid1(VALU_DEP_1)
	v_lshrrev_b32_e32 v2, s38, v2
	v_mul_hi_u32 v3, s44, v2
	v_mul_lo_u32 v7, v2, s36
	s_clause 0x1
	s_load_b128 s[40:43], s[24:25], 0xdc
	s_load_b64 s[36:37], s[24:25], 0xec
	s_wait_xcnt 0x0
	s_add_nc_u64 s[24:25], s[24:25], 24
	s_delay_alu instid0(VALU_DEP_2) | instskip(NEXT) | instid1(VALU_DEP_2)
	v_add_nc_u32_e32 v3, v2, v3
	v_sub_nc_u32_e32 v7, v1, v7
	s_delay_alu instid0(VALU_DEP_2) | instskip(SKIP_1) | instid1(VALU_DEP_2)
	v_lshrrev_b32_e32 v1, s45, v3
	s_wait_kmcnt 0x0
	v_mad_u32 v4, v7, s40, v4
	s_delay_alu instid0(VALU_DEP_2) | instskip(SKIP_2) | instid1(VALU_DEP_3)
	v_mul_lo_u32 v3, v1, s39
	v_mad_u32 v5, v7, s42, v5
	v_mad_u32 v6, v7, s41, v6
	v_sub_nc_u32_e32 v2, v2, v3
	s_delay_alu instid0(VALU_DEP_1) | instskip(NEXT) | instid1(VALU_DEP_4)
	v_mad_u32 v4, v2, s43, v4
	v_mad_u32 v5, v2, s37, v5
	s_delay_alu instid0(VALU_DEP_4)
	v_mad_u32 v6, v2, s36, v6
	s_cbranch_scc0 .LBB53_66
; %bb.67:
	s_bitcmp1_b32 s31, 0
	s_cselect_b32 s16, -1, 0
	s_delay_alu instid0(SALU_CYCLE_1)
	s_and_b32 vcc_lo, exec_lo, s16
	s_cbranch_vccnz .LBB53_71
; %bb.68:
	s_clause 0x1
	s_load_b96 s[36:38], s[24:25], 0x1c
	s_load_b96 s[40:42], s[24:25], 0xdc
	s_wait_kmcnt 0x0
	v_mul_hi_u32 v2, s37, v1
	s_delay_alu instid0(VALU_DEP_1) | instskip(NEXT) | instid1(VALU_DEP_1)
	v_add_nc_u32_e32 v2, v1, v2
	v_lshrrev_b32_e32 v2, s38, v2
	s_delay_alu instid0(VALU_DEP_1) | instskip(NEXT) | instid1(VALU_DEP_1)
	v_mul_lo_u32 v2, v2, s36
	v_sub_nc_u32_e32 v1, v1, v2
	s_delay_alu instid0(VALU_DEP_1)
	v_mad_u32 v4, v1, s40, v4
	v_mad_u32 v6, v1, s41, v6
	;; [unrolled: 1-line block ×3, first 2 shown]
	s_branch .LBB53_71
.LBB53_69:
                                        ; implicit-def: $vgpr5
                                        ; implicit-def: $vgpr6
                                        ; implicit-def: $vgpr4
	s_branch .LBB53_72
.LBB53_70:
	v_dual_mov_b32 v5, 0 :: v_dual_mov_b32 v6, 0
	v_mov_b32_e32 v4, 0
.LBB53_71:
	s_cbranch_execnz .LBB53_74
.LBB53_72:
	v_mov_b32_e32 v1, 0
	s_and_not1_b32 vcc_lo, exec_lo, s30
	s_delay_alu instid0(VALU_DEP_1) | instskip(NEXT) | instid1(VALU_DEP_1)
	v_mul_u64_e32 v[2:3], s[20:21], v[0:1]
	v_add_nc_u32_e32 v2, v0, v3
	s_delay_alu instid0(VALU_DEP_1) | instskip(NEXT) | instid1(VALU_DEP_1)
	v_lshrrev_b32_e32 v2, s6, v2
	v_mul_lo_u32 v3, v2, s4
	s_delay_alu instid0(VALU_DEP_1) | instskip(NEXT) | instid1(VALU_DEP_1)
	v_sub_nc_u32_e32 v3, v0, v3
	v_mul_lo_u32 v4, v3, s8
	v_mul_lo_u32 v5, v3, s10
	;; [unrolled: 1-line block ×3, first 2 shown]
	s_cbranch_vccnz .LBB53_74
; %bb.73:
	v_mov_b32_e32 v3, v1
	s_delay_alu instid0(VALU_DEP_1) | instskip(NEXT) | instid1(VALU_DEP_1)
	v_mul_u64_e32 v[8:9], s[22:23], v[2:3]
	v_add_nc_u32_e32 v1, v2, v9
	s_delay_alu instid0(VALU_DEP_1) | instskip(NEXT) | instid1(VALU_DEP_1)
	v_lshrrev_b32_e32 v1, s17, v1
	v_mul_lo_u32 v1, v1, s7
	s_delay_alu instid0(VALU_DEP_1) | instskip(NEXT) | instid1(VALU_DEP_1)
	v_sub_nc_u32_e32 v1, v2, v1
	v_mad_u32 v4, v1, s11, v4
	v_mad_u32 v6, v1, s18, v6
	;; [unrolled: 1-line block ×3, first 2 shown]
.LBB53_74:
	global_load_i8 v1, v5, s[14:15]
	global_load_u8 v2, v6, s[2:3]
	s_mov_b32 s24, 0
	s_wait_loadcnt 0x1
	v_sub_nc_u16 v3, 0, v1
	s_wait_loadcnt 0x0
	v_cmp_ne_u16_e32 vcc_lo, 0, v2
	v_bfe_i32 v2, v2, 0, 8
	s_delay_alu instid0(VALU_DEP_3)
	v_max_i16 v3, v1, v3
	s_wait_xcnt 0x0
	s_and_saveexec_b32 s16, vcc_lo
	s_cbranch_execz .LBB53_78
; %bb.75:
	v_sub_nc_u16 v5, 0, v2
	s_delay_alu instid0(VALU_DEP_1) | instskip(SKIP_1) | instid1(VALU_DEP_2)
	v_max_i16 v6, v2, v5
	v_and_b32_e32 v5, 0xff, v3
	v_and_b32_e32 v6, 0xffff, v6
.LBB53_76:                              ; =>This Inner Loop Header: Depth=1
	s_delay_alu instid0(VALU_DEP_2) | instskip(NEXT) | instid1(VALU_DEP_2)
	v_bfe_i32 v8, v5, 0, 8
	v_mov_b32_e32 v3, v6
	s_delay_alu instid0(VALU_DEP_2) | instskip(NEXT) | instid1(VALU_DEP_2)
	v_cvt_f32_i32_e32 v10, v8
	v_bfe_i32 v6, v3, 0, 8
	s_delay_alu instid0(VALU_DEP_1) | instskip(SKIP_1) | instid1(VALU_DEP_2)
	v_cvt_f32_i32_e32 v7, v6
	v_xor_b32_e32 v6, v8, v6
	v_rcp_iflag_f32_e32 v9, v7
	v_nop
	s_delay_alu instid0(TRANS32_DEP_1) | instskip(NEXT) | instid1(VALU_DEP_1)
	v_dual_ashrrev_i32 v6, 30, v6 :: v_dual_mul_f32 v8, v10, v9
	v_trunc_f32_e32 v8, v8
	s_delay_alu instid0(VALU_DEP_1) | instskip(SKIP_1) | instid1(VALU_DEP_2)
	v_dual_fma_f32 v9, -v8, v7, v10 :: v_dual_bitop2_b32 v6, 1, v6 bitop3:0x54
	v_cvt_i32_f32_e32 v8, v8
	v_cmp_ge_f32_e64 vcc_lo, |v9|, |v7|
	s_delay_alu instid0(VALU_DEP_3) | instskip(NEXT) | instid1(VALU_DEP_1)
	v_cndmask_b32_e32 v6, 0, v6, vcc_lo
	v_add_nc_u32_e32 v6, v8, v6
	s_delay_alu instid0(VALU_DEP_1) | instskip(NEXT) | instid1(VALU_DEP_1)
	v_mul_lo_u32 v6, v6, v3
	v_sub_nc_u32_e32 v5, v5, v6
	s_delay_alu instid0(VALU_DEP_1) | instskip(SKIP_1) | instid1(VALU_DEP_2)
	v_bfe_i32 v6, v5, 0, 8
	v_mov_b32_e32 v5, v3
	v_cmp_eq_u16_e32 vcc_lo, 0, v6
	v_and_b32_e32 v6, 0xffff, v6
	s_or_b32 s24, vcc_lo, s24
	s_delay_alu instid0(SALU_CYCLE_1)
	s_and_not1_b32 exec_lo, exec_lo, s24
	s_cbranch_execnz .LBB53_76
; %bb.77:
	s_or_b32 exec_lo, exec_lo, s24
.LBB53_78:
	s_delay_alu instid0(SALU_CYCLE_1) | instskip(SKIP_3) | instid1(VALU_DEP_2)
	s_or_b32 exec_lo, exec_lo, s16
	v_and_b32_e32 v6, 0xff, v3
	v_mov_b32_e32 v5, 0
	s_mov_b32 s16, exec_lo
	v_cmpx_ne_u16_e32 0, v6
	s_cbranch_execz .LBB53_80
; %bb.79:
	v_bfe_i32 v3, v3, 0, 8
	v_cvt_f32_i32_e32 v7, v2
	v_bfe_i32 v1, v1, 0, 8
	s_delay_alu instid0(VALU_DEP_3) | instskip(SKIP_1) | instid1(VALU_DEP_2)
	v_cvt_f32_i32_e32 v5, v3
	v_xor_b32_e32 v2, v2, v3
	v_rcp_iflag_f32_e32 v6, v5
	v_nop
	s_delay_alu instid0(TRANS32_DEP_1) | instskip(NEXT) | instid1(VALU_DEP_1)
	v_mul_f32_e32 v6, v7, v6
	v_trunc_f32_e32 v3, v6
	s_delay_alu instid0(VALU_DEP_1) | instskip(NEXT) | instid1(VALU_DEP_1)
	v_dual_ashrrev_i32 v2, 30, v2 :: v_dual_fma_f32 v6, -v3, v5, v7
	v_or_b32_e32 v2, 1, v2
	v_cvt_i32_f32_e32 v3, v3
	s_delay_alu instid0(VALU_DEP_3) | instskip(NEXT) | instid1(VALU_DEP_3)
	v_cmp_ge_f32_e64 vcc_lo, |v6|, |v5|
	v_cndmask_b32_e32 v2, 0, v2, vcc_lo
	s_delay_alu instid0(VALU_DEP_1) | instskip(NEXT) | instid1(VALU_DEP_1)
	v_add_nc_u32_e32 v2, v3, v2
	v_bfe_i32 v2, v2, 0, 8
	s_delay_alu instid0(VALU_DEP_1) | instskip(NEXT) | instid1(VALU_DEP_1)
	v_mul_i32_i24_e32 v1, v2, v1
	v_sub_nc_u32_e32 v2, 0, v1
	s_delay_alu instid0(VALU_DEP_1)
	v_max_i32_e32 v5, v1, v2
.LBB53_80:
	s_or_b32 exec_lo, exec_lo, s16
	v_add_nc_u32_e32 v0, 0x80, v0
	global_store_b8 v4, v5, s[0:1]
	s_wait_xcnt 0x0
	s_or_b32 exec_lo, exec_lo, s5
	s_delay_alu instid0(SALU_CYCLE_1)
	s_mov_b32 s5, exec_lo
	v_cmpx_gt_i32_e64 s33, v0
	s_cbranch_execz .LBB53_6
.LBB53_81:
	s_and_not1_b32 vcc_lo, exec_lo, s28
	s_cbranch_vccnz .LBB53_87
; %bb.82:
	s_and_not1_b32 vcc_lo, exec_lo, s34
	s_cbranch_vccnz .LBB53_88
; %bb.83:
	v_dual_mov_b32 v4, 0 :: v_dual_mov_b32 v1, v0
	v_dual_mov_b32 v6, 0 :: v_dual_mov_b32 v5, 0
	s_add_co_i32 s16, s31, 1
	s_mov_b64 s[24:25], 0xffffffffffffffe8
	s_and_b32 s16, s16, 30
	s_add_nc_u64 s[24:25], s[12:13], s[24:25]
.LBB53_84:                              ; =>This Inner Loop Header: Depth=1
	s_clause 0x1
	s_load_b128 s[36:39], s[24:25], 0x1c
	s_load_b64 s[44:45], s[24:25], 0x2c
	s_add_co_i32 s16, s16, -2
	s_delay_alu instid0(SALU_CYCLE_1) | instskip(SKIP_2) | instid1(VALU_DEP_1)
	s_cmp_eq_u32 s16, 0
	s_wait_kmcnt 0x0
	v_mul_hi_u32 v2, s37, v1
	v_add_nc_u32_e32 v2, v1, v2
	s_delay_alu instid0(VALU_DEP_1) | instskip(NEXT) | instid1(VALU_DEP_1)
	v_lshrrev_b32_e32 v2, s38, v2
	v_mul_hi_u32 v3, s44, v2
	v_mul_lo_u32 v7, v2, s36
	s_clause 0x1
	s_load_b128 s[40:43], s[24:25], 0xdc
	s_load_b64 s[36:37], s[24:25], 0xec
	s_wait_xcnt 0x0
	s_add_nc_u64 s[24:25], s[24:25], 24
	s_delay_alu instid0(VALU_DEP_2) | instskip(NEXT) | instid1(VALU_DEP_2)
	v_add_nc_u32_e32 v3, v2, v3
	v_sub_nc_u32_e32 v7, v1, v7
	s_delay_alu instid0(VALU_DEP_2) | instskip(SKIP_1) | instid1(VALU_DEP_2)
	v_lshrrev_b32_e32 v1, s45, v3
	s_wait_kmcnt 0x0
	v_mad_u32 v4, v7, s40, v4
	s_delay_alu instid0(VALU_DEP_2) | instskip(SKIP_2) | instid1(VALU_DEP_3)
	v_mul_lo_u32 v3, v1, s39
	v_mad_u32 v5, v7, s42, v5
	v_mad_u32 v6, v7, s41, v6
	v_sub_nc_u32_e32 v2, v2, v3
	s_delay_alu instid0(VALU_DEP_1) | instskip(NEXT) | instid1(VALU_DEP_4)
	v_mad_u32 v4, v2, s43, v4
	v_mad_u32 v5, v2, s37, v5
	s_delay_alu instid0(VALU_DEP_4)
	v_mad_u32 v6, v2, s36, v6
	s_cbranch_scc0 .LBB53_84
; %bb.85:
	s_bitcmp1_b32 s31, 0
	s_cselect_b32 s16, -1, 0
	s_delay_alu instid0(SALU_CYCLE_1)
	s_and_b32 vcc_lo, exec_lo, s16
	s_cbranch_vccnz .LBB53_89
; %bb.86:
	s_clause 0x1
	s_load_b96 s[36:38], s[24:25], 0x1c
	s_load_b96 s[40:42], s[24:25], 0xdc
	s_wait_kmcnt 0x0
	v_mul_hi_u32 v2, s37, v1
	s_delay_alu instid0(VALU_DEP_1) | instskip(NEXT) | instid1(VALU_DEP_1)
	v_add_nc_u32_e32 v2, v1, v2
	v_lshrrev_b32_e32 v2, s38, v2
	s_delay_alu instid0(VALU_DEP_1) | instskip(NEXT) | instid1(VALU_DEP_1)
	v_mul_lo_u32 v2, v2, s36
	v_sub_nc_u32_e32 v1, v1, v2
	s_delay_alu instid0(VALU_DEP_1)
	v_mad_u32 v4, v1, s40, v4
	v_mad_u32 v6, v1, s41, v6
	;; [unrolled: 1-line block ×3, first 2 shown]
	s_branch .LBB53_89
.LBB53_87:
                                        ; implicit-def: $vgpr5
                                        ; implicit-def: $vgpr6
                                        ; implicit-def: $vgpr4
	s_branch .LBB53_90
.LBB53_88:
	v_dual_mov_b32 v5, 0 :: v_dual_mov_b32 v6, 0
	v_mov_b32_e32 v4, 0
.LBB53_89:
	s_cbranch_execnz .LBB53_92
.LBB53_90:
	v_mov_b32_e32 v1, 0
	s_and_not1_b32 vcc_lo, exec_lo, s30
	s_delay_alu instid0(VALU_DEP_1) | instskip(NEXT) | instid1(VALU_DEP_1)
	v_mul_u64_e32 v[2:3], s[20:21], v[0:1]
	v_add_nc_u32_e32 v2, v0, v3
	s_delay_alu instid0(VALU_DEP_1) | instskip(NEXT) | instid1(VALU_DEP_1)
	v_lshrrev_b32_e32 v2, s6, v2
	v_mul_lo_u32 v3, v2, s4
	s_delay_alu instid0(VALU_DEP_1) | instskip(NEXT) | instid1(VALU_DEP_1)
	v_sub_nc_u32_e32 v3, v0, v3
	v_mul_lo_u32 v4, v3, s8
	v_mul_lo_u32 v5, v3, s10
	;; [unrolled: 1-line block ×3, first 2 shown]
	s_cbranch_vccnz .LBB53_92
; %bb.91:
	v_mov_b32_e32 v3, v1
	s_delay_alu instid0(VALU_DEP_1) | instskip(NEXT) | instid1(VALU_DEP_1)
	v_mul_u64_e32 v[8:9], s[22:23], v[2:3]
	v_add_nc_u32_e32 v1, v2, v9
	s_delay_alu instid0(VALU_DEP_1) | instskip(NEXT) | instid1(VALU_DEP_1)
	v_lshrrev_b32_e32 v1, s17, v1
	v_mul_lo_u32 v1, v1, s7
	s_delay_alu instid0(VALU_DEP_1) | instskip(NEXT) | instid1(VALU_DEP_1)
	v_sub_nc_u32_e32 v1, v2, v1
	v_mad_u32 v4, v1, s11, v4
	v_mad_u32 v6, v1, s18, v6
	v_mad_u32 v5, v1, s19, v5
.LBB53_92:
	global_load_i8 v1, v5, s[14:15]
	global_load_u8 v2, v6, s[2:3]
	s_mov_b32 s24, 0
	s_wait_loadcnt 0x1
	v_sub_nc_u16 v3, 0, v1
	s_wait_loadcnt 0x0
	v_cmp_ne_u16_e32 vcc_lo, 0, v2
	v_bfe_i32 v2, v2, 0, 8
	s_delay_alu instid0(VALU_DEP_3)
	v_max_i16 v3, v1, v3
	s_wait_xcnt 0x0
	s_and_saveexec_b32 s16, vcc_lo
	s_cbranch_execz .LBB53_96
; %bb.93:
	v_sub_nc_u16 v5, 0, v2
	s_delay_alu instid0(VALU_DEP_1) | instskip(SKIP_1) | instid1(VALU_DEP_2)
	v_max_i16 v6, v2, v5
	v_and_b32_e32 v5, 0xff, v3
	v_and_b32_e32 v6, 0xffff, v6
.LBB53_94:                              ; =>This Inner Loop Header: Depth=1
	s_delay_alu instid0(VALU_DEP_2) | instskip(NEXT) | instid1(VALU_DEP_2)
	v_bfe_i32 v8, v5, 0, 8
	v_mov_b32_e32 v3, v6
	s_delay_alu instid0(VALU_DEP_2) | instskip(NEXT) | instid1(VALU_DEP_2)
	v_cvt_f32_i32_e32 v10, v8
	v_bfe_i32 v6, v3, 0, 8
	s_delay_alu instid0(VALU_DEP_1) | instskip(SKIP_1) | instid1(VALU_DEP_2)
	v_cvt_f32_i32_e32 v7, v6
	v_xor_b32_e32 v6, v8, v6
	v_rcp_iflag_f32_e32 v9, v7
	v_nop
	s_delay_alu instid0(TRANS32_DEP_1) | instskip(NEXT) | instid1(VALU_DEP_1)
	v_dual_ashrrev_i32 v6, 30, v6 :: v_dual_mul_f32 v8, v10, v9
	v_trunc_f32_e32 v8, v8
	s_delay_alu instid0(VALU_DEP_1) | instskip(SKIP_1) | instid1(VALU_DEP_2)
	v_dual_fma_f32 v9, -v8, v7, v10 :: v_dual_bitop2_b32 v6, 1, v6 bitop3:0x54
	v_cvt_i32_f32_e32 v8, v8
	v_cmp_ge_f32_e64 vcc_lo, |v9|, |v7|
	s_delay_alu instid0(VALU_DEP_3) | instskip(NEXT) | instid1(VALU_DEP_1)
	v_cndmask_b32_e32 v6, 0, v6, vcc_lo
	v_add_nc_u32_e32 v6, v8, v6
	s_delay_alu instid0(VALU_DEP_1) | instskip(NEXT) | instid1(VALU_DEP_1)
	v_mul_lo_u32 v6, v6, v3
	v_sub_nc_u32_e32 v5, v5, v6
	s_delay_alu instid0(VALU_DEP_1) | instskip(SKIP_1) | instid1(VALU_DEP_2)
	v_bfe_i32 v6, v5, 0, 8
	v_mov_b32_e32 v5, v3
	v_cmp_eq_u16_e32 vcc_lo, 0, v6
	v_and_b32_e32 v6, 0xffff, v6
	s_or_b32 s24, vcc_lo, s24
	s_delay_alu instid0(SALU_CYCLE_1)
	s_and_not1_b32 exec_lo, exec_lo, s24
	s_cbranch_execnz .LBB53_94
; %bb.95:
	s_or_b32 exec_lo, exec_lo, s24
.LBB53_96:
	s_delay_alu instid0(SALU_CYCLE_1) | instskip(SKIP_3) | instid1(VALU_DEP_2)
	s_or_b32 exec_lo, exec_lo, s16
	v_and_b32_e32 v6, 0xff, v3
	v_mov_b32_e32 v5, 0
	s_mov_b32 s16, exec_lo
	v_cmpx_ne_u16_e32 0, v6
	s_cbranch_execz .LBB53_98
; %bb.97:
	v_bfe_i32 v3, v3, 0, 8
	v_cvt_f32_i32_e32 v7, v2
	v_bfe_i32 v1, v1, 0, 8
	s_delay_alu instid0(VALU_DEP_3) | instskip(SKIP_1) | instid1(VALU_DEP_2)
	v_cvt_f32_i32_e32 v5, v3
	v_xor_b32_e32 v2, v2, v3
	v_rcp_iflag_f32_e32 v6, v5
	v_nop
	s_delay_alu instid0(TRANS32_DEP_1) | instskip(NEXT) | instid1(VALU_DEP_1)
	v_mul_f32_e32 v6, v7, v6
	v_trunc_f32_e32 v3, v6
	s_delay_alu instid0(VALU_DEP_1) | instskip(NEXT) | instid1(VALU_DEP_1)
	v_dual_ashrrev_i32 v2, 30, v2 :: v_dual_fma_f32 v6, -v3, v5, v7
	v_or_b32_e32 v2, 1, v2
	v_cvt_i32_f32_e32 v3, v3
	s_delay_alu instid0(VALU_DEP_3) | instskip(NEXT) | instid1(VALU_DEP_3)
	v_cmp_ge_f32_e64 vcc_lo, |v6|, |v5|
	v_cndmask_b32_e32 v2, 0, v2, vcc_lo
	s_delay_alu instid0(VALU_DEP_1) | instskip(NEXT) | instid1(VALU_DEP_1)
	v_add_nc_u32_e32 v2, v3, v2
	v_bfe_i32 v2, v2, 0, 8
	s_delay_alu instid0(VALU_DEP_1) | instskip(NEXT) | instid1(VALU_DEP_1)
	v_mul_i32_i24_e32 v1, v2, v1
	v_sub_nc_u32_e32 v2, 0, v1
	s_delay_alu instid0(VALU_DEP_1)
	v_max_i32_e32 v5, v1, v2
.LBB53_98:
	s_or_b32 exec_lo, exec_lo, s16
	v_add_nc_u32_e32 v0, 0x80, v0
	global_store_b8 v4, v5, s[0:1]
	s_wait_xcnt 0x0
	s_or_b32 exec_lo, exec_lo, s5
	s_delay_alu instid0(SALU_CYCLE_1)
	s_mov_b32 s5, exec_lo
	v_cmpx_gt_i32_e64 s33, v0
	s_cbranch_execz .LBB53_7
.LBB53_99:
	s_and_not1_b32 vcc_lo, exec_lo, s28
	s_cbranch_vccnz .LBB53_105
; %bb.100:
	s_and_not1_b32 vcc_lo, exec_lo, s34
	s_cbranch_vccnz .LBB53_106
; %bb.101:
	v_dual_mov_b32 v4, 0 :: v_dual_mov_b32 v1, v0
	v_dual_mov_b32 v6, 0 :: v_dual_mov_b32 v5, 0
	s_add_co_i32 s16, s31, 1
	s_mov_b64 s[24:25], 0xffffffffffffffe8
	s_and_b32 s16, s16, 30
	s_add_nc_u64 s[24:25], s[12:13], s[24:25]
.LBB53_102:                             ; =>This Inner Loop Header: Depth=1
	s_clause 0x1
	s_load_b128 s[36:39], s[24:25], 0x1c
	s_load_b64 s[44:45], s[24:25], 0x2c
	s_add_co_i32 s16, s16, -2
	s_delay_alu instid0(SALU_CYCLE_1) | instskip(SKIP_2) | instid1(VALU_DEP_1)
	s_cmp_eq_u32 s16, 0
	s_wait_kmcnt 0x0
	v_mul_hi_u32 v2, s37, v1
	v_add_nc_u32_e32 v2, v1, v2
	s_delay_alu instid0(VALU_DEP_1) | instskip(NEXT) | instid1(VALU_DEP_1)
	v_lshrrev_b32_e32 v2, s38, v2
	v_mul_hi_u32 v3, s44, v2
	v_mul_lo_u32 v7, v2, s36
	s_clause 0x1
	s_load_b128 s[40:43], s[24:25], 0xdc
	s_load_b64 s[36:37], s[24:25], 0xec
	s_wait_xcnt 0x0
	s_add_nc_u64 s[24:25], s[24:25], 24
	s_delay_alu instid0(VALU_DEP_2) | instskip(NEXT) | instid1(VALU_DEP_2)
	v_add_nc_u32_e32 v3, v2, v3
	v_sub_nc_u32_e32 v7, v1, v7
	s_delay_alu instid0(VALU_DEP_2) | instskip(SKIP_1) | instid1(VALU_DEP_2)
	v_lshrrev_b32_e32 v1, s45, v3
	s_wait_kmcnt 0x0
	v_mad_u32 v4, v7, s40, v4
	s_delay_alu instid0(VALU_DEP_2) | instskip(SKIP_2) | instid1(VALU_DEP_3)
	v_mul_lo_u32 v3, v1, s39
	v_mad_u32 v5, v7, s42, v5
	v_mad_u32 v6, v7, s41, v6
	v_sub_nc_u32_e32 v2, v2, v3
	s_delay_alu instid0(VALU_DEP_1) | instskip(NEXT) | instid1(VALU_DEP_4)
	v_mad_u32 v4, v2, s43, v4
	v_mad_u32 v5, v2, s37, v5
	s_delay_alu instid0(VALU_DEP_4)
	v_mad_u32 v6, v2, s36, v6
	s_cbranch_scc0 .LBB53_102
; %bb.103:
	s_bitcmp1_b32 s31, 0
	s_cselect_b32 s16, -1, 0
	s_delay_alu instid0(SALU_CYCLE_1)
	s_and_b32 vcc_lo, exec_lo, s16
	s_cbranch_vccnz .LBB53_107
; %bb.104:
	s_clause 0x1
	s_load_b96 s[36:38], s[24:25], 0x1c
	s_load_b96 s[40:42], s[24:25], 0xdc
	s_wait_kmcnt 0x0
	v_mul_hi_u32 v2, s37, v1
	s_delay_alu instid0(VALU_DEP_1) | instskip(NEXT) | instid1(VALU_DEP_1)
	v_add_nc_u32_e32 v2, v1, v2
	v_lshrrev_b32_e32 v2, s38, v2
	s_delay_alu instid0(VALU_DEP_1) | instskip(NEXT) | instid1(VALU_DEP_1)
	v_mul_lo_u32 v2, v2, s36
	v_sub_nc_u32_e32 v1, v1, v2
	s_delay_alu instid0(VALU_DEP_1)
	v_mad_u32 v4, v1, s40, v4
	v_mad_u32 v6, v1, s41, v6
	;; [unrolled: 1-line block ×3, first 2 shown]
	s_branch .LBB53_107
.LBB53_105:
                                        ; implicit-def: $vgpr5
                                        ; implicit-def: $vgpr6
                                        ; implicit-def: $vgpr4
	s_branch .LBB53_108
.LBB53_106:
	v_dual_mov_b32 v5, 0 :: v_dual_mov_b32 v6, 0
	v_mov_b32_e32 v4, 0
.LBB53_107:
	s_cbranch_execnz .LBB53_110
.LBB53_108:
	v_mov_b32_e32 v1, 0
	s_and_not1_b32 vcc_lo, exec_lo, s30
	s_delay_alu instid0(VALU_DEP_1) | instskip(NEXT) | instid1(VALU_DEP_1)
	v_mul_u64_e32 v[2:3], s[20:21], v[0:1]
	v_add_nc_u32_e32 v2, v0, v3
	s_delay_alu instid0(VALU_DEP_1) | instskip(NEXT) | instid1(VALU_DEP_1)
	v_lshrrev_b32_e32 v2, s6, v2
	v_mul_lo_u32 v3, v2, s4
	s_delay_alu instid0(VALU_DEP_1) | instskip(NEXT) | instid1(VALU_DEP_1)
	v_sub_nc_u32_e32 v3, v0, v3
	v_mul_lo_u32 v4, v3, s8
	v_mul_lo_u32 v5, v3, s10
	;; [unrolled: 1-line block ×3, first 2 shown]
	s_cbranch_vccnz .LBB53_110
; %bb.109:
	v_mov_b32_e32 v3, v1
	s_delay_alu instid0(VALU_DEP_1) | instskip(NEXT) | instid1(VALU_DEP_1)
	v_mul_u64_e32 v[8:9], s[22:23], v[2:3]
	v_add_nc_u32_e32 v1, v2, v9
	s_delay_alu instid0(VALU_DEP_1) | instskip(NEXT) | instid1(VALU_DEP_1)
	v_lshrrev_b32_e32 v1, s17, v1
	v_mul_lo_u32 v1, v1, s7
	s_delay_alu instid0(VALU_DEP_1) | instskip(NEXT) | instid1(VALU_DEP_1)
	v_sub_nc_u32_e32 v1, v2, v1
	v_mad_u32 v4, v1, s11, v4
	v_mad_u32 v6, v1, s18, v6
	v_mad_u32 v5, v1, s19, v5
.LBB53_110:
	global_load_i8 v1, v5, s[14:15]
	global_load_u8 v2, v6, s[2:3]
	s_mov_b32 s24, 0
	s_wait_loadcnt 0x1
	v_sub_nc_u16 v3, 0, v1
	s_wait_loadcnt 0x0
	v_cmp_ne_u16_e32 vcc_lo, 0, v2
	v_bfe_i32 v2, v2, 0, 8
	s_delay_alu instid0(VALU_DEP_3)
	v_max_i16 v3, v1, v3
	s_wait_xcnt 0x0
	s_and_saveexec_b32 s16, vcc_lo
	s_cbranch_execz .LBB53_114
; %bb.111:
	v_sub_nc_u16 v5, 0, v2
	s_delay_alu instid0(VALU_DEP_1) | instskip(SKIP_1) | instid1(VALU_DEP_2)
	v_max_i16 v6, v2, v5
	v_and_b32_e32 v5, 0xff, v3
	v_and_b32_e32 v6, 0xffff, v6
.LBB53_112:                             ; =>This Inner Loop Header: Depth=1
	s_delay_alu instid0(VALU_DEP_2) | instskip(NEXT) | instid1(VALU_DEP_2)
	v_bfe_i32 v8, v5, 0, 8
	v_mov_b32_e32 v3, v6
	s_delay_alu instid0(VALU_DEP_2) | instskip(NEXT) | instid1(VALU_DEP_2)
	v_cvt_f32_i32_e32 v10, v8
	v_bfe_i32 v6, v3, 0, 8
	s_delay_alu instid0(VALU_DEP_1) | instskip(SKIP_1) | instid1(VALU_DEP_2)
	v_cvt_f32_i32_e32 v7, v6
	v_xor_b32_e32 v6, v8, v6
	v_rcp_iflag_f32_e32 v9, v7
	v_nop
	s_delay_alu instid0(TRANS32_DEP_1) | instskip(NEXT) | instid1(VALU_DEP_1)
	v_dual_ashrrev_i32 v6, 30, v6 :: v_dual_mul_f32 v8, v10, v9
	v_trunc_f32_e32 v8, v8
	s_delay_alu instid0(VALU_DEP_1) | instskip(SKIP_1) | instid1(VALU_DEP_2)
	v_dual_fma_f32 v9, -v8, v7, v10 :: v_dual_bitop2_b32 v6, 1, v6 bitop3:0x54
	v_cvt_i32_f32_e32 v8, v8
	v_cmp_ge_f32_e64 vcc_lo, |v9|, |v7|
	s_delay_alu instid0(VALU_DEP_3) | instskip(NEXT) | instid1(VALU_DEP_1)
	v_cndmask_b32_e32 v6, 0, v6, vcc_lo
	v_add_nc_u32_e32 v6, v8, v6
	s_delay_alu instid0(VALU_DEP_1) | instskip(NEXT) | instid1(VALU_DEP_1)
	v_mul_lo_u32 v6, v6, v3
	v_sub_nc_u32_e32 v5, v5, v6
	s_delay_alu instid0(VALU_DEP_1) | instskip(SKIP_1) | instid1(VALU_DEP_2)
	v_bfe_i32 v6, v5, 0, 8
	v_mov_b32_e32 v5, v3
	v_cmp_eq_u16_e32 vcc_lo, 0, v6
	v_and_b32_e32 v6, 0xffff, v6
	s_or_b32 s24, vcc_lo, s24
	s_delay_alu instid0(SALU_CYCLE_1)
	s_and_not1_b32 exec_lo, exec_lo, s24
	s_cbranch_execnz .LBB53_112
; %bb.113:
	s_or_b32 exec_lo, exec_lo, s24
.LBB53_114:
	s_delay_alu instid0(SALU_CYCLE_1) | instskip(SKIP_3) | instid1(VALU_DEP_2)
	s_or_b32 exec_lo, exec_lo, s16
	v_and_b32_e32 v6, 0xff, v3
	v_mov_b32_e32 v5, 0
	s_mov_b32 s16, exec_lo
	v_cmpx_ne_u16_e32 0, v6
	s_cbranch_execz .LBB53_116
; %bb.115:
	v_bfe_i32 v3, v3, 0, 8
	v_cvt_f32_i32_e32 v7, v2
	v_bfe_i32 v1, v1, 0, 8
	s_delay_alu instid0(VALU_DEP_3) | instskip(SKIP_1) | instid1(VALU_DEP_2)
	v_cvt_f32_i32_e32 v5, v3
	v_xor_b32_e32 v2, v2, v3
	v_rcp_iflag_f32_e32 v6, v5
	v_nop
	s_delay_alu instid0(TRANS32_DEP_1) | instskip(NEXT) | instid1(VALU_DEP_1)
	v_mul_f32_e32 v6, v7, v6
	v_trunc_f32_e32 v3, v6
	s_delay_alu instid0(VALU_DEP_1) | instskip(NEXT) | instid1(VALU_DEP_1)
	v_dual_ashrrev_i32 v2, 30, v2 :: v_dual_fma_f32 v6, -v3, v5, v7
	v_or_b32_e32 v2, 1, v2
	v_cvt_i32_f32_e32 v3, v3
	s_delay_alu instid0(VALU_DEP_3) | instskip(NEXT) | instid1(VALU_DEP_3)
	v_cmp_ge_f32_e64 vcc_lo, |v6|, |v5|
	v_cndmask_b32_e32 v2, 0, v2, vcc_lo
	s_delay_alu instid0(VALU_DEP_1) | instskip(NEXT) | instid1(VALU_DEP_1)
	v_add_nc_u32_e32 v2, v3, v2
	v_bfe_i32 v2, v2, 0, 8
	s_delay_alu instid0(VALU_DEP_1) | instskip(NEXT) | instid1(VALU_DEP_1)
	v_mul_i32_i24_e32 v1, v2, v1
	v_sub_nc_u32_e32 v2, 0, v1
	s_delay_alu instid0(VALU_DEP_1)
	v_max_i32_e32 v5, v1, v2
.LBB53_116:
	s_or_b32 exec_lo, exec_lo, s16
	v_add_nc_u32_e32 v0, 0x80, v0
	global_store_b8 v4, v5, s[0:1]
	s_wait_xcnt 0x0
	s_or_b32 exec_lo, exec_lo, s5
	s_delay_alu instid0(SALU_CYCLE_1)
	s_mov_b32 s5, exec_lo
	v_cmpx_gt_i32_e64 s33, v0
	s_cbranch_execz .LBB53_8
.LBB53_117:
	s_and_not1_b32 vcc_lo, exec_lo, s28
	s_cbranch_vccnz .LBB53_123
; %bb.118:
	s_and_not1_b32 vcc_lo, exec_lo, s34
	s_cbranch_vccnz .LBB53_124
; %bb.119:
	v_dual_mov_b32 v4, 0 :: v_dual_mov_b32 v1, v0
	v_dual_mov_b32 v6, 0 :: v_dual_mov_b32 v5, 0
	s_add_co_i32 s16, s31, 1
	s_mov_b64 s[24:25], 0xffffffffffffffe8
	s_and_b32 s16, s16, 30
	s_add_nc_u64 s[24:25], s[12:13], s[24:25]
.LBB53_120:                             ; =>This Inner Loop Header: Depth=1
	s_clause 0x1
	s_load_b128 s[36:39], s[24:25], 0x1c
	s_load_b64 s[44:45], s[24:25], 0x2c
	s_add_co_i32 s16, s16, -2
	s_delay_alu instid0(SALU_CYCLE_1) | instskip(SKIP_2) | instid1(VALU_DEP_1)
	s_cmp_eq_u32 s16, 0
	s_wait_kmcnt 0x0
	v_mul_hi_u32 v2, s37, v1
	v_add_nc_u32_e32 v2, v1, v2
	s_delay_alu instid0(VALU_DEP_1) | instskip(NEXT) | instid1(VALU_DEP_1)
	v_lshrrev_b32_e32 v2, s38, v2
	v_mul_hi_u32 v3, s44, v2
	v_mul_lo_u32 v7, v2, s36
	s_clause 0x1
	s_load_b128 s[40:43], s[24:25], 0xdc
	s_load_b64 s[36:37], s[24:25], 0xec
	s_wait_xcnt 0x0
	s_add_nc_u64 s[24:25], s[24:25], 24
	s_delay_alu instid0(VALU_DEP_2) | instskip(NEXT) | instid1(VALU_DEP_2)
	v_add_nc_u32_e32 v3, v2, v3
	v_sub_nc_u32_e32 v7, v1, v7
	s_delay_alu instid0(VALU_DEP_2) | instskip(SKIP_1) | instid1(VALU_DEP_2)
	v_lshrrev_b32_e32 v1, s45, v3
	s_wait_kmcnt 0x0
	v_mad_u32 v4, v7, s40, v4
	s_delay_alu instid0(VALU_DEP_2) | instskip(SKIP_2) | instid1(VALU_DEP_3)
	v_mul_lo_u32 v3, v1, s39
	v_mad_u32 v5, v7, s42, v5
	v_mad_u32 v6, v7, s41, v6
	v_sub_nc_u32_e32 v2, v2, v3
	s_delay_alu instid0(VALU_DEP_1) | instskip(NEXT) | instid1(VALU_DEP_4)
	v_mad_u32 v4, v2, s43, v4
	v_mad_u32 v5, v2, s37, v5
	s_delay_alu instid0(VALU_DEP_4)
	v_mad_u32 v6, v2, s36, v6
	s_cbranch_scc0 .LBB53_120
; %bb.121:
	s_bitcmp1_b32 s31, 0
	s_cselect_b32 s16, -1, 0
	s_delay_alu instid0(SALU_CYCLE_1)
	s_and_b32 vcc_lo, exec_lo, s16
	s_cbranch_vccnz .LBB53_125
; %bb.122:
	s_clause 0x1
	s_load_b96 s[36:38], s[24:25], 0x1c
	s_load_b96 s[40:42], s[24:25], 0xdc
	s_wait_kmcnt 0x0
	v_mul_hi_u32 v2, s37, v1
	s_delay_alu instid0(VALU_DEP_1) | instskip(NEXT) | instid1(VALU_DEP_1)
	v_add_nc_u32_e32 v2, v1, v2
	v_lshrrev_b32_e32 v2, s38, v2
	s_delay_alu instid0(VALU_DEP_1) | instskip(NEXT) | instid1(VALU_DEP_1)
	v_mul_lo_u32 v2, v2, s36
	v_sub_nc_u32_e32 v1, v1, v2
	s_delay_alu instid0(VALU_DEP_1)
	v_mad_u32 v4, v1, s40, v4
	v_mad_u32 v6, v1, s41, v6
	;; [unrolled: 1-line block ×3, first 2 shown]
	s_branch .LBB53_125
.LBB53_123:
                                        ; implicit-def: $vgpr5
                                        ; implicit-def: $vgpr6
                                        ; implicit-def: $vgpr4
	s_branch .LBB53_126
.LBB53_124:
	v_dual_mov_b32 v5, 0 :: v_dual_mov_b32 v6, 0
	v_mov_b32_e32 v4, 0
.LBB53_125:
	s_cbranch_execnz .LBB53_128
.LBB53_126:
	v_mov_b32_e32 v1, 0
	s_and_not1_b32 vcc_lo, exec_lo, s30
	s_delay_alu instid0(VALU_DEP_1) | instskip(NEXT) | instid1(VALU_DEP_1)
	v_mul_u64_e32 v[2:3], s[20:21], v[0:1]
	v_add_nc_u32_e32 v2, v0, v3
	s_delay_alu instid0(VALU_DEP_1) | instskip(NEXT) | instid1(VALU_DEP_1)
	v_lshrrev_b32_e32 v2, s6, v2
	v_mul_lo_u32 v3, v2, s4
	s_delay_alu instid0(VALU_DEP_1) | instskip(NEXT) | instid1(VALU_DEP_1)
	v_sub_nc_u32_e32 v3, v0, v3
	v_mul_lo_u32 v4, v3, s8
	v_mul_lo_u32 v5, v3, s10
	;; [unrolled: 1-line block ×3, first 2 shown]
	s_cbranch_vccnz .LBB53_128
; %bb.127:
	v_mov_b32_e32 v3, v1
	s_delay_alu instid0(VALU_DEP_1) | instskip(NEXT) | instid1(VALU_DEP_1)
	v_mul_u64_e32 v[8:9], s[22:23], v[2:3]
	v_add_nc_u32_e32 v1, v2, v9
	s_delay_alu instid0(VALU_DEP_1) | instskip(NEXT) | instid1(VALU_DEP_1)
	v_lshrrev_b32_e32 v1, s17, v1
	v_mul_lo_u32 v1, v1, s7
	s_delay_alu instid0(VALU_DEP_1) | instskip(NEXT) | instid1(VALU_DEP_1)
	v_sub_nc_u32_e32 v1, v2, v1
	v_mad_u32 v4, v1, s11, v4
	v_mad_u32 v6, v1, s18, v6
	;; [unrolled: 1-line block ×3, first 2 shown]
.LBB53_128:
	global_load_i8 v1, v5, s[14:15]
	global_load_u8 v2, v6, s[2:3]
	s_mov_b32 s24, 0
	s_wait_loadcnt 0x1
	v_sub_nc_u16 v3, 0, v1
	s_wait_loadcnt 0x0
	v_cmp_ne_u16_e32 vcc_lo, 0, v2
	v_bfe_i32 v2, v2, 0, 8
	s_delay_alu instid0(VALU_DEP_3)
	v_max_i16 v3, v1, v3
	s_wait_xcnt 0x0
	s_and_saveexec_b32 s16, vcc_lo
	s_cbranch_execz .LBB53_132
; %bb.129:
	v_sub_nc_u16 v5, 0, v2
	s_delay_alu instid0(VALU_DEP_1) | instskip(SKIP_1) | instid1(VALU_DEP_2)
	v_max_i16 v6, v2, v5
	v_and_b32_e32 v5, 0xff, v3
	v_and_b32_e32 v6, 0xffff, v6
.LBB53_130:                             ; =>This Inner Loop Header: Depth=1
	s_delay_alu instid0(VALU_DEP_2) | instskip(NEXT) | instid1(VALU_DEP_2)
	v_bfe_i32 v8, v5, 0, 8
	v_mov_b32_e32 v3, v6
	s_delay_alu instid0(VALU_DEP_2) | instskip(NEXT) | instid1(VALU_DEP_2)
	v_cvt_f32_i32_e32 v10, v8
	v_bfe_i32 v6, v3, 0, 8
	s_delay_alu instid0(VALU_DEP_1) | instskip(SKIP_1) | instid1(VALU_DEP_2)
	v_cvt_f32_i32_e32 v7, v6
	v_xor_b32_e32 v6, v8, v6
	v_rcp_iflag_f32_e32 v9, v7
	v_nop
	s_delay_alu instid0(TRANS32_DEP_1) | instskip(NEXT) | instid1(VALU_DEP_1)
	v_dual_ashrrev_i32 v6, 30, v6 :: v_dual_mul_f32 v8, v10, v9
	v_trunc_f32_e32 v8, v8
	s_delay_alu instid0(VALU_DEP_1) | instskip(SKIP_1) | instid1(VALU_DEP_2)
	v_dual_fma_f32 v9, -v8, v7, v10 :: v_dual_bitop2_b32 v6, 1, v6 bitop3:0x54
	v_cvt_i32_f32_e32 v8, v8
	v_cmp_ge_f32_e64 vcc_lo, |v9|, |v7|
	s_delay_alu instid0(VALU_DEP_3) | instskip(NEXT) | instid1(VALU_DEP_1)
	v_cndmask_b32_e32 v6, 0, v6, vcc_lo
	v_add_nc_u32_e32 v6, v8, v6
	s_delay_alu instid0(VALU_DEP_1) | instskip(NEXT) | instid1(VALU_DEP_1)
	v_mul_lo_u32 v6, v6, v3
	v_sub_nc_u32_e32 v5, v5, v6
	s_delay_alu instid0(VALU_DEP_1) | instskip(SKIP_1) | instid1(VALU_DEP_2)
	v_bfe_i32 v6, v5, 0, 8
	v_mov_b32_e32 v5, v3
	v_cmp_eq_u16_e32 vcc_lo, 0, v6
	v_and_b32_e32 v6, 0xffff, v6
	s_or_b32 s24, vcc_lo, s24
	s_delay_alu instid0(SALU_CYCLE_1)
	s_and_not1_b32 exec_lo, exec_lo, s24
	s_cbranch_execnz .LBB53_130
; %bb.131:
	s_or_b32 exec_lo, exec_lo, s24
.LBB53_132:
	s_delay_alu instid0(SALU_CYCLE_1) | instskip(SKIP_3) | instid1(VALU_DEP_2)
	s_or_b32 exec_lo, exec_lo, s16
	v_and_b32_e32 v6, 0xff, v3
	v_mov_b32_e32 v5, 0
	s_mov_b32 s16, exec_lo
	v_cmpx_ne_u16_e32 0, v6
	s_cbranch_execz .LBB53_134
; %bb.133:
	v_bfe_i32 v3, v3, 0, 8
	v_cvt_f32_i32_e32 v7, v2
	v_bfe_i32 v1, v1, 0, 8
	s_delay_alu instid0(VALU_DEP_3) | instskip(SKIP_1) | instid1(VALU_DEP_2)
	v_cvt_f32_i32_e32 v5, v3
	v_xor_b32_e32 v2, v2, v3
	v_rcp_iflag_f32_e32 v6, v5
	v_nop
	s_delay_alu instid0(TRANS32_DEP_1) | instskip(NEXT) | instid1(VALU_DEP_1)
	v_mul_f32_e32 v6, v7, v6
	v_trunc_f32_e32 v3, v6
	s_delay_alu instid0(VALU_DEP_1) | instskip(NEXT) | instid1(VALU_DEP_1)
	v_dual_ashrrev_i32 v2, 30, v2 :: v_dual_fma_f32 v6, -v3, v5, v7
	v_or_b32_e32 v2, 1, v2
	v_cvt_i32_f32_e32 v3, v3
	s_delay_alu instid0(VALU_DEP_3) | instskip(NEXT) | instid1(VALU_DEP_3)
	v_cmp_ge_f32_e64 vcc_lo, |v6|, |v5|
	v_cndmask_b32_e32 v2, 0, v2, vcc_lo
	s_delay_alu instid0(VALU_DEP_1) | instskip(NEXT) | instid1(VALU_DEP_1)
	v_add_nc_u32_e32 v2, v3, v2
	v_bfe_i32 v2, v2, 0, 8
	s_delay_alu instid0(VALU_DEP_1) | instskip(NEXT) | instid1(VALU_DEP_1)
	v_mul_i32_i24_e32 v1, v2, v1
	v_sub_nc_u32_e32 v2, 0, v1
	s_delay_alu instid0(VALU_DEP_1)
	v_max_i32_e32 v5, v1, v2
.LBB53_134:
	s_or_b32 exec_lo, exec_lo, s16
	v_add_nc_u32_e32 v0, 0x80, v0
	global_store_b8 v4, v5, s[0:1]
	s_wait_xcnt 0x0
	s_or_b32 exec_lo, exec_lo, s5
	s_delay_alu instid0(SALU_CYCLE_1)
	s_mov_b32 s5, exec_lo
	v_cmpx_gt_i32_e64 s33, v0
	s_cbranch_execz .LBB53_153
.LBB53_135:
	s_and_not1_b32 vcc_lo, exec_lo, s28
	s_cbranch_vccnz .LBB53_141
; %bb.136:
	s_and_not1_b32 vcc_lo, exec_lo, s34
	s_cbranch_vccnz .LBB53_142
; %bb.137:
	v_dual_mov_b32 v4, 0 :: v_dual_mov_b32 v1, v0
	v_dual_mov_b32 v5, 0 :: v_dual_mov_b32 v6, 0
	s_add_co_i32 s16, s31, 1
	s_mov_b64 s[24:25], 0xffffffffffffffe8
	s_and_b32 s16, s16, 30
	s_add_nc_u64 s[24:25], s[12:13], s[24:25]
.LBB53_138:                             ; =>This Inner Loop Header: Depth=1
	s_clause 0x1
	s_load_b128 s[36:39], s[24:25], 0x1c
	s_load_b64 s[34:35], s[24:25], 0x2c
	s_add_co_i32 s16, s16, -2
	s_delay_alu instid0(SALU_CYCLE_1) | instskip(SKIP_2) | instid1(VALU_DEP_1)
	s_cmp_eq_u32 s16, 0
	s_wait_kmcnt 0x0
	v_mul_hi_u32 v2, s37, v1
	v_add_nc_u32_e32 v2, v1, v2
	s_delay_alu instid0(VALU_DEP_1) | instskip(NEXT) | instid1(VALU_DEP_1)
	v_lshrrev_b32_e32 v2, s38, v2
	v_mul_hi_u32 v3, s34, v2
	v_mul_lo_u32 v7, v2, s36
	s_clause 0x1
	s_load_b128 s[40:43], s[24:25], 0xdc
	s_load_b64 s[36:37], s[24:25], 0xec
	s_wait_xcnt 0x0
	s_add_nc_u64 s[24:25], s[24:25], 24
	s_delay_alu instid0(VALU_DEP_2) | instskip(NEXT) | instid1(VALU_DEP_2)
	v_add_nc_u32_e32 v3, v2, v3
	v_sub_nc_u32_e32 v7, v1, v7
	s_delay_alu instid0(VALU_DEP_2) | instskip(SKIP_1) | instid1(VALU_DEP_2)
	v_lshrrev_b32_e32 v1, s35, v3
	s_wait_kmcnt 0x0
	v_mad_u32 v4, v7, s40, v4
	s_delay_alu instid0(VALU_DEP_2) | instskip(SKIP_2) | instid1(VALU_DEP_3)
	v_mul_lo_u32 v3, v1, s39
	v_mad_u32 v6, v7, s42, v6
	v_mad_u32 v5, v7, s41, v5
	v_sub_nc_u32_e32 v2, v2, v3
	s_delay_alu instid0(VALU_DEP_1) | instskip(NEXT) | instid1(VALU_DEP_4)
	v_mad_u32 v4, v2, s43, v4
	v_mad_u32 v6, v2, s37, v6
	s_delay_alu instid0(VALU_DEP_4)
	v_mad_u32 v5, v2, s36, v5
	s_cbranch_scc0 .LBB53_138
; %bb.139:
	s_bitcmp1_b32 s31, 0
	s_cselect_b32 s16, -1, 0
	s_delay_alu instid0(SALU_CYCLE_1)
	s_and_b32 vcc_lo, exec_lo, s16
	s_cbranch_vccnz .LBB53_143
; %bb.140:
	s_clause 0x1
	s_load_b96 s[36:38], s[24:25], 0x1c
	s_load_b96 s[40:42], s[24:25], 0xdc
	s_wait_kmcnt 0x0
	v_mul_hi_u32 v2, s37, v1
	s_delay_alu instid0(VALU_DEP_1) | instskip(NEXT) | instid1(VALU_DEP_1)
	v_add_nc_u32_e32 v2, v1, v2
	v_lshrrev_b32_e32 v2, s38, v2
	s_delay_alu instid0(VALU_DEP_1) | instskip(NEXT) | instid1(VALU_DEP_1)
	v_mul_lo_u32 v2, v2, s36
	v_sub_nc_u32_e32 v1, v1, v2
	s_delay_alu instid0(VALU_DEP_1)
	v_mad_u32 v4, v1, s40, v4
	v_mad_u32 v5, v1, s41, v5
	;; [unrolled: 1-line block ×3, first 2 shown]
	s_branch .LBB53_143
.LBB53_141:
                                        ; implicit-def: $vgpr6
                                        ; implicit-def: $vgpr5
                                        ; implicit-def: $vgpr4
	s_branch .LBB53_144
.LBB53_142:
	v_dual_mov_b32 v6, 0 :: v_dual_mov_b32 v5, 0
	v_mov_b32_e32 v4, 0
.LBB53_143:
	s_cbranch_execnz .LBB53_146
.LBB53_144:
	v_mov_b32_e32 v1, 0
	s_and_not1_b32 vcc_lo, exec_lo, s30
	s_delay_alu instid0(VALU_DEP_1) | instskip(NEXT) | instid1(VALU_DEP_1)
	v_mul_u64_e32 v[2:3], s[20:21], v[0:1]
	v_add_nc_u32_e32 v2, v0, v3
	s_delay_alu instid0(VALU_DEP_1) | instskip(NEXT) | instid1(VALU_DEP_1)
	v_lshrrev_b32_e32 v2, s6, v2
	v_mul_lo_u32 v3, v2, s4
	s_delay_alu instid0(VALU_DEP_1) | instskip(NEXT) | instid1(VALU_DEP_1)
	v_sub_nc_u32_e32 v0, v0, v3
	v_mul_lo_u32 v4, v0, s8
	v_mul_lo_u32 v6, v0, s10
	;; [unrolled: 1-line block ×3, first 2 shown]
	s_cbranch_vccnz .LBB53_146
; %bb.145:
	v_mov_b32_e32 v3, v1
	s_delay_alu instid0(VALU_DEP_1) | instskip(NEXT) | instid1(VALU_DEP_1)
	v_mul_u64_e32 v[0:1], s[22:23], v[2:3]
	v_add_nc_u32_e32 v0, v2, v1
	s_delay_alu instid0(VALU_DEP_1) | instskip(NEXT) | instid1(VALU_DEP_1)
	v_lshrrev_b32_e32 v0, s17, v0
	v_mul_lo_u32 v0, v0, s7
	s_delay_alu instid0(VALU_DEP_1) | instskip(NEXT) | instid1(VALU_DEP_1)
	v_sub_nc_u32_e32 v0, v2, v0
	v_mad_u32 v4, v0, s11, v4
	v_mad_u32 v5, v0, s18, v5
	;; [unrolled: 1-line block ×3, first 2 shown]
.LBB53_146:
	global_load_i8 v0, v6, s[14:15]
	global_load_u8 v1, v5, s[2:3]
	s_wait_xcnt 0x0
	s_mov_b32 s3, 0
	s_wait_loadcnt 0x1
	v_sub_nc_u16 v2, 0, v0
	s_wait_loadcnt 0x0
	v_cmp_ne_u16_e32 vcc_lo, 0, v1
	v_bfe_i32 v1, v1, 0, 8
	s_delay_alu instid0(VALU_DEP_3)
	v_max_i16 v2, v0, v2
	s_and_saveexec_b32 s2, vcc_lo
	s_cbranch_execz .LBB53_150
; %bb.147:
	s_delay_alu instid0(VALU_DEP_2) | instskip(NEXT) | instid1(VALU_DEP_1)
	v_sub_nc_u16 v3, 0, v1
	v_max_i16 v5, v1, v3
	v_and_b32_e32 v3, 0xff, v2
	s_delay_alu instid0(VALU_DEP_2)
	v_and_b32_e32 v5, 0xffff, v5
.LBB53_148:                             ; =>This Inner Loop Header: Depth=1
	s_delay_alu instid0(VALU_DEP_2) | instskip(NEXT) | instid1(VALU_DEP_2)
	v_bfe_i32 v7, v3, 0, 8
	v_mov_b32_e32 v2, v5
	s_delay_alu instid0(VALU_DEP_2) | instskip(NEXT) | instid1(VALU_DEP_2)
	v_cvt_f32_i32_e32 v9, v7
	v_bfe_i32 v5, v2, 0, 8
	s_delay_alu instid0(VALU_DEP_1) | instskip(SKIP_1) | instid1(VALU_DEP_2)
	v_cvt_f32_i32_e32 v6, v5
	v_xor_b32_e32 v5, v7, v5
	v_rcp_iflag_f32_e32 v8, v6
	v_nop
	s_delay_alu instid0(TRANS32_DEP_1) | instskip(NEXT) | instid1(VALU_DEP_1)
	v_dual_ashrrev_i32 v5, 30, v5 :: v_dual_mul_f32 v7, v9, v8
	v_trunc_f32_e32 v7, v7
	s_delay_alu instid0(VALU_DEP_1) | instskip(SKIP_1) | instid1(VALU_DEP_2)
	v_dual_fma_f32 v8, -v7, v6, v9 :: v_dual_bitop2_b32 v5, 1, v5 bitop3:0x54
	v_cvt_i32_f32_e32 v7, v7
	v_cmp_ge_f32_e64 vcc_lo, |v8|, |v6|
	s_delay_alu instid0(VALU_DEP_3) | instskip(NEXT) | instid1(VALU_DEP_1)
	v_cndmask_b32_e32 v5, 0, v5, vcc_lo
	v_add_nc_u32_e32 v5, v7, v5
	s_delay_alu instid0(VALU_DEP_1) | instskip(NEXT) | instid1(VALU_DEP_1)
	v_mul_lo_u32 v5, v5, v2
	v_sub_nc_u32_e32 v3, v3, v5
	s_delay_alu instid0(VALU_DEP_1) | instskip(SKIP_1) | instid1(VALU_DEP_2)
	v_bfe_i32 v5, v3, 0, 8
	v_mov_b32_e32 v3, v2
	v_cmp_eq_u16_e32 vcc_lo, 0, v5
	v_and_b32_e32 v5, 0xffff, v5
	s_or_b32 s3, vcc_lo, s3
	s_delay_alu instid0(SALU_CYCLE_1)
	s_and_not1_b32 exec_lo, exec_lo, s3
	s_cbranch_execnz .LBB53_148
; %bb.149:
	s_or_b32 exec_lo, exec_lo, s3
.LBB53_150:
	s_delay_alu instid0(SALU_CYCLE_1) | instskip(NEXT) | instid1(VALU_DEP_1)
	s_or_b32 exec_lo, exec_lo, s2
	v_and_b32_e32 v5, 0xff, v2
	v_mov_b32_e32 v3, 0
	s_mov_b32 s2, exec_lo
	s_delay_alu instid0(VALU_DEP_2)
	v_cmpx_ne_u16_e32 0, v5
	s_cbranch_execz .LBB53_152
; %bb.151:
	v_bfe_i32 v2, v2, 0, 8
	v_cvt_f32_i32_e32 v6, v1
	v_bfe_i32 v0, v0, 0, 8
	s_delay_alu instid0(VALU_DEP_3) | instskip(SKIP_1) | instid1(VALU_DEP_2)
	v_cvt_f32_i32_e32 v3, v2
	v_xor_b32_e32 v1, v1, v2
	v_rcp_iflag_f32_e32 v5, v3
	v_nop
	s_delay_alu instid0(TRANS32_DEP_1) | instskip(NEXT) | instid1(VALU_DEP_1)
	v_mul_f32_e32 v5, v6, v5
	v_trunc_f32_e32 v2, v5
	s_delay_alu instid0(VALU_DEP_1) | instskip(NEXT) | instid1(VALU_DEP_1)
	v_dual_ashrrev_i32 v1, 30, v1 :: v_dual_fma_f32 v5, -v2, v3, v6
	v_or_b32_e32 v1, 1, v1
	v_cvt_i32_f32_e32 v2, v2
	s_delay_alu instid0(VALU_DEP_3) | instskip(NEXT) | instid1(VALU_DEP_3)
	v_cmp_ge_f32_e64 vcc_lo, |v5|, |v3|
	v_cndmask_b32_e32 v1, 0, v1, vcc_lo
	s_delay_alu instid0(VALU_DEP_1) | instskip(NEXT) | instid1(VALU_DEP_1)
	v_add_nc_u32_e32 v1, v2, v1
	v_bfe_i32 v1, v1, 0, 8
	s_delay_alu instid0(VALU_DEP_1) | instskip(NEXT) | instid1(VALU_DEP_1)
	v_mul_i32_i24_e32 v0, v1, v0
	v_sub_nc_u32_e32 v1, 0, v0
	s_delay_alu instid0(VALU_DEP_1)
	v_max_i32_e32 v3, v0, v1
.LBB53_152:
	s_or_b32 exec_lo, exec_lo, s2
	global_store_b8 v4, v3, s[0:1]
.LBB53_153:
	s_wait_xcnt 0x0
	s_or_b32 exec_lo, exec_lo, s5
                                        ; implicit-def: $vgpr6
                                        ; implicit-def: $vgpr0
.LBB53_154:
	s_and_not1_saveexec_b32 s0, s29
	s_cbranch_execz .LBB53_161
; %bb.155:
	v_cndmask_b32_e64 v12, 0, 1, s28
	s_and_not1_b32 vcc_lo, exec_lo, s28
	s_cbranch_vccnz .LBB53_162
; %bb.156:
	s_cmp_lg_u32 s26, 0
	s_mov_b32 s2, 0
	s_cbranch_scc0 .LBB53_166
; %bb.157:
	s_min_u32 s3, s27, 15
	v_dual_mov_b32 v1, 0 :: v_dual_mov_b32 v2, v0
	v_dual_mov_b32 v8, 0 :: v_dual_mov_b32 v7, 0
	s_add_co_i32 s4, s3, 1
	s_mov_b64 s[0:1], 0xffffffffffffffe8
	s_and_b32 s4, s4, 30
	s_add_nc_u64 s[0:1], s[12:13], s[0:1]
.LBB53_158:                             ; =>This Inner Loop Header: Depth=1
	s_clause 0x1
	s_load_b128 s[8:11], s[0:1], 0x1c
	s_load_b64 s[6:7], s[0:1], 0x2c
	s_add_co_i32 s4, s4, -2
	s_delay_alu instid0(SALU_CYCLE_1) | instskip(SKIP_2) | instid1(VALU_DEP_1)
	s_cmp_lg_u32 s4, 0
	s_wait_kmcnt 0x0
	v_mul_hi_u32 v3, s9, v2
	v_add_nc_u32_e32 v3, v2, v3
	s_delay_alu instid0(VALU_DEP_1) | instskip(NEXT) | instid1(VALU_DEP_1)
	v_lshrrev_b32_e32 v3, s10, v3
	v_mul_hi_u32 v4, s6, v3
	v_mul_lo_u32 v5, v3, s8
	s_clause 0x1
	s_load_b128 s[16:19], s[0:1], 0xdc
	s_load_b64 s[8:9], s[0:1], 0xec
	s_wait_xcnt 0x0
	s_add_nc_u64 s[0:1], s[0:1], 24
	s_delay_alu instid0(VALU_DEP_1) | instskip(NEXT) | instid1(VALU_DEP_1)
	v_dual_add_nc_u32 v4, v3, v4 :: v_dual_sub_nc_u32 v5, v2, v5
	v_lshrrev_b32_e32 v2, s7, v4
	s_wait_kmcnt 0x0
	s_delay_alu instid0(VALU_DEP_2) | instskip(NEXT) | instid1(VALU_DEP_2)
	v_mad_u32 v1, v5, s16, v1
	v_mul_lo_u32 v4, v2, s11
	v_mad_u32 v7, v5, s18, v7
	v_mad_u32 v5, v5, s17, v8
	s_delay_alu instid0(VALU_DEP_3) | instskip(NEXT) | instid1(VALU_DEP_1)
	v_sub_nc_u32_e32 v3, v3, v4
	v_mad_u32 v1, v3, s19, v1
	s_delay_alu instid0(VALU_DEP_4) | instskip(NEXT) | instid1(VALU_DEP_4)
	v_mad_u32 v7, v3, s9, v7
	v_mad_u32 v8, v3, s8, v5
	s_cbranch_scc1 .LBB53_158
; %bb.159:
	s_bitcmp1_b32 s3, 0
	s_cselect_b32 s3, -1, 0
	s_delay_alu instid0(SALU_CYCLE_1)
	s_and_b32 vcc_lo, exec_lo, s3
	s_cbranch_vccnz .LBB53_163
; %bb.160:
	s_clause 0x1
	s_load_b96 s[4:6], s[0:1], 0x1c
	s_load_b96 s[8:10], s[0:1], 0xdc
	s_wait_kmcnt 0x0
	v_mul_hi_u32 v3, s5, v2
	s_delay_alu instid0(VALU_DEP_1) | instskip(NEXT) | instid1(VALU_DEP_1)
	v_add_nc_u32_e32 v3, v2, v3
	v_lshrrev_b32_e32 v3, s6, v3
	s_delay_alu instid0(VALU_DEP_1) | instskip(NEXT) | instid1(VALU_DEP_1)
	v_mul_lo_u32 v3, v3, s4
	v_sub_nc_u32_e32 v2, v2, v3
	s_delay_alu instid0(VALU_DEP_1)
	v_mad_u32 v1, v2, s8, v1
	v_mad_u32 v8, v2, s9, v8
	;; [unrolled: 1-line block ×3, first 2 shown]
	s_and_not1_b32 vcc_lo, exec_lo, s2
	s_cbranch_vccz .LBB53_164
	s_branch .LBB53_167
.LBB53_161:
	s_endpgm
.LBB53_162:
	s_mov_b32 s2, -1
                                        ; implicit-def: $vgpr7
                                        ; implicit-def: $vgpr8
                                        ; implicit-def: $vgpr1
.LBB53_163:
	s_delay_alu instid0(SALU_CYCLE_1)
	s_and_not1_b32 vcc_lo, exec_lo, s2
	s_cbranch_vccnz .LBB53_167
.LBB53_164:
	s_clause 0x1
	s_load_b96 s[0:2], s[12:13], 0x4
	s_load_b96 s[4:6], s[12:13], 0xc4
	s_cmp_lt_u32 s26, 2
	s_wait_kmcnt 0x0
	v_mul_hi_u32 v1, s1, v0
	s_delay_alu instid0(VALU_DEP_1) | instskip(NEXT) | instid1(VALU_DEP_1)
	v_add_nc_u32_e32 v1, v0, v1
	v_lshrrev_b32_e32 v2, s2, v1
	s_delay_alu instid0(VALU_DEP_1) | instskip(NEXT) | instid1(VALU_DEP_1)
	v_mul_lo_u32 v1, v2, s0
	v_sub_nc_u32_e32 v3, v0, v1
	s_delay_alu instid0(VALU_DEP_1)
	v_mul_lo_u32 v1, v3, s4
	v_mul_lo_u32 v7, v3, s6
	;; [unrolled: 1-line block ×3, first 2 shown]
	s_cbranch_scc1 .LBB53_167
; %bb.165:
	s_clause 0x1
	s_load_b96 s[0:2], s[12:13], 0x10
	s_load_b96 s[4:6], s[12:13], 0xd0
	s_wait_kmcnt 0x0
	v_mul_hi_u32 v3, s1, v2
	s_delay_alu instid0(VALU_DEP_1) | instskip(NEXT) | instid1(VALU_DEP_1)
	v_add_nc_u32_e32 v3, v2, v3
	v_lshrrev_b32_e32 v3, s2, v3
	s_delay_alu instid0(VALU_DEP_1) | instskip(NEXT) | instid1(VALU_DEP_1)
	v_mul_lo_u32 v3, v3, s0
	v_sub_nc_u32_e32 v2, v2, v3
	s_delay_alu instid0(VALU_DEP_1)
	v_mad_u32 v1, v2, s4, v1
	v_mad_u32 v8, v2, s5, v8
	;; [unrolled: 1-line block ×3, first 2 shown]
	s_branch .LBB53_167
.LBB53_166:
	v_dual_mov_b32 v7, 0 :: v_dual_mov_b32 v8, 0
	v_mov_b32_e32 v1, 0
	s_and_not1_b32 vcc_lo, exec_lo, s2
	s_cbranch_vccz .LBB53_164
.LBB53_167:
	v_cmp_ne_u32_e32 vcc_lo, 1, v12
	v_add_nc_u32_e32 v3, 0x80, v0
	s_cbranch_vccnz .LBB53_173
; %bb.168:
	s_cmp_lg_u32 s26, 0
	s_mov_b32 s2, 0
	s_cbranch_scc0 .LBB53_177
; %bb.169:
	s_min_u32 s3, s27, 15
	v_dual_mov_b32 v2, 0 :: v_dual_mov_b32 v4, v3
	v_dual_mov_b32 v11, 0 :: v_dual_mov_b32 v10, 0
	s_add_co_i32 s4, s3, 1
	s_mov_b64 s[0:1], 0xffffffffffffffe8
	s_and_b32 s4, s4, 30
	s_add_nc_u64 s[0:1], s[12:13], s[0:1]
.LBB53_170:                             ; =>This Inner Loop Header: Depth=1
	s_clause 0x1
	s_load_b128 s[8:11], s[0:1], 0x1c
	s_load_b64 s[6:7], s[0:1], 0x2c
	s_add_co_i32 s4, s4, -2
	s_delay_alu instid0(SALU_CYCLE_1) | instskip(SKIP_2) | instid1(VALU_DEP_1)
	s_cmp_lg_u32 s4, 0
	s_wait_kmcnt 0x0
	v_mul_hi_u32 v5, s9, v4
	v_add_nc_u32_e32 v5, v4, v5
	s_delay_alu instid0(VALU_DEP_1) | instskip(NEXT) | instid1(VALU_DEP_1)
	v_lshrrev_b32_e32 v5, s10, v5
	v_mul_hi_u32 v9, s6, v5
	v_mul_lo_u32 v13, v5, s8
	s_clause 0x1
	s_load_b128 s[16:19], s[0:1], 0xdc
	s_load_b64 s[8:9], s[0:1], 0xec
	s_wait_xcnt 0x0
	s_add_nc_u64 s[0:1], s[0:1], 24
	s_delay_alu instid0(VALU_DEP_2) | instskip(NEXT) | instid1(VALU_DEP_2)
	v_add_nc_u32_e32 v9, v5, v9
	v_sub_nc_u32_e32 v13, v4, v13
	s_delay_alu instid0(VALU_DEP_2) | instskip(SKIP_1) | instid1(VALU_DEP_2)
	v_lshrrev_b32_e32 v4, s7, v9
	s_wait_kmcnt 0x0
	v_mad_u32 v2, v13, s16, v2
	s_delay_alu instid0(VALU_DEP_2) | instskip(SKIP_2) | instid1(VALU_DEP_3)
	v_mul_lo_u32 v9, v4, s11
	v_mad_u32 v10, v13, s18, v10
	v_mad_u32 v11, v13, s17, v11
	v_sub_nc_u32_e32 v5, v5, v9
	s_delay_alu instid0(VALU_DEP_1) | instskip(NEXT) | instid1(VALU_DEP_4)
	v_mad_u32 v2, v5, s19, v2
	v_mad_u32 v10, v5, s9, v10
	s_delay_alu instid0(VALU_DEP_4)
	v_mad_u32 v11, v5, s8, v11
	s_cbranch_scc1 .LBB53_170
; %bb.171:
	s_bitcmp1_b32 s3, 0
	s_cselect_b32 s3, -1, 0
	s_delay_alu instid0(SALU_CYCLE_1)
	s_and_b32 vcc_lo, exec_lo, s3
	s_cbranch_vccnz .LBB53_174
; %bb.172:
	s_clause 0x1
	s_load_b96 s[4:6], s[0:1], 0x1c
	s_load_b96 s[8:10], s[0:1], 0xdc
	s_wait_kmcnt 0x0
	v_mul_hi_u32 v5, s5, v4
	s_delay_alu instid0(VALU_DEP_1) | instskip(NEXT) | instid1(VALU_DEP_1)
	v_add_nc_u32_e32 v5, v4, v5
	v_lshrrev_b32_e32 v5, s6, v5
	s_delay_alu instid0(VALU_DEP_1) | instskip(NEXT) | instid1(VALU_DEP_1)
	v_mul_lo_u32 v5, v5, s4
	v_sub_nc_u32_e32 v4, v4, v5
	s_delay_alu instid0(VALU_DEP_1)
	v_mad_u32 v2, v4, s8, v2
	v_mad_u32 v11, v4, s9, v11
	;; [unrolled: 1-line block ×3, first 2 shown]
	s_and_not1_b32 vcc_lo, exec_lo, s2
	s_cbranch_vccz .LBB53_175
	s_branch .LBB53_178
.LBB53_173:
	s_mov_b32 s2, -1
                                        ; implicit-def: $vgpr10
                                        ; implicit-def: $vgpr11
                                        ; implicit-def: $vgpr2
.LBB53_174:
	s_delay_alu instid0(SALU_CYCLE_1)
	s_and_not1_b32 vcc_lo, exec_lo, s2
	s_cbranch_vccnz .LBB53_178
.LBB53_175:
	s_clause 0x1
	s_load_b96 s[0:2], s[12:13], 0x4
	s_load_b96 s[4:6], s[12:13], 0xc4
	s_cmp_lt_u32 s26, 2
	s_wait_kmcnt 0x0
	v_mul_hi_u32 v2, s1, v3
	s_delay_alu instid0(VALU_DEP_1) | instskip(NEXT) | instid1(VALU_DEP_1)
	v_add_nc_u32_e32 v2, v3, v2
	v_lshrrev_b32_e32 v4, s2, v2
	s_delay_alu instid0(VALU_DEP_1) | instskip(NEXT) | instid1(VALU_DEP_1)
	v_mul_lo_u32 v2, v4, s0
	v_sub_nc_u32_e32 v3, v3, v2
	s_delay_alu instid0(VALU_DEP_1)
	v_mul_lo_u32 v2, v3, s4
	v_mul_lo_u32 v10, v3, s6
	;; [unrolled: 1-line block ×3, first 2 shown]
	s_cbranch_scc1 .LBB53_178
; %bb.176:
	s_clause 0x1
	s_load_b96 s[0:2], s[12:13], 0x10
	s_load_b96 s[4:6], s[12:13], 0xd0
	s_wait_kmcnt 0x0
	v_mul_hi_u32 v3, s1, v4
	s_delay_alu instid0(VALU_DEP_1) | instskip(NEXT) | instid1(VALU_DEP_1)
	v_add_nc_u32_e32 v3, v4, v3
	v_lshrrev_b32_e32 v3, s2, v3
	s_delay_alu instid0(VALU_DEP_1) | instskip(NEXT) | instid1(VALU_DEP_1)
	v_mul_lo_u32 v3, v3, s0
	v_sub_nc_u32_e32 v3, v4, v3
	s_delay_alu instid0(VALU_DEP_1)
	v_mad_u32 v2, v3, s4, v2
	v_mad_u32 v11, v3, s5, v11
	;; [unrolled: 1-line block ×3, first 2 shown]
	s_branch .LBB53_178
.LBB53_177:
	v_dual_mov_b32 v10, 0 :: v_dual_mov_b32 v11, 0
	v_mov_b32_e32 v2, 0
	s_and_not1_b32 vcc_lo, exec_lo, s2
	s_cbranch_vccz .LBB53_175
.LBB53_178:
	v_cmp_ne_u32_e32 vcc_lo, 1, v12
	v_add_nc_u32_e32 v4, 0x100, v0
	s_cbranch_vccnz .LBB53_184
; %bb.179:
	s_cmp_lg_u32 s26, 0
	s_mov_b32 s2, 0
	s_cbranch_scc0 .LBB53_188
; %bb.180:
	s_min_u32 s3, s27, 15
	v_dual_mov_b32 v3, 0 :: v_dual_mov_b32 v5, v4
	v_dual_mov_b32 v14, 0 :: v_dual_mov_b32 v13, 0
	s_add_co_i32 s4, s3, 1
	s_mov_b64 s[0:1], 0xffffffffffffffe8
	s_and_b32 s4, s4, 30
	s_add_nc_u64 s[0:1], s[12:13], s[0:1]
.LBB53_181:                             ; =>This Inner Loop Header: Depth=1
	s_clause 0x1
	s_load_b128 s[8:11], s[0:1], 0x1c
	s_load_b64 s[6:7], s[0:1], 0x2c
	s_add_co_i32 s4, s4, -2
	s_delay_alu instid0(SALU_CYCLE_1) | instskip(SKIP_2) | instid1(VALU_DEP_1)
	s_cmp_lg_u32 s4, 0
	s_wait_kmcnt 0x0
	v_mul_hi_u32 v9, s9, v5
	v_add_nc_u32_e32 v9, v5, v9
	s_delay_alu instid0(VALU_DEP_1) | instskip(NEXT) | instid1(VALU_DEP_1)
	v_lshrrev_b32_e32 v9, s10, v9
	v_mul_hi_u32 v15, s6, v9
	v_mul_lo_u32 v16, v9, s8
	s_clause 0x1
	s_load_b128 s[16:19], s[0:1], 0xdc
	s_load_b64 s[8:9], s[0:1], 0xec
	s_wait_xcnt 0x0
	s_add_nc_u64 s[0:1], s[0:1], 24
	s_delay_alu instid0(VALU_DEP_2) | instskip(NEXT) | instid1(VALU_DEP_1)
	v_add_nc_u32_e32 v15, v9, v15
	v_dual_sub_nc_u32 v16, v5, v16 :: v_dual_lshrrev_b32 v5, s7, v15
	s_wait_kmcnt 0x0
	s_delay_alu instid0(VALU_DEP_1) | instskip(NEXT) | instid1(VALU_DEP_2)
	v_mad_u32 v3, v16, s16, v3
	v_mul_lo_u32 v15, v5, s11
	v_mad_u32 v13, v16, s18, v13
	v_mad_u32 v14, v16, s17, v14
	s_delay_alu instid0(VALU_DEP_3) | instskip(NEXT) | instid1(VALU_DEP_1)
	v_sub_nc_u32_e32 v9, v9, v15
	v_mad_u32 v3, v9, s19, v3
	s_delay_alu instid0(VALU_DEP_4) | instskip(NEXT) | instid1(VALU_DEP_4)
	v_mad_u32 v13, v9, s9, v13
	v_mad_u32 v14, v9, s8, v14
	s_cbranch_scc1 .LBB53_181
; %bb.182:
	s_bitcmp1_b32 s3, 0
	s_cselect_b32 s3, -1, 0
	s_delay_alu instid0(SALU_CYCLE_1)
	s_and_b32 vcc_lo, exec_lo, s3
	s_cbranch_vccnz .LBB53_185
; %bb.183:
	s_clause 0x1
	s_load_b96 s[4:6], s[0:1], 0x1c
	s_load_b96 s[8:10], s[0:1], 0xdc
	s_wait_kmcnt 0x0
	v_mul_hi_u32 v9, s5, v5
	s_delay_alu instid0(VALU_DEP_1) | instskip(NEXT) | instid1(VALU_DEP_1)
	v_add_nc_u32_e32 v9, v5, v9
	v_lshrrev_b32_e32 v9, s6, v9
	s_delay_alu instid0(VALU_DEP_1) | instskip(NEXT) | instid1(VALU_DEP_1)
	v_mul_lo_u32 v9, v9, s4
	v_sub_nc_u32_e32 v5, v5, v9
	s_delay_alu instid0(VALU_DEP_1)
	v_mad_u32 v3, v5, s8, v3
	v_mad_u32 v14, v5, s9, v14
	;; [unrolled: 1-line block ×3, first 2 shown]
	s_and_not1_b32 vcc_lo, exec_lo, s2
	s_cbranch_vccz .LBB53_186
	s_branch .LBB53_189
.LBB53_184:
	s_mov_b32 s2, -1
                                        ; implicit-def: $vgpr13
                                        ; implicit-def: $vgpr14
                                        ; implicit-def: $vgpr3
.LBB53_185:
	s_delay_alu instid0(SALU_CYCLE_1)
	s_and_not1_b32 vcc_lo, exec_lo, s2
	s_cbranch_vccnz .LBB53_189
.LBB53_186:
	s_clause 0x1
	s_load_b96 s[0:2], s[12:13], 0x4
	s_load_b96 s[4:6], s[12:13], 0xc4
	s_cmp_lt_u32 s26, 2
	s_wait_kmcnt 0x0
	v_mul_hi_u32 v3, s1, v4
	s_delay_alu instid0(VALU_DEP_1) | instskip(NEXT) | instid1(VALU_DEP_1)
	v_add_nc_u32_e32 v3, v4, v3
	v_lshrrev_b32_e32 v5, s2, v3
	s_delay_alu instid0(VALU_DEP_1) | instskip(NEXT) | instid1(VALU_DEP_1)
	v_mul_lo_u32 v3, v5, s0
	v_sub_nc_u32_e32 v4, v4, v3
	s_delay_alu instid0(VALU_DEP_1)
	v_mul_lo_u32 v3, v4, s4
	v_mul_lo_u32 v13, v4, s6
	;; [unrolled: 1-line block ×3, first 2 shown]
	s_cbranch_scc1 .LBB53_189
; %bb.187:
	s_clause 0x1
	s_load_b96 s[0:2], s[12:13], 0x10
	s_load_b96 s[4:6], s[12:13], 0xd0
	s_wait_kmcnt 0x0
	v_mul_hi_u32 v4, s1, v5
	s_delay_alu instid0(VALU_DEP_1) | instskip(NEXT) | instid1(VALU_DEP_1)
	v_add_nc_u32_e32 v4, v5, v4
	v_lshrrev_b32_e32 v4, s2, v4
	s_delay_alu instid0(VALU_DEP_1) | instskip(NEXT) | instid1(VALU_DEP_1)
	v_mul_lo_u32 v4, v4, s0
	v_sub_nc_u32_e32 v4, v5, v4
	s_delay_alu instid0(VALU_DEP_1)
	v_mad_u32 v3, v4, s4, v3
	v_mad_u32 v14, v4, s5, v14
	;; [unrolled: 1-line block ×3, first 2 shown]
	s_branch .LBB53_189
.LBB53_188:
	v_dual_mov_b32 v13, 0 :: v_dual_mov_b32 v14, 0
	v_mov_b32_e32 v3, 0
	s_and_not1_b32 vcc_lo, exec_lo, s2
	s_cbranch_vccz .LBB53_186
.LBB53_189:
	v_cmp_ne_u32_e32 vcc_lo, 1, v12
	v_add_nc_u32_e32 v5, 0x180, v0
	s_cbranch_vccnz .LBB53_195
; %bb.190:
	s_cmp_lg_u32 s26, 0
	s_mov_b32 s2, 0
	s_cbranch_scc0 .LBB53_199
; %bb.191:
	s_min_u32 s3, s27, 15
	v_dual_mov_b32 v4, 0 :: v_dual_mov_b32 v9, v5
	v_dual_mov_b32 v16, 0 :: v_dual_mov_b32 v15, 0
	s_add_co_i32 s4, s3, 1
	s_mov_b64 s[0:1], 0xffffffffffffffe8
	s_and_b32 s4, s4, 30
	s_add_nc_u64 s[0:1], s[12:13], s[0:1]
.LBB53_192:                             ; =>This Inner Loop Header: Depth=1
	s_clause 0x1
	s_load_b128 s[8:11], s[0:1], 0x1c
	s_load_b64 s[6:7], s[0:1], 0x2c
	s_add_co_i32 s4, s4, -2
	s_delay_alu instid0(SALU_CYCLE_1) | instskip(SKIP_2) | instid1(VALU_DEP_1)
	s_cmp_lg_u32 s4, 0
	s_wait_kmcnt 0x0
	v_mul_hi_u32 v17, s9, v9
	v_add_nc_u32_e32 v17, v9, v17
	s_delay_alu instid0(VALU_DEP_1) | instskip(NEXT) | instid1(VALU_DEP_1)
	v_lshrrev_b32_e32 v17, s10, v17
	v_mul_hi_u32 v18, s6, v17
	v_mul_lo_u32 v19, v17, s8
	s_clause 0x1
	s_load_b128 s[16:19], s[0:1], 0xdc
	s_load_b64 s[8:9], s[0:1], 0xec
	s_wait_xcnt 0x0
	s_add_nc_u64 s[0:1], s[0:1], 24
	s_delay_alu instid0(VALU_DEP_2) | instskip(NEXT) | instid1(VALU_DEP_1)
	v_add_nc_u32_e32 v18, v17, v18
	v_dual_sub_nc_u32 v19, v9, v19 :: v_dual_lshrrev_b32 v9, s7, v18
	s_wait_kmcnt 0x0
	s_delay_alu instid0(VALU_DEP_1) | instskip(NEXT) | instid1(VALU_DEP_2)
	v_mad_u32 v4, v19, s16, v4
	v_mul_lo_u32 v18, v9, s11
	v_mad_u32 v15, v19, s18, v15
	v_mad_u32 v16, v19, s17, v16
	s_delay_alu instid0(VALU_DEP_3) | instskip(NEXT) | instid1(VALU_DEP_1)
	v_sub_nc_u32_e32 v17, v17, v18
	v_mad_u32 v4, v17, s19, v4
	s_delay_alu instid0(VALU_DEP_4) | instskip(NEXT) | instid1(VALU_DEP_4)
	v_mad_u32 v15, v17, s9, v15
	v_mad_u32 v16, v17, s8, v16
	s_cbranch_scc1 .LBB53_192
; %bb.193:
	s_bitcmp1_b32 s3, 0
	s_cselect_b32 s3, -1, 0
	s_delay_alu instid0(SALU_CYCLE_1)
	s_and_b32 vcc_lo, exec_lo, s3
	s_cbranch_vccnz .LBB53_196
; %bb.194:
	s_clause 0x1
	s_load_b96 s[4:6], s[0:1], 0x1c
	s_load_b96 s[8:10], s[0:1], 0xdc
	s_wait_kmcnt 0x0
	v_mul_hi_u32 v17, s5, v9
	s_delay_alu instid0(VALU_DEP_1) | instskip(NEXT) | instid1(VALU_DEP_1)
	v_add_nc_u32_e32 v17, v9, v17
	v_lshrrev_b32_e32 v17, s6, v17
	s_delay_alu instid0(VALU_DEP_1) | instskip(NEXT) | instid1(VALU_DEP_1)
	v_mul_lo_u32 v17, v17, s4
	v_sub_nc_u32_e32 v9, v9, v17
	s_delay_alu instid0(VALU_DEP_1)
	v_mad_u32 v4, v9, s8, v4
	v_mad_u32 v16, v9, s9, v16
	;; [unrolled: 1-line block ×3, first 2 shown]
	s_and_not1_b32 vcc_lo, exec_lo, s2
	s_cbranch_vccz .LBB53_197
	s_branch .LBB53_200
.LBB53_195:
	s_mov_b32 s2, -1
                                        ; implicit-def: $vgpr15
                                        ; implicit-def: $vgpr16
                                        ; implicit-def: $vgpr4
.LBB53_196:
	s_delay_alu instid0(SALU_CYCLE_1)
	s_and_not1_b32 vcc_lo, exec_lo, s2
	s_cbranch_vccnz .LBB53_200
.LBB53_197:
	s_clause 0x1
	s_load_b96 s[0:2], s[12:13], 0x4
	s_load_b96 s[4:6], s[12:13], 0xc4
	s_cmp_lt_u32 s26, 2
	s_wait_kmcnt 0x0
	v_mul_hi_u32 v4, s1, v5
	s_delay_alu instid0(VALU_DEP_1) | instskip(NEXT) | instid1(VALU_DEP_1)
	v_add_nc_u32_e32 v4, v5, v4
	v_lshrrev_b32_e32 v9, s2, v4
	s_delay_alu instid0(VALU_DEP_1) | instskip(NEXT) | instid1(VALU_DEP_1)
	v_mul_lo_u32 v4, v9, s0
	v_sub_nc_u32_e32 v5, v5, v4
	s_delay_alu instid0(VALU_DEP_1)
	v_mul_lo_u32 v4, v5, s4
	v_mul_lo_u32 v15, v5, s6
	;; [unrolled: 1-line block ×3, first 2 shown]
	s_cbranch_scc1 .LBB53_200
; %bb.198:
	s_clause 0x1
	s_load_b96 s[0:2], s[12:13], 0x10
	s_load_b96 s[4:6], s[12:13], 0xd0
	s_wait_kmcnt 0x0
	v_mul_hi_u32 v5, s1, v9
	s_delay_alu instid0(VALU_DEP_1) | instskip(NEXT) | instid1(VALU_DEP_1)
	v_add_nc_u32_e32 v5, v9, v5
	v_lshrrev_b32_e32 v5, s2, v5
	s_delay_alu instid0(VALU_DEP_1) | instskip(NEXT) | instid1(VALU_DEP_1)
	v_mul_lo_u32 v5, v5, s0
	v_sub_nc_u32_e32 v5, v9, v5
	s_delay_alu instid0(VALU_DEP_1)
	v_mad_u32 v4, v5, s4, v4
	v_mad_u32 v16, v5, s5, v16
	;; [unrolled: 1-line block ×3, first 2 shown]
	s_branch .LBB53_200
.LBB53_199:
	v_dual_mov_b32 v15, 0 :: v_dual_mov_b32 v16, 0
	v_mov_b32_e32 v4, 0
	s_and_not1_b32 vcc_lo, exec_lo, s2
	s_cbranch_vccz .LBB53_197
.LBB53_200:
	v_cmp_ne_u32_e32 vcc_lo, 1, v12
	v_add_nc_u32_e32 v9, 0x200, v0
	s_cbranch_vccnz .LBB53_206
; %bb.201:
	s_cmp_lg_u32 s26, 0
	s_mov_b32 s2, 0
	s_cbranch_scc0 .LBB53_210
; %bb.202:
	s_min_u32 s3, s27, 15
	v_dual_mov_b32 v5, 0 :: v_dual_mov_b32 v19, v9
	v_dual_mov_b32 v18, 0 :: v_dual_mov_b32 v17, 0
	s_add_co_i32 s4, s3, 1
	s_mov_b64 s[0:1], 0xffffffffffffffe8
	s_and_b32 s4, s4, 30
	s_add_nc_u64 s[0:1], s[12:13], s[0:1]
.LBB53_203:                             ; =>This Inner Loop Header: Depth=1
	s_clause 0x1
	s_load_b128 s[8:11], s[0:1], 0x1c
	s_load_b64 s[6:7], s[0:1], 0x2c
	s_add_co_i32 s4, s4, -2
	s_delay_alu instid0(SALU_CYCLE_1) | instskip(SKIP_2) | instid1(VALU_DEP_1)
	s_cmp_lg_u32 s4, 0
	s_wait_kmcnt 0x0
	v_mul_hi_u32 v20, s9, v19
	v_add_nc_u32_e32 v20, v19, v20
	s_delay_alu instid0(VALU_DEP_1) | instskip(NEXT) | instid1(VALU_DEP_1)
	v_lshrrev_b32_e32 v20, s10, v20
	v_mul_hi_u32 v21, s6, v20
	v_mul_lo_u32 v22, v20, s8
	s_clause 0x1
	s_load_b128 s[16:19], s[0:1], 0xdc
	s_load_b64 s[8:9], s[0:1], 0xec
	s_wait_xcnt 0x0
	s_add_nc_u64 s[0:1], s[0:1], 24
	s_delay_alu instid0(VALU_DEP_1) | instskip(NEXT) | instid1(VALU_DEP_1)
	v_dual_add_nc_u32 v21, v20, v21 :: v_dual_sub_nc_u32 v22, v19, v22
	v_lshrrev_b32_e32 v19, s7, v21
	s_wait_kmcnt 0x0
	s_delay_alu instid0(VALU_DEP_2) | instskip(NEXT) | instid1(VALU_DEP_2)
	v_mad_u32 v5, v22, s16, v5
	v_mul_lo_u32 v21, v19, s11
	v_mad_u32 v17, v22, s18, v17
	v_mad_u32 v18, v22, s17, v18
	s_delay_alu instid0(VALU_DEP_3) | instskip(NEXT) | instid1(VALU_DEP_1)
	v_sub_nc_u32_e32 v20, v20, v21
	v_mad_u32 v5, v20, s19, v5
	s_delay_alu instid0(VALU_DEP_4) | instskip(NEXT) | instid1(VALU_DEP_4)
	v_mad_u32 v17, v20, s9, v17
	v_mad_u32 v18, v20, s8, v18
	s_cbranch_scc1 .LBB53_203
; %bb.204:
	s_bitcmp1_b32 s3, 0
	s_cselect_b32 s3, -1, 0
	s_delay_alu instid0(SALU_CYCLE_1)
	s_and_b32 vcc_lo, exec_lo, s3
	s_cbranch_vccnz .LBB53_207
; %bb.205:
	s_clause 0x1
	s_load_b96 s[4:6], s[0:1], 0x1c
	s_load_b96 s[8:10], s[0:1], 0xdc
	s_wait_kmcnt 0x0
	v_mul_hi_u32 v20, s5, v19
	s_delay_alu instid0(VALU_DEP_1) | instskip(NEXT) | instid1(VALU_DEP_1)
	v_add_nc_u32_e32 v20, v19, v20
	v_lshrrev_b32_e32 v20, s6, v20
	s_delay_alu instid0(VALU_DEP_1) | instskip(NEXT) | instid1(VALU_DEP_1)
	v_mul_lo_u32 v20, v20, s4
	v_sub_nc_u32_e32 v19, v19, v20
	s_delay_alu instid0(VALU_DEP_1)
	v_mad_u32 v5, v19, s8, v5
	v_mad_u32 v18, v19, s9, v18
	;; [unrolled: 1-line block ×3, first 2 shown]
	s_and_not1_b32 vcc_lo, exec_lo, s2
	s_cbranch_vccz .LBB53_208
	s_branch .LBB53_211
.LBB53_206:
	s_mov_b32 s2, -1
                                        ; implicit-def: $vgpr17
                                        ; implicit-def: $vgpr18
                                        ; implicit-def: $vgpr5
.LBB53_207:
	s_delay_alu instid0(SALU_CYCLE_1)
	s_and_not1_b32 vcc_lo, exec_lo, s2
	s_cbranch_vccnz .LBB53_211
.LBB53_208:
	s_clause 0x1
	s_load_b96 s[0:2], s[12:13], 0x4
	s_load_b96 s[4:6], s[12:13], 0xc4
	s_cmp_lt_u32 s26, 2
	s_wait_kmcnt 0x0
	v_mul_hi_u32 v5, s1, v9
	s_delay_alu instid0(VALU_DEP_1) | instskip(NEXT) | instid1(VALU_DEP_1)
	v_add_nc_u32_e32 v5, v9, v5
	v_lshrrev_b32_e32 v19, s2, v5
	s_delay_alu instid0(VALU_DEP_1) | instskip(NEXT) | instid1(VALU_DEP_1)
	v_mul_lo_u32 v5, v19, s0
	v_sub_nc_u32_e32 v9, v9, v5
	s_delay_alu instid0(VALU_DEP_1)
	v_mul_lo_u32 v5, v9, s4
	v_mul_lo_u32 v17, v9, s6
	;; [unrolled: 1-line block ×3, first 2 shown]
	s_cbranch_scc1 .LBB53_211
; %bb.209:
	s_clause 0x1
	s_load_b96 s[0:2], s[12:13], 0x10
	s_load_b96 s[4:6], s[12:13], 0xd0
	s_wait_kmcnt 0x0
	v_mul_hi_u32 v9, s1, v19
	s_delay_alu instid0(VALU_DEP_1) | instskip(NEXT) | instid1(VALU_DEP_1)
	v_add_nc_u32_e32 v9, v19, v9
	v_lshrrev_b32_e32 v9, s2, v9
	s_delay_alu instid0(VALU_DEP_1) | instskip(NEXT) | instid1(VALU_DEP_1)
	v_mul_lo_u32 v9, v9, s0
	v_sub_nc_u32_e32 v9, v19, v9
	s_delay_alu instid0(VALU_DEP_1)
	v_mad_u32 v5, v9, s4, v5
	v_mad_u32 v18, v9, s5, v18
	;; [unrolled: 1-line block ×3, first 2 shown]
	s_branch .LBB53_211
.LBB53_210:
	v_dual_mov_b32 v17, 0 :: v_dual_mov_b32 v18, 0
	v_mov_b32_e32 v5, 0
	s_and_not1_b32 vcc_lo, exec_lo, s2
	s_cbranch_vccz .LBB53_208
.LBB53_211:
	v_cmp_ne_u32_e32 vcc_lo, 1, v12
	v_add_nc_u32_e32 v21, 0x280, v0
	s_cbranch_vccnz .LBB53_217
; %bb.212:
	s_cmp_lg_u32 s26, 0
	s_mov_b32 s2, 0
	s_cbranch_scc0 .LBB53_221
; %bb.213:
	s_min_u32 s3, s27, 15
	v_dual_mov_b32 v9, 0 :: v_dual_mov_b32 v22, v21
	v_dual_mov_b32 v20, 0 :: v_dual_mov_b32 v19, 0
	s_add_co_i32 s4, s3, 1
	s_mov_b64 s[0:1], 0xffffffffffffffe8
	s_and_b32 s4, s4, 30
	s_add_nc_u64 s[0:1], s[12:13], s[0:1]
.LBB53_214:                             ; =>This Inner Loop Header: Depth=1
	s_clause 0x1
	s_load_b128 s[8:11], s[0:1], 0x1c
	s_load_b64 s[6:7], s[0:1], 0x2c
	s_add_co_i32 s4, s4, -2
	s_delay_alu instid0(SALU_CYCLE_1) | instskip(SKIP_2) | instid1(VALU_DEP_1)
	s_cmp_lg_u32 s4, 0
	s_wait_kmcnt 0x0
	v_mul_hi_u32 v23, s9, v22
	v_add_nc_u32_e32 v23, v22, v23
	s_delay_alu instid0(VALU_DEP_1) | instskip(NEXT) | instid1(VALU_DEP_1)
	v_lshrrev_b32_e32 v23, s10, v23
	v_mul_hi_u32 v24, s6, v23
	v_mul_lo_u32 v25, v23, s8
	s_clause 0x1
	s_load_b128 s[16:19], s[0:1], 0xdc
	s_load_b64 s[8:9], s[0:1], 0xec
	s_wait_xcnt 0x0
	s_add_nc_u64 s[0:1], s[0:1], 24
	s_delay_alu instid0(VALU_DEP_1) | instskip(NEXT) | instid1(VALU_DEP_1)
	v_dual_add_nc_u32 v24, v23, v24 :: v_dual_sub_nc_u32 v25, v22, v25
	v_lshrrev_b32_e32 v22, s7, v24
	s_wait_kmcnt 0x0
	s_delay_alu instid0(VALU_DEP_2) | instskip(NEXT) | instid1(VALU_DEP_2)
	v_mad_u32 v9, v25, s16, v9
	v_mul_lo_u32 v24, v22, s11
	v_mad_u32 v19, v25, s18, v19
	v_mad_u32 v20, v25, s17, v20
	s_delay_alu instid0(VALU_DEP_3) | instskip(NEXT) | instid1(VALU_DEP_1)
	v_sub_nc_u32_e32 v23, v23, v24
	v_mad_u32 v9, v23, s19, v9
	s_delay_alu instid0(VALU_DEP_4) | instskip(NEXT) | instid1(VALU_DEP_4)
	v_mad_u32 v19, v23, s9, v19
	v_mad_u32 v20, v23, s8, v20
	s_cbranch_scc1 .LBB53_214
; %bb.215:
	s_bitcmp1_b32 s3, 0
	s_cselect_b32 s3, -1, 0
	s_delay_alu instid0(SALU_CYCLE_1)
	s_and_b32 vcc_lo, exec_lo, s3
	s_cbranch_vccnz .LBB53_218
; %bb.216:
	s_clause 0x1
	s_load_b96 s[4:6], s[0:1], 0x1c
	s_load_b96 s[8:10], s[0:1], 0xdc
	s_wait_kmcnt 0x0
	v_mul_hi_u32 v23, s5, v22
	s_delay_alu instid0(VALU_DEP_1) | instskip(NEXT) | instid1(VALU_DEP_1)
	v_add_nc_u32_e32 v23, v22, v23
	v_lshrrev_b32_e32 v23, s6, v23
	s_delay_alu instid0(VALU_DEP_1) | instskip(NEXT) | instid1(VALU_DEP_1)
	v_mul_lo_u32 v23, v23, s4
	v_sub_nc_u32_e32 v22, v22, v23
	s_delay_alu instid0(VALU_DEP_1)
	v_mad_u32 v9, v22, s8, v9
	v_mad_u32 v20, v22, s9, v20
	v_mad_u32 v19, v22, s10, v19
	s_and_not1_b32 vcc_lo, exec_lo, s2
	s_cbranch_vccz .LBB53_219
	s_branch .LBB53_222
.LBB53_217:
	s_mov_b32 s2, -1
                                        ; implicit-def: $vgpr19
                                        ; implicit-def: $vgpr20
                                        ; implicit-def: $vgpr9
.LBB53_218:
	s_delay_alu instid0(SALU_CYCLE_1)
	s_and_not1_b32 vcc_lo, exec_lo, s2
	s_cbranch_vccnz .LBB53_222
.LBB53_219:
	s_clause 0x1
	s_load_b96 s[0:2], s[12:13], 0x4
	s_load_b96 s[4:6], s[12:13], 0xc4
	s_cmp_lt_u32 s26, 2
	s_wait_kmcnt 0x0
	v_mul_hi_u32 v9, s1, v21
	s_delay_alu instid0(VALU_DEP_1) | instskip(NEXT) | instid1(VALU_DEP_1)
	v_add_nc_u32_e32 v9, v21, v9
	v_lshrrev_b32_e32 v22, s2, v9
	s_delay_alu instid0(VALU_DEP_1) | instskip(NEXT) | instid1(VALU_DEP_1)
	v_mul_lo_u32 v9, v22, s0
	v_sub_nc_u32_e32 v20, v21, v9
	s_delay_alu instid0(VALU_DEP_1)
	v_mul_lo_u32 v9, v20, s4
	v_mul_lo_u32 v19, v20, s6
	v_mul_lo_u32 v20, v20, s5
	s_cbranch_scc1 .LBB53_222
; %bb.220:
	s_clause 0x1
	s_load_b96 s[0:2], s[12:13], 0x10
	s_load_b96 s[4:6], s[12:13], 0xd0
	s_wait_kmcnt 0x0
	v_mul_hi_u32 v21, s1, v22
	s_delay_alu instid0(VALU_DEP_1) | instskip(NEXT) | instid1(VALU_DEP_1)
	v_add_nc_u32_e32 v21, v22, v21
	v_lshrrev_b32_e32 v21, s2, v21
	s_delay_alu instid0(VALU_DEP_1) | instskip(NEXT) | instid1(VALU_DEP_1)
	v_mul_lo_u32 v21, v21, s0
	v_sub_nc_u32_e32 v21, v22, v21
	s_delay_alu instid0(VALU_DEP_1)
	v_mad_u32 v9, v21, s4, v9
	v_mad_u32 v20, v21, s5, v20
	;; [unrolled: 1-line block ×3, first 2 shown]
	s_branch .LBB53_222
.LBB53_221:
	v_dual_mov_b32 v19, 0 :: v_dual_mov_b32 v20, 0
	v_mov_b32_e32 v9, 0
	s_and_not1_b32 vcc_lo, exec_lo, s2
	s_cbranch_vccz .LBB53_219
.LBB53_222:
	v_cmp_ne_u32_e32 vcc_lo, 1, v12
	v_add_nc_u32_e32 v23, 0x300, v0
	s_cbranch_vccnz .LBB53_228
; %bb.223:
	s_cmp_lg_u32 s26, 0
	s_mov_b32 s2, 0
	s_cbranch_scc0 .LBB53_232
; %bb.224:
	s_min_u32 s3, s27, 15
	v_dual_mov_b32 v0, 0 :: v_dual_mov_b32 v24, v23
	v_dual_mov_b32 v22, 0 :: v_dual_mov_b32 v21, 0
	s_add_co_i32 s4, s3, 1
	s_mov_b64 s[0:1], 0xffffffffffffffe8
	s_and_b32 s4, s4, 30
	s_add_nc_u64 s[0:1], s[12:13], s[0:1]
.LBB53_225:                             ; =>This Inner Loop Header: Depth=1
	s_clause 0x1
	s_load_b128 s[8:11], s[0:1], 0x1c
	s_load_b64 s[6:7], s[0:1], 0x2c
	s_add_co_i32 s4, s4, -2
	s_delay_alu instid0(SALU_CYCLE_1) | instskip(SKIP_2) | instid1(VALU_DEP_1)
	s_cmp_lg_u32 s4, 0
	s_wait_kmcnt 0x0
	v_mul_hi_u32 v25, s9, v24
	v_add_nc_u32_e32 v25, v24, v25
	s_delay_alu instid0(VALU_DEP_1) | instskip(NEXT) | instid1(VALU_DEP_1)
	v_lshrrev_b32_e32 v25, s10, v25
	v_mul_hi_u32 v26, s6, v25
	v_mul_lo_u32 v27, v25, s8
	s_clause 0x1
	s_load_b128 s[16:19], s[0:1], 0xdc
	s_load_b64 s[8:9], s[0:1], 0xec
	s_wait_xcnt 0x0
	s_add_nc_u64 s[0:1], s[0:1], 24
	s_delay_alu instid0(VALU_DEP_1) | instskip(NEXT) | instid1(VALU_DEP_1)
	v_dual_add_nc_u32 v26, v25, v26 :: v_dual_sub_nc_u32 v27, v24, v27
	v_lshrrev_b32_e32 v24, s7, v26
	s_wait_kmcnt 0x0
	s_delay_alu instid0(VALU_DEP_2) | instskip(NEXT) | instid1(VALU_DEP_2)
	v_mad_u32 v0, v27, s16, v0
	v_mul_lo_u32 v26, v24, s11
	v_mad_u32 v21, v27, s18, v21
	v_mad_u32 v22, v27, s17, v22
	s_delay_alu instid0(VALU_DEP_3) | instskip(NEXT) | instid1(VALU_DEP_1)
	v_sub_nc_u32_e32 v25, v25, v26
	v_mad_u32 v0, v25, s19, v0
	s_delay_alu instid0(VALU_DEP_4) | instskip(NEXT) | instid1(VALU_DEP_4)
	v_mad_u32 v21, v25, s9, v21
	v_mad_u32 v22, v25, s8, v22
	s_cbranch_scc1 .LBB53_225
; %bb.226:
	s_bitcmp1_b32 s3, 0
	s_cselect_b32 s3, -1, 0
	s_delay_alu instid0(SALU_CYCLE_1)
	s_and_b32 vcc_lo, exec_lo, s3
	s_cbranch_vccnz .LBB53_229
; %bb.227:
	s_clause 0x1
	s_load_b96 s[4:6], s[0:1], 0x1c
	s_load_b96 s[8:10], s[0:1], 0xdc
	s_wait_kmcnt 0x0
	v_mul_hi_u32 v25, s5, v24
	s_delay_alu instid0(VALU_DEP_1) | instskip(NEXT) | instid1(VALU_DEP_1)
	v_add_nc_u32_e32 v25, v24, v25
	v_lshrrev_b32_e32 v25, s6, v25
	s_delay_alu instid0(VALU_DEP_1) | instskip(NEXT) | instid1(VALU_DEP_1)
	v_mul_lo_u32 v25, v25, s4
	v_sub_nc_u32_e32 v24, v24, v25
	s_delay_alu instid0(VALU_DEP_1)
	v_mad_u32 v0, v24, s8, v0
	v_mad_u32 v22, v24, s9, v22
	;; [unrolled: 1-line block ×3, first 2 shown]
	s_and_not1_b32 vcc_lo, exec_lo, s2
	s_cbranch_vccz .LBB53_230
	s_branch .LBB53_233
.LBB53_228:
	s_mov_b32 s2, -1
                                        ; implicit-def: $vgpr21
                                        ; implicit-def: $vgpr22
                                        ; implicit-def: $vgpr0
.LBB53_229:
	s_delay_alu instid0(SALU_CYCLE_1)
	s_and_not1_b32 vcc_lo, exec_lo, s2
	s_cbranch_vccnz .LBB53_233
.LBB53_230:
	s_clause 0x1
	s_load_b96 s[0:2], s[12:13], 0x4
	s_load_b96 s[4:6], s[12:13], 0xc4
	s_cmp_lt_u32 s26, 2
	s_wait_kmcnt 0x0
	v_mul_hi_u32 v0, s1, v23
	s_delay_alu instid0(VALU_DEP_1) | instskip(NEXT) | instid1(VALU_DEP_1)
	v_add_nc_u32_e32 v0, v23, v0
	v_lshrrev_b32_e32 v24, s2, v0
	s_delay_alu instid0(VALU_DEP_1) | instskip(NEXT) | instid1(VALU_DEP_1)
	v_mul_lo_u32 v0, v24, s0
	v_sub_nc_u32_e32 v22, v23, v0
	s_delay_alu instid0(VALU_DEP_1)
	v_mul_lo_u32 v0, v22, s4
	v_mul_lo_u32 v21, v22, s6
	;; [unrolled: 1-line block ×3, first 2 shown]
	s_cbranch_scc1 .LBB53_233
; %bb.231:
	s_clause 0x1
	s_load_b96 s[0:2], s[12:13], 0x10
	s_load_b96 s[4:6], s[12:13], 0xd0
	s_wait_kmcnt 0x0
	v_mul_hi_u32 v23, s1, v24
	s_delay_alu instid0(VALU_DEP_1) | instskip(NEXT) | instid1(VALU_DEP_1)
	v_add_nc_u32_e32 v23, v24, v23
	v_lshrrev_b32_e32 v23, s2, v23
	s_delay_alu instid0(VALU_DEP_1) | instskip(NEXT) | instid1(VALU_DEP_1)
	v_mul_lo_u32 v23, v23, s0
	v_sub_nc_u32_e32 v23, v24, v23
	s_delay_alu instid0(VALU_DEP_1)
	v_mad_u32 v0, v23, s4, v0
	v_mad_u32 v22, v23, s5, v22
	;; [unrolled: 1-line block ×3, first 2 shown]
	s_branch .LBB53_233
.LBB53_232:
	v_dual_mov_b32 v21, 0 :: v_dual_mov_b32 v22, 0
	v_mov_b32_e32 v0, 0
	s_and_not1_b32 vcc_lo, exec_lo, s2
	s_cbranch_vccz .LBB53_230
.LBB53_233:
	v_cmp_ne_u32_e32 vcc_lo, 1, v12
	s_cbranch_vccnz .LBB53_239
; %bb.234:
	s_cmp_lg_u32 s26, 0
	s_mov_b32 s2, 0
	s_cbranch_scc0 .LBB53_243
; %bb.235:
	s_min_u32 s3, s27, 15
	v_dual_mov_b32 v12, 0 :: v_dual_mov_b32 v25, v6
	v_dual_mov_b32 v24, 0 :: v_dual_mov_b32 v23, 0
	s_add_co_i32 s4, s3, 1
	s_mov_b64 s[0:1], 0xffffffffffffffe8
	s_and_b32 s4, s4, 30
	s_add_nc_u64 s[0:1], s[12:13], s[0:1]
.LBB53_236:                             ; =>This Inner Loop Header: Depth=1
	s_clause 0x1
	s_load_b128 s[8:11], s[0:1], 0x1c
	s_load_b64 s[6:7], s[0:1], 0x2c
	s_add_co_i32 s4, s4, -2
	s_delay_alu instid0(SALU_CYCLE_1) | instskip(SKIP_2) | instid1(VALU_DEP_1)
	s_cmp_lg_u32 s4, 0
	s_wait_kmcnt 0x0
	v_mul_hi_u32 v26, s9, v25
	v_add_nc_u32_e32 v26, v25, v26
	s_delay_alu instid0(VALU_DEP_1) | instskip(NEXT) | instid1(VALU_DEP_1)
	v_lshrrev_b32_e32 v26, s10, v26
	v_mul_hi_u32 v27, s6, v26
	v_mul_lo_u32 v28, v26, s8
	s_clause 0x1
	s_load_b128 s[16:19], s[0:1], 0xdc
	s_load_b64 s[8:9], s[0:1], 0xec
	s_wait_xcnt 0x0
	s_add_nc_u64 s[0:1], s[0:1], 24
	s_delay_alu instid0(VALU_DEP_1) | instskip(NEXT) | instid1(VALU_DEP_1)
	v_dual_add_nc_u32 v27, v26, v27 :: v_dual_sub_nc_u32 v28, v25, v28
	v_lshrrev_b32_e32 v25, s7, v27
	s_wait_kmcnt 0x0
	s_delay_alu instid0(VALU_DEP_2) | instskip(NEXT) | instid1(VALU_DEP_2)
	v_mad_u32 v12, v28, s16, v12
	v_mul_lo_u32 v27, v25, s11
	v_mad_u32 v23, v28, s18, v23
	v_mad_u32 v24, v28, s17, v24
	s_delay_alu instid0(VALU_DEP_3) | instskip(NEXT) | instid1(VALU_DEP_1)
	v_sub_nc_u32_e32 v26, v26, v27
	v_mad_u32 v12, v26, s19, v12
	s_delay_alu instid0(VALU_DEP_4) | instskip(NEXT) | instid1(VALU_DEP_4)
	v_mad_u32 v23, v26, s9, v23
	v_mad_u32 v24, v26, s8, v24
	s_cbranch_scc1 .LBB53_236
; %bb.237:
	s_bitcmp1_b32 s3, 0
	s_cselect_b32 s3, -1, 0
	s_delay_alu instid0(SALU_CYCLE_1)
	s_and_b32 vcc_lo, exec_lo, s3
	s_cbranch_vccnz .LBB53_240
; %bb.238:
	s_clause 0x1
	s_load_b96 s[4:6], s[0:1], 0x1c
	s_load_b96 s[8:10], s[0:1], 0xdc
	s_wait_kmcnt 0x0
	v_mul_hi_u32 v26, s5, v25
	s_delay_alu instid0(VALU_DEP_1) | instskip(NEXT) | instid1(VALU_DEP_1)
	v_add_nc_u32_e32 v26, v25, v26
	v_lshrrev_b32_e32 v26, s6, v26
	s_delay_alu instid0(VALU_DEP_1) | instskip(NEXT) | instid1(VALU_DEP_1)
	v_mul_lo_u32 v26, v26, s4
	v_sub_nc_u32_e32 v25, v25, v26
	s_delay_alu instid0(VALU_DEP_1)
	v_mad_u32 v12, v25, s8, v12
	v_mad_u32 v24, v25, s9, v24
	;; [unrolled: 1-line block ×3, first 2 shown]
	s_and_not1_b32 vcc_lo, exec_lo, s2
	s_cbranch_vccz .LBB53_241
	s_branch .LBB53_244
.LBB53_239:
	s_mov_b32 s2, -1
                                        ; implicit-def: $vgpr23
                                        ; implicit-def: $vgpr24
                                        ; implicit-def: $vgpr12
.LBB53_240:
	s_delay_alu instid0(SALU_CYCLE_1)
	s_and_not1_b32 vcc_lo, exec_lo, s2
	s_cbranch_vccnz .LBB53_244
.LBB53_241:
	s_clause 0x1
	s_load_b96 s[0:2], s[12:13], 0x4
	s_load_b96 s[4:6], s[12:13], 0xc4
	s_cmp_lt_u32 s26, 2
	s_wait_kmcnt 0x0
	v_mul_hi_u32 v12, s1, v6
	s_delay_alu instid0(VALU_DEP_1) | instskip(NEXT) | instid1(VALU_DEP_1)
	v_add_nc_u32_e32 v12, v6, v12
	v_lshrrev_b32_e32 v25, s2, v12
	s_delay_alu instid0(VALU_DEP_1) | instskip(NEXT) | instid1(VALU_DEP_1)
	v_mul_lo_u32 v12, v25, s0
	v_sub_nc_u32_e32 v6, v6, v12
	s_delay_alu instid0(VALU_DEP_1)
	v_mul_lo_u32 v12, v6, s4
	v_mul_lo_u32 v23, v6, s6
	;; [unrolled: 1-line block ×3, first 2 shown]
	s_cbranch_scc1 .LBB53_244
; %bb.242:
	s_clause 0x1
	s_load_b96 s[0:2], s[12:13], 0x10
	s_load_b96 s[4:6], s[12:13], 0xd0
	s_wait_kmcnt 0x0
	v_mul_hi_u32 v6, s1, v25
	s_delay_alu instid0(VALU_DEP_1) | instskip(NEXT) | instid1(VALU_DEP_1)
	v_add_nc_u32_e32 v6, v25, v6
	v_lshrrev_b32_e32 v6, s2, v6
	s_delay_alu instid0(VALU_DEP_1) | instskip(NEXT) | instid1(VALU_DEP_1)
	v_mul_lo_u32 v6, v6, s0
	v_sub_nc_u32_e32 v6, v25, v6
	s_delay_alu instid0(VALU_DEP_1)
	v_mad_u32 v12, v6, s4, v12
	v_mad_u32 v24, v6, s5, v24
	;; [unrolled: 1-line block ×3, first 2 shown]
	s_branch .LBB53_244
.LBB53_243:
	v_dual_mov_b32 v23, 0 :: v_dual_mov_b32 v24, 0
	v_mov_b32_e32 v12, 0
	s_and_not1_b32 vcc_lo, exec_lo, s2
	s_cbranch_vccz .LBB53_241
.LBB53_244:
	s_clause 0x1
	s_load_b64 s[4:5], s[12:13], 0x198
	s_load_b128 s[0:3], s[12:13], 0x188
	s_mov_b32 s7, 0
	s_mov_b32 s6, exec_lo
	s_wait_kmcnt 0x0
	global_load_i8 v25, v7, s[4:5]
	global_load_u8 v6, v8, s[2:3]
	s_wait_loadcnt 0x1
	s_wait_xcnt 0x1
	v_sub_nc_u16 v7, 0, v25
	s_wait_xcnt 0x0
	s_delay_alu instid0(VALU_DEP_1)
	v_max_i16 v8, v25, v7
	s_wait_loadcnt 0x0
	v_bfe_i32 v7, v6, 0, 8
	v_cmpx_ne_u16_e32 0, v6
	s_cbranch_execz .LBB53_248
; %bb.245:
	s_delay_alu instid0(VALU_DEP_2) | instskip(NEXT) | instid1(VALU_DEP_1)
	v_sub_nc_u16 v6, 0, v7
	v_max_i16 v26, v7, v6
	v_and_b32_e32 v6, 0xff, v8
	s_delay_alu instid0(VALU_DEP_2)
	v_and_b32_e32 v26, 0xffff, v26
.LBB53_246:                             ; =>This Inner Loop Header: Depth=1
	s_delay_alu instid0(VALU_DEP_2) | instskip(NEXT) | instid1(VALU_DEP_2)
	v_bfe_i32 v28, v6, 0, 8
	v_mov_b32_e32 v8, v26
	s_delay_alu instid0(VALU_DEP_2) | instskip(NEXT) | instid1(VALU_DEP_2)
	v_cvt_f32_i32_e32 v30, v28
	v_bfe_i32 v26, v8, 0, 8
	s_delay_alu instid0(VALU_DEP_1) | instskip(SKIP_1) | instid1(VALU_DEP_2)
	v_cvt_f32_i32_e32 v27, v26
	v_xor_b32_e32 v26, v28, v26
	v_rcp_iflag_f32_e32 v29, v27
	v_nop
	s_delay_alu instid0(TRANS32_DEP_1) | instskip(NEXT) | instid1(VALU_DEP_1)
	v_dual_ashrrev_i32 v26, 30, v26 :: v_dual_mul_f32 v28, v30, v29
	v_trunc_f32_e32 v28, v28
	s_delay_alu instid0(VALU_DEP_1) | instskip(SKIP_1) | instid1(VALU_DEP_2)
	v_dual_fma_f32 v29, -v28, v27, v30 :: v_dual_bitop2_b32 v26, 1, v26 bitop3:0x54
	v_cvt_i32_f32_e32 v28, v28
	v_cmp_ge_f32_e64 vcc_lo, |v29|, |v27|
	s_delay_alu instid0(VALU_DEP_3) | instskip(NEXT) | instid1(VALU_DEP_1)
	v_cndmask_b32_e32 v26, 0, v26, vcc_lo
	v_add_nc_u32_e32 v26, v28, v26
	s_delay_alu instid0(VALU_DEP_1) | instskip(NEXT) | instid1(VALU_DEP_1)
	v_mul_lo_u32 v26, v26, v8
	v_sub_nc_u32_e32 v6, v6, v26
	s_delay_alu instid0(VALU_DEP_1) | instskip(SKIP_1) | instid1(VALU_DEP_2)
	v_bfe_i32 v26, v6, 0, 8
	v_mov_b32_e32 v6, v8
	v_cmp_eq_u16_e32 vcc_lo, 0, v26
	v_and_b32_e32 v26, 0xffff, v26
	s_or_b32 s7, vcc_lo, s7
	s_delay_alu instid0(SALU_CYCLE_1)
	s_and_not1_b32 exec_lo, exec_lo, s7
	s_cbranch_execnz .LBB53_246
; %bb.247:
	s_or_b32 exec_lo, exec_lo, s7
.LBB53_248:
	s_delay_alu instid0(SALU_CYCLE_1) | instskip(SKIP_3) | instid1(VALU_DEP_2)
	s_or_b32 exec_lo, exec_lo, s6
	v_and_b32_e32 v26, 0xff, v8
	v_mov_b32_e32 v6, 0
	s_mov_b32 s6, exec_lo
	v_cmpx_ne_u16_e32 0, v26
	s_cbranch_execz .LBB53_250
; %bb.249:
	v_bfe_i32 v6, v8, 0, 8
	v_cvt_f32_i32_e32 v27, v7
	s_delay_alu instid0(VALU_DEP_2) | instskip(SKIP_1) | instid1(VALU_DEP_2)
	v_cvt_f32_i32_e32 v8, v6
	v_xor_b32_e32 v6, v7, v6
	v_rcp_iflag_f32_e32 v26, v8
	v_nop
	s_delay_alu instid0(TRANS32_DEP_1) | instskip(NEXT) | instid1(VALU_DEP_1)
	v_mul_f32_e32 v26, v27, v26
	v_trunc_f32_e32 v7, v26
	s_delay_alu instid0(VALU_DEP_1) | instskip(SKIP_1) | instid1(VALU_DEP_2)
	v_dual_fma_f32 v26, -v7, v8, v27 :: v_dual_ashrrev_i32 v6, 30, v6
	v_cvt_i32_f32_e32 v7, v7
	v_cmp_ge_f32_e64 vcc_lo, |v26|, |v8|
	s_delay_alu instid0(VALU_DEP_3) | instskip(NEXT) | instid1(VALU_DEP_1)
	v_or_b32_e32 v6, 1, v6
	v_cndmask_b32_e32 v6, 0, v6, vcc_lo
	s_delay_alu instid0(VALU_DEP_1) | instskip(SKIP_1) | instid1(VALU_DEP_2)
	v_add_nc_u32_e32 v6, v7, v6
	v_bfe_i32 v7, v25, 0, 8
	v_bfe_i32 v6, v6, 0, 8
	s_delay_alu instid0(VALU_DEP_1) | instskip(NEXT) | instid1(VALU_DEP_1)
	v_mul_i32_i24_e32 v6, v6, v7
	v_sub_nc_u32_e32 v7, 0, v6
	s_delay_alu instid0(VALU_DEP_1)
	v_max_i32_e32 v6, v6, v7
.LBB53_250:
	s_or_b32 exec_lo, exec_lo, s6
	global_load_i8 v8, v10, s[4:5]
	global_load_u8 v7, v11, s[2:3]
	s_mov_b32 s7, 0
	s_mov_b32 s6, exec_lo
	s_wait_loadcnt 0x1
	s_wait_xcnt 0x1
	v_sub_nc_u16 v10, 0, v8
	s_wait_xcnt 0x0
	s_delay_alu instid0(VALU_DEP_1)
	v_max_i16 v11, v8, v10
	s_wait_loadcnt 0x0
	v_bfe_i32 v10, v7, 0, 8
	v_cmpx_ne_u16_e32 0, v7
	s_cbranch_execz .LBB53_254
; %bb.251:
	s_delay_alu instid0(VALU_DEP_2) | instskip(NEXT) | instid1(VALU_DEP_1)
	v_sub_nc_u16 v7, 0, v10
	v_max_i16 v25, v10, v7
	v_and_b32_e32 v7, 0xff, v11
	s_delay_alu instid0(VALU_DEP_2)
	v_and_b32_e32 v25, 0xffff, v25
.LBB53_252:                             ; =>This Inner Loop Header: Depth=1
	s_delay_alu instid0(VALU_DEP_2) | instskip(NEXT) | instid1(VALU_DEP_2)
	v_bfe_i32 v27, v7, 0, 8
	v_mov_b32_e32 v11, v25
	s_delay_alu instid0(VALU_DEP_2) | instskip(NEXT) | instid1(VALU_DEP_2)
	v_cvt_f32_i32_e32 v29, v27
	v_bfe_i32 v25, v11, 0, 8
	s_delay_alu instid0(VALU_DEP_1) | instskip(SKIP_1) | instid1(VALU_DEP_2)
	v_cvt_f32_i32_e32 v26, v25
	v_xor_b32_e32 v25, v27, v25
	v_rcp_iflag_f32_e32 v28, v26
	v_nop
	s_delay_alu instid0(TRANS32_DEP_1) | instskip(NEXT) | instid1(VALU_DEP_1)
	v_dual_ashrrev_i32 v25, 30, v25 :: v_dual_mul_f32 v27, v29, v28
	v_trunc_f32_e32 v27, v27
	s_delay_alu instid0(VALU_DEP_1) | instskip(SKIP_1) | instid1(VALU_DEP_2)
	v_dual_fma_f32 v28, -v27, v26, v29 :: v_dual_bitop2_b32 v25, 1, v25 bitop3:0x54
	v_cvt_i32_f32_e32 v27, v27
	v_cmp_ge_f32_e64 vcc_lo, |v28|, |v26|
	s_delay_alu instid0(VALU_DEP_3) | instskip(NEXT) | instid1(VALU_DEP_1)
	v_cndmask_b32_e32 v25, 0, v25, vcc_lo
	v_add_nc_u32_e32 v25, v27, v25
	s_delay_alu instid0(VALU_DEP_1) | instskip(NEXT) | instid1(VALU_DEP_1)
	v_mul_lo_u32 v25, v25, v11
	v_sub_nc_u32_e32 v7, v7, v25
	s_delay_alu instid0(VALU_DEP_1) | instskip(SKIP_1) | instid1(VALU_DEP_2)
	v_bfe_i32 v25, v7, 0, 8
	v_mov_b32_e32 v7, v11
	v_cmp_eq_u16_e32 vcc_lo, 0, v25
	v_and_b32_e32 v25, 0xffff, v25
	s_or_b32 s7, vcc_lo, s7
	s_delay_alu instid0(SALU_CYCLE_1)
	s_and_not1_b32 exec_lo, exec_lo, s7
	s_cbranch_execnz .LBB53_252
; %bb.253:
	s_or_b32 exec_lo, exec_lo, s7
.LBB53_254:
	s_delay_alu instid0(SALU_CYCLE_1) | instskip(SKIP_3) | instid1(VALU_DEP_2)
	s_or_b32 exec_lo, exec_lo, s6
	v_and_b32_e32 v25, 0xff, v11
	v_mov_b32_e32 v7, 0
	s_mov_b32 s6, exec_lo
	v_cmpx_ne_u16_e32 0, v25
	s_cbranch_execz .LBB53_256
; %bb.255:
	v_bfe_i32 v7, v11, 0, 8
	v_cvt_f32_i32_e32 v26, v10
	v_bfe_i32 v8, v8, 0, 8
	s_delay_alu instid0(VALU_DEP_3) | instskip(SKIP_1) | instid1(VALU_DEP_2)
	v_cvt_f32_i32_e32 v11, v7
	v_xor_b32_e32 v7, v10, v7
	v_rcp_iflag_f32_e32 v25, v11
	s_delay_alu instid0(VALU_DEP_1)
	v_ashrrev_i32_e32 v7, 30, v7
	s_delay_alu instid0(TRANS32_DEP_1) | instid1(VALU_DEP_1)
	v_dual_mul_f32 v25, v26, v25 :: v_dual_bitop2_b32 v7, 1, v7 bitop3:0x54
	s_delay_alu instid0(VALU_DEP_1) | instskip(NEXT) | instid1(VALU_DEP_1)
	v_trunc_f32_e32 v10, v25
	v_fma_f32 v25, -v10, v11, v26
	v_cvt_i32_f32_e32 v10, v10
	s_delay_alu instid0(VALU_DEP_2) | instskip(SKIP_1) | instid1(VALU_DEP_1)
	v_cmp_ge_f32_e64 vcc_lo, |v25|, |v11|
	v_cndmask_b32_e32 v7, 0, v7, vcc_lo
	v_add_nc_u32_e32 v7, v10, v7
	s_delay_alu instid0(VALU_DEP_1) | instskip(NEXT) | instid1(VALU_DEP_1)
	v_bfe_i32 v7, v7, 0, 8
	v_mul_i32_i24_e32 v7, v7, v8
	s_delay_alu instid0(VALU_DEP_1) | instskip(NEXT) | instid1(VALU_DEP_1)
	v_sub_nc_u32_e32 v8, 0, v7
	v_max_i32_e32 v7, v7, v8
.LBB53_256:
	s_or_b32 exec_lo, exec_lo, s6
	global_load_i8 v10, v13, s[4:5]
	global_load_u8 v8, v14, s[2:3]
	s_mov_b32 s7, 0
	s_mov_b32 s6, exec_lo
	s_wait_loadcnt 0x1
	v_sub_nc_u16 v11, 0, v10
	s_wait_xcnt 0x1
	s_delay_alu instid0(VALU_DEP_1)
	v_max_i16 v13, v10, v11
	s_wait_loadcnt 0x0
	v_bfe_i32 v11, v8, 0, 8
	s_wait_xcnt 0x0
	v_cmpx_ne_u16_e32 0, v8
	s_cbranch_execz .LBB53_260
; %bb.257:
	s_delay_alu instid0(VALU_DEP_2) | instskip(NEXT) | instid1(VALU_DEP_1)
	v_sub_nc_u16 v8, 0, v11
	v_max_i16 v14, v11, v8
	v_and_b32_e32 v8, 0xff, v13
	s_delay_alu instid0(VALU_DEP_2)
	v_and_b32_e32 v14, 0xffff, v14
.LBB53_258:                             ; =>This Inner Loop Header: Depth=1
	s_delay_alu instid0(VALU_DEP_2) | instskip(NEXT) | instid1(VALU_DEP_1)
	v_bfe_i32 v26, v8, 0, 8
	v_cvt_f32_i32_e32 v28, v26
	s_delay_alu instid0(VALU_DEP_3) | instskip(NEXT) | instid1(VALU_DEP_1)
	v_mov_b32_e32 v13, v14
	v_bfe_i32 v14, v13, 0, 8
	s_delay_alu instid0(VALU_DEP_1) | instskip(SKIP_1) | instid1(VALU_DEP_2)
	v_cvt_f32_i32_e32 v25, v14
	v_xor_b32_e32 v14, v26, v14
	v_rcp_iflag_f32_e32 v27, v25
	v_nop
	s_delay_alu instid0(TRANS32_DEP_1) | instskip(NEXT) | instid1(VALU_DEP_1)
	v_mul_f32_e32 v26, v28, v27
	v_trunc_f32_e32 v26, v26
	s_delay_alu instid0(VALU_DEP_1) | instskip(SKIP_1) | instid1(VALU_DEP_2)
	v_dual_fma_f32 v27, -v26, v25, v28 :: v_dual_ashrrev_i32 v14, 30, v14
	v_cvt_i32_f32_e32 v26, v26
	v_cmp_ge_f32_e64 vcc_lo, |v27|, |v25|
	s_delay_alu instid0(VALU_DEP_3) | instskip(NEXT) | instid1(VALU_DEP_1)
	v_or_b32_e32 v14, 1, v14
	v_cndmask_b32_e32 v14, 0, v14, vcc_lo
	s_delay_alu instid0(VALU_DEP_1) | instskip(NEXT) | instid1(VALU_DEP_1)
	v_add_nc_u32_e32 v14, v26, v14
	v_mul_lo_u32 v14, v14, v13
	s_delay_alu instid0(VALU_DEP_1) | instskip(NEXT) | instid1(VALU_DEP_1)
	v_sub_nc_u32_e32 v8, v8, v14
	v_bfe_i32 v14, v8, 0, 8
	v_mov_b32_e32 v8, v13
	s_delay_alu instid0(VALU_DEP_2) | instskip(SKIP_2) | instid1(SALU_CYCLE_1)
	v_cmp_eq_u16_e32 vcc_lo, 0, v14
	v_and_b32_e32 v14, 0xffff, v14
	s_or_b32 s7, vcc_lo, s7
	s_and_not1_b32 exec_lo, exec_lo, s7
	s_cbranch_execnz .LBB53_258
; %bb.259:
	s_or_b32 exec_lo, exec_lo, s7
.LBB53_260:
	s_delay_alu instid0(SALU_CYCLE_1) | instskip(SKIP_3) | instid1(VALU_DEP_2)
	s_or_b32 exec_lo, exec_lo, s6
	v_and_b32_e32 v14, 0xff, v13
	v_mov_b32_e32 v8, 0
	s_mov_b32 s6, exec_lo
	v_cmpx_ne_u16_e32 0, v14
	s_cbranch_execz .LBB53_262
; %bb.261:
	v_bfe_i32 v8, v13, 0, 8
	v_cvt_f32_i32_e32 v25, v11
	v_bfe_i32 v10, v10, 0, 8
	s_delay_alu instid0(VALU_DEP_3) | instskip(SKIP_1) | instid1(VALU_DEP_2)
	v_cvt_f32_i32_e32 v13, v8
	v_xor_b32_e32 v8, v11, v8
	v_rcp_iflag_f32_e32 v14, v13
	v_nop
	s_delay_alu instid0(TRANS32_DEP_1) | instskip(NEXT) | instid1(VALU_DEP_1)
	v_mul_f32_e32 v14, v25, v14
	v_trunc_f32_e32 v11, v14
	s_delay_alu instid0(VALU_DEP_1) | instskip(NEXT) | instid1(VALU_DEP_1)
	v_dual_ashrrev_i32 v8, 30, v8 :: v_dual_fma_f32 v14, -v11, v13, v25
	v_or_b32_e32 v8, 1, v8
	v_cvt_i32_f32_e32 v11, v11
	s_delay_alu instid0(VALU_DEP_3) | instskip(NEXT) | instid1(VALU_DEP_3)
	v_cmp_ge_f32_e64 vcc_lo, |v14|, |v13|
	v_cndmask_b32_e32 v8, 0, v8, vcc_lo
	s_delay_alu instid0(VALU_DEP_1) | instskip(NEXT) | instid1(VALU_DEP_1)
	v_add_nc_u32_e32 v8, v11, v8
	v_bfe_i32 v8, v8, 0, 8
	s_delay_alu instid0(VALU_DEP_1) | instskip(NEXT) | instid1(VALU_DEP_1)
	v_mul_i32_i24_e32 v8, v8, v10
	v_sub_nc_u32_e32 v10, 0, v8
	s_delay_alu instid0(VALU_DEP_1)
	v_max_i32_e32 v8, v8, v10
.LBB53_262:
	s_or_b32 exec_lo, exec_lo, s6
	global_load_i8 v11, v15, s[4:5]
	global_load_u8 v10, v16, s[2:3]
	s_mov_b32 s7, 0
	s_mov_b32 s6, exec_lo
	s_wait_loadcnt 0x1
	v_sub_nc_u16 v13, 0, v11
	s_delay_alu instid0(VALU_DEP_1)
	v_max_i16 v14, v11, v13
	s_wait_loadcnt 0x0
	v_bfe_i32 v13, v10, 0, 8
	s_wait_xcnt 0x0
	v_cmpx_ne_u16_e32 0, v10
	s_cbranch_execz .LBB53_266
; %bb.263:
	s_delay_alu instid0(VALU_DEP_2) | instskip(NEXT) | instid1(VALU_DEP_1)
	v_sub_nc_u16 v10, 0, v13
	v_max_i16 v15, v13, v10
	v_and_b32_e32 v10, 0xff, v14
	s_delay_alu instid0(VALU_DEP_2)
	v_and_b32_e32 v15, 0xffff, v15
.LBB53_264:                             ; =>This Inner Loop Header: Depth=1
	s_delay_alu instid0(VALU_DEP_2) | instskip(NEXT) | instid1(VALU_DEP_2)
	v_bfe_i32 v25, v10, 0, 8
	v_mov_b32_e32 v14, v15
	s_delay_alu instid0(VALU_DEP_2) | instskip(NEXT) | instid1(VALU_DEP_2)
	v_cvt_f32_i32_e32 v27, v25
	v_bfe_i32 v15, v14, 0, 8
	s_delay_alu instid0(VALU_DEP_1) | instskip(SKIP_1) | instid1(VALU_DEP_2)
	v_cvt_f32_i32_e32 v16, v15
	v_xor_b32_e32 v15, v25, v15
	v_rcp_iflag_f32_e32 v26, v16
	v_nop
	s_delay_alu instid0(TRANS32_DEP_1) | instskip(NEXT) | instid1(VALU_DEP_1)
	v_dual_ashrrev_i32 v15, 30, v15 :: v_dual_mul_f32 v25, v27, v26
	v_trunc_f32_e32 v25, v25
	s_delay_alu instid0(VALU_DEP_1) | instskip(SKIP_1) | instid1(VALU_DEP_2)
	v_dual_fma_f32 v26, -v25, v16, v27 :: v_dual_bitop2_b32 v15, 1, v15 bitop3:0x54
	v_cvt_i32_f32_e32 v25, v25
	v_cmp_ge_f32_e64 vcc_lo, |v26|, |v16|
	s_delay_alu instid0(VALU_DEP_3) | instskip(NEXT) | instid1(VALU_DEP_1)
	v_cndmask_b32_e32 v15, 0, v15, vcc_lo
	v_add_nc_u32_e32 v15, v25, v15
	s_delay_alu instid0(VALU_DEP_1) | instskip(NEXT) | instid1(VALU_DEP_1)
	v_mul_lo_u32 v15, v15, v14
	v_sub_nc_u32_e32 v10, v10, v15
	s_delay_alu instid0(VALU_DEP_1) | instskip(SKIP_1) | instid1(VALU_DEP_2)
	v_bfe_i32 v15, v10, 0, 8
	v_mov_b32_e32 v10, v14
	v_cmp_eq_u16_e32 vcc_lo, 0, v15
	v_and_b32_e32 v15, 0xffff, v15
	s_or_b32 s7, vcc_lo, s7
	s_delay_alu instid0(SALU_CYCLE_1)
	s_and_not1_b32 exec_lo, exec_lo, s7
	s_cbranch_execnz .LBB53_264
; %bb.265:
	s_or_b32 exec_lo, exec_lo, s7
.LBB53_266:
	s_delay_alu instid0(SALU_CYCLE_1) | instskip(SKIP_3) | instid1(VALU_DEP_2)
	s_or_b32 exec_lo, exec_lo, s6
	v_and_b32_e32 v15, 0xff, v14
	v_mov_b32_e32 v10, 0
	s_mov_b32 s6, exec_lo
	v_cmpx_ne_u16_e32 0, v15
	s_cbranch_execz .LBB53_268
; %bb.267:
	v_bfe_i32 v10, v14, 0, 8
	v_cvt_f32_i32_e32 v16, v13
	v_bfe_i32 v11, v11, 0, 8
	s_delay_alu instid0(VALU_DEP_3) | instskip(SKIP_1) | instid1(VALU_DEP_2)
	v_cvt_f32_i32_e32 v14, v10
	v_xor_b32_e32 v10, v13, v10
	v_rcp_iflag_f32_e32 v15, v14
	s_delay_alu instid0(VALU_DEP_1)
	v_ashrrev_i32_e32 v10, 30, v10
	s_delay_alu instid0(TRANS32_DEP_1) | instid1(VALU_DEP_1)
	v_dual_mul_f32 v15, v16, v15 :: v_dual_bitop2_b32 v10, 1, v10 bitop3:0x54
	s_delay_alu instid0(VALU_DEP_1) | instskip(NEXT) | instid1(VALU_DEP_1)
	v_trunc_f32_e32 v13, v15
	v_fma_f32 v15, -v13, v14, v16
	v_cvt_i32_f32_e32 v13, v13
	s_delay_alu instid0(VALU_DEP_2) | instskip(SKIP_1) | instid1(VALU_DEP_1)
	v_cmp_ge_f32_e64 vcc_lo, |v15|, |v14|
	v_cndmask_b32_e32 v10, 0, v10, vcc_lo
	v_add_nc_u32_e32 v10, v13, v10
	s_delay_alu instid0(VALU_DEP_1) | instskip(NEXT) | instid1(VALU_DEP_1)
	v_bfe_i32 v10, v10, 0, 8
	v_mul_i32_i24_e32 v10, v10, v11
	s_delay_alu instid0(VALU_DEP_1) | instskip(NEXT) | instid1(VALU_DEP_1)
	v_sub_nc_u32_e32 v11, 0, v10
	v_max_i32_e32 v10, v10, v11
.LBB53_268:
	s_or_b32 exec_lo, exec_lo, s6
	global_load_i8 v13, v17, s[4:5]
	global_load_u8 v11, v18, s[2:3]
	s_mov_b32 s7, 0
	s_mov_b32 s6, exec_lo
	s_wait_loadcnt 0x1
	v_sub_nc_u16 v14, 0, v13
	s_delay_alu instid0(VALU_DEP_1)
	v_max_i16 v15, v13, v14
	s_wait_loadcnt 0x0
	v_bfe_i32 v14, v11, 0, 8
	s_wait_xcnt 0x0
	v_cmpx_ne_u16_e32 0, v11
	s_cbranch_execz .LBB53_272
; %bb.269:
	s_delay_alu instid0(VALU_DEP_2) | instskip(NEXT) | instid1(VALU_DEP_1)
	v_sub_nc_u16 v11, 0, v14
	v_max_i16 v16, v14, v11
	v_and_b32_e32 v11, 0xff, v15
	s_delay_alu instid0(VALU_DEP_2)
	v_and_b32_e32 v16, 0xffff, v16
.LBB53_270:                             ; =>This Inner Loop Header: Depth=1
	s_delay_alu instid0(VALU_DEP_2) | instskip(NEXT) | instid1(VALU_DEP_2)
	v_bfe_i32 v18, v11, 0, 8
	v_mov_b32_e32 v15, v16
	s_delay_alu instid0(VALU_DEP_2) | instskip(NEXT) | instid1(VALU_DEP_2)
	v_cvt_f32_i32_e32 v26, v18
	v_bfe_i32 v16, v15, 0, 8
	s_delay_alu instid0(VALU_DEP_1) | instskip(SKIP_1) | instid1(VALU_DEP_2)
	v_cvt_f32_i32_e32 v17, v16
	v_xor_b32_e32 v16, v18, v16
	v_rcp_iflag_f32_e32 v25, v17
	v_nop
	s_delay_alu instid0(TRANS32_DEP_1) | instskip(NEXT) | instid1(VALU_DEP_1)
	v_dual_ashrrev_i32 v16, 30, v16 :: v_dual_mul_f32 v18, v26, v25
	v_trunc_f32_e32 v18, v18
	s_delay_alu instid0(VALU_DEP_1) | instskip(SKIP_1) | instid1(VALU_DEP_2)
	v_dual_fma_f32 v25, -v18, v17, v26 :: v_dual_bitop2_b32 v16, 1, v16 bitop3:0x54
	v_cvt_i32_f32_e32 v18, v18
	v_cmp_ge_f32_e64 vcc_lo, |v25|, |v17|
	s_delay_alu instid0(VALU_DEP_3) | instskip(NEXT) | instid1(VALU_DEP_1)
	v_cndmask_b32_e32 v16, 0, v16, vcc_lo
	v_add_nc_u32_e32 v16, v18, v16
	s_delay_alu instid0(VALU_DEP_1) | instskip(NEXT) | instid1(VALU_DEP_1)
	v_mul_lo_u32 v16, v16, v15
	v_sub_nc_u32_e32 v11, v11, v16
	s_delay_alu instid0(VALU_DEP_1) | instskip(SKIP_1) | instid1(VALU_DEP_2)
	v_bfe_i32 v16, v11, 0, 8
	v_mov_b32_e32 v11, v15
	v_cmp_eq_u16_e32 vcc_lo, 0, v16
	v_and_b32_e32 v16, 0xffff, v16
	s_or_b32 s7, vcc_lo, s7
	s_delay_alu instid0(SALU_CYCLE_1)
	s_and_not1_b32 exec_lo, exec_lo, s7
	s_cbranch_execnz .LBB53_270
; %bb.271:
	s_or_b32 exec_lo, exec_lo, s7
.LBB53_272:
	s_delay_alu instid0(SALU_CYCLE_1) | instskip(SKIP_3) | instid1(VALU_DEP_2)
	s_or_b32 exec_lo, exec_lo, s6
	v_and_b32_e32 v16, 0xff, v15
	v_mov_b32_e32 v11, 0
	s_mov_b32 s6, exec_lo
	v_cmpx_ne_u16_e32 0, v16
	s_cbranch_execz .LBB53_274
; %bb.273:
	v_bfe_i32 v11, v15, 0, 8
	v_cvt_f32_i32_e32 v17, v14
	v_bfe_i32 v13, v13, 0, 8
	s_delay_alu instid0(VALU_DEP_3) | instskip(SKIP_1) | instid1(VALU_DEP_2)
	v_cvt_f32_i32_e32 v15, v11
	v_xor_b32_e32 v11, v14, v11
	v_rcp_iflag_f32_e32 v16, v15
	s_delay_alu instid0(VALU_DEP_1)
	v_ashrrev_i32_e32 v11, 30, v11
	s_delay_alu instid0(TRANS32_DEP_1) | instid1(VALU_DEP_1)
	v_dual_mul_f32 v16, v17, v16 :: v_dual_bitop2_b32 v11, 1, v11 bitop3:0x54
	s_delay_alu instid0(VALU_DEP_1) | instskip(NEXT) | instid1(VALU_DEP_1)
	v_trunc_f32_e32 v14, v16
	v_fma_f32 v16, -v14, v15, v17
	v_cvt_i32_f32_e32 v14, v14
	s_delay_alu instid0(VALU_DEP_2) | instskip(SKIP_1) | instid1(VALU_DEP_1)
	v_cmp_ge_f32_e64 vcc_lo, |v16|, |v15|
	v_cndmask_b32_e32 v11, 0, v11, vcc_lo
	v_add_nc_u32_e32 v11, v14, v11
	s_delay_alu instid0(VALU_DEP_1) | instskip(NEXT) | instid1(VALU_DEP_1)
	v_bfe_i32 v11, v11, 0, 8
	v_mul_i32_i24_e32 v11, v11, v13
	s_delay_alu instid0(VALU_DEP_1) | instskip(NEXT) | instid1(VALU_DEP_1)
	v_sub_nc_u32_e32 v13, 0, v11
	v_max_i32_e32 v11, v11, v13
.LBB53_274:
	s_or_b32 exec_lo, exec_lo, s6
	global_load_i8 v14, v19, s[4:5]
	global_load_u8 v13, v20, s[2:3]
	s_mov_b32 s7, 0
	s_mov_b32 s6, exec_lo
	s_wait_loadcnt 0x1
	v_sub_nc_u16 v15, 0, v14
	s_delay_alu instid0(VALU_DEP_1)
	v_max_i16 v16, v14, v15
	s_wait_loadcnt 0x0
	v_bfe_i32 v15, v13, 0, 8
	s_wait_xcnt 0x0
	v_cmpx_ne_u16_e32 0, v13
	s_cbranch_execz .LBB53_278
; %bb.275:
	s_delay_alu instid0(VALU_DEP_2) | instskip(NEXT) | instid1(VALU_DEP_1)
	v_sub_nc_u16 v13, 0, v15
	v_max_i16 v17, v15, v13
	v_and_b32_e32 v13, 0xff, v16
	s_delay_alu instid0(VALU_DEP_2)
	v_and_b32_e32 v17, 0xffff, v17
.LBB53_276:                             ; =>This Inner Loop Header: Depth=1
	s_delay_alu instid0(VALU_DEP_2) | instskip(NEXT) | instid1(VALU_DEP_2)
	v_bfe_i32 v19, v13, 0, 8
	v_mov_b32_e32 v16, v17
	s_delay_alu instid0(VALU_DEP_2) | instskip(NEXT) | instid1(VALU_DEP_2)
	v_cvt_f32_i32_e32 v25, v19
	v_bfe_i32 v17, v16, 0, 8
	s_delay_alu instid0(VALU_DEP_1) | instskip(SKIP_1) | instid1(VALU_DEP_2)
	v_cvt_f32_i32_e32 v18, v17
	v_xor_b32_e32 v17, v19, v17
	v_rcp_iflag_f32_e32 v20, v18
	v_nop
	s_delay_alu instid0(TRANS32_DEP_1) | instskip(NEXT) | instid1(VALU_DEP_1)
	v_dual_ashrrev_i32 v17, 30, v17 :: v_dual_mul_f32 v19, v25, v20
	v_trunc_f32_e32 v19, v19
	s_delay_alu instid0(VALU_DEP_1) | instskip(SKIP_1) | instid1(VALU_DEP_2)
	v_dual_fma_f32 v20, -v19, v18, v25 :: v_dual_bitop2_b32 v17, 1, v17 bitop3:0x54
	v_cvt_i32_f32_e32 v19, v19
	v_cmp_ge_f32_e64 vcc_lo, |v20|, |v18|
	s_delay_alu instid0(VALU_DEP_3) | instskip(NEXT) | instid1(VALU_DEP_1)
	v_cndmask_b32_e32 v17, 0, v17, vcc_lo
	v_add_nc_u32_e32 v17, v19, v17
	s_delay_alu instid0(VALU_DEP_1) | instskip(NEXT) | instid1(VALU_DEP_1)
	v_mul_lo_u32 v17, v17, v16
	v_sub_nc_u32_e32 v13, v13, v17
	s_delay_alu instid0(VALU_DEP_1) | instskip(SKIP_1) | instid1(VALU_DEP_2)
	v_bfe_i32 v17, v13, 0, 8
	v_mov_b32_e32 v13, v16
	v_cmp_eq_u16_e32 vcc_lo, 0, v17
	v_and_b32_e32 v17, 0xffff, v17
	s_or_b32 s7, vcc_lo, s7
	s_delay_alu instid0(SALU_CYCLE_1)
	s_and_not1_b32 exec_lo, exec_lo, s7
	s_cbranch_execnz .LBB53_276
; %bb.277:
	s_or_b32 exec_lo, exec_lo, s7
.LBB53_278:
	s_delay_alu instid0(SALU_CYCLE_1) | instskip(SKIP_3) | instid1(VALU_DEP_2)
	s_or_b32 exec_lo, exec_lo, s6
	v_and_b32_e32 v17, 0xff, v16
	v_mov_b32_e32 v13, 0
	s_mov_b32 s6, exec_lo
	v_cmpx_ne_u16_e32 0, v17
	s_cbranch_execz .LBB53_280
; %bb.279:
	v_bfe_i32 v13, v16, 0, 8
	v_cvt_f32_i32_e32 v18, v15
	v_bfe_i32 v14, v14, 0, 8
	s_delay_alu instid0(VALU_DEP_3) | instskip(SKIP_1) | instid1(VALU_DEP_2)
	v_cvt_f32_i32_e32 v16, v13
	v_xor_b32_e32 v13, v15, v13
	v_rcp_iflag_f32_e32 v17, v16
	v_nop
	s_delay_alu instid0(TRANS32_DEP_1) | instskip(NEXT) | instid1(VALU_DEP_1)
	v_mul_f32_e32 v17, v18, v17
	v_trunc_f32_e32 v15, v17
	s_delay_alu instid0(VALU_DEP_1) | instskip(SKIP_1) | instid1(VALU_DEP_2)
	v_dual_fma_f32 v17, -v15, v16, v18 :: v_dual_ashrrev_i32 v13, 30, v13
	v_cvt_i32_f32_e32 v15, v15
	v_cmp_ge_f32_e64 vcc_lo, |v17|, |v16|
	s_delay_alu instid0(VALU_DEP_3) | instskip(NEXT) | instid1(VALU_DEP_1)
	v_or_b32_e32 v13, 1, v13
	v_cndmask_b32_e32 v13, 0, v13, vcc_lo
	s_delay_alu instid0(VALU_DEP_1) | instskip(NEXT) | instid1(VALU_DEP_1)
	v_add_nc_u32_e32 v13, v15, v13
	v_bfe_i32 v13, v13, 0, 8
	s_delay_alu instid0(VALU_DEP_1) | instskip(NEXT) | instid1(VALU_DEP_1)
	v_mul_i32_i24_e32 v13, v13, v14
	v_sub_nc_u32_e32 v14, 0, v13
	s_delay_alu instid0(VALU_DEP_1)
	v_max_i32_e32 v13, v13, v14
.LBB53_280:
	s_or_b32 exec_lo, exec_lo, s6
	global_load_i8 v15, v21, s[4:5]
	global_load_u8 v14, v22, s[2:3]
	s_mov_b32 s7, 0
	s_mov_b32 s6, exec_lo
	s_wait_loadcnt 0x1
	v_sub_nc_u16 v16, 0, v15
	s_delay_alu instid0(VALU_DEP_1)
	v_max_i16 v17, v15, v16
	s_wait_loadcnt 0x0
	v_bfe_i32 v16, v14, 0, 8
	s_wait_xcnt 0x0
	v_cmpx_ne_u16_e32 0, v14
	s_cbranch_execz .LBB53_284
; %bb.281:
	s_delay_alu instid0(VALU_DEP_2) | instskip(NEXT) | instid1(VALU_DEP_1)
	v_sub_nc_u16 v14, 0, v16
	v_max_i16 v18, v16, v14
	v_and_b32_e32 v14, 0xff, v17
	s_delay_alu instid0(VALU_DEP_2)
	v_and_b32_e32 v18, 0xffff, v18
.LBB53_282:                             ; =>This Inner Loop Header: Depth=1
	s_delay_alu instid0(VALU_DEP_2) | instskip(NEXT) | instid1(VALU_DEP_2)
	v_bfe_i32 v20, v14, 0, 8
	v_mov_b32_e32 v17, v18
	s_delay_alu instid0(VALU_DEP_2) | instskip(NEXT) | instid1(VALU_DEP_2)
	v_cvt_f32_i32_e32 v22, v20
	v_bfe_i32 v18, v17, 0, 8
	s_delay_alu instid0(VALU_DEP_1) | instskip(SKIP_1) | instid1(VALU_DEP_2)
	v_cvt_f32_i32_e32 v19, v18
	v_xor_b32_e32 v18, v20, v18
	v_rcp_iflag_f32_e32 v21, v19
	v_nop
	s_delay_alu instid0(TRANS32_DEP_1) | instskip(NEXT) | instid1(VALU_DEP_1)
	v_dual_ashrrev_i32 v18, 30, v18 :: v_dual_mul_f32 v20, v22, v21
	v_trunc_f32_e32 v20, v20
	s_delay_alu instid0(VALU_DEP_1) | instskip(SKIP_1) | instid1(VALU_DEP_2)
	v_dual_fma_f32 v21, -v20, v19, v22 :: v_dual_bitop2_b32 v18, 1, v18 bitop3:0x54
	v_cvt_i32_f32_e32 v20, v20
	v_cmp_ge_f32_e64 vcc_lo, |v21|, |v19|
	s_delay_alu instid0(VALU_DEP_3) | instskip(NEXT) | instid1(VALU_DEP_1)
	v_cndmask_b32_e32 v18, 0, v18, vcc_lo
	v_add_nc_u32_e32 v18, v20, v18
	s_delay_alu instid0(VALU_DEP_1) | instskip(NEXT) | instid1(VALU_DEP_1)
	v_mul_lo_u32 v18, v18, v17
	v_sub_nc_u32_e32 v14, v14, v18
	s_delay_alu instid0(VALU_DEP_1) | instskip(SKIP_1) | instid1(VALU_DEP_2)
	v_bfe_i32 v18, v14, 0, 8
	v_mov_b32_e32 v14, v17
	v_cmp_eq_u16_e32 vcc_lo, 0, v18
	v_and_b32_e32 v18, 0xffff, v18
	s_or_b32 s7, vcc_lo, s7
	s_delay_alu instid0(SALU_CYCLE_1)
	s_and_not1_b32 exec_lo, exec_lo, s7
	s_cbranch_execnz .LBB53_282
; %bb.283:
	s_or_b32 exec_lo, exec_lo, s7
.LBB53_284:
	s_delay_alu instid0(SALU_CYCLE_1) | instskip(SKIP_3) | instid1(VALU_DEP_2)
	s_or_b32 exec_lo, exec_lo, s6
	v_and_b32_e32 v18, 0xff, v17
	v_mov_b32_e32 v14, 0
	s_mov_b32 s6, exec_lo
	v_cmpx_ne_u16_e32 0, v18
	s_cbranch_execz .LBB53_286
; %bb.285:
	v_bfe_i32 v14, v17, 0, 8
	v_cvt_f32_i32_e32 v19, v16
	v_bfe_i32 v15, v15, 0, 8
	s_delay_alu instid0(VALU_DEP_3) | instskip(SKIP_1) | instid1(VALU_DEP_2)
	v_cvt_f32_i32_e32 v17, v14
	v_xor_b32_e32 v14, v16, v14
	v_rcp_iflag_f32_e32 v18, v17
	v_nop
	s_delay_alu instid0(TRANS32_DEP_1) | instskip(NEXT) | instid1(VALU_DEP_1)
	v_mul_f32_e32 v18, v19, v18
	v_trunc_f32_e32 v16, v18
	s_delay_alu instid0(VALU_DEP_1) | instskip(SKIP_1) | instid1(VALU_DEP_2)
	v_dual_fma_f32 v18, -v16, v17, v19 :: v_dual_ashrrev_i32 v14, 30, v14
	v_cvt_i32_f32_e32 v16, v16
	v_cmp_ge_f32_e64 vcc_lo, |v18|, |v17|
	s_delay_alu instid0(VALU_DEP_3) | instskip(NEXT) | instid1(VALU_DEP_1)
	v_or_b32_e32 v14, 1, v14
	v_cndmask_b32_e32 v14, 0, v14, vcc_lo
	s_delay_alu instid0(VALU_DEP_1) | instskip(NEXT) | instid1(VALU_DEP_1)
	v_add_nc_u32_e32 v14, v16, v14
	v_bfe_i32 v14, v14, 0, 8
	s_delay_alu instid0(VALU_DEP_1) | instskip(NEXT) | instid1(VALU_DEP_1)
	v_mul_i32_i24_e32 v14, v14, v15
	v_sub_nc_u32_e32 v15, 0, v14
	s_delay_alu instid0(VALU_DEP_1)
	v_max_i32_e32 v14, v14, v15
.LBB53_286:
	s_or_b32 exec_lo, exec_lo, s6
	global_load_i8 v15, v23, s[4:5]
	global_load_u8 v16, v24, s[2:3]
	s_wait_xcnt 0x0
	s_mov_b32 s3, 0
	s_wait_loadcnt 0x1
	v_sub_nc_u16 v17, 0, v15
	s_wait_loadcnt 0x0
	v_cmp_ne_u16_e32 vcc_lo, 0, v16
	v_bfe_i32 v16, v16, 0, 8
	s_delay_alu instid0(VALU_DEP_3)
	v_max_i16 v17, v15, v17
	s_and_saveexec_b32 s2, vcc_lo
	s_cbranch_execz .LBB53_290
; %bb.287:
	s_delay_alu instid0(VALU_DEP_2) | instskip(NEXT) | instid1(VALU_DEP_1)
	v_sub_nc_u16 v18, 0, v16
	v_max_i16 v19, v16, v18
	v_and_b32_e32 v18, 0xff, v17
	s_delay_alu instid0(VALU_DEP_2)
	v_and_b32_e32 v19, 0xffff, v19
.LBB53_288:                             ; =>This Inner Loop Header: Depth=1
	s_delay_alu instid0(VALU_DEP_2) | instskip(NEXT) | instid1(VALU_DEP_2)
	v_bfe_i32 v21, v18, 0, 8
	v_mov_b32_e32 v17, v19
	s_delay_alu instid0(VALU_DEP_2) | instskip(NEXT) | instid1(VALU_DEP_2)
	v_cvt_f32_i32_e32 v23, v21
	v_bfe_i32 v19, v17, 0, 8
	s_delay_alu instid0(VALU_DEP_1) | instskip(SKIP_1) | instid1(VALU_DEP_2)
	v_cvt_f32_i32_e32 v20, v19
	v_xor_b32_e32 v19, v21, v19
	v_rcp_iflag_f32_e32 v22, v20
	v_nop
	s_delay_alu instid0(TRANS32_DEP_1) | instskip(NEXT) | instid1(VALU_DEP_1)
	v_dual_ashrrev_i32 v19, 30, v19 :: v_dual_mul_f32 v21, v23, v22
	v_trunc_f32_e32 v21, v21
	s_delay_alu instid0(VALU_DEP_1) | instskip(SKIP_1) | instid1(VALU_DEP_2)
	v_dual_fma_f32 v22, -v21, v20, v23 :: v_dual_bitop2_b32 v19, 1, v19 bitop3:0x54
	v_cvt_i32_f32_e32 v21, v21
	v_cmp_ge_f32_e64 vcc_lo, |v22|, |v20|
	s_delay_alu instid0(VALU_DEP_3) | instskip(NEXT) | instid1(VALU_DEP_1)
	v_cndmask_b32_e32 v19, 0, v19, vcc_lo
	v_add_nc_u32_e32 v19, v21, v19
	s_delay_alu instid0(VALU_DEP_1) | instskip(NEXT) | instid1(VALU_DEP_1)
	v_mul_lo_u32 v19, v19, v17
	v_sub_nc_u32_e32 v18, v18, v19
	s_delay_alu instid0(VALU_DEP_1) | instskip(SKIP_1) | instid1(VALU_DEP_2)
	v_bfe_i32 v19, v18, 0, 8
	v_mov_b32_e32 v18, v17
	v_cmp_eq_u16_e32 vcc_lo, 0, v19
	v_and_b32_e32 v19, 0xffff, v19
	s_or_b32 s3, vcc_lo, s3
	s_delay_alu instid0(SALU_CYCLE_1)
	s_and_not1_b32 exec_lo, exec_lo, s3
	s_cbranch_execnz .LBB53_288
; %bb.289:
	s_or_b32 exec_lo, exec_lo, s3
.LBB53_290:
	s_delay_alu instid0(SALU_CYCLE_1) | instskip(NEXT) | instid1(VALU_DEP_1)
	s_or_b32 exec_lo, exec_lo, s2
	v_and_b32_e32 v19, 0xff, v17
	v_mov_b32_e32 v18, 0
	s_mov_b32 s2, exec_lo
	s_delay_alu instid0(VALU_DEP_2)
	v_cmpx_ne_u16_e32 0, v19
	s_cbranch_execz .LBB53_292
; %bb.291:
	v_bfe_i32 v17, v17, 0, 8
	v_cvt_f32_i32_e32 v20, v16
	v_bfe_i32 v15, v15, 0, 8
	s_delay_alu instid0(VALU_DEP_3) | instskip(SKIP_1) | instid1(VALU_DEP_2)
	v_cvt_f32_i32_e32 v18, v17
	v_xor_b32_e32 v16, v16, v17
	v_rcp_iflag_f32_e32 v19, v18
	s_delay_alu instid0(VALU_DEP_1)
	v_ashrrev_i32_e32 v16, 30, v16
	s_delay_alu instid0(TRANS32_DEP_1) | instid1(VALU_DEP_1)
	v_dual_mul_f32 v19, v20, v19 :: v_dual_bitop2_b32 v16, 1, v16 bitop3:0x54
	s_delay_alu instid0(VALU_DEP_1) | instskip(NEXT) | instid1(VALU_DEP_1)
	v_trunc_f32_e32 v17, v19
	v_fma_f32 v19, -v17, v18, v20
	v_cvt_i32_f32_e32 v17, v17
	s_delay_alu instid0(VALU_DEP_2) | instskip(SKIP_1) | instid1(VALU_DEP_1)
	v_cmp_ge_f32_e64 vcc_lo, |v19|, |v18|
	v_cndmask_b32_e32 v16, 0, v16, vcc_lo
	v_add_nc_u32_e32 v16, v17, v16
	s_delay_alu instid0(VALU_DEP_1) | instskip(NEXT) | instid1(VALU_DEP_1)
	v_bfe_i32 v16, v16, 0, 8
	v_mul_i32_i24_e32 v15, v16, v15
	s_delay_alu instid0(VALU_DEP_1) | instskip(NEXT) | instid1(VALU_DEP_1)
	v_sub_nc_u32_e32 v16, 0, v15
	v_max_i32_e32 v18, v15, v16
.LBB53_292:
	s_or_b32 exec_lo, exec_lo, s2
	s_clause 0x7
	global_store_b8 v1, v6, s[0:1]
	global_store_b8 v2, v7, s[0:1]
	;; [unrolled: 1-line block ×8, first 2 shown]
	s_endpgm
	.section	.rodata,"a",@progbits
	.p2align	6, 0x0
	.amdhsa_kernel _ZN2at6native32elementwise_kernel_manual_unrollILi128ELi8EZNS0_22gpu_kernel_impl_nocastIZZZNS0_15lcm_kernel_cudaERNS_18TensorIteratorBaseEENKUlvE_clEvENKUlvE0_clEvEUlaaE_EEvS4_RKT_EUlibE_EEviT1_
		.amdhsa_group_segment_fixed_size 0
		.amdhsa_private_segment_fixed_size 0
		.amdhsa_kernarg_size 432
		.amdhsa_user_sgpr_count 2
		.amdhsa_user_sgpr_dispatch_ptr 0
		.amdhsa_user_sgpr_queue_ptr 0
		.amdhsa_user_sgpr_kernarg_segment_ptr 1
		.amdhsa_user_sgpr_dispatch_id 0
		.amdhsa_user_sgpr_kernarg_preload_length 0
		.amdhsa_user_sgpr_kernarg_preload_offset 0
		.amdhsa_user_sgpr_private_segment_size 0
		.amdhsa_wavefront_size32 1
		.amdhsa_uses_dynamic_stack 0
		.amdhsa_enable_private_segment 0
		.amdhsa_system_sgpr_workgroup_id_x 1
		.amdhsa_system_sgpr_workgroup_id_y 0
		.amdhsa_system_sgpr_workgroup_id_z 0
		.amdhsa_system_sgpr_workgroup_info 0
		.amdhsa_system_vgpr_workitem_id 0
		.amdhsa_next_free_vgpr 31
		.amdhsa_next_free_sgpr 46
		.amdhsa_named_barrier_count 0
		.amdhsa_reserve_vcc 1
		.amdhsa_float_round_mode_32 0
		.amdhsa_float_round_mode_16_64 0
		.amdhsa_float_denorm_mode_32 3
		.amdhsa_float_denorm_mode_16_64 3
		.amdhsa_fp16_overflow 0
		.amdhsa_memory_ordered 1
		.amdhsa_forward_progress 1
		.amdhsa_inst_pref_size 136
		.amdhsa_round_robin_scheduling 0
		.amdhsa_exception_fp_ieee_invalid_op 0
		.amdhsa_exception_fp_denorm_src 0
		.amdhsa_exception_fp_ieee_div_zero 0
		.amdhsa_exception_fp_ieee_overflow 0
		.amdhsa_exception_fp_ieee_underflow 0
		.amdhsa_exception_fp_ieee_inexact 0
		.amdhsa_exception_int_div_zero 0
	.end_amdhsa_kernel
	.section	.text._ZN2at6native32elementwise_kernel_manual_unrollILi128ELi8EZNS0_22gpu_kernel_impl_nocastIZZZNS0_15lcm_kernel_cudaERNS_18TensorIteratorBaseEENKUlvE_clEvENKUlvE0_clEvEUlaaE_EEvS4_RKT_EUlibE_EEviT1_,"axG",@progbits,_ZN2at6native32elementwise_kernel_manual_unrollILi128ELi8EZNS0_22gpu_kernel_impl_nocastIZZZNS0_15lcm_kernel_cudaERNS_18TensorIteratorBaseEENKUlvE_clEvENKUlvE0_clEvEUlaaE_EEvS4_RKT_EUlibE_EEviT1_,comdat
.Lfunc_end53:
	.size	_ZN2at6native32elementwise_kernel_manual_unrollILi128ELi8EZNS0_22gpu_kernel_impl_nocastIZZZNS0_15lcm_kernel_cudaERNS_18TensorIteratorBaseEENKUlvE_clEvENKUlvE0_clEvEUlaaE_EEvS4_RKT_EUlibE_EEviT1_, .Lfunc_end53-_ZN2at6native32elementwise_kernel_manual_unrollILi128ELi8EZNS0_22gpu_kernel_impl_nocastIZZZNS0_15lcm_kernel_cudaERNS_18TensorIteratorBaseEENKUlvE_clEvENKUlvE0_clEvEUlaaE_EEvS4_RKT_EUlibE_EEviT1_
                                        ; -- End function
	.set _ZN2at6native32elementwise_kernel_manual_unrollILi128ELi8EZNS0_22gpu_kernel_impl_nocastIZZZNS0_15lcm_kernel_cudaERNS_18TensorIteratorBaseEENKUlvE_clEvENKUlvE0_clEvEUlaaE_EEvS4_RKT_EUlibE_EEviT1_.num_vgpr, 31
	.set _ZN2at6native32elementwise_kernel_manual_unrollILi128ELi8EZNS0_22gpu_kernel_impl_nocastIZZZNS0_15lcm_kernel_cudaERNS_18TensorIteratorBaseEENKUlvE_clEvENKUlvE0_clEvEUlaaE_EEvS4_RKT_EUlibE_EEviT1_.num_agpr, 0
	.set _ZN2at6native32elementwise_kernel_manual_unrollILi128ELi8EZNS0_22gpu_kernel_impl_nocastIZZZNS0_15lcm_kernel_cudaERNS_18TensorIteratorBaseEENKUlvE_clEvENKUlvE0_clEvEUlaaE_EEvS4_RKT_EUlibE_EEviT1_.numbered_sgpr, 46
	.set _ZN2at6native32elementwise_kernel_manual_unrollILi128ELi8EZNS0_22gpu_kernel_impl_nocastIZZZNS0_15lcm_kernel_cudaERNS_18TensorIteratorBaseEENKUlvE_clEvENKUlvE0_clEvEUlaaE_EEvS4_RKT_EUlibE_EEviT1_.num_named_barrier, 0
	.set _ZN2at6native32elementwise_kernel_manual_unrollILi128ELi8EZNS0_22gpu_kernel_impl_nocastIZZZNS0_15lcm_kernel_cudaERNS_18TensorIteratorBaseEENKUlvE_clEvENKUlvE0_clEvEUlaaE_EEvS4_RKT_EUlibE_EEviT1_.private_seg_size, 0
	.set _ZN2at6native32elementwise_kernel_manual_unrollILi128ELi8EZNS0_22gpu_kernel_impl_nocastIZZZNS0_15lcm_kernel_cudaERNS_18TensorIteratorBaseEENKUlvE_clEvENKUlvE0_clEvEUlaaE_EEvS4_RKT_EUlibE_EEviT1_.uses_vcc, 1
	.set _ZN2at6native32elementwise_kernel_manual_unrollILi128ELi8EZNS0_22gpu_kernel_impl_nocastIZZZNS0_15lcm_kernel_cudaERNS_18TensorIteratorBaseEENKUlvE_clEvENKUlvE0_clEvEUlaaE_EEvS4_RKT_EUlibE_EEviT1_.uses_flat_scratch, 0
	.set _ZN2at6native32elementwise_kernel_manual_unrollILi128ELi8EZNS0_22gpu_kernel_impl_nocastIZZZNS0_15lcm_kernel_cudaERNS_18TensorIteratorBaseEENKUlvE_clEvENKUlvE0_clEvEUlaaE_EEvS4_RKT_EUlibE_EEviT1_.has_dyn_sized_stack, 0
	.set _ZN2at6native32elementwise_kernel_manual_unrollILi128ELi8EZNS0_22gpu_kernel_impl_nocastIZZZNS0_15lcm_kernel_cudaERNS_18TensorIteratorBaseEENKUlvE_clEvENKUlvE0_clEvEUlaaE_EEvS4_RKT_EUlibE_EEviT1_.has_recursion, 0
	.set _ZN2at6native32elementwise_kernel_manual_unrollILi128ELi8EZNS0_22gpu_kernel_impl_nocastIZZZNS0_15lcm_kernel_cudaERNS_18TensorIteratorBaseEENKUlvE_clEvENKUlvE0_clEvEUlaaE_EEvS4_RKT_EUlibE_EEviT1_.has_indirect_call, 0
	.section	.AMDGPU.csdata,"",@progbits
; Kernel info:
; codeLenInByte = 17316
; TotalNumSgprs: 48
; NumVgprs: 31
; ScratchSize: 0
; MemoryBound: 0
; FloatMode: 240
; IeeeMode: 1
; LDSByteSize: 0 bytes/workgroup (compile time only)
; SGPRBlocks: 0
; VGPRBlocks: 1
; NumSGPRsForWavesPerEU: 48
; NumVGPRsForWavesPerEU: 31
; NamedBarCnt: 0
; Occupancy: 16
; WaveLimiterHint : 1
; COMPUTE_PGM_RSRC2:SCRATCH_EN: 0
; COMPUTE_PGM_RSRC2:USER_SGPR: 2
; COMPUTE_PGM_RSRC2:TRAP_HANDLER: 0
; COMPUTE_PGM_RSRC2:TGID_X_EN: 1
; COMPUTE_PGM_RSRC2:TGID_Y_EN: 0
; COMPUTE_PGM_RSRC2:TGID_Z_EN: 0
; COMPUTE_PGM_RSRC2:TIDIG_COMP_CNT: 0
	.section	.text._ZN2at6native32elementwise_kernel_manual_unrollILi128ELi4EZNS0_15gpu_kernel_implIZZZNS0_15lcm_kernel_cudaERNS_18TensorIteratorBaseEENKUlvE_clEvENKUlvE0_clEvEUlaaE_EEvS4_RKT_EUlibE_EEviT1_,"axG",@progbits,_ZN2at6native32elementwise_kernel_manual_unrollILi128ELi4EZNS0_15gpu_kernel_implIZZZNS0_15lcm_kernel_cudaERNS_18TensorIteratorBaseEENKUlvE_clEvENKUlvE0_clEvEUlaaE_EEvS4_RKT_EUlibE_EEviT1_,comdat
	.globl	_ZN2at6native32elementwise_kernel_manual_unrollILi128ELi4EZNS0_15gpu_kernel_implIZZZNS0_15lcm_kernel_cudaERNS_18TensorIteratorBaseEENKUlvE_clEvENKUlvE0_clEvEUlaaE_EEvS4_RKT_EUlibE_EEviT1_ ; -- Begin function _ZN2at6native32elementwise_kernel_manual_unrollILi128ELi4EZNS0_15gpu_kernel_implIZZZNS0_15lcm_kernel_cudaERNS_18TensorIteratorBaseEENKUlvE_clEvENKUlvE0_clEvEUlaaE_EEvS4_RKT_EUlibE_EEviT1_
	.p2align	8
	.type	_ZN2at6native32elementwise_kernel_manual_unrollILi128ELi4EZNS0_15gpu_kernel_implIZZZNS0_15lcm_kernel_cudaERNS_18TensorIteratorBaseEENKUlvE_clEvENKUlvE0_clEvEUlaaE_EEvS4_RKT_EUlibE_EEviT1_,@function
_ZN2at6native32elementwise_kernel_manual_unrollILi128ELi4EZNS0_15gpu_kernel_implIZZZNS0_15lcm_kernel_cudaERNS_18TensorIteratorBaseEENKUlvE_clEvENKUlvE0_clEvEUlaaE_EEvS4_RKT_EUlibE_EEviT1_: ; @_ZN2at6native32elementwise_kernel_manual_unrollILi128ELi4EZNS0_15gpu_kernel_implIZZZNS0_15lcm_kernel_cudaERNS_18TensorIteratorBaseEENKUlvE_clEvENKUlvE0_clEvEUlaaE_EEvS4_RKT_EUlibE_EEviT1_
; %bb.0:
	v_mov_b32_e32 v1, 0
	s_bfe_u32 s4, ttmp6, 0x4000c
	s_load_b32 s16, s[0:1], 0x0
	s_add_co_i32 s13, s4, 1
	s_load_b128 s[4:7], s[0:1], 0x8
	s_clause 0x1
	global_load_u16 v2, v1, s[0:1] offset:45
	global_load_i8 v3, v1, s[0:1] offset:47
	s_clause 0x1
	s_load_b64 s[2:3], s[0:1], 0x18
	s_load_b96 s[8:10], s[0:1], 0x20
	s_and_b32 s12, ttmp6, 15
	s_wait_xcnt 0x0
	s_mul_i32 s0, ttmp9, s13
	s_getreg_b32 s14, hwreg(HW_REG_IB_STS2, 6, 4)
	s_add_co_i32 s12, s12, s0
	s_mov_b32 s15, 0
	s_wait_loadcnt 0x1
	v_readfirstlane_b32 s11, v2
	s_wait_loadcnt 0x0
	v_readfirstlane_b32 s1, v3
	s_lshr_b32 s13, s11, 8
	s_cmp_eq_u32 s14, 0
	s_cselect_b32 s0, ttmp9, s12
	s_mov_b32 s12, 0
	v_lshl_or_b32 v10, s0, 9, v0
	s_mov_b32 s0, exec_lo
	s_delay_alu instid0(VALU_DEP_1) | instskip(SKIP_1) | instid1(VALU_DEP_1)
	v_or_b32_e32 v0, 0x180, v10
	s_wait_kmcnt 0x0
	v_cmpx_le_i32_e64 s16, v0
	s_xor_b32 s14, exec_lo, s0
	s_cbranch_execz .LBB54_1539
; %bb.1:
	s_mov_b32 s23, -1
	s_mov_b32 s20, 0
	s_mov_b32 s18, 0
	;; [unrolled: 1-line block ×3, first 2 shown]
	s_mov_b32 s19, exec_lo
	v_cmpx_gt_i32_e64 s16, v10
	s_cbranch_execz .LBB54_380
; %bb.2:
	v_mul_lo_u32 v0, v10, s9
	s_and_b32 s0, s13, 0xff
	s_delay_alu instid0(SALU_CYCLE_1) | instskip(NEXT) | instid1(VALU_DEP_1)
	s_cmp_lt_i32 s0, 11
	v_ashrrev_i32_e32 v1, 31, v0
	s_delay_alu instid0(VALU_DEP_1)
	v_add_nc_u64_e32 v[2:3], s[6:7], v[0:1]
	s_cbranch_scc1 .LBB54_9
; %bb.3:
	s_and_b32 s15, 0xffff, s0
	s_delay_alu instid0(SALU_CYCLE_1)
	s_cmp_gt_i32 s15, 25
	s_cbranch_scc0 .LBB54_18
; %bb.4:
	s_cmp_gt_i32 s15, 28
	s_cbranch_scc0 .LBB54_34
; %bb.5:
	;; [unrolled: 3-line block ×4, first 2 shown]
	s_cmp_eq_u32 s15, 46
	s_mov_b32 s21, 0
	s_cbranch_scc0 .LBB54_43
; %bb.8:
	global_load_b32 v0, v[2:3], off
	s_mov_b32 s17, -1
	s_wait_loadcnt 0x0
	v_lshlrev_b32_e32 v0, 16, v0
	s_delay_alu instid0(VALU_DEP_1)
	v_cvt_i32_f32_e32 v0, v0
	s_branch .LBB54_45
.LBB54_9:
                                        ; implicit-def: $vgpr0
	s_cbranch_execnz .LBB54_107
.LBB54_10:
	s_and_not1_b32 vcc_lo, exec_lo, s17
	s_cbranch_vccnz .LBB54_154
.LBB54_11:
	s_wait_xcnt 0x0
	v_mul_lo_u32 v2, v10, s10
	s_and_b32 s0, s1, 0xff
	s_delay_alu instid0(SALU_CYCLE_1) | instskip(NEXT) | instid1(VALU_DEP_1)
	s_cmp_lt_i32 s0, 11
	v_ashrrev_i32_e32 v3, 31, v2
	s_delay_alu instid0(VALU_DEP_1)
	v_add_nc_u64_e32 v[2:3], s[2:3], v[2:3]
	s_cbranch_scc1 .LBB54_19
; %bb.12:
	s_and_b32 s15, 0xffff, s0
	s_delay_alu instid0(SALU_CYCLE_1)
	s_cmp_gt_i32 s15, 25
	s_cbranch_scc0 .LBB54_35
; %bb.13:
	s_cmp_gt_i32 s15, 28
	s_cbranch_scc0 .LBB54_38
; %bb.14:
	s_cmp_gt_i32 s15, 43
	s_cbranch_scc0 .LBB54_41
; %bb.15:
	s_cmp_gt_i32 s15, 45
	s_cbranch_scc0 .LBB54_48
; %bb.16:
	s_cmp_eq_u32 s15, 46
	s_mov_b32 s22, 0
	s_cbranch_scc0 .LBB54_155
; %bb.17:
	s_wait_loadcnt 0x0
	global_load_b32 v1, v[2:3], off
	s_mov_b32 s21, -1
	s_mov_b32 s17, 0
	s_wait_loadcnt 0x0
	v_lshlrev_b32_e32 v1, 16, v1
	s_delay_alu instid0(VALU_DEP_1)
	v_cvt_i32_f32_e32 v4, v1
	s_branch .LBB54_157
.LBB54_18:
                                        ; implicit-def: $vgpr0
	s_cbranch_execnz .LBB54_74
	s_branch .LBB54_106
.LBB54_19:
	s_mov_b32 s17, 0
	s_mov_b32 s21, 0
                                        ; implicit-def: $vgpr4
	s_cbranch_execnz .LBB54_329
.LBB54_20:
	s_and_not1_b32 vcc_lo, exec_lo, s21
	s_cbranch_vccnz .LBB54_377
.LBB54_21:
	s_wait_loadcnt 0x0
	s_delay_alu instid0(VALU_DEP_1)
	v_bfe_i32 v1, v4, 0, 8
	v_and_b32_e32 v2, 0xff, v0
	v_bfe_i32 v0, v0, 0, 8
	s_mov_b32 s15, 0
	s_mov_b32 s0, exec_lo
	v_sub_nc_u16 v3, 0, v1
	s_delay_alu instid0(VALU_DEP_1)
	v_max_i16 v3, v1, v3
	v_cmpx_ne_u16_e32 0, v2
	s_cbranch_execz .LBB54_25
; %bb.22:
	v_sub_nc_u16 v2, 0, v0
	s_delay_alu instid0(VALU_DEP_1) | instskip(SKIP_1) | instid1(VALU_DEP_2)
	v_max_i16 v4, v0, v2
	v_and_b32_e32 v2, 0xff, v3
	v_and_b32_e32 v4, 0xffff, v4
.LBB54_23:                              ; =>This Inner Loop Header: Depth=1
	s_delay_alu instid0(VALU_DEP_2) | instskip(NEXT) | instid1(VALU_DEP_2)
	v_bfe_i32 v6, v2, 0, 8
	v_mov_b32_e32 v3, v4
	s_delay_alu instid0(VALU_DEP_2) | instskip(NEXT) | instid1(VALU_DEP_2)
	v_cvt_f32_i32_e32 v8, v6
	v_bfe_i32 v4, v3, 0, 8
	s_delay_alu instid0(VALU_DEP_1) | instskip(SKIP_1) | instid1(VALU_DEP_2)
	v_cvt_f32_i32_e32 v5, v4
	v_xor_b32_e32 v4, v6, v4
	v_rcp_iflag_f32_e32 v7, v5
	v_nop
	s_delay_alu instid0(TRANS32_DEP_1) | instskip(NEXT) | instid1(VALU_DEP_1)
	v_dual_ashrrev_i32 v4, 30, v4 :: v_dual_mul_f32 v6, v8, v7
	v_trunc_f32_e32 v6, v6
	s_delay_alu instid0(VALU_DEP_1) | instskip(SKIP_1) | instid1(VALU_DEP_2)
	v_dual_fma_f32 v7, -v6, v5, v8 :: v_dual_bitop2_b32 v4, 1, v4 bitop3:0x54
	v_cvt_i32_f32_e32 v6, v6
	v_cmp_ge_f32_e64 vcc_lo, |v7|, |v5|
	s_delay_alu instid0(VALU_DEP_3) | instskip(NEXT) | instid1(VALU_DEP_1)
	v_cndmask_b32_e32 v4, 0, v4, vcc_lo
	v_add_nc_u32_e32 v4, v6, v4
	s_delay_alu instid0(VALU_DEP_1) | instskip(NEXT) | instid1(VALU_DEP_1)
	v_mul_lo_u32 v4, v4, v3
	v_sub_nc_u32_e32 v2, v2, v4
	s_delay_alu instid0(VALU_DEP_1) | instskip(SKIP_1) | instid1(VALU_DEP_2)
	v_bfe_i32 v4, v2, 0, 8
	v_mov_b32_e32 v2, v3
	v_cmp_eq_u16_e32 vcc_lo, 0, v4
	v_and_b32_e32 v4, 0xffff, v4
	s_or_b32 s15, vcc_lo, s15
	s_delay_alu instid0(SALU_CYCLE_1)
	s_and_not1_b32 exec_lo, exec_lo, s15
	s_cbranch_execnz .LBB54_23
; %bb.24:
	s_or_b32 exec_lo, exec_lo, s15
.LBB54_25:
	s_delay_alu instid0(SALU_CYCLE_1) | instskip(NEXT) | instid1(VALU_DEP_2)
	s_or_b32 exec_lo, exec_lo, s0
	v_and_b32_e32 v4, 0xff, v3
	v_mov_b32_e32 v2, 0
	s_mov_b32 s0, exec_lo
	s_delay_alu instid0(VALU_DEP_2)
	v_cmpx_ne_u16_e32 0, v4
	s_cbranch_execz .LBB54_27
; %bb.26:
	v_bfe_i32 v2, v3, 0, 8
	v_cvt_f32_i32_e32 v5, v0
	s_delay_alu instid0(VALU_DEP_2) | instskip(SKIP_1) | instid1(VALU_DEP_2)
	v_cvt_f32_i32_e32 v3, v2
	v_xor_b32_e32 v0, v0, v2
	v_rcp_iflag_f32_e32 v4, v3
	v_nop
	s_delay_alu instid0(TRANS32_DEP_1) | instskip(NEXT) | instid1(VALU_DEP_1)
	v_mul_f32_e32 v4, v5, v4
	v_trunc_f32_e32 v2, v4
	s_delay_alu instid0(VALU_DEP_1) | instskip(NEXT) | instid1(VALU_DEP_1)
	v_dual_ashrrev_i32 v0, 30, v0 :: v_dual_fma_f32 v4, -v2, v3, v5
	v_or_b32_e32 v0, 1, v0
	v_cvt_i32_f32_e32 v2, v2
	s_delay_alu instid0(VALU_DEP_3) | instskip(NEXT) | instid1(VALU_DEP_3)
	v_cmp_ge_f32_e64 vcc_lo, |v4|, |v3|
	v_cndmask_b32_e32 v0, 0, v0, vcc_lo
	s_delay_alu instid0(VALU_DEP_1) | instskip(NEXT) | instid1(VALU_DEP_1)
	v_add_nc_u32_e32 v0, v2, v0
	v_bfe_i32 v0, v0, 0, 8
	s_delay_alu instid0(VALU_DEP_1) | instskip(NEXT) | instid1(VALU_DEP_1)
	v_mul_i32_i24_e32 v0, v0, v1
	v_sub_nc_u32_e32 v1, 0, v0
	s_delay_alu instid0(VALU_DEP_1)
	v_max_i32_e32 v2, v0, v1
.LBB54_27:
	s_or_b32 exec_lo, exec_lo, s0
	v_mul_lo_u32 v0, v10, s8
	s_and_b32 s15, s11, 0xff
	s_delay_alu instid0(SALU_CYCLE_1) | instskip(NEXT) | instid1(VALU_DEP_1)
	s_cmp_lt_i32 s15, 11
	v_ashrrev_i32_e32 v1, 31, v0
	s_delay_alu instid0(VALU_DEP_1)
	v_add_nc_u64_e32 v[0:1], s[4:5], v[0:1]
	s_cbranch_scc1 .LBB54_36
; %bb.28:
	s_and_b32 s21, 0xffff, s15
	s_delay_alu instid0(SALU_CYCLE_1)
	s_cmp_gt_i32 s21, 25
	s_cbranch_scc0 .LBB54_39
; %bb.29:
	s_cmp_gt_i32 s21, 28
	s_cbranch_scc0 .LBB54_42
; %bb.30:
	;; [unrolled: 3-line block ×4, first 2 shown]
	s_mov_b32 s23, 0
	s_mov_b32 s0, -1
	s_cmp_eq_u32 s21, 46
	s_mov_b32 s22, 0
	s_cbranch_scc0 .LBB54_161
; %bb.33:
	v_bfe_i32 v3, v2, 0, 8
	s_mov_b32 s22, -1
	s_mov_b32 s0, 0
	s_delay_alu instid0(VALU_DEP_1) | instskip(NEXT) | instid1(VALU_DEP_1)
	v_bfe_i32 v3, v3, 0, 16
	v_cvt_f32_i32_e32 v3, v3
	s_delay_alu instid0(VALU_DEP_1) | instskip(NEXT) | instid1(VALU_DEP_1)
	v_bfe_u32 v4, v3, 16, 1
	v_add3_u32 v3, v3, v4, 0x7fff
	s_delay_alu instid0(VALU_DEP_1)
	v_lshrrev_b32_e32 v3, 16, v3
	global_store_b32 v[0:1], v3, off
	s_branch .LBB54_161
.LBB54_34:
	s_mov_b32 s21, -1
                                        ; implicit-def: $vgpr0
	s_branch .LBB54_57
.LBB54_35:
	s_mov_b32 s22, -1
	s_mov_b32 s17, 0
	s_mov_b32 s21, 0
                                        ; implicit-def: $vgpr4
	s_branch .LBB54_295
.LBB54_36:
	s_mov_b32 s21, -1
	s_mov_b32 s0, 0
	s_mov_b32 s22, 0
	s_branch .LBB54_230
.LBB54_37:
	s_mov_b32 s21, -1
                                        ; implicit-def: $vgpr0
	s_branch .LBB54_52
.LBB54_38:
	s_mov_b32 s22, -1
	s_mov_b32 s17, 0
	s_mov_b32 s21, 0
                                        ; implicit-def: $vgpr4
	s_branch .LBB54_278
.LBB54_39:
	s_mov_b32 s23, -1
	s_mov_b32 s0, 0
	s_mov_b32 s22, 0
	s_branch .LBB54_188
.LBB54_40:
	s_mov_b32 s21, -1
	s_branch .LBB54_44
.LBB54_41:
	s_mov_b32 s22, -1
	s_mov_b32 s17, 0
	s_mov_b32 s21, 0
                                        ; implicit-def: $vgpr4
	s_branch .LBB54_273
.LBB54_42:
	s_mov_b32 s23, -1
	s_mov_b32 s0, 0
	s_mov_b32 s22, 0
	s_branch .LBB54_171
.LBB54_43:
	s_mov_b32 s18, -1
.LBB54_44:
                                        ; implicit-def: $vgpr0
.LBB54_45:
	s_and_b32 vcc_lo, exec_lo, s21
	s_cbranch_vccz .LBB54_51
; %bb.46:
	s_cmp_eq_u32 s15, 44
	s_cbranch_scc0 .LBB54_50
; %bb.47:
	global_load_u8 v0, v[2:3], off
	s_mov_b32 s18, 0
	s_mov_b32 s17, -1
	s_wait_loadcnt 0x0
	v_lshlrev_b32_e32 v1, 23, v0
	v_cmp_ne_u32_e32 vcc_lo, 0, v0
	s_delay_alu instid0(VALU_DEP_2) | instskip(NEXT) | instid1(VALU_DEP_1)
	v_cvt_i32_f32_e32 v1, v1
	v_cndmask_b32_e32 v0, 0, v1, vcc_lo
	s_branch .LBB54_51
.LBB54_48:
	s_mov_b32 s22, -1
	s_mov_b32 s17, 0
	s_branch .LBB54_156
.LBB54_49:
	s_mov_b32 s23, -1
	s_mov_b32 s0, 0
	s_mov_b32 s22, 0
	s_branch .LBB54_167
.LBB54_50:
	s_mov_b32 s18, -1
                                        ; implicit-def: $vgpr0
.LBB54_51:
	s_mov_b32 s21, 0
.LBB54_52:
	s_delay_alu instid0(SALU_CYCLE_1)
	s_and_b32 vcc_lo, exec_lo, s21
	s_cbranch_vccz .LBB54_56
; %bb.53:
	s_cmp_eq_u32 s15, 29
	s_cbranch_scc0 .LBB54_55
; %bb.54:
	global_load_b64 v[0:1], v[2:3], off
	s_mov_b32 s17, -1
	s_mov_b32 s18, 0
	s_branch .LBB54_56
.LBB54_55:
	s_mov_b32 s18, -1
                                        ; implicit-def: $vgpr0
.LBB54_56:
	s_mov_b32 s21, 0
.LBB54_57:
	s_delay_alu instid0(SALU_CYCLE_1)
	s_and_b32 vcc_lo, exec_lo, s21
	s_cbranch_vccz .LBB54_73
; %bb.58:
	s_cmp_lt_i32 s15, 27
	s_cbranch_scc1 .LBB54_61
; %bb.59:
	s_cmp_gt_i32 s15, 27
	s_cbranch_scc0 .LBB54_62
; %bb.60:
	s_wait_loadcnt 0x0
	global_load_b32 v0, v[2:3], off
	s_mov_b32 s17, 0
	s_branch .LBB54_63
.LBB54_61:
	s_mov_b32 s17, -1
                                        ; implicit-def: $vgpr0
	s_branch .LBB54_66
.LBB54_62:
	s_mov_b32 s17, -1
                                        ; implicit-def: $vgpr0
.LBB54_63:
	s_delay_alu instid0(SALU_CYCLE_1)
	s_and_not1_b32 vcc_lo, exec_lo, s17
	s_cbranch_vccnz .LBB54_65
; %bb.64:
	s_wait_loadcnt 0x0
	global_load_u16 v0, v[2:3], off
.LBB54_65:
	s_mov_b32 s17, 0
.LBB54_66:
	s_delay_alu instid0(SALU_CYCLE_1)
	s_and_not1_b32 vcc_lo, exec_lo, s17
	s_cbranch_vccnz .LBB54_72
; %bb.67:
	s_wait_loadcnt 0x0
	global_load_u8 v1, v[2:3], off
	s_mov_b32 s21, 0
	s_mov_b32 s17, exec_lo
	s_wait_loadcnt 0x0
	v_cmpx_lt_i16_e32 0x7f, v1
	s_xor_b32 s17, exec_lo, s17
	s_cbranch_execz .LBB54_83
; %bb.68:
	v_cmp_ne_u16_e32 vcc_lo, 0x80, v1
	s_and_b32 s21, vcc_lo, exec_lo
	s_and_not1_saveexec_b32 s17, s17
	s_cbranch_execnz .LBB54_84
.LBB54_69:
	s_or_b32 exec_lo, exec_lo, s17
	v_mov_b32_e32 v0, 0
	s_and_saveexec_b32 s17, s21
	s_cbranch_execz .LBB54_71
.LBB54_70:
	v_and_b32_e32 v0, 0xffff, v1
	s_delay_alu instid0(VALU_DEP_1) | instskip(SKIP_1) | instid1(VALU_DEP_2)
	v_and_b32_e32 v4, 7, v0
	v_bfe_u32 v7, v0, 3, 4
	v_clz_i32_u32_e32 v5, v4
	s_delay_alu instid0(VALU_DEP_2) | instskip(NEXT) | instid1(VALU_DEP_2)
	v_cmp_eq_u32_e32 vcc_lo, 0, v7
	v_min_u32_e32 v5, 32, v5
	s_delay_alu instid0(VALU_DEP_1) | instskip(NEXT) | instid1(VALU_DEP_1)
	v_subrev_nc_u32_e32 v6, 28, v5
	v_dual_lshlrev_b32 v0, v6, v0 :: v_dual_sub_nc_u32 v5, 29, v5
	s_delay_alu instid0(VALU_DEP_1) | instskip(NEXT) | instid1(VALU_DEP_1)
	v_dual_lshlrev_b32 v1, 24, v1 :: v_dual_bitop2_b32 v0, 7, v0 bitop3:0x40
	v_dual_cndmask_b32 v0, v4, v0 :: v_dual_cndmask_b32 v5, v7, v5
	s_delay_alu instid0(VALU_DEP_2) | instskip(NEXT) | instid1(VALU_DEP_2)
	v_and_b32_e32 v1, 0x80000000, v1
	v_lshlrev_b32_e32 v0, 20, v0
	s_delay_alu instid0(VALU_DEP_3) | instskip(NEXT) | instid1(VALU_DEP_1)
	v_lshl_add_u32 v4, v5, 23, 0x3b800000
	v_or3_b32 v0, v1, v4, v0
	s_delay_alu instid0(VALU_DEP_1)
	v_cvt_i32_f32_e32 v0, v0
.LBB54_71:
	s_or_b32 exec_lo, exec_lo, s17
.LBB54_72:
	s_mov_b32 s17, -1
.LBB54_73:
	s_branch .LBB54_106
.LBB54_74:
	s_cmp_gt_i32 s15, 22
	s_cbranch_scc0 .LBB54_82
; %bb.75:
	s_cmp_lt_i32 s15, 24
	s_cbranch_scc1 .LBB54_85
; %bb.76:
	s_cmp_gt_i32 s15, 24
	s_cbranch_scc0 .LBB54_86
; %bb.77:
	s_wait_loadcnt 0x0
	global_load_u8 v1, v[2:3], off
	s_mov_b32 s21, 0
	s_mov_b32 s17, exec_lo
	s_wait_loadcnt 0x0
	v_cmpx_lt_i16_e32 0x7f, v1
	s_xor_b32 s17, exec_lo, s17
	s_cbranch_execz .LBB54_98
; %bb.78:
	v_cmp_ne_u16_e32 vcc_lo, 0x80, v1
	s_and_b32 s21, vcc_lo, exec_lo
	s_and_not1_saveexec_b32 s17, s17
	s_cbranch_execnz .LBB54_99
.LBB54_79:
	s_or_b32 exec_lo, exec_lo, s17
	v_mov_b32_e32 v0, 0
	s_and_saveexec_b32 s17, s21
	s_cbranch_execz .LBB54_81
.LBB54_80:
	v_and_b32_e32 v0, 0xffff, v1
	s_delay_alu instid0(VALU_DEP_1) | instskip(SKIP_1) | instid1(VALU_DEP_2)
	v_and_b32_e32 v4, 3, v0
	v_bfe_u32 v7, v0, 2, 5
	v_clz_i32_u32_e32 v5, v4
	s_delay_alu instid0(VALU_DEP_2) | instskip(NEXT) | instid1(VALU_DEP_2)
	v_cmp_eq_u32_e32 vcc_lo, 0, v7
	v_min_u32_e32 v5, 32, v5
	s_delay_alu instid0(VALU_DEP_1) | instskip(NEXT) | instid1(VALU_DEP_1)
	v_subrev_nc_u32_e32 v6, 29, v5
	v_dual_lshlrev_b32 v0, v6, v0 :: v_dual_sub_nc_u32 v5, 30, v5
	s_delay_alu instid0(VALU_DEP_1) | instskip(NEXT) | instid1(VALU_DEP_1)
	v_dual_lshlrev_b32 v1, 24, v1 :: v_dual_bitop2_b32 v0, 3, v0 bitop3:0x40
	v_dual_cndmask_b32 v0, v4, v0 :: v_dual_cndmask_b32 v5, v7, v5
	s_delay_alu instid0(VALU_DEP_2) | instskip(NEXT) | instid1(VALU_DEP_2)
	v_and_b32_e32 v1, 0x80000000, v1
	v_lshlrev_b32_e32 v0, 21, v0
	s_delay_alu instid0(VALU_DEP_3) | instskip(NEXT) | instid1(VALU_DEP_1)
	v_lshl_add_u32 v4, v5, 23, 0x37800000
	v_or3_b32 v0, v1, v4, v0
	s_delay_alu instid0(VALU_DEP_1)
	v_cvt_i32_f32_e32 v0, v0
.LBB54_81:
	s_or_b32 exec_lo, exec_lo, s17
	s_mov_b32 s17, 0
	s_branch .LBB54_87
.LBB54_82:
	s_mov_b32 s21, -1
                                        ; implicit-def: $vgpr0
	s_branch .LBB54_93
.LBB54_83:
	s_and_not1_saveexec_b32 s17, s17
	s_cbranch_execz .LBB54_69
.LBB54_84:
	v_cmp_ne_u16_e32 vcc_lo, 0, v1
	s_and_not1_b32 s21, s21, exec_lo
	s_and_b32 s22, vcc_lo, exec_lo
	s_delay_alu instid0(SALU_CYCLE_1)
	s_or_b32 s21, s21, s22
	s_or_b32 exec_lo, exec_lo, s17
	v_mov_b32_e32 v0, 0
	s_and_saveexec_b32 s17, s21
	s_cbranch_execnz .LBB54_70
	s_branch .LBB54_71
.LBB54_85:
	s_mov_b32 s17, -1
                                        ; implicit-def: $vgpr0
	s_branch .LBB54_90
.LBB54_86:
	s_mov_b32 s17, -1
                                        ; implicit-def: $vgpr0
.LBB54_87:
	s_delay_alu instid0(SALU_CYCLE_1)
	s_and_b32 vcc_lo, exec_lo, s17
	s_cbranch_vccz .LBB54_89
; %bb.88:
	s_wait_loadcnt 0x0
	global_load_u8 v0, v[2:3], off
	s_wait_loadcnt 0x0
	v_lshlrev_b32_e32 v0, 24, v0
	s_delay_alu instid0(VALU_DEP_1) | instskip(NEXT) | instid1(VALU_DEP_1)
	v_and_b32_e32 v1, 0x7f000000, v0
	v_clz_i32_u32_e32 v4, v1
	v_cmp_ne_u32_e32 vcc_lo, 0, v1
	v_add_nc_u32_e32 v6, 0x1000000, v1
	s_delay_alu instid0(VALU_DEP_3) | instskip(NEXT) | instid1(VALU_DEP_1)
	v_min_u32_e32 v4, 32, v4
	v_sub_nc_u32_e64 v4, v4, 4 clamp
	s_delay_alu instid0(VALU_DEP_1) | instskip(NEXT) | instid1(VALU_DEP_1)
	v_dual_lshlrev_b32 v5, v4, v1 :: v_dual_lshlrev_b32 v4, 23, v4
	v_lshrrev_b32_e32 v5, 4, v5
	s_delay_alu instid0(VALU_DEP_1) | instskip(NEXT) | instid1(VALU_DEP_1)
	v_dual_sub_nc_u32 v4, v5, v4 :: v_dual_ashrrev_i32 v5, 8, v6
	v_add_nc_u32_e32 v4, 0x3c000000, v4
	s_delay_alu instid0(VALU_DEP_1) | instskip(NEXT) | instid1(VALU_DEP_1)
	v_and_or_b32 v4, 0x7f800000, v5, v4
	v_cndmask_b32_e32 v1, 0, v4, vcc_lo
	s_delay_alu instid0(VALU_DEP_1) | instskip(NEXT) | instid1(VALU_DEP_1)
	v_and_or_b32 v0, 0x80000000, v0, v1
	v_cvt_i32_f32_e32 v0, v0
.LBB54_89:
	s_mov_b32 s17, 0
.LBB54_90:
	s_delay_alu instid0(SALU_CYCLE_1)
	s_and_not1_b32 vcc_lo, exec_lo, s17
	s_cbranch_vccnz .LBB54_92
; %bb.91:
	s_wait_loadcnt 0x0
	global_load_u8 v0, v[2:3], off
	s_wait_loadcnt 0x0
	v_lshlrev_b32_e32 v1, 25, v0
	v_lshlrev_b16 v0, 8, v0
	s_delay_alu instid0(VALU_DEP_1) | instskip(SKIP_1) | instid1(VALU_DEP_2)
	v_and_or_b32 v5, 0x7f00, v0, 0.5
	v_bfe_i32 v0, v0, 0, 16
	v_add_f32_e32 v5, -0.5, v5
	v_lshrrev_b32_e32 v4, 4, v1
	v_cmp_gt_u32_e32 vcc_lo, 0x8000000, v1
	s_delay_alu instid0(VALU_DEP_2) | instskip(NEXT) | instid1(VALU_DEP_1)
	v_or_b32_e32 v4, 0x70000000, v4
	v_mul_f32_e32 v4, 0x7800000, v4
	s_delay_alu instid0(VALU_DEP_1) | instskip(NEXT) | instid1(VALU_DEP_1)
	v_cndmask_b32_e32 v1, v4, v5, vcc_lo
	v_and_or_b32 v0, 0x80000000, v0, v1
	s_delay_alu instid0(VALU_DEP_1)
	v_cvt_i32_f32_e32 v0, v0
.LBB54_92:
	s_mov_b32 s21, 0
	s_mov_b32 s17, -1
.LBB54_93:
	s_and_not1_b32 vcc_lo, exec_lo, s21
	s_cbranch_vccnz .LBB54_106
; %bb.94:
	s_cmp_gt_i32 s15, 14
	s_cbranch_scc0 .LBB54_97
; %bb.95:
	s_cmp_eq_u32 s15, 15
	s_cbranch_scc0 .LBB54_100
; %bb.96:
	s_wait_loadcnt 0x0
	global_load_u16 v0, v[2:3], off
	s_mov_b32 s17, -1
	s_mov_b32 s18, 0
	s_wait_loadcnt 0x0
	v_lshlrev_b32_e32 v0, 16, v0
	s_delay_alu instid0(VALU_DEP_1)
	v_cvt_i32_f32_e32 v0, v0
	s_branch .LBB54_101
.LBB54_97:
	s_mov_b32 s21, -1
                                        ; implicit-def: $vgpr0
	s_branch .LBB54_102
.LBB54_98:
	s_and_not1_saveexec_b32 s17, s17
	s_cbranch_execz .LBB54_79
.LBB54_99:
	v_cmp_ne_u16_e32 vcc_lo, 0, v1
	s_and_not1_b32 s21, s21, exec_lo
	s_and_b32 s22, vcc_lo, exec_lo
	s_delay_alu instid0(SALU_CYCLE_1)
	s_or_b32 s21, s21, s22
	s_or_b32 exec_lo, exec_lo, s17
	v_mov_b32_e32 v0, 0
	s_and_saveexec_b32 s17, s21
	s_cbranch_execnz .LBB54_80
	s_branch .LBB54_81
.LBB54_100:
	s_mov_b32 s18, -1
                                        ; implicit-def: $vgpr0
.LBB54_101:
	s_mov_b32 s21, 0
.LBB54_102:
	s_delay_alu instid0(SALU_CYCLE_1)
	s_and_b32 vcc_lo, exec_lo, s21
	s_cbranch_vccz .LBB54_106
; %bb.103:
	s_cmp_eq_u32 s15, 11
	s_cbranch_scc0 .LBB54_105
; %bb.104:
	s_wait_loadcnt 0x0
	global_load_u8 v0, v[2:3], off
	s_mov_b32 s18, 0
	s_mov_b32 s17, -1
	s_wait_loadcnt 0x0
	v_cmp_ne_u16_e32 vcc_lo, 0, v0
	v_cndmask_b32_e64 v0, 0, 1, vcc_lo
	s_branch .LBB54_106
.LBB54_105:
	s_mov_b32 s18, -1
                                        ; implicit-def: $vgpr0
.LBB54_106:
	s_branch .LBB54_10
.LBB54_107:
	s_and_b32 s0, 0xffff, s0
	s_delay_alu instid0(SALU_CYCLE_1)
	s_cmp_lt_i32 s0, 5
	s_cbranch_scc1 .LBB54_112
; %bb.108:
	s_cmp_lt_i32 s0, 8
	s_cbranch_scc1 .LBB54_113
; %bb.109:
	;; [unrolled: 3-line block ×3, first 2 shown]
	s_cmp_gt_i32 s0, 9
	s_cbranch_scc0 .LBB54_115
; %bb.111:
	s_wait_loadcnt 0x0
	global_load_b64 v[0:1], v[2:3], off
	s_mov_b32 s15, 0
	s_wait_loadcnt 0x0
	v_cvt_i32_f64_e32 v0, v[0:1]
	s_branch .LBB54_116
.LBB54_112:
                                        ; implicit-def: $vgpr0
	s_branch .LBB54_134
.LBB54_113:
	s_mov_b32 s15, -1
                                        ; implicit-def: $vgpr0
	s_branch .LBB54_122
.LBB54_114:
	s_mov_b32 s15, -1
                                        ; implicit-def: $vgpr0
	s_branch .LBB54_119
.LBB54_115:
	s_mov_b32 s15, -1
                                        ; implicit-def: $vgpr0
.LBB54_116:
	s_delay_alu instid0(SALU_CYCLE_1)
	s_and_not1_b32 vcc_lo, exec_lo, s15
	s_cbranch_vccnz .LBB54_118
; %bb.117:
	s_wait_loadcnt 0x0
	global_load_b32 v0, v[2:3], off
	s_wait_loadcnt 0x0
	v_cvt_i32_f32_e32 v0, v0
.LBB54_118:
	s_mov_b32 s15, 0
.LBB54_119:
	s_delay_alu instid0(SALU_CYCLE_1)
	s_and_not1_b32 vcc_lo, exec_lo, s15
	s_cbranch_vccnz .LBB54_121
; %bb.120:
	s_wait_loadcnt 0x0
	global_load_b32 v0, v[2:3], off
	s_wait_loadcnt 0x0
	v_cvt_i16_f16_e32 v0, v0
.LBB54_121:
	s_mov_b32 s15, 0
.LBB54_122:
	s_delay_alu instid0(SALU_CYCLE_1)
	s_and_not1_b32 vcc_lo, exec_lo, s15
	s_cbranch_vccnz .LBB54_133
; %bb.123:
	s_cmp_lt_i32 s0, 6
	s_cbranch_scc1 .LBB54_126
; %bb.124:
	s_cmp_gt_i32 s0, 6
	s_cbranch_scc0 .LBB54_127
; %bb.125:
	s_wait_loadcnt 0x0
	global_load_b64 v[0:1], v[2:3], off
	s_mov_b32 s15, 0
	s_wait_loadcnt 0x0
	v_cvt_i32_f64_e32 v0, v[0:1]
	s_branch .LBB54_128
.LBB54_126:
	s_mov_b32 s15, -1
                                        ; implicit-def: $vgpr0
	s_branch .LBB54_131
.LBB54_127:
	s_mov_b32 s15, -1
                                        ; implicit-def: $vgpr0
.LBB54_128:
	s_delay_alu instid0(SALU_CYCLE_1)
	s_and_not1_b32 vcc_lo, exec_lo, s15
	s_cbranch_vccnz .LBB54_130
; %bb.129:
	s_wait_loadcnt 0x0
	global_load_b32 v0, v[2:3], off
	s_wait_loadcnt 0x0
	v_cvt_i32_f32_e32 v0, v0
.LBB54_130:
	s_mov_b32 s15, 0
.LBB54_131:
	s_delay_alu instid0(SALU_CYCLE_1)
	s_and_not1_b32 vcc_lo, exec_lo, s15
	s_cbranch_vccnz .LBB54_133
; %bb.132:
	s_wait_loadcnt 0x0
	global_load_u16 v0, v[2:3], off
	s_wait_loadcnt 0x0
	v_cvt_i16_f16_e32 v0, v0
.LBB54_133:
	s_cbranch_execnz .LBB54_153
.LBB54_134:
	s_cmp_lt_i32 s0, 2
	s_cbranch_scc1 .LBB54_138
; %bb.135:
	s_cmp_lt_i32 s0, 3
	s_cbranch_scc1 .LBB54_139
; %bb.136:
	s_cmp_gt_i32 s0, 3
	s_cbranch_scc0 .LBB54_140
; %bb.137:
	s_wait_loadcnt 0x0
	global_load_b64 v[0:1], v[2:3], off
	s_mov_b32 s15, 0
	s_branch .LBB54_141
.LBB54_138:
	s_mov_b32 s15, -1
                                        ; implicit-def: $vgpr0
	s_branch .LBB54_147
.LBB54_139:
	s_mov_b32 s15, -1
                                        ; implicit-def: $vgpr0
	s_branch .LBB54_144
.LBB54_140:
	s_mov_b32 s15, -1
                                        ; implicit-def: $vgpr0
.LBB54_141:
	s_delay_alu instid0(SALU_CYCLE_1)
	s_and_not1_b32 vcc_lo, exec_lo, s15
	s_cbranch_vccnz .LBB54_143
; %bb.142:
	s_wait_loadcnt 0x0
	global_load_b32 v0, v[2:3], off
.LBB54_143:
	s_mov_b32 s15, 0
.LBB54_144:
	s_delay_alu instid0(SALU_CYCLE_1)
	s_and_not1_b32 vcc_lo, exec_lo, s15
	s_cbranch_vccnz .LBB54_146
; %bb.145:
	s_wait_loadcnt 0x0
	global_load_u16 v0, v[2:3], off
.LBB54_146:
	s_mov_b32 s15, 0
.LBB54_147:
	s_delay_alu instid0(SALU_CYCLE_1)
	s_and_not1_b32 vcc_lo, exec_lo, s15
	s_cbranch_vccnz .LBB54_153
; %bb.148:
	s_cmp_gt_i32 s0, 0
	s_mov_b32 s0, 0
	s_cbranch_scc0 .LBB54_150
; %bb.149:
	s_wait_loadcnt 0x0
	global_load_u8 v0, v[2:3], off
	s_branch .LBB54_151
.LBB54_150:
	s_mov_b32 s0, -1
                                        ; implicit-def: $vgpr0
.LBB54_151:
	s_delay_alu instid0(SALU_CYCLE_1)
	s_and_not1_b32 vcc_lo, exec_lo, s0
	s_cbranch_vccnz .LBB54_153
; %bb.152:
	s_wait_loadcnt 0x0
	global_load_u8 v0, v[2:3], off
.LBB54_153:
	s_branch .LBB54_11
.LBB54_154:
	s_mov_b32 s0, 0
	s_mov_b32 s17, 0
	s_branch .LBB54_378
.LBB54_155:
	s_mov_b32 s17, -1
.LBB54_156:
	s_mov_b32 s21, 0
                                        ; implicit-def: $vgpr4
.LBB54_157:
	s_and_b32 vcc_lo, exec_lo, s22
	s_cbranch_vccz .LBB54_272
; %bb.158:
	s_cmp_eq_u32 s15, 44
	s_cbranch_scc0 .LBB54_271
; %bb.159:
	s_wait_loadcnt 0x0
	global_load_u8 v1, v[2:3], off
	s_mov_b32 s17, 0
	s_mov_b32 s21, -1
	s_wait_loadcnt 0x0
	v_lshlrev_b32_e32 v4, 23, v1
	v_cmp_ne_u32_e32 vcc_lo, 0, v1
	s_delay_alu instid0(VALU_DEP_2) | instskip(NEXT) | instid1(VALU_DEP_1)
	v_cvt_i32_f32_e32 v4, v4
	v_cndmask_b32_e32 v4, 0, v4, vcc_lo
	s_branch .LBB54_272
.LBB54_160:
	s_mov_b32 s23, -1
	s_mov_b32 s0, 0
	s_mov_b32 s22, 0
.LBB54_161:
	s_and_b32 vcc_lo, exec_lo, s23
	s_cbranch_vccz .LBB54_166
; %bb.162:
	s_cmp_eq_u32 s21, 44
	s_mov_b32 s0, -1
	s_cbranch_scc0 .LBB54_166
; %bb.163:
	s_wait_xcnt 0x0
	v_bfe_i32 v3, v2, 0, 8
	v_mov_b32_e32 v4, 0xff
	s_mov_b32 s22, exec_lo
	s_delay_alu instid0(VALU_DEP_2) | instskip(NEXT) | instid1(VALU_DEP_1)
	v_bfe_i32 v3, v3, 0, 16
	v_cvt_f32_i32_e32 v3, v3
	s_delay_alu instid0(VALU_DEP_1) | instskip(NEXT) | instid1(VALU_DEP_1)
	v_bfe_u32 v5, v3, 23, 8
	v_cmpx_ne_u32_e32 0xff, v5
	s_cbranch_execz .LBB54_165
; %bb.164:
	v_and_b32_e32 v4, 0x400000, v3
	v_and_or_b32 v5, 0x3fffff, v3, v5
	v_lshrrev_b32_e32 v3, 23, v3
	s_delay_alu instid0(VALU_DEP_3) | instskip(NEXT) | instid1(VALU_DEP_3)
	v_cmp_ne_u32_e32 vcc_lo, 0, v4
	v_cmp_ne_u32_e64 s0, 0, v5
	s_and_b32 s0, vcc_lo, s0
	s_delay_alu instid0(SALU_CYCLE_1) | instskip(NEXT) | instid1(VALU_DEP_1)
	v_cndmask_b32_e64 v4, 0, 1, s0
	v_add_nc_u32_e32 v4, v3, v4
.LBB54_165:
	s_or_b32 exec_lo, exec_lo, s22
	s_mov_b32 s22, -1
	s_mov_b32 s0, 0
	global_store_b8 v[0:1], v4, off
.LBB54_166:
	s_mov_b32 s23, 0
.LBB54_167:
	s_delay_alu instid0(SALU_CYCLE_1)
	s_and_b32 vcc_lo, exec_lo, s23
	s_cbranch_vccz .LBB54_170
; %bb.168:
	s_cmp_eq_u32 s21, 29
	s_mov_b32 s0, -1
	s_cbranch_scc0 .LBB54_170
; %bb.169:
	s_wait_xcnt 0x0
	v_bfe_i32 v4, v2, 0, 8
	s_mov_b32 s22, -1
	s_mov_b32 s0, 0
	s_mov_b32 s23, 0
	s_delay_alu instid0(VALU_DEP_1)
	v_ashrrev_i32_e32 v5, 31, v4
	global_store_b64 v[0:1], v[4:5], off
	s_branch .LBB54_171
.LBB54_170:
	s_mov_b32 s23, 0
.LBB54_171:
	s_delay_alu instid0(SALU_CYCLE_1)
	s_and_b32 vcc_lo, exec_lo, s23
	s_cbranch_vccz .LBB54_187
; %bb.172:
	s_cmp_lt_i32 s21, 27
	s_mov_b32 s22, -1
	s_cbranch_scc1 .LBB54_178
; %bb.173:
	s_cmp_gt_i32 s21, 27
	s_cbranch_scc0 .LBB54_175
; %bb.174:
	s_wait_xcnt 0x0
	v_bfe_i32 v3, v2, 0, 8
	s_mov_b32 s22, 0
	global_store_b32 v[0:1], v3, off
.LBB54_175:
	s_and_not1_b32 vcc_lo, exec_lo, s22
	s_cbranch_vccnz .LBB54_177
; %bb.176:
	s_wait_xcnt 0x0
	v_bfe_i32 v3, v2, 0, 8
	global_store_b16 v[0:1], v3, off
.LBB54_177:
	s_mov_b32 s22, 0
.LBB54_178:
	s_delay_alu instid0(SALU_CYCLE_1)
	s_and_not1_b32 vcc_lo, exec_lo, s22
	s_cbranch_vccnz .LBB54_186
; %bb.179:
	s_wait_xcnt 0x0
	v_bfe_i32 v3, v2, 0, 8
	v_mov_b32_e32 v5, 0x80
	s_mov_b32 s22, exec_lo
	s_delay_alu instid0(VALU_DEP_2) | instskip(NEXT) | instid1(VALU_DEP_1)
	v_bfe_i32 v3, v3, 0, 16
	v_cvt_f32_i32_e32 v3, v3
	s_delay_alu instid0(VALU_DEP_1) | instskip(NEXT) | instid1(VALU_DEP_1)
	v_and_b32_e32 v4, 0x7fffffff, v3
	v_cmpx_gt_u32_e32 0x43800000, v4
	s_cbranch_execz .LBB54_185
; %bb.180:
	v_cmp_lt_u32_e32 vcc_lo, 0x3bffffff, v4
	s_mov_b32 s23, 0
                                        ; implicit-def: $vgpr4
	s_and_saveexec_b32 s24, vcc_lo
	s_delay_alu instid0(SALU_CYCLE_1)
	s_xor_b32 s24, exec_lo, s24
	s_cbranch_execz .LBB54_409
; %bb.181:
	v_bfe_u32 v4, v3, 20, 1
	s_mov_b32 s23, exec_lo
	s_delay_alu instid0(VALU_DEP_1) | instskip(NEXT) | instid1(VALU_DEP_1)
	v_add3_u32 v4, v3, v4, 0x487ffff
	v_lshrrev_b32_e32 v4, 20, v4
	s_and_not1_saveexec_b32 s24, s24
	s_cbranch_execnz .LBB54_410
.LBB54_182:
	s_or_b32 exec_lo, exec_lo, s24
	v_mov_b32_e32 v5, 0
	s_and_saveexec_b32 s24, s23
.LBB54_183:
	v_lshrrev_b32_e32 v3, 24, v3
	s_delay_alu instid0(VALU_DEP_1)
	v_and_or_b32 v5, 0x80, v3, v4
.LBB54_184:
	s_or_b32 exec_lo, exec_lo, s24
.LBB54_185:
	s_delay_alu instid0(SALU_CYCLE_1)
	s_or_b32 exec_lo, exec_lo, s22
	global_store_b8 v[0:1], v5, off
.LBB54_186:
	s_mov_b32 s22, -1
.LBB54_187:
	s_mov_b32 s23, 0
.LBB54_188:
	s_delay_alu instid0(SALU_CYCLE_1)
	s_and_b32 vcc_lo, exec_lo, s23
	s_cbranch_vccz .LBB54_229
; %bb.189:
	s_cmp_gt_i32 s21, 22
	s_mov_b32 s23, -1
	s_cbranch_scc0 .LBB54_221
; %bb.190:
	s_cmp_lt_i32 s21, 24
	s_mov_b32 s22, -1
	s_cbranch_scc1 .LBB54_210
; %bb.191:
	s_cmp_gt_i32 s21, 24
	s_cbranch_scc0 .LBB54_199
; %bb.192:
	s_wait_xcnt 0x0
	v_bfe_i32 v3, v2, 0, 8
	v_mov_b32_e32 v5, 0x80
	s_mov_b32 s22, exec_lo
	s_delay_alu instid0(VALU_DEP_2) | instskip(NEXT) | instid1(VALU_DEP_1)
	v_bfe_i32 v3, v3, 0, 16
	v_cvt_f32_i32_e32 v3, v3
	s_delay_alu instid0(VALU_DEP_1) | instskip(NEXT) | instid1(VALU_DEP_1)
	v_and_b32_e32 v4, 0x7fffffff, v3
	v_cmpx_gt_u32_e32 0x47800000, v4
	s_cbranch_execz .LBB54_198
; %bb.193:
	v_cmp_lt_u32_e32 vcc_lo, 0x37ffffff, v4
	s_mov_b32 s23, 0
                                        ; implicit-def: $vgpr4
	s_and_saveexec_b32 s24, vcc_lo
	s_delay_alu instid0(SALU_CYCLE_1)
	s_xor_b32 s24, exec_lo, s24
	s_cbranch_execz .LBB54_524
; %bb.194:
	v_bfe_u32 v4, v3, 21, 1
	s_mov_b32 s23, exec_lo
	s_delay_alu instid0(VALU_DEP_1) | instskip(NEXT) | instid1(VALU_DEP_1)
	v_add3_u32 v4, v3, v4, 0x88fffff
	v_lshrrev_b32_e32 v4, 21, v4
	s_and_not1_saveexec_b32 s24, s24
	s_cbranch_execnz .LBB54_525
.LBB54_195:
	s_or_b32 exec_lo, exec_lo, s24
	v_mov_b32_e32 v5, 0
	s_and_saveexec_b32 s24, s23
.LBB54_196:
	v_lshrrev_b32_e32 v3, 24, v3
	s_delay_alu instid0(VALU_DEP_1)
	v_and_or_b32 v5, 0x80, v3, v4
.LBB54_197:
	s_or_b32 exec_lo, exec_lo, s24
.LBB54_198:
	s_delay_alu instid0(SALU_CYCLE_1)
	s_or_b32 exec_lo, exec_lo, s22
	s_mov_b32 s22, 0
	global_store_b8 v[0:1], v5, off
.LBB54_199:
	s_and_b32 vcc_lo, exec_lo, s22
	s_cbranch_vccz .LBB54_209
; %bb.200:
	s_wait_xcnt 0x0
	v_bfe_i32 v3, v2, 0, 8
	s_mov_b32 s22, exec_lo
                                        ; implicit-def: $vgpr4
	s_delay_alu instid0(VALU_DEP_1) | instskip(NEXT) | instid1(VALU_DEP_1)
	v_bfe_i32 v3, v3, 0, 16
	v_cvt_f32_i32_e32 v3, v3
	s_delay_alu instid0(VALU_DEP_1) | instskip(NEXT) | instid1(VALU_DEP_1)
	v_and_b32_e32 v5, 0x7fffffff, v3
	v_cmpx_gt_u32_e32 0x43f00000, v5
	s_xor_b32 s22, exec_lo, s22
	s_cbranch_execz .LBB54_206
; %bb.201:
	s_mov_b32 s23, exec_lo
                                        ; implicit-def: $vgpr4
	v_cmpx_lt_u32_e32 0x3c7fffff, v5
	s_xor_b32 s23, exec_lo, s23
; %bb.202:
	v_bfe_u32 v4, v3, 20, 1
	s_delay_alu instid0(VALU_DEP_1) | instskip(NEXT) | instid1(VALU_DEP_1)
	v_add3_u32 v4, v3, v4, 0x407ffff
	v_and_b32_e32 v5, 0xff00000, v4
	v_lshrrev_b32_e32 v4, 20, v4
	s_delay_alu instid0(VALU_DEP_2) | instskip(NEXT) | instid1(VALU_DEP_2)
	v_cmp_ne_u32_e32 vcc_lo, 0x7f00000, v5
	v_cndmask_b32_e32 v4, 0x7e, v4, vcc_lo
; %bb.203:
	s_and_not1_saveexec_b32 s23, s23
; %bb.204:
	v_add_f32_e64 v4, 0x46800000, |v3|
; %bb.205:
	s_or_b32 exec_lo, exec_lo, s23
                                        ; implicit-def: $vgpr5
.LBB54_206:
	s_and_not1_saveexec_b32 s22, s22
; %bb.207:
	v_mov_b32_e32 v4, 0x7f
	v_cmp_lt_u32_e32 vcc_lo, 0x7f800000, v5
	s_delay_alu instid0(VALU_DEP_2)
	v_cndmask_b32_e32 v4, 0x7e, v4, vcc_lo
; %bb.208:
	s_or_b32 exec_lo, exec_lo, s22
	v_lshrrev_b32_e32 v3, 24, v3
	s_delay_alu instid0(VALU_DEP_1)
	v_and_or_b32 v3, 0x80, v3, v4
	global_store_b8 v[0:1], v3, off
.LBB54_209:
	s_mov_b32 s22, 0
.LBB54_210:
	s_delay_alu instid0(SALU_CYCLE_1)
	s_and_not1_b32 vcc_lo, exec_lo, s22
	s_cbranch_vccnz .LBB54_220
; %bb.211:
	s_wait_xcnt 0x0
	v_bfe_i32 v3, v2, 0, 8
	s_mov_b32 s22, exec_lo
                                        ; implicit-def: $vgpr4
	s_delay_alu instid0(VALU_DEP_1) | instskip(NEXT) | instid1(VALU_DEP_1)
	v_bfe_i32 v3, v3, 0, 16
	v_cvt_f32_i32_e32 v3, v3
	s_delay_alu instid0(VALU_DEP_1) | instskip(NEXT) | instid1(VALU_DEP_1)
	v_and_b32_e32 v5, 0x7fffffff, v3
	v_cmpx_gt_u32_e32 0x47800000, v5
	s_xor_b32 s22, exec_lo, s22
	s_cbranch_execz .LBB54_217
; %bb.212:
	s_mov_b32 s23, exec_lo
                                        ; implicit-def: $vgpr4
	v_cmpx_lt_u32_e32 0x387fffff, v5
	s_xor_b32 s23, exec_lo, s23
; %bb.213:
	v_bfe_u32 v4, v3, 21, 1
	s_delay_alu instid0(VALU_DEP_1) | instskip(NEXT) | instid1(VALU_DEP_1)
	v_add3_u32 v4, v3, v4, 0x80fffff
	v_lshrrev_b32_e32 v4, 21, v4
; %bb.214:
	s_and_not1_saveexec_b32 s23, s23
; %bb.215:
	v_add_f32_e64 v4, 0x43000000, |v3|
; %bb.216:
	s_or_b32 exec_lo, exec_lo, s23
                                        ; implicit-def: $vgpr5
.LBB54_217:
	s_and_not1_saveexec_b32 s22, s22
; %bb.218:
	v_mov_b32_e32 v4, 0x7f
	v_cmp_lt_u32_e32 vcc_lo, 0x7f800000, v5
	s_delay_alu instid0(VALU_DEP_2)
	v_cndmask_b32_e32 v4, 0x7c, v4, vcc_lo
; %bb.219:
	s_or_b32 exec_lo, exec_lo, s22
	v_lshrrev_b32_e32 v3, 24, v3
	s_delay_alu instid0(VALU_DEP_1)
	v_and_or_b32 v3, 0x80, v3, v4
	global_store_b8 v[0:1], v3, off
.LBB54_220:
	s_mov_b32 s23, 0
	s_mov_b32 s22, -1
.LBB54_221:
	s_and_not1_b32 vcc_lo, exec_lo, s23
	s_cbranch_vccnz .LBB54_229
; %bb.222:
	s_cmp_gt_i32 s21, 14
	s_mov_b32 s23, -1
	s_cbranch_scc0 .LBB54_226
; %bb.223:
	s_cmp_eq_u32 s21, 15
	s_mov_b32 s0, -1
	s_cbranch_scc0 .LBB54_225
; %bb.224:
	s_wait_xcnt 0x0
	v_bfe_i32 v3, v2, 0, 8
	s_mov_b32 s22, -1
	s_mov_b32 s0, 0
	s_delay_alu instid0(VALU_DEP_1) | instskip(NEXT) | instid1(VALU_DEP_1)
	v_bfe_i32 v3, v3, 0, 16
	v_cvt_f32_i32_e32 v3, v3
	s_delay_alu instid0(VALU_DEP_1) | instskip(NEXT) | instid1(VALU_DEP_1)
	v_bfe_u32 v4, v3, 16, 1
	v_add3_u32 v3, v3, v4, 0x7fff
	global_store_d16_hi_b16 v[0:1], v3, off
.LBB54_225:
	s_mov_b32 s23, 0
.LBB54_226:
	s_delay_alu instid0(SALU_CYCLE_1)
	s_and_b32 vcc_lo, exec_lo, s23
	s_cbranch_vccz .LBB54_229
; %bb.227:
	s_cmp_eq_u32 s21, 11
	s_mov_b32 s0, -1
	s_cbranch_scc0 .LBB54_229
; %bb.228:
	s_wait_xcnt 0x0
	v_and_b32_e32 v3, 0xff, v2
	s_mov_b32 s0, 0
	s_mov_b32 s22, -1
	s_delay_alu instid0(VALU_DEP_1)
	v_cmp_ne_u16_e32 vcc_lo, 0, v3
	v_cndmask_b32_e64 v3, 0, 1, vcc_lo
	global_store_b8 v[0:1], v3, off
.LBB54_229:
	s_mov_b32 s21, 0
.LBB54_230:
	s_delay_alu instid0(SALU_CYCLE_1)
	s_and_b32 vcc_lo, exec_lo, s21
	s_cbranch_vccz .LBB54_269
; %bb.231:
	s_and_b32 s15, 0xffff, s15
	s_mov_b32 s21, -1
	s_cmp_lt_i32 s15, 5
	s_cbranch_scc1 .LBB54_252
; %bb.232:
	s_cmp_lt_i32 s15, 8
	s_cbranch_scc1 .LBB54_242
; %bb.233:
	;; [unrolled: 3-line block ×3, first 2 shown]
	s_cmp_gt_i32 s15, 9
	s_cbranch_scc0 .LBB54_236
; %bb.235:
	s_wait_xcnt 0x0
	v_bfe_i32 v3, v2, 0, 8
	v_mov_b32_e32 v6, 0
	s_mov_b32 s21, 0
	s_delay_alu instid0(VALU_DEP_2) | instskip(NEXT) | instid1(VALU_DEP_2)
	v_bfe_i32 v3, v3, 0, 16
	v_mov_b32_e32 v7, v6
	s_delay_alu instid0(VALU_DEP_2)
	v_cvt_f64_i32_e32 v[4:5], v3
	global_store_b128 v[0:1], v[4:7], off
.LBB54_236:
	s_and_not1_b32 vcc_lo, exec_lo, s21
	s_cbranch_vccnz .LBB54_238
; %bb.237:
	s_wait_xcnt 0x0
	v_bfe_i32 v3, v2, 0, 8
	v_mov_b32_e32 v5, 0
	s_delay_alu instid0(VALU_DEP_2) | instskip(NEXT) | instid1(VALU_DEP_1)
	v_bfe_i32 v3, v3, 0, 16
	v_cvt_f32_i32_e32 v4, v3
	global_store_b64 v[0:1], v[4:5], off
.LBB54_238:
	s_mov_b32 s21, 0
.LBB54_239:
	s_delay_alu instid0(SALU_CYCLE_1)
	s_and_not1_b32 vcc_lo, exec_lo, s21
	s_cbranch_vccnz .LBB54_241
; %bb.240:
	s_wait_xcnt 0x0
	v_bfe_i32 v3, v2, 0, 8
	s_delay_alu instid0(VALU_DEP_1) | instskip(NEXT) | instid1(VALU_DEP_1)
	v_cvt_f16_i16_e32 v3, v3
	v_and_b32_e32 v3, 0xffff, v3
	global_store_b32 v[0:1], v3, off
.LBB54_241:
	s_mov_b32 s21, 0
.LBB54_242:
	s_delay_alu instid0(SALU_CYCLE_1)
	s_and_not1_b32 vcc_lo, exec_lo, s21
	s_cbranch_vccnz .LBB54_251
; %bb.243:
	s_cmp_lt_i32 s15, 6
	s_mov_b32 s21, -1
	s_cbranch_scc1 .LBB54_249
; %bb.244:
	s_cmp_gt_i32 s15, 6
	s_cbranch_scc0 .LBB54_246
; %bb.245:
	s_wait_xcnt 0x0
	v_bfe_i32 v3, v2, 0, 8
	s_mov_b32 s21, 0
	s_delay_alu instid0(VALU_DEP_1) | instskip(NEXT) | instid1(VALU_DEP_1)
	v_bfe_i32 v3, v3, 0, 16
	v_cvt_f64_i32_e32 v[4:5], v3
	global_store_b64 v[0:1], v[4:5], off
.LBB54_246:
	s_and_not1_b32 vcc_lo, exec_lo, s21
	s_cbranch_vccnz .LBB54_248
; %bb.247:
	s_wait_xcnt 0x0
	v_bfe_i32 v3, v2, 0, 8
	s_delay_alu instid0(VALU_DEP_1) | instskip(NEXT) | instid1(VALU_DEP_1)
	v_bfe_i32 v3, v3, 0, 16
	v_cvt_f32_i32_e32 v3, v3
	global_store_b32 v[0:1], v3, off
.LBB54_248:
	s_mov_b32 s21, 0
.LBB54_249:
	s_delay_alu instid0(SALU_CYCLE_1)
	s_and_not1_b32 vcc_lo, exec_lo, s21
	s_cbranch_vccnz .LBB54_251
; %bb.250:
	s_wait_xcnt 0x0
	v_bfe_i32 v3, v2, 0, 8
	s_delay_alu instid0(VALU_DEP_1)
	v_cvt_f16_i16_e32 v3, v3
	global_store_b16 v[0:1], v3, off
.LBB54_251:
	s_mov_b32 s21, 0
.LBB54_252:
	s_delay_alu instid0(SALU_CYCLE_1)
	s_and_not1_b32 vcc_lo, exec_lo, s21
	s_cbranch_vccnz .LBB54_268
; %bb.253:
	s_cmp_lt_i32 s15, 2
	s_mov_b32 s21, -1
	s_cbranch_scc1 .LBB54_263
; %bb.254:
	s_cmp_lt_i32 s15, 3
	s_cbranch_scc1 .LBB54_260
; %bb.255:
	s_cmp_gt_i32 s15, 3
	s_cbranch_scc0 .LBB54_257
; %bb.256:
	s_wait_xcnt 0x0
	v_bfe_i32 v4, v2, 0, 8
	s_mov_b32 s21, 0
	s_delay_alu instid0(VALU_DEP_1)
	v_ashrrev_i32_e32 v5, 31, v4
	global_store_b64 v[0:1], v[4:5], off
.LBB54_257:
	s_and_not1_b32 vcc_lo, exec_lo, s21
	s_cbranch_vccnz .LBB54_259
; %bb.258:
	s_wait_xcnt 0x0
	v_bfe_i32 v3, v2, 0, 8
	global_store_b32 v[0:1], v3, off
.LBB54_259:
	s_mov_b32 s21, 0
.LBB54_260:
	s_delay_alu instid0(SALU_CYCLE_1)
	s_and_not1_b32 vcc_lo, exec_lo, s21
	s_cbranch_vccnz .LBB54_262
; %bb.261:
	s_wait_xcnt 0x0
	v_bfe_i32 v3, v2, 0, 8
	global_store_b16 v[0:1], v3, off
.LBB54_262:
	s_mov_b32 s21, 0
.LBB54_263:
	s_delay_alu instid0(SALU_CYCLE_1)
	s_and_not1_b32 vcc_lo, exec_lo, s21
	s_cbranch_vccnz .LBB54_268
; %bb.264:
	s_cmp_gt_i32 s15, 0
	s_mov_b32 s15, -1
	s_cbranch_scc0 .LBB54_266
; %bb.265:
	s_mov_b32 s15, 0
	global_store_b8 v[0:1], v2, off
.LBB54_266:
	s_and_not1_b32 vcc_lo, exec_lo, s15
	s_cbranch_vccnz .LBB54_268
; %bb.267:
	global_store_b8 v[0:1], v2, off
.LBB54_268:
	s_mov_b32 s22, -1
.LBB54_269:
	s_delay_alu instid0(SALU_CYCLE_1)
	s_and_not1_b32 vcc_lo, exec_lo, s22
	s_cbranch_vccnz .LBB54_378
; %bb.270:
	v_add_nc_u32_e32 v10, 0x80, v10
	s_mov_b32 s21, -1
	s_branch .LBB54_379
.LBB54_271:
	s_mov_b32 s17, -1
                                        ; implicit-def: $vgpr4
.LBB54_272:
	s_mov_b32 s22, 0
.LBB54_273:
	s_delay_alu instid0(SALU_CYCLE_1)
	s_and_b32 vcc_lo, exec_lo, s22
	s_cbranch_vccz .LBB54_277
; %bb.274:
	s_cmp_eq_u32 s15, 29
	s_cbranch_scc0 .LBB54_276
; %bb.275:
	global_load_b64 v[4:5], v[2:3], off
	s_mov_b32 s21, -1
	s_mov_b32 s17, 0
	s_branch .LBB54_277
.LBB54_276:
	s_mov_b32 s17, -1
                                        ; implicit-def: $vgpr4
.LBB54_277:
	s_mov_b32 s22, 0
.LBB54_278:
	s_delay_alu instid0(SALU_CYCLE_1)
	s_and_b32 vcc_lo, exec_lo, s22
	s_cbranch_vccz .LBB54_294
; %bb.279:
	s_cmp_lt_i32 s15, 27
	s_cbranch_scc1 .LBB54_282
; %bb.280:
	s_cmp_gt_i32 s15, 27
	s_cbranch_scc0 .LBB54_283
; %bb.281:
	s_wait_loadcnt 0x0
	global_load_b32 v4, v[2:3], off
	s_mov_b32 s21, 0
	s_branch .LBB54_284
.LBB54_282:
	s_mov_b32 s21, -1
                                        ; implicit-def: $vgpr4
	s_branch .LBB54_287
.LBB54_283:
	s_mov_b32 s21, -1
                                        ; implicit-def: $vgpr4
.LBB54_284:
	s_delay_alu instid0(SALU_CYCLE_1)
	s_and_not1_b32 vcc_lo, exec_lo, s21
	s_cbranch_vccnz .LBB54_286
; %bb.285:
	s_wait_loadcnt 0x0
	global_load_u16 v4, v[2:3], off
.LBB54_286:
	s_mov_b32 s21, 0
.LBB54_287:
	s_delay_alu instid0(SALU_CYCLE_1)
	s_and_not1_b32 vcc_lo, exec_lo, s21
	s_cbranch_vccnz .LBB54_293
; %bb.288:
	s_wait_loadcnt 0x0
	global_load_u8 v1, v[2:3], off
	s_mov_b32 s22, 0
	s_mov_b32 s21, exec_lo
	s_wait_loadcnt 0x0
	v_cmpx_lt_i16_e32 0x7f, v1
	s_xor_b32 s21, exec_lo, s21
	s_cbranch_execz .LBB54_305
; %bb.289:
	v_cmp_ne_u16_e32 vcc_lo, 0x80, v1
	s_and_b32 s22, vcc_lo, exec_lo
	s_and_not1_saveexec_b32 s21, s21
	s_cbranch_execnz .LBB54_306
.LBB54_290:
	s_or_b32 exec_lo, exec_lo, s21
	v_mov_b32_e32 v4, 0
	s_and_saveexec_b32 s21, s22
	s_cbranch_execz .LBB54_292
.LBB54_291:
	v_and_b32_e32 v4, 0xffff, v1
	s_delay_alu instid0(VALU_DEP_1) | instskip(SKIP_1) | instid1(VALU_DEP_2)
	v_and_b32_e32 v5, 7, v4
	v_bfe_u32 v8, v4, 3, 4
	v_clz_i32_u32_e32 v6, v5
	s_delay_alu instid0(VALU_DEP_2) | instskip(NEXT) | instid1(VALU_DEP_2)
	v_cmp_eq_u32_e32 vcc_lo, 0, v8
	v_min_u32_e32 v6, 32, v6
	s_delay_alu instid0(VALU_DEP_1) | instskip(NEXT) | instid1(VALU_DEP_1)
	v_subrev_nc_u32_e32 v7, 28, v6
	v_dual_lshlrev_b32 v4, v7, v4 :: v_dual_sub_nc_u32 v6, 29, v6
	s_delay_alu instid0(VALU_DEP_1) | instskip(NEXT) | instid1(VALU_DEP_1)
	v_dual_lshlrev_b32 v1, 24, v1 :: v_dual_bitop2_b32 v4, 7, v4 bitop3:0x40
	v_dual_cndmask_b32 v6, v8, v6, vcc_lo :: v_dual_cndmask_b32 v4, v5, v4, vcc_lo
	s_delay_alu instid0(VALU_DEP_2) | instskip(NEXT) | instid1(VALU_DEP_2)
	v_and_b32_e32 v1, 0x80000000, v1
	v_lshl_add_u32 v5, v6, 23, 0x3b800000
	s_delay_alu instid0(VALU_DEP_3) | instskip(NEXT) | instid1(VALU_DEP_1)
	v_lshlrev_b32_e32 v4, 20, v4
	v_or3_b32 v1, v1, v5, v4
	s_delay_alu instid0(VALU_DEP_1)
	v_cvt_i32_f32_e32 v4, v1
.LBB54_292:
	s_or_b32 exec_lo, exec_lo, s21
.LBB54_293:
	s_mov_b32 s21, -1
.LBB54_294:
	s_mov_b32 s22, 0
.LBB54_295:
	s_delay_alu instid0(SALU_CYCLE_1)
	s_and_b32 vcc_lo, exec_lo, s22
	s_cbranch_vccz .LBB54_328
; %bb.296:
	s_cmp_gt_i32 s15, 22
	s_cbranch_scc0 .LBB54_304
; %bb.297:
	s_cmp_lt_i32 s15, 24
	s_cbranch_scc1 .LBB54_307
; %bb.298:
	s_cmp_gt_i32 s15, 24
	s_cbranch_scc0 .LBB54_308
; %bb.299:
	s_wait_loadcnt 0x0
	global_load_u8 v1, v[2:3], off
	s_mov_b32 s22, 0
	s_mov_b32 s21, exec_lo
	s_wait_loadcnt 0x0
	v_cmpx_lt_i16_e32 0x7f, v1
	s_xor_b32 s21, exec_lo, s21
	s_cbranch_execz .LBB54_320
; %bb.300:
	v_cmp_ne_u16_e32 vcc_lo, 0x80, v1
	s_and_b32 s22, vcc_lo, exec_lo
	s_and_not1_saveexec_b32 s21, s21
	s_cbranch_execnz .LBB54_321
.LBB54_301:
	s_or_b32 exec_lo, exec_lo, s21
	v_mov_b32_e32 v4, 0
	s_and_saveexec_b32 s21, s22
	s_cbranch_execz .LBB54_303
.LBB54_302:
	v_and_b32_e32 v4, 0xffff, v1
	s_delay_alu instid0(VALU_DEP_1) | instskip(SKIP_1) | instid1(VALU_DEP_2)
	v_and_b32_e32 v5, 3, v4
	v_bfe_u32 v8, v4, 2, 5
	v_clz_i32_u32_e32 v6, v5
	s_delay_alu instid0(VALU_DEP_2) | instskip(NEXT) | instid1(VALU_DEP_2)
	v_cmp_eq_u32_e32 vcc_lo, 0, v8
	v_min_u32_e32 v6, 32, v6
	s_delay_alu instid0(VALU_DEP_1) | instskip(NEXT) | instid1(VALU_DEP_1)
	v_subrev_nc_u32_e32 v7, 29, v6
	v_dual_lshlrev_b32 v4, v7, v4 :: v_dual_sub_nc_u32 v6, 30, v6
	s_delay_alu instid0(VALU_DEP_1) | instskip(NEXT) | instid1(VALU_DEP_1)
	v_dual_lshlrev_b32 v1, 24, v1 :: v_dual_bitop2_b32 v4, 3, v4 bitop3:0x40
	v_dual_cndmask_b32 v6, v8, v6, vcc_lo :: v_dual_cndmask_b32 v4, v5, v4, vcc_lo
	s_delay_alu instid0(VALU_DEP_2) | instskip(NEXT) | instid1(VALU_DEP_2)
	v_and_b32_e32 v1, 0x80000000, v1
	v_lshl_add_u32 v5, v6, 23, 0x37800000
	s_delay_alu instid0(VALU_DEP_3) | instskip(NEXT) | instid1(VALU_DEP_1)
	v_lshlrev_b32_e32 v4, 21, v4
	v_or3_b32 v1, v1, v5, v4
	s_delay_alu instid0(VALU_DEP_1)
	v_cvt_i32_f32_e32 v4, v1
.LBB54_303:
	s_or_b32 exec_lo, exec_lo, s21
	s_mov_b32 s21, 0
	s_branch .LBB54_309
.LBB54_304:
	s_mov_b32 s22, -1
                                        ; implicit-def: $vgpr4
	s_branch .LBB54_315
.LBB54_305:
	s_and_not1_saveexec_b32 s21, s21
	s_cbranch_execz .LBB54_290
.LBB54_306:
	v_cmp_ne_u16_e32 vcc_lo, 0, v1
	s_and_not1_b32 s22, s22, exec_lo
	s_and_b32 s23, vcc_lo, exec_lo
	s_delay_alu instid0(SALU_CYCLE_1)
	s_or_b32 s22, s22, s23
	s_or_b32 exec_lo, exec_lo, s21
	v_mov_b32_e32 v4, 0
	s_and_saveexec_b32 s21, s22
	s_cbranch_execnz .LBB54_291
	s_branch .LBB54_292
.LBB54_307:
	s_mov_b32 s21, -1
                                        ; implicit-def: $vgpr4
	s_branch .LBB54_312
.LBB54_308:
	s_mov_b32 s21, -1
                                        ; implicit-def: $vgpr4
.LBB54_309:
	s_delay_alu instid0(SALU_CYCLE_1)
	s_and_b32 vcc_lo, exec_lo, s21
	s_cbranch_vccz .LBB54_311
; %bb.310:
	s_wait_loadcnt 0x0
	global_load_u8 v1, v[2:3], off
	s_wait_loadcnt 0x0
	v_lshlrev_b32_e32 v1, 24, v1
	s_delay_alu instid0(VALU_DEP_1) | instskip(NEXT) | instid1(VALU_DEP_1)
	v_and_b32_e32 v4, 0x7f000000, v1
	v_clz_i32_u32_e32 v5, v4
	v_cmp_ne_u32_e32 vcc_lo, 0, v4
	v_add_nc_u32_e32 v7, 0x1000000, v4
	s_delay_alu instid0(VALU_DEP_3) | instskip(NEXT) | instid1(VALU_DEP_1)
	v_min_u32_e32 v5, 32, v5
	v_sub_nc_u32_e64 v5, v5, 4 clamp
	s_delay_alu instid0(VALU_DEP_1) | instskip(NEXT) | instid1(VALU_DEP_1)
	v_dual_lshlrev_b32 v6, v5, v4 :: v_dual_lshlrev_b32 v5, 23, v5
	v_lshrrev_b32_e32 v6, 4, v6
	s_delay_alu instid0(VALU_DEP_1) | instskip(NEXT) | instid1(VALU_DEP_1)
	v_dual_sub_nc_u32 v5, v6, v5 :: v_dual_ashrrev_i32 v6, 8, v7
	v_add_nc_u32_e32 v5, 0x3c000000, v5
	s_delay_alu instid0(VALU_DEP_1) | instskip(NEXT) | instid1(VALU_DEP_1)
	v_and_or_b32 v5, 0x7f800000, v6, v5
	v_cndmask_b32_e32 v4, 0, v5, vcc_lo
	s_delay_alu instid0(VALU_DEP_1) | instskip(NEXT) | instid1(VALU_DEP_1)
	v_and_or_b32 v1, 0x80000000, v1, v4
	v_cvt_i32_f32_e32 v4, v1
.LBB54_311:
	s_mov_b32 s21, 0
.LBB54_312:
	s_delay_alu instid0(SALU_CYCLE_1)
	s_and_not1_b32 vcc_lo, exec_lo, s21
	s_cbranch_vccnz .LBB54_314
; %bb.313:
	s_wait_loadcnt 0x0
	global_load_u8 v1, v[2:3], off
	s_wait_loadcnt 0x0
	v_lshlrev_b32_e32 v4, 25, v1
	v_lshlrev_b16 v1, 8, v1
	s_delay_alu instid0(VALU_DEP_1) | instskip(SKIP_1) | instid1(VALU_DEP_2)
	v_and_or_b32 v6, 0x7f00, v1, 0.5
	v_bfe_i32 v1, v1, 0, 16
	v_dual_add_f32 v6, -0.5, v6 :: v_dual_lshrrev_b32 v5, 4, v4
	v_cmp_gt_u32_e32 vcc_lo, 0x8000000, v4
	s_delay_alu instid0(VALU_DEP_2) | instskip(NEXT) | instid1(VALU_DEP_1)
	v_or_b32_e32 v5, 0x70000000, v5
	v_mul_f32_e32 v5, 0x7800000, v5
	s_delay_alu instid0(VALU_DEP_1) | instskip(NEXT) | instid1(VALU_DEP_1)
	v_cndmask_b32_e32 v4, v5, v6, vcc_lo
	v_and_or_b32 v1, 0x80000000, v1, v4
	s_delay_alu instid0(VALU_DEP_1)
	v_cvt_i32_f32_e32 v4, v1
.LBB54_314:
	s_mov_b32 s22, 0
	s_mov_b32 s21, -1
.LBB54_315:
	s_and_not1_b32 vcc_lo, exec_lo, s22
	s_cbranch_vccnz .LBB54_328
; %bb.316:
	s_cmp_gt_i32 s15, 14
	s_cbranch_scc0 .LBB54_319
; %bb.317:
	s_cmp_eq_u32 s15, 15
	s_cbranch_scc0 .LBB54_322
; %bb.318:
	s_wait_loadcnt 0x0
	global_load_u16 v1, v[2:3], off
	s_mov_b32 s21, -1
	s_mov_b32 s17, 0
	s_wait_loadcnt 0x0
	v_lshlrev_b32_e32 v1, 16, v1
	s_delay_alu instid0(VALU_DEP_1)
	v_cvt_i32_f32_e32 v4, v1
	s_branch .LBB54_323
.LBB54_319:
	s_mov_b32 s22, -1
                                        ; implicit-def: $vgpr4
	s_branch .LBB54_324
.LBB54_320:
	s_and_not1_saveexec_b32 s21, s21
	s_cbranch_execz .LBB54_301
.LBB54_321:
	v_cmp_ne_u16_e32 vcc_lo, 0, v1
	s_and_not1_b32 s22, s22, exec_lo
	s_and_b32 s23, vcc_lo, exec_lo
	s_delay_alu instid0(SALU_CYCLE_1)
	s_or_b32 s22, s22, s23
	s_or_b32 exec_lo, exec_lo, s21
	v_mov_b32_e32 v4, 0
	s_and_saveexec_b32 s21, s22
	s_cbranch_execnz .LBB54_302
	s_branch .LBB54_303
.LBB54_322:
	s_mov_b32 s17, -1
                                        ; implicit-def: $vgpr4
.LBB54_323:
	s_mov_b32 s22, 0
.LBB54_324:
	s_delay_alu instid0(SALU_CYCLE_1)
	s_and_b32 vcc_lo, exec_lo, s22
	s_cbranch_vccz .LBB54_328
; %bb.325:
	s_cmp_eq_u32 s15, 11
	s_cbranch_scc0 .LBB54_327
; %bb.326:
	s_wait_loadcnt 0x0
	global_load_u8 v1, v[2:3], off
	s_mov_b32 s17, 0
	s_mov_b32 s21, -1
	s_wait_loadcnt 0x0
	v_cmp_ne_u16_e32 vcc_lo, 0, v1
	v_cndmask_b32_e64 v4, 0, 1, vcc_lo
	s_branch .LBB54_328
.LBB54_327:
	s_mov_b32 s17, -1
                                        ; implicit-def: $vgpr4
.LBB54_328:
	s_branch .LBB54_20
.LBB54_329:
	s_and_b32 s0, 0xffff, s0
	s_delay_alu instid0(SALU_CYCLE_1)
	s_cmp_lt_i32 s0, 5
	s_cbranch_scc1 .LBB54_334
; %bb.330:
	s_cmp_lt_i32 s0, 8
	s_cbranch_scc1 .LBB54_335
; %bb.331:
	s_cmp_lt_i32 s0, 9
	s_cbranch_scc1 .LBB54_336
; %bb.332:
	s_cmp_gt_i32 s0, 9
	s_cbranch_scc0 .LBB54_337
; %bb.333:
	s_wait_loadcnt 0x0
	global_load_b64 v[4:5], v[2:3], off
	s_mov_b32 s15, 0
	s_wait_loadcnt 0x0
	v_cvt_i32_f64_e32 v4, v[4:5]
	s_branch .LBB54_338
.LBB54_334:
	s_mov_b32 s15, -1
                                        ; implicit-def: $vgpr4
	s_branch .LBB54_356
.LBB54_335:
	s_mov_b32 s15, -1
                                        ; implicit-def: $vgpr4
	s_branch .LBB54_344
.LBB54_336:
	s_mov_b32 s15, -1
                                        ; implicit-def: $vgpr4
	s_branch .LBB54_341
.LBB54_337:
	s_mov_b32 s15, -1
                                        ; implicit-def: $vgpr4
.LBB54_338:
	s_delay_alu instid0(SALU_CYCLE_1)
	s_and_not1_b32 vcc_lo, exec_lo, s15
	s_cbranch_vccnz .LBB54_340
; %bb.339:
	s_wait_loadcnt 0x0
	global_load_b32 v1, v[2:3], off
	s_wait_loadcnt 0x0
	v_cvt_i32_f32_e32 v4, v1
.LBB54_340:
	s_mov_b32 s15, 0
.LBB54_341:
	s_delay_alu instid0(SALU_CYCLE_1)
	s_and_not1_b32 vcc_lo, exec_lo, s15
	s_cbranch_vccnz .LBB54_343
; %bb.342:
	s_wait_loadcnt 0x0
	global_load_b32 v1, v[2:3], off
	s_wait_loadcnt 0x0
	v_cvt_i16_f16_e32 v4, v1
.LBB54_343:
	s_mov_b32 s15, 0
.LBB54_344:
	s_delay_alu instid0(SALU_CYCLE_1)
	s_and_not1_b32 vcc_lo, exec_lo, s15
	s_cbranch_vccnz .LBB54_355
; %bb.345:
	s_cmp_lt_i32 s0, 6
	s_cbranch_scc1 .LBB54_348
; %bb.346:
	s_cmp_gt_i32 s0, 6
	s_cbranch_scc0 .LBB54_349
; %bb.347:
	s_wait_loadcnt 0x0
	global_load_b64 v[4:5], v[2:3], off
	s_mov_b32 s15, 0
	s_wait_loadcnt 0x0
	v_cvt_i32_f64_e32 v4, v[4:5]
	s_branch .LBB54_350
.LBB54_348:
	s_mov_b32 s15, -1
                                        ; implicit-def: $vgpr4
	s_branch .LBB54_353
.LBB54_349:
	s_mov_b32 s15, -1
                                        ; implicit-def: $vgpr4
.LBB54_350:
	s_delay_alu instid0(SALU_CYCLE_1)
	s_and_not1_b32 vcc_lo, exec_lo, s15
	s_cbranch_vccnz .LBB54_352
; %bb.351:
	s_wait_loadcnt 0x0
	global_load_b32 v1, v[2:3], off
	s_wait_loadcnt 0x0
	v_cvt_i32_f32_e32 v4, v1
.LBB54_352:
	s_mov_b32 s15, 0
.LBB54_353:
	s_delay_alu instid0(SALU_CYCLE_1)
	s_and_not1_b32 vcc_lo, exec_lo, s15
	s_cbranch_vccnz .LBB54_355
; %bb.354:
	s_wait_loadcnt 0x0
	global_load_u16 v1, v[2:3], off
	s_wait_loadcnt 0x0
	v_cvt_i16_f16_e32 v4, v1
.LBB54_355:
	s_mov_b32 s15, 0
.LBB54_356:
	s_delay_alu instid0(SALU_CYCLE_1)
	s_and_not1_b32 vcc_lo, exec_lo, s15
	s_cbranch_vccnz .LBB54_376
; %bb.357:
	s_cmp_lt_i32 s0, 2
	s_cbranch_scc1 .LBB54_361
; %bb.358:
	s_cmp_lt_i32 s0, 3
	s_cbranch_scc1 .LBB54_362
; %bb.359:
	s_cmp_gt_i32 s0, 3
	s_cbranch_scc0 .LBB54_363
; %bb.360:
	s_wait_loadcnt 0x0
	global_load_b64 v[4:5], v[2:3], off
	s_mov_b32 s15, 0
	s_branch .LBB54_364
.LBB54_361:
	s_mov_b32 s15, -1
                                        ; implicit-def: $vgpr4
	s_branch .LBB54_370
.LBB54_362:
	s_mov_b32 s15, -1
                                        ; implicit-def: $vgpr4
	s_branch .LBB54_367
.LBB54_363:
	s_mov_b32 s15, -1
                                        ; implicit-def: $vgpr4
.LBB54_364:
	s_delay_alu instid0(SALU_CYCLE_1)
	s_and_not1_b32 vcc_lo, exec_lo, s15
	s_cbranch_vccnz .LBB54_366
; %bb.365:
	s_wait_loadcnt 0x0
	global_load_b32 v4, v[2:3], off
.LBB54_366:
	s_mov_b32 s15, 0
.LBB54_367:
	s_delay_alu instid0(SALU_CYCLE_1)
	s_and_not1_b32 vcc_lo, exec_lo, s15
	s_cbranch_vccnz .LBB54_369
; %bb.368:
	s_wait_loadcnt 0x0
	global_load_u16 v4, v[2:3], off
.LBB54_369:
	s_mov_b32 s15, 0
.LBB54_370:
	s_delay_alu instid0(SALU_CYCLE_1)
	s_and_not1_b32 vcc_lo, exec_lo, s15
	s_cbranch_vccnz .LBB54_376
; %bb.371:
	s_cmp_gt_i32 s0, 0
	s_mov_b32 s0, 0
	s_cbranch_scc0 .LBB54_373
; %bb.372:
	s_wait_loadcnt 0x0
	global_load_u8 v4, v[2:3], off
	s_branch .LBB54_374
.LBB54_373:
	s_mov_b32 s0, -1
                                        ; implicit-def: $vgpr4
.LBB54_374:
	s_delay_alu instid0(SALU_CYCLE_1)
	s_and_not1_b32 vcc_lo, exec_lo, s0
	s_cbranch_vccnz .LBB54_376
; %bb.375:
	s_wait_loadcnt 0x0
	global_load_u8 v4, v[2:3], off
.LBB54_376:
	s_branch .LBB54_21
.LBB54_377:
	s_mov_b32 s0, 0
.LBB54_378:
	s_mov_b32 s21, 0
                                        ; implicit-def: $vgpr10
.LBB54_379:
	s_and_b32 s15, s0, exec_lo
	s_and_b32 s17, s17, exec_lo
	;; [unrolled: 1-line block ×3, first 2 shown]
	s_or_not1_b32 s23, s21, exec_lo
.LBB54_380:
	s_wait_xcnt 0x0
	s_or_b32 exec_lo, exec_lo, s19
	s_mov_b32 s22, 0
	s_mov_b32 s21, 0
                                        ; implicit-def: $sgpr0
                                        ; implicit-def: $vgpr2_vgpr3
                                        ; implicit-def: $vgpr0
	s_and_saveexec_b32 s19, s23
	s_cbranch_execz .LBB54_389
; %bb.381:
	s_mov_b32 s25, -1
	s_mov_b32 s20, s18
	s_mov_b32 s22, s17
	;; [unrolled: 1-line block ×3, first 2 shown]
	s_mov_b32 s23, exec_lo
	v_cmpx_gt_i32_e64 s16, v10
	s_cbranch_execz .LBB54_771
; %bb.382:
	s_wait_loadcnt 0x0
	v_mul_lo_u32 v0, v10, s9
	s_and_b32 s0, s13, 0xff
	s_delay_alu instid0(SALU_CYCLE_1) | instskip(NEXT) | instid1(VALU_DEP_1)
	s_cmp_lt_i32 s0, 11
	v_ashrrev_i32_e32 v1, 31, v0
	s_delay_alu instid0(VALU_DEP_1)
	v_add_nc_u64_e32 v[2:3], s[6:7], v[0:1]
	s_cbranch_scc1 .LBB54_392
; %bb.383:
	s_and_b32 s21, 0xffff, s0
	s_delay_alu instid0(SALU_CYCLE_1)
	s_cmp_gt_i32 s21, 25
	s_cbranch_scc0 .LBB54_401
; %bb.384:
	s_cmp_gt_i32 s21, 28
	s_cbranch_scc0 .LBB54_403
; %bb.385:
	;; [unrolled: 3-line block ×4, first 2 shown]
	s_cmp_eq_u32 s21, 46
	s_mov_b32 s24, 0
	s_cbranch_scc0 .LBB54_411
; %bb.388:
	global_load_b32 v0, v[2:3], off
	s_mov_b32 s22, -1
	s_mov_b32 s20, 0
	s_wait_loadcnt 0x0
	v_lshlrev_b32_e32 v0, 16, v0
	s_delay_alu instid0(VALU_DEP_1)
	v_cvt_i32_f32_e32 v0, v0
	s_branch .LBB54_413
.LBB54_389:
	s_or_b32 exec_lo, exec_lo, s19
	s_mov_b32 s16, 0
	s_and_saveexec_b32 s19, s18
	s_cbranch_execnz .LBB54_1241
.LBB54_390:
	s_or_b32 exec_lo, exec_lo, s19
	s_and_saveexec_b32 s18, s20
	s_delay_alu instid0(SALU_CYCLE_1)
	s_xor_b32 s18, exec_lo, s18
	s_cbranch_execz .LBB54_1242
.LBB54_391:
	s_wait_loadcnt 0x0
	global_load_u8 v0, v[2:3], off
	s_or_b32 s21, s21, exec_lo
	s_wait_loadcnt 0x0
	v_cmp_ne_u16_e32 vcc_lo, 0, v0
	v_cndmask_b32_e64 v0, 0, 1, vcc_lo
	s_wait_xcnt 0x0
	s_or_b32 exec_lo, exec_lo, s18
	s_and_saveexec_b32 s18, s22
	s_cbranch_execz .LBB54_1288
	s_branch .LBB54_1243
.LBB54_392:
	s_mov_b32 s22, 0
	s_mov_b32 s20, s18
                                        ; implicit-def: $vgpr0
	s_cbranch_execnz .LBB54_475
.LBB54_393:
	s_and_not1_b32 vcc_lo, exec_lo, s22
	s_cbranch_vccnz .LBB54_523
.LBB54_394:
	s_wait_xcnt 0x0
	v_mul_lo_u32 v2, v10, s10
	s_and_b32 s0, s1, 0xff
	s_delay_alu instid0(SALU_CYCLE_1) | instskip(NEXT) | instid1(VALU_DEP_1)
	s_cmp_lt_i32 s0, 11
	v_ashrrev_i32_e32 v3, 31, v2
	s_delay_alu instid0(VALU_DEP_1)
	v_add_nc_u64_e32 v[2:3], s[2:3], v[2:3]
	s_cbranch_scc1 .LBB54_402
; %bb.395:
	s_and_b32 s21, 0xffff, s0
	s_delay_alu instid0(SALU_CYCLE_1)
	s_cmp_gt_i32 s21, 25
	s_cbranch_scc0 .LBB54_404
; %bb.396:
	s_cmp_gt_i32 s21, 28
	s_cbranch_scc0 .LBB54_406
; %bb.397:
	;; [unrolled: 3-line block ×4, first 2 shown]
	s_cmp_eq_u32 s21, 46
	s_mov_b32 s25, 0
	s_cbranch_scc0 .LBB54_526
; %bb.400:
	s_wait_loadcnt 0x0
	global_load_b32 v1, v[2:3], off
	s_mov_b32 s24, -1
	s_mov_b32 s22, 0
	s_wait_loadcnt 0x0
	v_lshlrev_b32_e32 v1, 16, v1
	s_delay_alu instid0(VALU_DEP_1)
	v_cvt_i32_f32_e32 v4, v1
	s_branch .LBB54_528
.LBB54_401:
	s_mov_b32 s24, -1
	s_mov_b32 s22, 0
	s_mov_b32 s20, s18
                                        ; implicit-def: $vgpr0
	s_branch .LBB54_441
.LBB54_402:
	s_mov_b32 s21, -1
	s_mov_b32 s24, 0
	s_mov_b32 s22, s17
                                        ; implicit-def: $vgpr4
	s_branch .LBB54_589
.LBB54_403:
	s_mov_b32 s24, -1
	s_mov_b32 s22, 0
	s_mov_b32 s20, s18
                                        ; implicit-def: $vgpr0
	s_branch .LBB54_424
.LBB54_404:
	s_mov_b32 s25, -1
	s_mov_b32 s24, 0
	s_mov_b32 s22, s17
                                        ; implicit-def: $vgpr4
	s_branch .LBB54_555
.LBB54_405:
	s_mov_b32 s24, -1
	s_mov_b32 s22, 0
	s_mov_b32 s20, s18
                                        ; implicit-def: $vgpr0
	s_branch .LBB54_419
.LBB54_406:
	s_mov_b32 s25, -1
	s_mov_b32 s24, 0
	s_mov_b32 s22, s17
                                        ; implicit-def: $vgpr4
	s_branch .LBB54_538
.LBB54_407:
	s_mov_b32 s24, -1
	s_mov_b32 s22, 0
	s_mov_b32 s20, s18
	s_branch .LBB54_412
.LBB54_408:
	s_mov_b32 s25, -1
	s_mov_b32 s24, 0
	s_mov_b32 s22, s17
                                        ; implicit-def: $vgpr4
	s_branch .LBB54_533
.LBB54_409:
	s_and_not1_saveexec_b32 s24, s24
	s_cbranch_execz .LBB54_182
.LBB54_410:
	v_add_f32_e64 v4, 0x46000000, |v3|
	s_and_not1_b32 s23, s23, exec_lo
	s_delay_alu instid0(VALU_DEP_1) | instskip(NEXT) | instid1(VALU_DEP_1)
	v_and_b32_e32 v4, 0xff, v4
	v_cmp_ne_u32_e32 vcc_lo, 0, v4
	s_and_b32 s25, vcc_lo, exec_lo
	s_delay_alu instid0(SALU_CYCLE_1)
	s_or_b32 s23, s23, s25
	s_or_b32 exec_lo, exec_lo, s24
	v_mov_b32_e32 v5, 0
	s_and_saveexec_b32 s24, s23
	s_cbranch_execnz .LBB54_183
	s_branch .LBB54_184
.LBB54_411:
	s_mov_b32 s20, -1
	s_mov_b32 s22, 0
.LBB54_412:
                                        ; implicit-def: $vgpr0
.LBB54_413:
	s_and_b32 vcc_lo, exec_lo, s24
	s_cbranch_vccz .LBB54_418
; %bb.414:
	s_cmp_eq_u32 s21, 44
	s_cbranch_scc0 .LBB54_417
; %bb.415:
	global_load_u8 v0, v[2:3], off
	s_mov_b32 s20, 0
	s_mov_b32 s22, -1
	s_wait_loadcnt 0x0
	v_lshlrev_b32_e32 v1, 23, v0
	v_cmp_ne_u32_e32 vcc_lo, 0, v0
	s_delay_alu instid0(VALU_DEP_2) | instskip(NEXT) | instid1(VALU_DEP_1)
	v_cvt_i32_f32_e32 v1, v1
	v_cndmask_b32_e32 v0, 0, v1, vcc_lo
	s_branch .LBB54_418
.LBB54_416:
	s_mov_b32 s25, -1
	s_mov_b32 s24, 0
	s_mov_b32 s22, s17
	s_branch .LBB54_527
.LBB54_417:
	s_mov_b32 s20, -1
                                        ; implicit-def: $vgpr0
.LBB54_418:
	s_mov_b32 s24, 0
.LBB54_419:
	s_delay_alu instid0(SALU_CYCLE_1)
	s_and_b32 vcc_lo, exec_lo, s24
	s_cbranch_vccz .LBB54_423
; %bb.420:
	s_cmp_eq_u32 s21, 29
	s_cbranch_scc0 .LBB54_422
; %bb.421:
	global_load_b64 v[0:1], v[2:3], off
	s_mov_b32 s22, -1
	s_mov_b32 s20, 0
	s_branch .LBB54_423
.LBB54_422:
	s_mov_b32 s20, -1
                                        ; implicit-def: $vgpr0
.LBB54_423:
	s_mov_b32 s24, 0
.LBB54_424:
	s_delay_alu instid0(SALU_CYCLE_1)
	s_and_b32 vcc_lo, exec_lo, s24
	s_cbranch_vccz .LBB54_440
; %bb.425:
	s_cmp_lt_i32 s21, 27
	s_cbranch_scc1 .LBB54_428
; %bb.426:
	s_cmp_gt_i32 s21, 27
	s_cbranch_scc0 .LBB54_429
; %bb.427:
	s_wait_loadcnt 0x0
	global_load_b32 v0, v[2:3], off
	s_mov_b32 s22, 0
	s_branch .LBB54_430
.LBB54_428:
	s_mov_b32 s22, -1
                                        ; implicit-def: $vgpr0
	s_branch .LBB54_433
.LBB54_429:
	s_mov_b32 s22, -1
                                        ; implicit-def: $vgpr0
.LBB54_430:
	s_delay_alu instid0(SALU_CYCLE_1)
	s_and_not1_b32 vcc_lo, exec_lo, s22
	s_cbranch_vccnz .LBB54_432
; %bb.431:
	s_wait_loadcnt 0x0
	global_load_u16 v0, v[2:3], off
.LBB54_432:
	s_mov_b32 s22, 0
.LBB54_433:
	s_delay_alu instid0(SALU_CYCLE_1)
	s_and_not1_b32 vcc_lo, exec_lo, s22
	s_cbranch_vccnz .LBB54_439
; %bb.434:
	s_wait_loadcnt 0x0
	global_load_u8 v1, v[2:3], off
	s_mov_b32 s24, 0
	s_mov_b32 s22, exec_lo
	s_wait_loadcnt 0x0
	v_cmpx_lt_i16_e32 0x7f, v1
	s_xor_b32 s22, exec_lo, s22
	s_cbranch_execz .LBB54_451
; %bb.435:
	v_cmp_ne_u16_e32 vcc_lo, 0x80, v1
	s_and_b32 s24, vcc_lo, exec_lo
	s_and_not1_saveexec_b32 s22, s22
	s_cbranch_execnz .LBB54_452
.LBB54_436:
	s_or_b32 exec_lo, exec_lo, s22
	v_mov_b32_e32 v0, 0
	s_and_saveexec_b32 s22, s24
	s_cbranch_execz .LBB54_438
.LBB54_437:
	v_and_b32_e32 v0, 0xffff, v1
	s_delay_alu instid0(VALU_DEP_1) | instskip(SKIP_1) | instid1(VALU_DEP_2)
	v_and_b32_e32 v4, 7, v0
	v_bfe_u32 v7, v0, 3, 4
	v_clz_i32_u32_e32 v5, v4
	s_delay_alu instid0(VALU_DEP_2) | instskip(NEXT) | instid1(VALU_DEP_2)
	v_cmp_eq_u32_e32 vcc_lo, 0, v7
	v_min_u32_e32 v5, 32, v5
	s_delay_alu instid0(VALU_DEP_1) | instskip(NEXT) | instid1(VALU_DEP_1)
	v_subrev_nc_u32_e32 v6, 28, v5
	v_dual_lshlrev_b32 v0, v6, v0 :: v_dual_sub_nc_u32 v5, 29, v5
	s_delay_alu instid0(VALU_DEP_1) | instskip(NEXT) | instid1(VALU_DEP_1)
	v_dual_lshlrev_b32 v1, 24, v1 :: v_dual_bitop2_b32 v0, 7, v0 bitop3:0x40
	v_dual_cndmask_b32 v0, v4, v0 :: v_dual_cndmask_b32 v5, v7, v5
	s_delay_alu instid0(VALU_DEP_2) | instskip(NEXT) | instid1(VALU_DEP_2)
	v_and_b32_e32 v1, 0x80000000, v1
	v_lshlrev_b32_e32 v0, 20, v0
	s_delay_alu instid0(VALU_DEP_3) | instskip(NEXT) | instid1(VALU_DEP_1)
	v_lshl_add_u32 v4, v5, 23, 0x3b800000
	v_or3_b32 v0, v1, v4, v0
	s_delay_alu instid0(VALU_DEP_1)
	v_cvt_i32_f32_e32 v0, v0
.LBB54_438:
	s_or_b32 exec_lo, exec_lo, s22
.LBB54_439:
	s_mov_b32 s22, -1
.LBB54_440:
	s_mov_b32 s24, 0
.LBB54_441:
	s_delay_alu instid0(SALU_CYCLE_1)
	s_and_b32 vcc_lo, exec_lo, s24
	s_cbranch_vccz .LBB54_474
; %bb.442:
	s_cmp_gt_i32 s21, 22
	s_cbranch_scc0 .LBB54_450
; %bb.443:
	s_cmp_lt_i32 s21, 24
	s_cbranch_scc1 .LBB54_453
; %bb.444:
	s_cmp_gt_i32 s21, 24
	s_cbranch_scc0 .LBB54_454
; %bb.445:
	s_wait_loadcnt 0x0
	global_load_u8 v1, v[2:3], off
	s_mov_b32 s24, 0
	s_mov_b32 s22, exec_lo
	s_wait_loadcnt 0x0
	v_cmpx_lt_i16_e32 0x7f, v1
	s_xor_b32 s22, exec_lo, s22
	s_cbranch_execz .LBB54_466
; %bb.446:
	v_cmp_ne_u16_e32 vcc_lo, 0x80, v1
	s_and_b32 s24, vcc_lo, exec_lo
	s_and_not1_saveexec_b32 s22, s22
	s_cbranch_execnz .LBB54_467
.LBB54_447:
	s_or_b32 exec_lo, exec_lo, s22
	v_mov_b32_e32 v0, 0
	s_and_saveexec_b32 s22, s24
	s_cbranch_execz .LBB54_449
.LBB54_448:
	v_and_b32_e32 v0, 0xffff, v1
	s_delay_alu instid0(VALU_DEP_1) | instskip(SKIP_1) | instid1(VALU_DEP_2)
	v_and_b32_e32 v4, 3, v0
	v_bfe_u32 v7, v0, 2, 5
	v_clz_i32_u32_e32 v5, v4
	s_delay_alu instid0(VALU_DEP_2) | instskip(NEXT) | instid1(VALU_DEP_2)
	v_cmp_eq_u32_e32 vcc_lo, 0, v7
	v_min_u32_e32 v5, 32, v5
	s_delay_alu instid0(VALU_DEP_1) | instskip(NEXT) | instid1(VALU_DEP_1)
	v_subrev_nc_u32_e32 v6, 29, v5
	v_dual_lshlrev_b32 v0, v6, v0 :: v_dual_sub_nc_u32 v5, 30, v5
	s_delay_alu instid0(VALU_DEP_1) | instskip(NEXT) | instid1(VALU_DEP_1)
	v_dual_lshlrev_b32 v1, 24, v1 :: v_dual_bitop2_b32 v0, 3, v0 bitop3:0x40
	v_dual_cndmask_b32 v0, v4, v0 :: v_dual_cndmask_b32 v5, v7, v5
	s_delay_alu instid0(VALU_DEP_2) | instskip(NEXT) | instid1(VALU_DEP_2)
	v_and_b32_e32 v1, 0x80000000, v1
	v_lshlrev_b32_e32 v0, 21, v0
	s_delay_alu instid0(VALU_DEP_3) | instskip(NEXT) | instid1(VALU_DEP_1)
	v_lshl_add_u32 v4, v5, 23, 0x37800000
	v_or3_b32 v0, v1, v4, v0
	s_delay_alu instid0(VALU_DEP_1)
	v_cvt_i32_f32_e32 v0, v0
.LBB54_449:
	s_or_b32 exec_lo, exec_lo, s22
	s_mov_b32 s22, 0
	s_branch .LBB54_455
.LBB54_450:
	s_mov_b32 s24, -1
                                        ; implicit-def: $vgpr0
	s_branch .LBB54_461
.LBB54_451:
	s_and_not1_saveexec_b32 s22, s22
	s_cbranch_execz .LBB54_436
.LBB54_452:
	v_cmp_ne_u16_e32 vcc_lo, 0, v1
	s_and_not1_b32 s24, s24, exec_lo
	s_and_b32 s25, vcc_lo, exec_lo
	s_delay_alu instid0(SALU_CYCLE_1)
	s_or_b32 s24, s24, s25
	s_or_b32 exec_lo, exec_lo, s22
	v_mov_b32_e32 v0, 0
	s_and_saveexec_b32 s22, s24
	s_cbranch_execnz .LBB54_437
	s_branch .LBB54_438
.LBB54_453:
	s_mov_b32 s22, -1
                                        ; implicit-def: $vgpr0
	s_branch .LBB54_458
.LBB54_454:
	s_mov_b32 s22, -1
                                        ; implicit-def: $vgpr0
.LBB54_455:
	s_delay_alu instid0(SALU_CYCLE_1)
	s_and_b32 vcc_lo, exec_lo, s22
	s_cbranch_vccz .LBB54_457
; %bb.456:
	s_wait_loadcnt 0x0
	global_load_u8 v0, v[2:3], off
	s_wait_loadcnt 0x0
	v_lshlrev_b32_e32 v0, 24, v0
	s_delay_alu instid0(VALU_DEP_1) | instskip(NEXT) | instid1(VALU_DEP_1)
	v_and_b32_e32 v1, 0x7f000000, v0
	v_clz_i32_u32_e32 v4, v1
	v_cmp_ne_u32_e32 vcc_lo, 0, v1
	v_add_nc_u32_e32 v6, 0x1000000, v1
	s_delay_alu instid0(VALU_DEP_3) | instskip(NEXT) | instid1(VALU_DEP_1)
	v_min_u32_e32 v4, 32, v4
	v_sub_nc_u32_e64 v4, v4, 4 clamp
	s_delay_alu instid0(VALU_DEP_1) | instskip(NEXT) | instid1(VALU_DEP_1)
	v_dual_lshlrev_b32 v5, v4, v1 :: v_dual_lshlrev_b32 v4, 23, v4
	v_lshrrev_b32_e32 v5, 4, v5
	s_delay_alu instid0(VALU_DEP_1) | instskip(NEXT) | instid1(VALU_DEP_1)
	v_dual_sub_nc_u32 v4, v5, v4 :: v_dual_ashrrev_i32 v5, 8, v6
	v_add_nc_u32_e32 v4, 0x3c000000, v4
	s_delay_alu instid0(VALU_DEP_1) | instskip(NEXT) | instid1(VALU_DEP_1)
	v_and_or_b32 v4, 0x7f800000, v5, v4
	v_cndmask_b32_e32 v1, 0, v4, vcc_lo
	s_delay_alu instid0(VALU_DEP_1) | instskip(NEXT) | instid1(VALU_DEP_1)
	v_and_or_b32 v0, 0x80000000, v0, v1
	v_cvt_i32_f32_e32 v0, v0
.LBB54_457:
	s_mov_b32 s22, 0
.LBB54_458:
	s_delay_alu instid0(SALU_CYCLE_1)
	s_and_not1_b32 vcc_lo, exec_lo, s22
	s_cbranch_vccnz .LBB54_460
; %bb.459:
	s_wait_loadcnt 0x0
	global_load_u8 v0, v[2:3], off
	s_wait_loadcnt 0x0
	v_lshlrev_b32_e32 v1, 25, v0
	v_lshlrev_b16 v0, 8, v0
	s_delay_alu instid0(VALU_DEP_1) | instskip(SKIP_1) | instid1(VALU_DEP_2)
	v_and_or_b32 v5, 0x7f00, v0, 0.5
	v_bfe_i32 v0, v0, 0, 16
	v_add_f32_e32 v5, -0.5, v5
	v_lshrrev_b32_e32 v4, 4, v1
	v_cmp_gt_u32_e32 vcc_lo, 0x8000000, v1
	s_delay_alu instid0(VALU_DEP_2) | instskip(NEXT) | instid1(VALU_DEP_1)
	v_or_b32_e32 v4, 0x70000000, v4
	v_mul_f32_e32 v4, 0x7800000, v4
	s_delay_alu instid0(VALU_DEP_1) | instskip(NEXT) | instid1(VALU_DEP_1)
	v_cndmask_b32_e32 v1, v4, v5, vcc_lo
	v_and_or_b32 v0, 0x80000000, v0, v1
	s_delay_alu instid0(VALU_DEP_1)
	v_cvt_i32_f32_e32 v0, v0
.LBB54_460:
	s_mov_b32 s24, 0
	s_mov_b32 s22, -1
.LBB54_461:
	s_and_not1_b32 vcc_lo, exec_lo, s24
	s_cbranch_vccnz .LBB54_474
; %bb.462:
	s_cmp_gt_i32 s21, 14
	s_cbranch_scc0 .LBB54_465
; %bb.463:
	s_cmp_eq_u32 s21, 15
	s_cbranch_scc0 .LBB54_468
; %bb.464:
	s_wait_loadcnt 0x0
	global_load_u16 v0, v[2:3], off
	s_mov_b32 s22, -1
	s_mov_b32 s20, 0
	s_wait_loadcnt 0x0
	v_lshlrev_b32_e32 v0, 16, v0
	s_delay_alu instid0(VALU_DEP_1)
	v_cvt_i32_f32_e32 v0, v0
	s_branch .LBB54_469
.LBB54_465:
	s_mov_b32 s24, -1
                                        ; implicit-def: $vgpr0
	s_branch .LBB54_470
.LBB54_466:
	s_and_not1_saveexec_b32 s22, s22
	s_cbranch_execz .LBB54_447
.LBB54_467:
	v_cmp_ne_u16_e32 vcc_lo, 0, v1
	s_and_not1_b32 s24, s24, exec_lo
	s_and_b32 s25, vcc_lo, exec_lo
	s_delay_alu instid0(SALU_CYCLE_1)
	s_or_b32 s24, s24, s25
	s_or_b32 exec_lo, exec_lo, s22
	v_mov_b32_e32 v0, 0
	s_and_saveexec_b32 s22, s24
	s_cbranch_execnz .LBB54_448
	s_branch .LBB54_449
.LBB54_468:
	s_mov_b32 s20, -1
                                        ; implicit-def: $vgpr0
.LBB54_469:
	s_mov_b32 s24, 0
.LBB54_470:
	s_delay_alu instid0(SALU_CYCLE_1)
	s_and_b32 vcc_lo, exec_lo, s24
	s_cbranch_vccz .LBB54_474
; %bb.471:
	s_cmp_eq_u32 s21, 11
	s_cbranch_scc0 .LBB54_473
; %bb.472:
	s_wait_loadcnt 0x0
	global_load_u8 v0, v[2:3], off
	s_mov_b32 s20, 0
	s_mov_b32 s22, -1
	s_wait_loadcnt 0x0
	v_cmp_ne_u16_e32 vcc_lo, 0, v0
	v_cndmask_b32_e64 v0, 0, 1, vcc_lo
	s_branch .LBB54_474
.LBB54_473:
	s_mov_b32 s20, -1
                                        ; implicit-def: $vgpr0
.LBB54_474:
	s_branch .LBB54_393
.LBB54_475:
	s_and_b32 s0, 0xffff, s0
	s_delay_alu instid0(SALU_CYCLE_1)
	s_cmp_lt_i32 s0, 5
	s_cbranch_scc1 .LBB54_480
; %bb.476:
	s_cmp_lt_i32 s0, 8
	s_cbranch_scc1 .LBB54_481
; %bb.477:
	s_cmp_lt_i32 s0, 9
	s_cbranch_scc1 .LBB54_482
; %bb.478:
	s_cmp_gt_i32 s0, 9
	s_cbranch_scc0 .LBB54_483
; %bb.479:
	s_wait_loadcnt 0x0
	global_load_b64 v[0:1], v[2:3], off
	s_mov_b32 s21, 0
	s_wait_loadcnt 0x0
	v_cvt_i32_f64_e32 v0, v[0:1]
	s_branch .LBB54_484
.LBB54_480:
	s_mov_b32 s21, -1
                                        ; implicit-def: $vgpr0
	s_branch .LBB54_502
.LBB54_481:
	s_mov_b32 s21, -1
                                        ; implicit-def: $vgpr0
	s_branch .LBB54_490
.LBB54_482:
	s_mov_b32 s21, -1
                                        ; implicit-def: $vgpr0
	s_branch .LBB54_487
.LBB54_483:
	s_mov_b32 s21, -1
                                        ; implicit-def: $vgpr0
.LBB54_484:
	s_delay_alu instid0(SALU_CYCLE_1)
	s_and_not1_b32 vcc_lo, exec_lo, s21
	s_cbranch_vccnz .LBB54_486
; %bb.485:
	s_wait_loadcnt 0x0
	global_load_b32 v0, v[2:3], off
	s_wait_loadcnt 0x0
	v_cvt_i32_f32_e32 v0, v0
.LBB54_486:
	s_mov_b32 s21, 0
.LBB54_487:
	s_delay_alu instid0(SALU_CYCLE_1)
	s_and_not1_b32 vcc_lo, exec_lo, s21
	s_cbranch_vccnz .LBB54_489
; %bb.488:
	s_wait_loadcnt 0x0
	global_load_b32 v0, v[2:3], off
	s_wait_loadcnt 0x0
	v_cvt_i16_f16_e32 v0, v0
.LBB54_489:
	s_mov_b32 s21, 0
.LBB54_490:
	s_delay_alu instid0(SALU_CYCLE_1)
	s_and_not1_b32 vcc_lo, exec_lo, s21
	s_cbranch_vccnz .LBB54_501
; %bb.491:
	s_cmp_lt_i32 s0, 6
	s_cbranch_scc1 .LBB54_494
; %bb.492:
	s_cmp_gt_i32 s0, 6
	s_cbranch_scc0 .LBB54_495
; %bb.493:
	s_wait_loadcnt 0x0
	global_load_b64 v[0:1], v[2:3], off
	s_mov_b32 s21, 0
	s_wait_loadcnt 0x0
	v_cvt_i32_f64_e32 v0, v[0:1]
	s_branch .LBB54_496
.LBB54_494:
	s_mov_b32 s21, -1
                                        ; implicit-def: $vgpr0
	s_branch .LBB54_499
.LBB54_495:
	s_mov_b32 s21, -1
                                        ; implicit-def: $vgpr0
.LBB54_496:
	s_delay_alu instid0(SALU_CYCLE_1)
	s_and_not1_b32 vcc_lo, exec_lo, s21
	s_cbranch_vccnz .LBB54_498
; %bb.497:
	s_wait_loadcnt 0x0
	global_load_b32 v0, v[2:3], off
	s_wait_loadcnt 0x0
	v_cvt_i32_f32_e32 v0, v0
.LBB54_498:
	s_mov_b32 s21, 0
.LBB54_499:
	s_delay_alu instid0(SALU_CYCLE_1)
	s_and_not1_b32 vcc_lo, exec_lo, s21
	s_cbranch_vccnz .LBB54_501
; %bb.500:
	s_wait_loadcnt 0x0
	global_load_u16 v0, v[2:3], off
	s_wait_loadcnt 0x0
	v_cvt_i16_f16_e32 v0, v0
.LBB54_501:
	s_mov_b32 s21, 0
.LBB54_502:
	s_delay_alu instid0(SALU_CYCLE_1)
	s_and_not1_b32 vcc_lo, exec_lo, s21
	s_cbranch_vccnz .LBB54_522
; %bb.503:
	s_cmp_lt_i32 s0, 2
	s_cbranch_scc1 .LBB54_507
; %bb.504:
	s_cmp_lt_i32 s0, 3
	s_cbranch_scc1 .LBB54_508
; %bb.505:
	s_cmp_gt_i32 s0, 3
	s_cbranch_scc0 .LBB54_509
; %bb.506:
	s_wait_loadcnt 0x0
	global_load_b64 v[0:1], v[2:3], off
	s_mov_b32 s21, 0
	s_branch .LBB54_510
.LBB54_507:
	s_mov_b32 s21, -1
                                        ; implicit-def: $vgpr0
	s_branch .LBB54_516
.LBB54_508:
	s_mov_b32 s21, -1
                                        ; implicit-def: $vgpr0
	s_branch .LBB54_513
.LBB54_509:
	s_mov_b32 s21, -1
                                        ; implicit-def: $vgpr0
.LBB54_510:
	s_delay_alu instid0(SALU_CYCLE_1)
	s_and_not1_b32 vcc_lo, exec_lo, s21
	s_cbranch_vccnz .LBB54_512
; %bb.511:
	s_wait_loadcnt 0x0
	global_load_b32 v0, v[2:3], off
.LBB54_512:
	s_mov_b32 s21, 0
.LBB54_513:
	s_delay_alu instid0(SALU_CYCLE_1)
	s_and_not1_b32 vcc_lo, exec_lo, s21
	s_cbranch_vccnz .LBB54_515
; %bb.514:
	s_wait_loadcnt 0x0
	global_load_u16 v0, v[2:3], off
.LBB54_515:
	s_mov_b32 s21, 0
.LBB54_516:
	s_delay_alu instid0(SALU_CYCLE_1)
	s_and_not1_b32 vcc_lo, exec_lo, s21
	s_cbranch_vccnz .LBB54_522
; %bb.517:
	s_cmp_gt_i32 s0, 0
	s_mov_b32 s0, 0
	s_cbranch_scc0 .LBB54_519
; %bb.518:
	s_wait_loadcnt 0x0
	global_load_u8 v0, v[2:3], off
	s_branch .LBB54_520
.LBB54_519:
	s_mov_b32 s0, -1
                                        ; implicit-def: $vgpr0
.LBB54_520:
	s_delay_alu instid0(SALU_CYCLE_1)
	s_and_not1_b32 vcc_lo, exec_lo, s0
	s_cbranch_vccnz .LBB54_522
; %bb.521:
	s_wait_loadcnt 0x0
	global_load_u8 v0, v[2:3], off
.LBB54_522:
	s_branch .LBB54_394
.LBB54_523:
	s_mov_b32 s24, 0
	s_mov_b32 s0, s15
	;; [unrolled: 1-line block ×3, first 2 shown]
	s_branch .LBB54_769
.LBB54_524:
	s_and_not1_saveexec_b32 s24, s24
	s_cbranch_execz .LBB54_195
.LBB54_525:
	v_add_f32_e64 v4, 0x42800000, |v3|
	s_and_not1_b32 s23, s23, exec_lo
	s_delay_alu instid0(VALU_DEP_1) | instskip(NEXT) | instid1(VALU_DEP_1)
	v_and_b32_e32 v4, 0xff, v4
	v_cmp_ne_u32_e32 vcc_lo, 0, v4
	s_and_b32 s25, vcc_lo, exec_lo
	s_delay_alu instid0(SALU_CYCLE_1)
	s_or_b32 s23, s23, s25
	s_or_b32 exec_lo, exec_lo, s24
	v_mov_b32_e32 v5, 0
	s_and_saveexec_b32 s24, s23
	s_cbranch_execnz .LBB54_196
	s_branch .LBB54_197
.LBB54_526:
	s_mov_b32 s22, -1
	s_mov_b32 s24, 0
.LBB54_527:
                                        ; implicit-def: $vgpr4
.LBB54_528:
	s_and_b32 vcc_lo, exec_lo, s25
	s_cbranch_vccz .LBB54_532
; %bb.529:
	s_cmp_eq_u32 s21, 44
	s_cbranch_scc0 .LBB54_531
; %bb.530:
	s_wait_loadcnt 0x0
	global_load_u8 v1, v[2:3], off
	s_mov_b32 s22, 0
	s_mov_b32 s24, -1
	s_wait_loadcnt 0x0
	v_lshlrev_b32_e32 v4, 23, v1
	v_cmp_ne_u32_e32 vcc_lo, 0, v1
	s_delay_alu instid0(VALU_DEP_2) | instskip(NEXT) | instid1(VALU_DEP_1)
	v_cvt_i32_f32_e32 v4, v4
	v_cndmask_b32_e32 v4, 0, v4, vcc_lo
	s_branch .LBB54_532
.LBB54_531:
	s_mov_b32 s22, -1
                                        ; implicit-def: $vgpr4
.LBB54_532:
	s_mov_b32 s25, 0
.LBB54_533:
	s_delay_alu instid0(SALU_CYCLE_1)
	s_and_b32 vcc_lo, exec_lo, s25
	s_cbranch_vccz .LBB54_537
; %bb.534:
	s_cmp_eq_u32 s21, 29
	s_cbranch_scc0 .LBB54_536
; %bb.535:
	global_load_b64 v[4:5], v[2:3], off
	s_mov_b32 s24, -1
	s_mov_b32 s22, 0
	s_branch .LBB54_537
.LBB54_536:
	s_mov_b32 s22, -1
                                        ; implicit-def: $vgpr4
.LBB54_537:
	s_mov_b32 s25, 0
.LBB54_538:
	s_delay_alu instid0(SALU_CYCLE_1)
	s_and_b32 vcc_lo, exec_lo, s25
	s_cbranch_vccz .LBB54_554
; %bb.539:
	s_cmp_lt_i32 s21, 27
	s_cbranch_scc1 .LBB54_542
; %bb.540:
	s_cmp_gt_i32 s21, 27
	s_cbranch_scc0 .LBB54_543
; %bb.541:
	s_wait_loadcnt 0x0
	global_load_b32 v4, v[2:3], off
	s_mov_b32 s24, 0
	s_branch .LBB54_544
.LBB54_542:
	s_mov_b32 s24, -1
                                        ; implicit-def: $vgpr4
	s_branch .LBB54_547
.LBB54_543:
	s_mov_b32 s24, -1
                                        ; implicit-def: $vgpr4
.LBB54_544:
	s_delay_alu instid0(SALU_CYCLE_1)
	s_and_not1_b32 vcc_lo, exec_lo, s24
	s_cbranch_vccnz .LBB54_546
; %bb.545:
	s_wait_loadcnt 0x0
	global_load_u16 v4, v[2:3], off
.LBB54_546:
	s_mov_b32 s24, 0
.LBB54_547:
	s_delay_alu instid0(SALU_CYCLE_1)
	s_and_not1_b32 vcc_lo, exec_lo, s24
	s_cbranch_vccnz .LBB54_553
; %bb.548:
	s_wait_loadcnt 0x0
	global_load_u8 v1, v[2:3], off
	s_mov_b32 s25, 0
	s_mov_b32 s24, exec_lo
	s_wait_loadcnt 0x0
	v_cmpx_lt_i16_e32 0x7f, v1
	s_xor_b32 s24, exec_lo, s24
	s_cbranch_execz .LBB54_565
; %bb.549:
	v_cmp_ne_u16_e32 vcc_lo, 0x80, v1
	s_and_b32 s25, vcc_lo, exec_lo
	s_and_not1_saveexec_b32 s24, s24
	s_cbranch_execnz .LBB54_566
.LBB54_550:
	s_or_b32 exec_lo, exec_lo, s24
	v_mov_b32_e32 v4, 0
	s_and_saveexec_b32 s24, s25
	s_cbranch_execz .LBB54_552
.LBB54_551:
	v_and_b32_e32 v4, 0xffff, v1
	s_delay_alu instid0(VALU_DEP_1) | instskip(SKIP_1) | instid1(VALU_DEP_2)
	v_and_b32_e32 v5, 7, v4
	v_bfe_u32 v8, v4, 3, 4
	v_clz_i32_u32_e32 v6, v5
	s_delay_alu instid0(VALU_DEP_2) | instskip(NEXT) | instid1(VALU_DEP_2)
	v_cmp_eq_u32_e32 vcc_lo, 0, v8
	v_min_u32_e32 v6, 32, v6
	s_delay_alu instid0(VALU_DEP_1) | instskip(NEXT) | instid1(VALU_DEP_1)
	v_subrev_nc_u32_e32 v7, 28, v6
	v_dual_lshlrev_b32 v4, v7, v4 :: v_dual_sub_nc_u32 v6, 29, v6
	s_delay_alu instid0(VALU_DEP_1) | instskip(NEXT) | instid1(VALU_DEP_1)
	v_dual_lshlrev_b32 v1, 24, v1 :: v_dual_bitop2_b32 v4, 7, v4 bitop3:0x40
	v_dual_cndmask_b32 v6, v8, v6, vcc_lo :: v_dual_cndmask_b32 v4, v5, v4, vcc_lo
	s_delay_alu instid0(VALU_DEP_2) | instskip(NEXT) | instid1(VALU_DEP_2)
	v_and_b32_e32 v1, 0x80000000, v1
	v_lshl_add_u32 v5, v6, 23, 0x3b800000
	s_delay_alu instid0(VALU_DEP_3) | instskip(NEXT) | instid1(VALU_DEP_1)
	v_lshlrev_b32_e32 v4, 20, v4
	v_or3_b32 v1, v1, v5, v4
	s_delay_alu instid0(VALU_DEP_1)
	v_cvt_i32_f32_e32 v4, v1
.LBB54_552:
	s_or_b32 exec_lo, exec_lo, s24
.LBB54_553:
	s_mov_b32 s24, -1
.LBB54_554:
	s_mov_b32 s25, 0
.LBB54_555:
	s_delay_alu instid0(SALU_CYCLE_1)
	s_and_b32 vcc_lo, exec_lo, s25
	s_cbranch_vccz .LBB54_588
; %bb.556:
	s_cmp_gt_i32 s21, 22
	s_cbranch_scc0 .LBB54_564
; %bb.557:
	s_cmp_lt_i32 s21, 24
	s_cbranch_scc1 .LBB54_567
; %bb.558:
	s_cmp_gt_i32 s21, 24
	s_cbranch_scc0 .LBB54_568
; %bb.559:
	s_wait_loadcnt 0x0
	global_load_u8 v1, v[2:3], off
	s_mov_b32 s25, 0
	s_mov_b32 s24, exec_lo
	s_wait_loadcnt 0x0
	v_cmpx_lt_i16_e32 0x7f, v1
	s_xor_b32 s24, exec_lo, s24
	s_cbranch_execz .LBB54_580
; %bb.560:
	v_cmp_ne_u16_e32 vcc_lo, 0x80, v1
	s_and_b32 s25, vcc_lo, exec_lo
	s_and_not1_saveexec_b32 s24, s24
	s_cbranch_execnz .LBB54_581
.LBB54_561:
	s_or_b32 exec_lo, exec_lo, s24
	v_mov_b32_e32 v4, 0
	s_and_saveexec_b32 s24, s25
	s_cbranch_execz .LBB54_563
.LBB54_562:
	v_and_b32_e32 v4, 0xffff, v1
	s_delay_alu instid0(VALU_DEP_1) | instskip(SKIP_1) | instid1(VALU_DEP_2)
	v_and_b32_e32 v5, 3, v4
	v_bfe_u32 v8, v4, 2, 5
	v_clz_i32_u32_e32 v6, v5
	s_delay_alu instid0(VALU_DEP_2) | instskip(NEXT) | instid1(VALU_DEP_2)
	v_cmp_eq_u32_e32 vcc_lo, 0, v8
	v_min_u32_e32 v6, 32, v6
	s_delay_alu instid0(VALU_DEP_1) | instskip(NEXT) | instid1(VALU_DEP_1)
	v_subrev_nc_u32_e32 v7, 29, v6
	v_dual_lshlrev_b32 v4, v7, v4 :: v_dual_sub_nc_u32 v6, 30, v6
	s_delay_alu instid0(VALU_DEP_1) | instskip(NEXT) | instid1(VALU_DEP_1)
	v_dual_lshlrev_b32 v1, 24, v1 :: v_dual_bitop2_b32 v4, 3, v4 bitop3:0x40
	v_dual_cndmask_b32 v6, v8, v6, vcc_lo :: v_dual_cndmask_b32 v4, v5, v4, vcc_lo
	s_delay_alu instid0(VALU_DEP_2) | instskip(NEXT) | instid1(VALU_DEP_2)
	v_and_b32_e32 v1, 0x80000000, v1
	v_lshl_add_u32 v5, v6, 23, 0x37800000
	s_delay_alu instid0(VALU_DEP_3) | instskip(NEXT) | instid1(VALU_DEP_1)
	v_lshlrev_b32_e32 v4, 21, v4
	v_or3_b32 v1, v1, v5, v4
	s_delay_alu instid0(VALU_DEP_1)
	v_cvt_i32_f32_e32 v4, v1
.LBB54_563:
	s_or_b32 exec_lo, exec_lo, s24
	s_mov_b32 s24, 0
	s_branch .LBB54_569
.LBB54_564:
	s_mov_b32 s25, -1
                                        ; implicit-def: $vgpr4
	s_branch .LBB54_575
.LBB54_565:
	s_and_not1_saveexec_b32 s24, s24
	s_cbranch_execz .LBB54_550
.LBB54_566:
	v_cmp_ne_u16_e32 vcc_lo, 0, v1
	s_and_not1_b32 s25, s25, exec_lo
	s_and_b32 s26, vcc_lo, exec_lo
	s_delay_alu instid0(SALU_CYCLE_1)
	s_or_b32 s25, s25, s26
	s_or_b32 exec_lo, exec_lo, s24
	v_mov_b32_e32 v4, 0
	s_and_saveexec_b32 s24, s25
	s_cbranch_execnz .LBB54_551
	s_branch .LBB54_552
.LBB54_567:
	s_mov_b32 s24, -1
                                        ; implicit-def: $vgpr4
	s_branch .LBB54_572
.LBB54_568:
	s_mov_b32 s24, -1
                                        ; implicit-def: $vgpr4
.LBB54_569:
	s_delay_alu instid0(SALU_CYCLE_1)
	s_and_b32 vcc_lo, exec_lo, s24
	s_cbranch_vccz .LBB54_571
; %bb.570:
	s_wait_loadcnt 0x0
	global_load_u8 v1, v[2:3], off
	s_wait_loadcnt 0x0
	v_lshlrev_b32_e32 v1, 24, v1
	s_delay_alu instid0(VALU_DEP_1) | instskip(NEXT) | instid1(VALU_DEP_1)
	v_and_b32_e32 v4, 0x7f000000, v1
	v_clz_i32_u32_e32 v5, v4
	v_cmp_ne_u32_e32 vcc_lo, 0, v4
	v_add_nc_u32_e32 v7, 0x1000000, v4
	s_delay_alu instid0(VALU_DEP_3) | instskip(NEXT) | instid1(VALU_DEP_1)
	v_min_u32_e32 v5, 32, v5
	v_sub_nc_u32_e64 v5, v5, 4 clamp
	s_delay_alu instid0(VALU_DEP_1) | instskip(NEXT) | instid1(VALU_DEP_1)
	v_dual_lshlrev_b32 v6, v5, v4 :: v_dual_lshlrev_b32 v5, 23, v5
	v_lshrrev_b32_e32 v6, 4, v6
	s_delay_alu instid0(VALU_DEP_1) | instskip(NEXT) | instid1(VALU_DEP_1)
	v_dual_sub_nc_u32 v5, v6, v5 :: v_dual_ashrrev_i32 v6, 8, v7
	v_add_nc_u32_e32 v5, 0x3c000000, v5
	s_delay_alu instid0(VALU_DEP_1) | instskip(NEXT) | instid1(VALU_DEP_1)
	v_and_or_b32 v5, 0x7f800000, v6, v5
	v_cndmask_b32_e32 v4, 0, v5, vcc_lo
	s_delay_alu instid0(VALU_DEP_1) | instskip(NEXT) | instid1(VALU_DEP_1)
	v_and_or_b32 v1, 0x80000000, v1, v4
	v_cvt_i32_f32_e32 v4, v1
.LBB54_571:
	s_mov_b32 s24, 0
.LBB54_572:
	s_delay_alu instid0(SALU_CYCLE_1)
	s_and_not1_b32 vcc_lo, exec_lo, s24
	s_cbranch_vccnz .LBB54_574
; %bb.573:
	s_wait_loadcnt 0x0
	global_load_u8 v1, v[2:3], off
	s_wait_loadcnt 0x0
	v_lshlrev_b32_e32 v4, 25, v1
	v_lshlrev_b16 v1, 8, v1
	s_delay_alu instid0(VALU_DEP_1) | instskip(SKIP_1) | instid1(VALU_DEP_2)
	v_and_or_b32 v6, 0x7f00, v1, 0.5
	v_bfe_i32 v1, v1, 0, 16
	v_dual_add_f32 v6, -0.5, v6 :: v_dual_lshrrev_b32 v5, 4, v4
	v_cmp_gt_u32_e32 vcc_lo, 0x8000000, v4
	s_delay_alu instid0(VALU_DEP_2) | instskip(NEXT) | instid1(VALU_DEP_1)
	v_or_b32_e32 v5, 0x70000000, v5
	v_mul_f32_e32 v5, 0x7800000, v5
	s_delay_alu instid0(VALU_DEP_1) | instskip(NEXT) | instid1(VALU_DEP_1)
	v_cndmask_b32_e32 v4, v5, v6, vcc_lo
	v_and_or_b32 v1, 0x80000000, v1, v4
	s_delay_alu instid0(VALU_DEP_1)
	v_cvt_i32_f32_e32 v4, v1
.LBB54_574:
	s_mov_b32 s25, 0
	s_mov_b32 s24, -1
.LBB54_575:
	s_and_not1_b32 vcc_lo, exec_lo, s25
	s_cbranch_vccnz .LBB54_588
; %bb.576:
	s_cmp_gt_i32 s21, 14
	s_cbranch_scc0 .LBB54_579
; %bb.577:
	s_cmp_eq_u32 s21, 15
	s_cbranch_scc0 .LBB54_582
; %bb.578:
	s_wait_loadcnt 0x0
	global_load_u16 v1, v[2:3], off
	s_mov_b32 s24, -1
	s_mov_b32 s22, 0
	s_wait_loadcnt 0x0
	v_lshlrev_b32_e32 v1, 16, v1
	s_delay_alu instid0(VALU_DEP_1)
	v_cvt_i32_f32_e32 v4, v1
	s_branch .LBB54_583
.LBB54_579:
	s_mov_b32 s25, -1
                                        ; implicit-def: $vgpr4
	s_branch .LBB54_584
.LBB54_580:
	s_and_not1_saveexec_b32 s24, s24
	s_cbranch_execz .LBB54_561
.LBB54_581:
	v_cmp_ne_u16_e32 vcc_lo, 0, v1
	s_and_not1_b32 s25, s25, exec_lo
	s_and_b32 s26, vcc_lo, exec_lo
	s_delay_alu instid0(SALU_CYCLE_1)
	s_or_b32 s25, s25, s26
	s_or_b32 exec_lo, exec_lo, s24
	v_mov_b32_e32 v4, 0
	s_and_saveexec_b32 s24, s25
	s_cbranch_execnz .LBB54_562
	s_branch .LBB54_563
.LBB54_582:
	s_mov_b32 s22, -1
                                        ; implicit-def: $vgpr4
.LBB54_583:
	s_mov_b32 s25, 0
.LBB54_584:
	s_delay_alu instid0(SALU_CYCLE_1)
	s_and_b32 vcc_lo, exec_lo, s25
	s_cbranch_vccz .LBB54_588
; %bb.585:
	s_cmp_eq_u32 s21, 11
	s_cbranch_scc0 .LBB54_587
; %bb.586:
	s_wait_loadcnt 0x0
	global_load_u8 v1, v[2:3], off
	s_mov_b32 s22, 0
	s_mov_b32 s24, -1
	s_wait_loadcnt 0x0
	v_cmp_ne_u16_e32 vcc_lo, 0, v1
	v_cndmask_b32_e64 v4, 0, 1, vcc_lo
	s_branch .LBB54_588
.LBB54_587:
	s_mov_b32 s22, -1
                                        ; implicit-def: $vgpr4
.LBB54_588:
	s_mov_b32 s21, 0
.LBB54_589:
	s_delay_alu instid0(SALU_CYCLE_1)
	s_and_b32 vcc_lo, exec_lo, s21
	s_cbranch_vccz .LBB54_638
; %bb.590:
	s_and_b32 s0, 0xffff, s0
	s_delay_alu instid0(SALU_CYCLE_1)
	s_cmp_lt_i32 s0, 5
	s_cbranch_scc1 .LBB54_595
; %bb.591:
	s_cmp_lt_i32 s0, 8
	s_cbranch_scc1 .LBB54_596
; %bb.592:
	;; [unrolled: 3-line block ×3, first 2 shown]
	s_cmp_gt_i32 s0, 9
	s_cbranch_scc0 .LBB54_598
; %bb.594:
	s_wait_loadcnt 0x0
	global_load_b64 v[4:5], v[2:3], off
	s_mov_b32 s21, 0
	s_wait_loadcnt 0x0
	v_cvt_i32_f64_e32 v4, v[4:5]
	s_branch .LBB54_599
.LBB54_595:
	s_mov_b32 s21, -1
                                        ; implicit-def: $vgpr4
	s_branch .LBB54_617
.LBB54_596:
	s_mov_b32 s21, -1
                                        ; implicit-def: $vgpr4
	s_branch .LBB54_605
.LBB54_597:
	s_mov_b32 s21, -1
                                        ; implicit-def: $vgpr4
	s_branch .LBB54_602
.LBB54_598:
	s_mov_b32 s21, -1
                                        ; implicit-def: $vgpr4
.LBB54_599:
	s_delay_alu instid0(SALU_CYCLE_1)
	s_and_not1_b32 vcc_lo, exec_lo, s21
	s_cbranch_vccnz .LBB54_601
; %bb.600:
	s_wait_loadcnt 0x0
	global_load_b32 v1, v[2:3], off
	s_wait_loadcnt 0x0
	v_cvt_i32_f32_e32 v4, v1
.LBB54_601:
	s_mov_b32 s21, 0
.LBB54_602:
	s_delay_alu instid0(SALU_CYCLE_1)
	s_and_not1_b32 vcc_lo, exec_lo, s21
	s_cbranch_vccnz .LBB54_604
; %bb.603:
	s_wait_loadcnt 0x0
	global_load_b32 v1, v[2:3], off
	s_wait_loadcnt 0x0
	v_cvt_i16_f16_e32 v4, v1
.LBB54_604:
	s_mov_b32 s21, 0
.LBB54_605:
	s_delay_alu instid0(SALU_CYCLE_1)
	s_and_not1_b32 vcc_lo, exec_lo, s21
	s_cbranch_vccnz .LBB54_616
; %bb.606:
	s_cmp_lt_i32 s0, 6
	s_cbranch_scc1 .LBB54_609
; %bb.607:
	s_cmp_gt_i32 s0, 6
	s_cbranch_scc0 .LBB54_610
; %bb.608:
	s_wait_loadcnt 0x0
	global_load_b64 v[4:5], v[2:3], off
	s_mov_b32 s21, 0
	s_wait_loadcnt 0x0
	v_cvt_i32_f64_e32 v4, v[4:5]
	s_branch .LBB54_611
.LBB54_609:
	s_mov_b32 s21, -1
                                        ; implicit-def: $vgpr4
	s_branch .LBB54_614
.LBB54_610:
	s_mov_b32 s21, -1
                                        ; implicit-def: $vgpr4
.LBB54_611:
	s_delay_alu instid0(SALU_CYCLE_1)
	s_and_not1_b32 vcc_lo, exec_lo, s21
	s_cbranch_vccnz .LBB54_613
; %bb.612:
	s_wait_loadcnt 0x0
	global_load_b32 v1, v[2:3], off
	s_wait_loadcnt 0x0
	v_cvt_i32_f32_e32 v4, v1
.LBB54_613:
	s_mov_b32 s21, 0
.LBB54_614:
	s_delay_alu instid0(SALU_CYCLE_1)
	s_and_not1_b32 vcc_lo, exec_lo, s21
	s_cbranch_vccnz .LBB54_616
; %bb.615:
	s_wait_loadcnt 0x0
	global_load_u16 v1, v[2:3], off
	s_wait_loadcnt 0x0
	v_cvt_i16_f16_e32 v4, v1
.LBB54_616:
	s_mov_b32 s21, 0
.LBB54_617:
	s_delay_alu instid0(SALU_CYCLE_1)
	s_and_not1_b32 vcc_lo, exec_lo, s21
	s_cbranch_vccnz .LBB54_637
; %bb.618:
	s_cmp_lt_i32 s0, 2
	s_cbranch_scc1 .LBB54_622
; %bb.619:
	s_cmp_lt_i32 s0, 3
	s_cbranch_scc1 .LBB54_623
; %bb.620:
	s_cmp_gt_i32 s0, 3
	s_cbranch_scc0 .LBB54_624
; %bb.621:
	s_wait_loadcnt 0x0
	global_load_b64 v[4:5], v[2:3], off
	s_mov_b32 s21, 0
	s_branch .LBB54_625
.LBB54_622:
	s_mov_b32 s21, -1
                                        ; implicit-def: $vgpr4
	s_branch .LBB54_631
.LBB54_623:
	s_mov_b32 s21, -1
                                        ; implicit-def: $vgpr4
	s_branch .LBB54_628
.LBB54_624:
	s_mov_b32 s21, -1
                                        ; implicit-def: $vgpr4
.LBB54_625:
	s_delay_alu instid0(SALU_CYCLE_1)
	s_and_not1_b32 vcc_lo, exec_lo, s21
	s_cbranch_vccnz .LBB54_627
; %bb.626:
	s_wait_loadcnt 0x0
	global_load_b32 v4, v[2:3], off
.LBB54_627:
	s_mov_b32 s21, 0
.LBB54_628:
	s_delay_alu instid0(SALU_CYCLE_1)
	s_and_not1_b32 vcc_lo, exec_lo, s21
	s_cbranch_vccnz .LBB54_630
; %bb.629:
	s_wait_loadcnt 0x0
	global_load_u16 v4, v[2:3], off
.LBB54_630:
	s_mov_b32 s21, 0
.LBB54_631:
	s_delay_alu instid0(SALU_CYCLE_1)
	s_and_not1_b32 vcc_lo, exec_lo, s21
	s_cbranch_vccnz .LBB54_637
; %bb.632:
	s_cmp_gt_i32 s0, 0
	s_mov_b32 s0, 0
	s_cbranch_scc0 .LBB54_634
; %bb.633:
	s_wait_loadcnt 0x0
	global_load_u8 v4, v[2:3], off
	s_branch .LBB54_635
.LBB54_634:
	s_mov_b32 s0, -1
                                        ; implicit-def: $vgpr4
.LBB54_635:
	s_delay_alu instid0(SALU_CYCLE_1)
	s_and_not1_b32 vcc_lo, exec_lo, s0
	s_cbranch_vccnz .LBB54_637
; %bb.636:
	s_wait_loadcnt 0x0
	global_load_u8 v4, v[2:3], off
.LBB54_637:
	s_mov_b32 s24, -1
.LBB54_638:
	s_delay_alu instid0(SALU_CYCLE_1)
	s_and_not1_b32 vcc_lo, exec_lo, s24
	s_cbranch_vccnz .LBB54_652
; %bb.639:
	s_wait_loadcnt 0x0
	s_delay_alu instid0(VALU_DEP_1)
	v_bfe_i32 v1, v4, 0, 8
	s_wait_xcnt 0x0
	v_and_b32_e32 v2, 0xff, v0
	v_bfe_i32 v0, v0, 0, 8
	s_mov_b32 s21, 0
	s_mov_b32 s0, exec_lo
	v_sub_nc_u16 v3, 0, v1
	s_delay_alu instid0(VALU_DEP_1)
	v_max_i16 v3, v1, v3
	v_cmpx_ne_u16_e32 0, v2
	s_cbranch_execz .LBB54_643
; %bb.640:
	v_sub_nc_u16 v2, 0, v0
	s_delay_alu instid0(VALU_DEP_1) | instskip(SKIP_1) | instid1(VALU_DEP_2)
	v_max_i16 v4, v0, v2
	v_and_b32_e32 v2, 0xff, v3
	v_and_b32_e32 v4, 0xffff, v4
.LBB54_641:                             ; =>This Inner Loop Header: Depth=1
	s_delay_alu instid0(VALU_DEP_2) | instskip(NEXT) | instid1(VALU_DEP_2)
	v_bfe_i32 v6, v2, 0, 8
	v_mov_b32_e32 v3, v4
	s_delay_alu instid0(VALU_DEP_2) | instskip(NEXT) | instid1(VALU_DEP_2)
	v_cvt_f32_i32_e32 v8, v6
	v_bfe_i32 v4, v3, 0, 8
	s_delay_alu instid0(VALU_DEP_1) | instskip(SKIP_1) | instid1(VALU_DEP_2)
	v_cvt_f32_i32_e32 v5, v4
	v_xor_b32_e32 v4, v6, v4
	v_rcp_iflag_f32_e32 v7, v5
	v_nop
	s_delay_alu instid0(TRANS32_DEP_1) | instskip(NEXT) | instid1(VALU_DEP_1)
	v_dual_ashrrev_i32 v4, 30, v4 :: v_dual_mul_f32 v6, v8, v7
	v_trunc_f32_e32 v6, v6
	s_delay_alu instid0(VALU_DEP_1) | instskip(SKIP_1) | instid1(VALU_DEP_2)
	v_dual_fma_f32 v7, -v6, v5, v8 :: v_dual_bitop2_b32 v4, 1, v4 bitop3:0x54
	v_cvt_i32_f32_e32 v6, v6
	v_cmp_ge_f32_e64 vcc_lo, |v7|, |v5|
	s_delay_alu instid0(VALU_DEP_3) | instskip(NEXT) | instid1(VALU_DEP_1)
	v_cndmask_b32_e32 v4, 0, v4, vcc_lo
	v_add_nc_u32_e32 v4, v6, v4
	s_delay_alu instid0(VALU_DEP_1) | instskip(NEXT) | instid1(VALU_DEP_1)
	v_mul_lo_u32 v4, v4, v3
	v_sub_nc_u32_e32 v2, v2, v4
	s_delay_alu instid0(VALU_DEP_1) | instskip(SKIP_1) | instid1(VALU_DEP_2)
	v_bfe_i32 v4, v2, 0, 8
	v_mov_b32_e32 v2, v3
	v_cmp_eq_u16_e32 vcc_lo, 0, v4
	v_and_b32_e32 v4, 0xffff, v4
	s_or_b32 s21, vcc_lo, s21
	s_delay_alu instid0(SALU_CYCLE_1)
	s_and_not1_b32 exec_lo, exec_lo, s21
	s_cbranch_execnz .LBB54_641
; %bb.642:
	s_or_b32 exec_lo, exec_lo, s21
.LBB54_643:
	s_delay_alu instid0(SALU_CYCLE_1) | instskip(NEXT) | instid1(VALU_DEP_2)
	s_or_b32 exec_lo, exec_lo, s0
	v_and_b32_e32 v4, 0xff, v3
	v_mov_b32_e32 v2, 0
	s_mov_b32 s0, exec_lo
	s_delay_alu instid0(VALU_DEP_2)
	v_cmpx_ne_u16_e32 0, v4
	s_cbranch_execz .LBB54_645
; %bb.644:
	v_bfe_i32 v2, v3, 0, 8
	v_cvt_f32_i32_e32 v5, v0
	s_delay_alu instid0(VALU_DEP_2) | instskip(SKIP_1) | instid1(VALU_DEP_2)
	v_cvt_f32_i32_e32 v3, v2
	v_xor_b32_e32 v0, v0, v2
	v_rcp_iflag_f32_e32 v4, v3
	v_nop
	s_delay_alu instid0(TRANS32_DEP_1) | instskip(NEXT) | instid1(VALU_DEP_1)
	v_mul_f32_e32 v4, v5, v4
	v_trunc_f32_e32 v2, v4
	s_delay_alu instid0(VALU_DEP_1) | instskip(NEXT) | instid1(VALU_DEP_1)
	v_dual_ashrrev_i32 v0, 30, v0 :: v_dual_fma_f32 v4, -v2, v3, v5
	v_or_b32_e32 v0, 1, v0
	v_cvt_i32_f32_e32 v2, v2
	s_delay_alu instid0(VALU_DEP_3) | instskip(NEXT) | instid1(VALU_DEP_3)
	v_cmp_ge_f32_e64 vcc_lo, |v4|, |v3|
	v_cndmask_b32_e32 v0, 0, v0, vcc_lo
	s_delay_alu instid0(VALU_DEP_1) | instskip(NEXT) | instid1(VALU_DEP_1)
	v_add_nc_u32_e32 v0, v2, v0
	v_bfe_i32 v0, v0, 0, 8
	s_delay_alu instid0(VALU_DEP_1) | instskip(NEXT) | instid1(VALU_DEP_1)
	v_mul_i32_i24_e32 v0, v0, v1
	v_sub_nc_u32_e32 v1, 0, v0
	s_delay_alu instid0(VALU_DEP_1)
	v_max_i32_e32 v2, v0, v1
.LBB54_645:
	s_or_b32 exec_lo, exec_lo, s0
	v_mul_lo_u32 v0, v10, s8
	s_and_b32 s21, s11, 0xff
	s_delay_alu instid0(SALU_CYCLE_1) | instskip(NEXT) | instid1(VALU_DEP_1)
	s_cmp_lt_i32 s21, 11
	v_ashrrev_i32_e32 v1, 31, v0
	s_delay_alu instid0(VALU_DEP_1)
	v_add_nc_u64_e32 v[0:1], s[4:5], v[0:1]
	s_cbranch_scc1 .LBB54_653
; %bb.646:
	s_and_b32 s24, 0xffff, s21
	s_delay_alu instid0(SALU_CYCLE_1)
	s_cmp_gt_i32 s24, 25
	s_cbranch_scc0 .LBB54_654
; %bb.647:
	s_cmp_gt_i32 s24, 28
	s_cbranch_scc0 .LBB54_655
; %bb.648:
	s_cmp_gt_i32 s24, 43
	s_cbranch_scc0 .LBB54_656
; %bb.649:
	s_cmp_gt_i32 s24, 45
	s_cbranch_scc0 .LBB54_657
; %bb.650:
	s_mov_b32 s26, 0
	s_mov_b32 s0, -1
	s_cmp_eq_u32 s24, 46
	s_mov_b32 s25, 0
	s_cbranch_scc0 .LBB54_658
; %bb.651:
	v_bfe_i32 v3, v2, 0, 8
	s_mov_b32 s25, -1
	s_mov_b32 s0, 0
	s_delay_alu instid0(VALU_DEP_1) | instskip(NEXT) | instid1(VALU_DEP_1)
	v_bfe_i32 v3, v3, 0, 16
	v_cvt_f32_i32_e32 v3, v3
	s_delay_alu instid0(VALU_DEP_1) | instskip(NEXT) | instid1(VALU_DEP_1)
	v_bfe_u32 v4, v3, 16, 1
	v_add3_u32 v3, v3, v4, 0x7fff
	s_delay_alu instid0(VALU_DEP_1)
	v_lshrrev_b32_e32 v3, 16, v3
	global_store_b32 v[0:1], v3, off
	s_branch .LBB54_658
.LBB54_652:
	s_mov_b32 s24, 0
	s_mov_b32 s0, s15
	s_branch .LBB54_769
.LBB54_653:
	s_mov_b32 s24, -1
	s_mov_b32 s25, 0
	s_mov_b32 s0, s15
	s_branch .LBB54_727
.LBB54_654:
	s_mov_b32 s26, -1
	s_mov_b32 s25, 0
	s_mov_b32 s0, s15
	s_branch .LBB54_685
.LBB54_655:
	s_mov_b32 s26, -1
	s_mov_b32 s25, 0
	s_mov_b32 s0, s15
	s_branch .LBB54_668
.LBB54_656:
	s_mov_b32 s26, -1
	s_mov_b32 s25, 0
	s_mov_b32 s0, s15
	s_branch .LBB54_664
.LBB54_657:
	s_mov_b32 s26, -1
	s_mov_b32 s25, 0
	s_mov_b32 s0, s15
.LBB54_658:
	s_and_b32 vcc_lo, exec_lo, s26
	s_cbranch_vccz .LBB54_663
; %bb.659:
	s_cmp_eq_u32 s24, 44
	s_mov_b32 s0, -1
	s_cbranch_scc0 .LBB54_663
; %bb.660:
	s_wait_xcnt 0x0
	v_bfe_i32 v3, v2, 0, 8
	v_mov_b32_e32 v4, 0xff
	s_mov_b32 s25, exec_lo
	s_delay_alu instid0(VALU_DEP_2) | instskip(NEXT) | instid1(VALU_DEP_1)
	v_bfe_i32 v3, v3, 0, 16
	v_cvt_f32_i32_e32 v3, v3
	s_delay_alu instid0(VALU_DEP_1) | instskip(NEXT) | instid1(VALU_DEP_1)
	v_bfe_u32 v5, v3, 23, 8
	v_cmpx_ne_u32_e32 0xff, v5
	s_cbranch_execz .LBB54_662
; %bb.661:
	v_and_b32_e32 v4, 0x400000, v3
	v_and_or_b32 v5, 0x3fffff, v3, v5
	v_lshrrev_b32_e32 v3, 23, v3
	s_delay_alu instid0(VALU_DEP_3) | instskip(NEXT) | instid1(VALU_DEP_3)
	v_cmp_ne_u32_e32 vcc_lo, 0, v4
	v_cmp_ne_u32_e64 s0, 0, v5
	s_and_b32 s0, vcc_lo, s0
	s_delay_alu instid0(SALU_CYCLE_1) | instskip(NEXT) | instid1(VALU_DEP_1)
	v_cndmask_b32_e64 v4, 0, 1, s0
	v_add_nc_u32_e32 v4, v3, v4
.LBB54_662:
	s_or_b32 exec_lo, exec_lo, s25
	s_mov_b32 s25, -1
	s_mov_b32 s0, 0
	global_store_b8 v[0:1], v4, off
.LBB54_663:
	s_mov_b32 s26, 0
.LBB54_664:
	s_delay_alu instid0(SALU_CYCLE_1)
	s_and_b32 vcc_lo, exec_lo, s26
	s_cbranch_vccz .LBB54_667
; %bb.665:
	s_cmp_eq_u32 s24, 29
	s_mov_b32 s0, -1
	s_cbranch_scc0 .LBB54_667
; %bb.666:
	s_wait_xcnt 0x0
	v_bfe_i32 v4, v2, 0, 8
	s_mov_b32 s25, -1
	s_mov_b32 s0, 0
	s_mov_b32 s26, 0
	s_delay_alu instid0(VALU_DEP_1)
	v_ashrrev_i32_e32 v5, 31, v4
	global_store_b64 v[0:1], v[4:5], off
	s_branch .LBB54_668
.LBB54_667:
	s_mov_b32 s26, 0
.LBB54_668:
	s_delay_alu instid0(SALU_CYCLE_1)
	s_and_b32 vcc_lo, exec_lo, s26
	s_cbranch_vccz .LBB54_684
; %bb.669:
	s_cmp_lt_i32 s24, 27
	s_mov_b32 s25, -1
	s_cbranch_scc1 .LBB54_675
; %bb.670:
	s_cmp_gt_i32 s24, 27
	s_cbranch_scc0 .LBB54_672
; %bb.671:
	s_wait_xcnt 0x0
	v_bfe_i32 v3, v2, 0, 8
	s_mov_b32 s25, 0
	global_store_b32 v[0:1], v3, off
.LBB54_672:
	s_and_not1_b32 vcc_lo, exec_lo, s25
	s_cbranch_vccnz .LBB54_674
; %bb.673:
	s_wait_xcnt 0x0
	v_bfe_i32 v3, v2, 0, 8
	global_store_b16 v[0:1], v3, off
.LBB54_674:
	s_mov_b32 s25, 0
.LBB54_675:
	s_delay_alu instid0(SALU_CYCLE_1)
	s_and_not1_b32 vcc_lo, exec_lo, s25
	s_cbranch_vccnz .LBB54_683
; %bb.676:
	s_wait_xcnt 0x0
	v_bfe_i32 v3, v2, 0, 8
	v_mov_b32_e32 v5, 0x80
	s_mov_b32 s25, exec_lo
	s_delay_alu instid0(VALU_DEP_2) | instskip(NEXT) | instid1(VALU_DEP_1)
	v_bfe_i32 v3, v3, 0, 16
	v_cvt_f32_i32_e32 v3, v3
	s_delay_alu instid0(VALU_DEP_1) | instskip(NEXT) | instid1(VALU_DEP_1)
	v_and_b32_e32 v4, 0x7fffffff, v3
	v_cmpx_gt_u32_e32 0x43800000, v4
	s_cbranch_execz .LBB54_682
; %bb.677:
	v_cmp_lt_u32_e32 vcc_lo, 0x3bffffff, v4
	s_mov_b32 s26, 0
                                        ; implicit-def: $vgpr4
	s_and_saveexec_b32 s27, vcc_lo
	s_delay_alu instid0(SALU_CYCLE_1)
	s_xor_b32 s27, exec_lo, s27
	s_cbranch_execz .LBB54_785
; %bb.678:
	v_bfe_u32 v4, v3, 20, 1
	s_mov_b32 s26, exec_lo
	s_delay_alu instid0(VALU_DEP_1) | instskip(NEXT) | instid1(VALU_DEP_1)
	v_add3_u32 v4, v3, v4, 0x487ffff
	v_lshrrev_b32_e32 v4, 20, v4
	s_and_not1_saveexec_b32 s27, s27
	s_cbranch_execnz .LBB54_786
.LBB54_679:
	s_or_b32 exec_lo, exec_lo, s27
	v_mov_b32_e32 v5, 0
	s_and_saveexec_b32 s27, s26
.LBB54_680:
	v_lshrrev_b32_e32 v3, 24, v3
	s_delay_alu instid0(VALU_DEP_1)
	v_and_or_b32 v5, 0x80, v3, v4
.LBB54_681:
	s_or_b32 exec_lo, exec_lo, s27
.LBB54_682:
	s_delay_alu instid0(SALU_CYCLE_1)
	s_or_b32 exec_lo, exec_lo, s25
	global_store_b8 v[0:1], v5, off
.LBB54_683:
	s_mov_b32 s25, -1
.LBB54_684:
	s_mov_b32 s26, 0
.LBB54_685:
	s_delay_alu instid0(SALU_CYCLE_1)
	s_and_b32 vcc_lo, exec_lo, s26
	s_cbranch_vccz .LBB54_726
; %bb.686:
	s_cmp_gt_i32 s24, 22
	s_mov_b32 s26, -1
	s_cbranch_scc0 .LBB54_718
; %bb.687:
	s_cmp_lt_i32 s24, 24
	s_mov_b32 s25, -1
	s_cbranch_scc1 .LBB54_707
; %bb.688:
	s_cmp_gt_i32 s24, 24
	s_cbranch_scc0 .LBB54_696
; %bb.689:
	s_wait_xcnt 0x0
	v_bfe_i32 v3, v2, 0, 8
	v_mov_b32_e32 v5, 0x80
	s_mov_b32 s25, exec_lo
	s_delay_alu instid0(VALU_DEP_2) | instskip(NEXT) | instid1(VALU_DEP_1)
	v_bfe_i32 v3, v3, 0, 16
	v_cvt_f32_i32_e32 v3, v3
	s_delay_alu instid0(VALU_DEP_1) | instskip(NEXT) | instid1(VALU_DEP_1)
	v_and_b32_e32 v4, 0x7fffffff, v3
	v_cmpx_gt_u32_e32 0x47800000, v4
	s_cbranch_execz .LBB54_695
; %bb.690:
	v_cmp_lt_u32_e32 vcc_lo, 0x37ffffff, v4
	s_mov_b32 s26, 0
                                        ; implicit-def: $vgpr4
	s_and_saveexec_b32 s27, vcc_lo
	s_delay_alu instid0(SALU_CYCLE_1)
	s_xor_b32 s27, exec_lo, s27
	s_cbranch_execz .LBB54_913
; %bb.691:
	v_bfe_u32 v4, v3, 21, 1
	s_mov_b32 s26, exec_lo
	s_delay_alu instid0(VALU_DEP_1) | instskip(NEXT) | instid1(VALU_DEP_1)
	v_add3_u32 v4, v3, v4, 0x88fffff
	v_lshrrev_b32_e32 v4, 21, v4
	s_and_not1_saveexec_b32 s27, s27
	s_cbranch_execnz .LBB54_914
.LBB54_692:
	s_or_b32 exec_lo, exec_lo, s27
	v_mov_b32_e32 v5, 0
	s_and_saveexec_b32 s27, s26
.LBB54_693:
	v_lshrrev_b32_e32 v3, 24, v3
	s_delay_alu instid0(VALU_DEP_1)
	v_and_or_b32 v5, 0x80, v3, v4
.LBB54_694:
	s_or_b32 exec_lo, exec_lo, s27
.LBB54_695:
	s_delay_alu instid0(SALU_CYCLE_1)
	s_or_b32 exec_lo, exec_lo, s25
	s_mov_b32 s25, 0
	global_store_b8 v[0:1], v5, off
.LBB54_696:
	s_and_b32 vcc_lo, exec_lo, s25
	s_cbranch_vccz .LBB54_706
; %bb.697:
	s_wait_xcnt 0x0
	v_bfe_i32 v3, v2, 0, 8
	s_mov_b32 s25, exec_lo
                                        ; implicit-def: $vgpr4
	s_delay_alu instid0(VALU_DEP_1) | instskip(NEXT) | instid1(VALU_DEP_1)
	v_bfe_i32 v3, v3, 0, 16
	v_cvt_f32_i32_e32 v3, v3
	s_delay_alu instid0(VALU_DEP_1) | instskip(NEXT) | instid1(VALU_DEP_1)
	v_and_b32_e32 v5, 0x7fffffff, v3
	v_cmpx_gt_u32_e32 0x43f00000, v5
	s_xor_b32 s25, exec_lo, s25
	s_cbranch_execz .LBB54_703
; %bb.698:
	s_mov_b32 s26, exec_lo
                                        ; implicit-def: $vgpr4
	v_cmpx_lt_u32_e32 0x3c7fffff, v5
	s_xor_b32 s26, exec_lo, s26
; %bb.699:
	v_bfe_u32 v4, v3, 20, 1
	s_delay_alu instid0(VALU_DEP_1) | instskip(NEXT) | instid1(VALU_DEP_1)
	v_add3_u32 v4, v3, v4, 0x407ffff
	v_and_b32_e32 v5, 0xff00000, v4
	v_lshrrev_b32_e32 v4, 20, v4
	s_delay_alu instid0(VALU_DEP_2) | instskip(NEXT) | instid1(VALU_DEP_2)
	v_cmp_ne_u32_e32 vcc_lo, 0x7f00000, v5
	v_cndmask_b32_e32 v4, 0x7e, v4, vcc_lo
; %bb.700:
	s_and_not1_saveexec_b32 s26, s26
; %bb.701:
	v_add_f32_e64 v4, 0x46800000, |v3|
; %bb.702:
	s_or_b32 exec_lo, exec_lo, s26
                                        ; implicit-def: $vgpr5
.LBB54_703:
	s_and_not1_saveexec_b32 s25, s25
; %bb.704:
	v_mov_b32_e32 v4, 0x7f
	v_cmp_lt_u32_e32 vcc_lo, 0x7f800000, v5
	s_delay_alu instid0(VALU_DEP_2)
	v_cndmask_b32_e32 v4, 0x7e, v4, vcc_lo
; %bb.705:
	s_or_b32 exec_lo, exec_lo, s25
	v_lshrrev_b32_e32 v3, 24, v3
	s_delay_alu instid0(VALU_DEP_1)
	v_and_or_b32 v3, 0x80, v3, v4
	global_store_b8 v[0:1], v3, off
.LBB54_706:
	s_mov_b32 s25, 0
.LBB54_707:
	s_delay_alu instid0(SALU_CYCLE_1)
	s_and_not1_b32 vcc_lo, exec_lo, s25
	s_cbranch_vccnz .LBB54_717
; %bb.708:
	s_wait_xcnt 0x0
	v_bfe_i32 v3, v2, 0, 8
	s_mov_b32 s25, exec_lo
                                        ; implicit-def: $vgpr4
	s_delay_alu instid0(VALU_DEP_1) | instskip(NEXT) | instid1(VALU_DEP_1)
	v_bfe_i32 v3, v3, 0, 16
	v_cvt_f32_i32_e32 v3, v3
	s_delay_alu instid0(VALU_DEP_1) | instskip(NEXT) | instid1(VALU_DEP_1)
	v_and_b32_e32 v5, 0x7fffffff, v3
	v_cmpx_gt_u32_e32 0x47800000, v5
	s_xor_b32 s25, exec_lo, s25
	s_cbranch_execz .LBB54_714
; %bb.709:
	s_mov_b32 s26, exec_lo
                                        ; implicit-def: $vgpr4
	v_cmpx_lt_u32_e32 0x387fffff, v5
	s_xor_b32 s26, exec_lo, s26
; %bb.710:
	v_bfe_u32 v4, v3, 21, 1
	s_delay_alu instid0(VALU_DEP_1) | instskip(NEXT) | instid1(VALU_DEP_1)
	v_add3_u32 v4, v3, v4, 0x80fffff
	v_lshrrev_b32_e32 v4, 21, v4
; %bb.711:
	s_and_not1_saveexec_b32 s26, s26
; %bb.712:
	v_add_f32_e64 v4, 0x43000000, |v3|
; %bb.713:
	s_or_b32 exec_lo, exec_lo, s26
                                        ; implicit-def: $vgpr5
.LBB54_714:
	s_and_not1_saveexec_b32 s25, s25
; %bb.715:
	v_mov_b32_e32 v4, 0x7f
	v_cmp_lt_u32_e32 vcc_lo, 0x7f800000, v5
	s_delay_alu instid0(VALU_DEP_2)
	v_cndmask_b32_e32 v4, 0x7c, v4, vcc_lo
; %bb.716:
	s_or_b32 exec_lo, exec_lo, s25
	v_lshrrev_b32_e32 v3, 24, v3
	s_delay_alu instid0(VALU_DEP_1)
	v_and_or_b32 v3, 0x80, v3, v4
	global_store_b8 v[0:1], v3, off
.LBB54_717:
	s_mov_b32 s26, 0
	s_mov_b32 s25, -1
.LBB54_718:
	s_and_not1_b32 vcc_lo, exec_lo, s26
	s_cbranch_vccnz .LBB54_726
; %bb.719:
	s_cmp_gt_i32 s24, 14
	s_mov_b32 s26, -1
	s_cbranch_scc0 .LBB54_723
; %bb.720:
	s_cmp_eq_u32 s24, 15
	s_mov_b32 s0, -1
	s_cbranch_scc0 .LBB54_722
; %bb.721:
	s_wait_xcnt 0x0
	v_bfe_i32 v3, v2, 0, 8
	s_mov_b32 s25, -1
	s_mov_b32 s0, 0
	s_delay_alu instid0(VALU_DEP_1) | instskip(NEXT) | instid1(VALU_DEP_1)
	v_bfe_i32 v3, v3, 0, 16
	v_cvt_f32_i32_e32 v3, v3
	s_delay_alu instid0(VALU_DEP_1) | instskip(NEXT) | instid1(VALU_DEP_1)
	v_bfe_u32 v4, v3, 16, 1
	v_add3_u32 v3, v3, v4, 0x7fff
	global_store_d16_hi_b16 v[0:1], v3, off
.LBB54_722:
	s_mov_b32 s26, 0
.LBB54_723:
	s_delay_alu instid0(SALU_CYCLE_1)
	s_and_b32 vcc_lo, exec_lo, s26
	s_cbranch_vccz .LBB54_726
; %bb.724:
	s_cmp_eq_u32 s24, 11
	s_mov_b32 s0, -1
	s_cbranch_scc0 .LBB54_726
; %bb.725:
	s_wait_xcnt 0x0
	v_and_b32_e32 v3, 0xff, v2
	s_mov_b32 s0, 0
	s_mov_b32 s25, -1
	s_delay_alu instid0(VALU_DEP_1)
	v_cmp_ne_u16_e32 vcc_lo, 0, v3
	v_cndmask_b32_e64 v3, 0, 1, vcc_lo
	global_store_b8 v[0:1], v3, off
.LBB54_726:
	s_mov_b32 s24, 0
.LBB54_727:
	s_delay_alu instid0(SALU_CYCLE_1)
	s_and_b32 vcc_lo, exec_lo, s24
	s_cbranch_vccz .LBB54_766
; %bb.728:
	s_and_b32 s21, 0xffff, s21
	s_mov_b32 s24, -1
	s_cmp_lt_i32 s21, 5
	s_cbranch_scc1 .LBB54_749
; %bb.729:
	s_cmp_lt_i32 s21, 8
	s_cbranch_scc1 .LBB54_739
; %bb.730:
	;; [unrolled: 3-line block ×3, first 2 shown]
	s_cmp_gt_i32 s21, 9
	s_cbranch_scc0 .LBB54_733
; %bb.732:
	s_wait_xcnt 0x0
	v_bfe_i32 v3, v2, 0, 8
	v_mov_b32_e32 v6, 0
	s_mov_b32 s24, 0
	s_delay_alu instid0(VALU_DEP_2) | instskip(NEXT) | instid1(VALU_DEP_2)
	v_bfe_i32 v3, v3, 0, 16
	v_mov_b32_e32 v7, v6
	s_delay_alu instid0(VALU_DEP_2)
	v_cvt_f64_i32_e32 v[4:5], v3
	global_store_b128 v[0:1], v[4:7], off
.LBB54_733:
	s_and_not1_b32 vcc_lo, exec_lo, s24
	s_cbranch_vccnz .LBB54_735
; %bb.734:
	s_wait_xcnt 0x0
	v_bfe_i32 v3, v2, 0, 8
	v_mov_b32_e32 v5, 0
	s_delay_alu instid0(VALU_DEP_2) | instskip(NEXT) | instid1(VALU_DEP_1)
	v_bfe_i32 v3, v3, 0, 16
	v_cvt_f32_i32_e32 v4, v3
	global_store_b64 v[0:1], v[4:5], off
.LBB54_735:
	s_mov_b32 s24, 0
.LBB54_736:
	s_delay_alu instid0(SALU_CYCLE_1)
	s_and_not1_b32 vcc_lo, exec_lo, s24
	s_cbranch_vccnz .LBB54_738
; %bb.737:
	s_wait_xcnt 0x0
	v_bfe_i32 v3, v2, 0, 8
	s_delay_alu instid0(VALU_DEP_1) | instskip(NEXT) | instid1(VALU_DEP_1)
	v_cvt_f16_i16_e32 v3, v3
	v_and_b32_e32 v3, 0xffff, v3
	global_store_b32 v[0:1], v3, off
.LBB54_738:
	s_mov_b32 s24, 0
.LBB54_739:
	s_delay_alu instid0(SALU_CYCLE_1)
	s_and_not1_b32 vcc_lo, exec_lo, s24
	s_cbranch_vccnz .LBB54_748
; %bb.740:
	s_cmp_lt_i32 s21, 6
	s_mov_b32 s24, -1
	s_cbranch_scc1 .LBB54_746
; %bb.741:
	s_cmp_gt_i32 s21, 6
	s_cbranch_scc0 .LBB54_743
; %bb.742:
	s_wait_xcnt 0x0
	v_bfe_i32 v3, v2, 0, 8
	s_mov_b32 s24, 0
	s_delay_alu instid0(VALU_DEP_1) | instskip(NEXT) | instid1(VALU_DEP_1)
	v_bfe_i32 v3, v3, 0, 16
	v_cvt_f64_i32_e32 v[4:5], v3
	global_store_b64 v[0:1], v[4:5], off
.LBB54_743:
	s_and_not1_b32 vcc_lo, exec_lo, s24
	s_cbranch_vccnz .LBB54_745
; %bb.744:
	s_wait_xcnt 0x0
	v_bfe_i32 v3, v2, 0, 8
	s_delay_alu instid0(VALU_DEP_1) | instskip(NEXT) | instid1(VALU_DEP_1)
	v_bfe_i32 v3, v3, 0, 16
	v_cvt_f32_i32_e32 v3, v3
	global_store_b32 v[0:1], v3, off
.LBB54_745:
	s_mov_b32 s24, 0
.LBB54_746:
	s_delay_alu instid0(SALU_CYCLE_1)
	s_and_not1_b32 vcc_lo, exec_lo, s24
	s_cbranch_vccnz .LBB54_748
; %bb.747:
	s_wait_xcnt 0x0
	v_bfe_i32 v3, v2, 0, 8
	s_delay_alu instid0(VALU_DEP_1)
	v_cvt_f16_i16_e32 v3, v3
	global_store_b16 v[0:1], v3, off
.LBB54_748:
	s_mov_b32 s24, 0
.LBB54_749:
	s_delay_alu instid0(SALU_CYCLE_1)
	s_and_not1_b32 vcc_lo, exec_lo, s24
	s_cbranch_vccnz .LBB54_765
; %bb.750:
	s_cmp_lt_i32 s21, 2
	s_mov_b32 s24, -1
	s_cbranch_scc1 .LBB54_760
; %bb.751:
	s_cmp_lt_i32 s21, 3
	s_cbranch_scc1 .LBB54_757
; %bb.752:
	s_cmp_gt_i32 s21, 3
	s_cbranch_scc0 .LBB54_754
; %bb.753:
	s_wait_xcnt 0x0
	v_bfe_i32 v4, v2, 0, 8
	s_mov_b32 s24, 0
	s_delay_alu instid0(VALU_DEP_1)
	v_ashrrev_i32_e32 v5, 31, v4
	global_store_b64 v[0:1], v[4:5], off
.LBB54_754:
	s_and_not1_b32 vcc_lo, exec_lo, s24
	s_cbranch_vccnz .LBB54_756
; %bb.755:
	s_wait_xcnt 0x0
	v_bfe_i32 v3, v2, 0, 8
	global_store_b32 v[0:1], v3, off
.LBB54_756:
	s_mov_b32 s24, 0
.LBB54_757:
	s_delay_alu instid0(SALU_CYCLE_1)
	s_and_not1_b32 vcc_lo, exec_lo, s24
	s_cbranch_vccnz .LBB54_759
; %bb.758:
	s_wait_xcnt 0x0
	v_bfe_i32 v3, v2, 0, 8
	global_store_b16 v[0:1], v3, off
.LBB54_759:
	s_mov_b32 s24, 0
.LBB54_760:
	s_delay_alu instid0(SALU_CYCLE_1)
	s_and_not1_b32 vcc_lo, exec_lo, s24
	s_cbranch_vccnz .LBB54_765
; %bb.761:
	s_cmp_gt_i32 s21, 0
	s_mov_b32 s21, -1
	s_cbranch_scc0 .LBB54_763
; %bb.762:
	s_mov_b32 s21, 0
	global_store_b8 v[0:1], v2, off
.LBB54_763:
	s_and_not1_b32 vcc_lo, exec_lo, s21
	s_cbranch_vccnz .LBB54_765
; %bb.764:
	global_store_b8 v[0:1], v2, off
.LBB54_765:
	s_mov_b32 s25, -1
.LBB54_766:
	s_delay_alu instid0(SALU_CYCLE_1)
	s_and_not1_b32 vcc_lo, exec_lo, s25
	s_cbranch_vccnz .LBB54_768
; %bb.767:
	v_add_nc_u32_e32 v10, 0x80, v10
	s_mov_b32 s24, -1
	s_branch .LBB54_770
.LBB54_768:
	s_mov_b32 s24, 0
.LBB54_769:
                                        ; implicit-def: $vgpr10
.LBB54_770:
	s_and_not1_b32 s21, s15, exec_lo
	s_and_b32 s0, s0, exec_lo
	s_and_b32 s22, s22, exec_lo
	s_or_b32 s21, s21, s0
	s_and_not1_b32 s0, s17, exec_lo
	s_and_not1_b32 s25, s18, exec_lo
	s_and_b32 s20, s20, exec_lo
	s_or_b32 s22, s0, s22
	s_or_b32 s20, s25, s20
	s_or_not1_b32 s25, s24, exec_lo
.LBB54_771:
	s_wait_xcnt 0x0
	s_or_b32 exec_lo, exec_lo, s23
	s_mov_b32 s24, 0
	s_mov_b32 s26, 0
	;; [unrolled: 1-line block ×3, first 2 shown]
                                        ; implicit-def: $sgpr0
                                        ; implicit-def: $vgpr2_vgpr3
                                        ; implicit-def: $vgpr0
	s_and_saveexec_b32 s23, s25
	s_cbranch_execz .LBB54_1240
; %bb.772:
	s_mov_b32 s31, -1
	s_mov_b32 s25, s20
	s_mov_b32 s26, s22
	s_mov_b32 s27, s21
	s_mov_b32 s24, exec_lo
	v_cmpx_gt_i32_e64 s16, v10
	s_cbranch_execz .LBB54_1160
; %bb.773:
	s_wait_loadcnt 0x0
	v_mul_lo_u32 v0, v10, s9
	s_and_b32 s0, s13, 0xff
	s_delay_alu instid0(SALU_CYCLE_1) | instskip(NEXT) | instid1(VALU_DEP_1)
	s_cmp_lt_i32 s0, 11
	v_ashrrev_i32_e32 v1, 31, v0
	s_delay_alu instid0(VALU_DEP_1)
	v_add_nc_u64_e32 v[2:3], s[6:7], v[0:1]
	s_cbranch_scc1 .LBB54_780
; %bb.774:
	s_and_b32 s26, 0xffff, s0
	s_delay_alu instid0(SALU_CYCLE_1)
	s_cmp_gt_i32 s26, 25
	s_cbranch_scc0 .LBB54_781
; %bb.775:
	s_cmp_gt_i32 s26, 28
	s_cbranch_scc0 .LBB54_782
; %bb.776:
	;; [unrolled: 3-line block ×4, first 2 shown]
	s_cmp_eq_u32 s26, 46
	s_mov_b32 s28, 0
	s_cbranch_scc0 .LBB54_787
; %bb.779:
	global_load_b32 v0, v[2:3], off
	s_mov_b32 s27, -1
	s_mov_b32 s25, 0
	s_wait_loadcnt 0x0
	v_lshlrev_b32_e32 v0, 16, v0
	s_delay_alu instid0(VALU_DEP_1)
	v_cvt_i32_f32_e32 v0, v0
	s_branch .LBB54_789
.LBB54_780:
	s_mov_b32 s26, -1
	s_mov_b32 s27, 0
	s_mov_b32 s25, s20
                                        ; implicit-def: $vgpr0
	s_branch .LBB54_850
.LBB54_781:
	s_mov_b32 s28, -1
	s_mov_b32 s27, 0
	s_mov_b32 s25, s20
                                        ; implicit-def: $vgpr0
	s_branch .LBB54_816
.LBB54_782:
	s_mov_b32 s28, -1
	s_mov_b32 s27, 0
	s_mov_b32 s25, s20
                                        ; implicit-def: $vgpr0
	s_branch .LBB54_799
.LBB54_783:
	s_mov_b32 s28, -1
	s_mov_b32 s27, 0
	s_mov_b32 s25, s20
                                        ; implicit-def: $vgpr0
	s_branch .LBB54_794
.LBB54_784:
	s_mov_b32 s28, -1
	s_mov_b32 s27, 0
	s_mov_b32 s25, s20
	s_branch .LBB54_788
.LBB54_785:
	s_and_not1_saveexec_b32 s27, s27
	s_cbranch_execz .LBB54_679
.LBB54_786:
	v_add_f32_e64 v4, 0x46000000, |v3|
	s_and_not1_b32 s26, s26, exec_lo
	s_delay_alu instid0(VALU_DEP_1) | instskip(NEXT) | instid1(VALU_DEP_1)
	v_and_b32_e32 v4, 0xff, v4
	v_cmp_ne_u32_e32 vcc_lo, 0, v4
	s_and_b32 s28, vcc_lo, exec_lo
	s_delay_alu instid0(SALU_CYCLE_1)
	s_or_b32 s26, s26, s28
	s_or_b32 exec_lo, exec_lo, s27
	v_mov_b32_e32 v5, 0
	s_and_saveexec_b32 s27, s26
	s_cbranch_execnz .LBB54_680
	s_branch .LBB54_681
.LBB54_787:
	s_mov_b32 s25, -1
	s_mov_b32 s27, 0
.LBB54_788:
                                        ; implicit-def: $vgpr0
.LBB54_789:
	s_and_b32 vcc_lo, exec_lo, s28
	s_cbranch_vccz .LBB54_793
; %bb.790:
	s_cmp_eq_u32 s26, 44
	s_cbranch_scc0 .LBB54_792
; %bb.791:
	global_load_u8 v0, v[2:3], off
	s_mov_b32 s25, 0
	s_mov_b32 s27, -1
	s_wait_loadcnt 0x0
	v_lshlrev_b32_e32 v1, 23, v0
	v_cmp_ne_u32_e32 vcc_lo, 0, v0
	s_delay_alu instid0(VALU_DEP_2) | instskip(NEXT) | instid1(VALU_DEP_1)
	v_cvt_i32_f32_e32 v1, v1
	v_cndmask_b32_e32 v0, 0, v1, vcc_lo
	s_branch .LBB54_793
.LBB54_792:
	s_mov_b32 s25, -1
                                        ; implicit-def: $vgpr0
.LBB54_793:
	s_mov_b32 s28, 0
.LBB54_794:
	s_delay_alu instid0(SALU_CYCLE_1)
	s_and_b32 vcc_lo, exec_lo, s28
	s_cbranch_vccz .LBB54_798
; %bb.795:
	s_cmp_eq_u32 s26, 29
	s_cbranch_scc0 .LBB54_797
; %bb.796:
	global_load_b64 v[0:1], v[2:3], off
	s_mov_b32 s27, -1
	s_mov_b32 s25, 0
	s_branch .LBB54_798
.LBB54_797:
	s_mov_b32 s25, -1
                                        ; implicit-def: $vgpr0
.LBB54_798:
	s_mov_b32 s28, 0
.LBB54_799:
	s_delay_alu instid0(SALU_CYCLE_1)
	s_and_b32 vcc_lo, exec_lo, s28
	s_cbranch_vccz .LBB54_815
; %bb.800:
	s_cmp_lt_i32 s26, 27
	s_cbranch_scc1 .LBB54_803
; %bb.801:
	s_cmp_gt_i32 s26, 27
	s_cbranch_scc0 .LBB54_804
; %bb.802:
	s_wait_loadcnt 0x0
	global_load_b32 v0, v[2:3], off
	s_mov_b32 s27, 0
	s_branch .LBB54_805
.LBB54_803:
	s_mov_b32 s27, -1
                                        ; implicit-def: $vgpr0
	s_branch .LBB54_808
.LBB54_804:
	s_mov_b32 s27, -1
                                        ; implicit-def: $vgpr0
.LBB54_805:
	s_delay_alu instid0(SALU_CYCLE_1)
	s_and_not1_b32 vcc_lo, exec_lo, s27
	s_cbranch_vccnz .LBB54_807
; %bb.806:
	s_wait_loadcnt 0x0
	global_load_u16 v0, v[2:3], off
.LBB54_807:
	s_mov_b32 s27, 0
.LBB54_808:
	s_delay_alu instid0(SALU_CYCLE_1)
	s_and_not1_b32 vcc_lo, exec_lo, s27
	s_cbranch_vccnz .LBB54_814
; %bb.809:
	s_wait_loadcnt 0x0
	global_load_u8 v1, v[2:3], off
	s_mov_b32 s28, 0
	s_mov_b32 s27, exec_lo
	s_wait_loadcnt 0x0
	v_cmpx_lt_i16_e32 0x7f, v1
	s_xor_b32 s27, exec_lo, s27
	s_cbranch_execz .LBB54_826
; %bb.810:
	v_cmp_ne_u16_e32 vcc_lo, 0x80, v1
	s_and_b32 s28, vcc_lo, exec_lo
	s_and_not1_saveexec_b32 s27, s27
	s_cbranch_execnz .LBB54_827
.LBB54_811:
	s_or_b32 exec_lo, exec_lo, s27
	v_mov_b32_e32 v0, 0
	s_and_saveexec_b32 s27, s28
	s_cbranch_execz .LBB54_813
.LBB54_812:
	v_and_b32_e32 v0, 0xffff, v1
	s_delay_alu instid0(VALU_DEP_1) | instskip(SKIP_1) | instid1(VALU_DEP_2)
	v_and_b32_e32 v4, 7, v0
	v_bfe_u32 v7, v0, 3, 4
	v_clz_i32_u32_e32 v5, v4
	s_delay_alu instid0(VALU_DEP_2) | instskip(NEXT) | instid1(VALU_DEP_2)
	v_cmp_eq_u32_e32 vcc_lo, 0, v7
	v_min_u32_e32 v5, 32, v5
	s_delay_alu instid0(VALU_DEP_1) | instskip(NEXT) | instid1(VALU_DEP_1)
	v_subrev_nc_u32_e32 v6, 28, v5
	v_dual_lshlrev_b32 v0, v6, v0 :: v_dual_sub_nc_u32 v5, 29, v5
	s_delay_alu instid0(VALU_DEP_1) | instskip(NEXT) | instid1(VALU_DEP_1)
	v_dual_lshlrev_b32 v1, 24, v1 :: v_dual_bitop2_b32 v0, 7, v0 bitop3:0x40
	v_dual_cndmask_b32 v0, v4, v0 :: v_dual_cndmask_b32 v5, v7, v5
	s_delay_alu instid0(VALU_DEP_2) | instskip(NEXT) | instid1(VALU_DEP_2)
	v_and_b32_e32 v1, 0x80000000, v1
	v_lshlrev_b32_e32 v0, 20, v0
	s_delay_alu instid0(VALU_DEP_3) | instskip(NEXT) | instid1(VALU_DEP_1)
	v_lshl_add_u32 v4, v5, 23, 0x3b800000
	v_or3_b32 v0, v1, v4, v0
	s_delay_alu instid0(VALU_DEP_1)
	v_cvt_i32_f32_e32 v0, v0
.LBB54_813:
	s_or_b32 exec_lo, exec_lo, s27
.LBB54_814:
	s_mov_b32 s27, -1
.LBB54_815:
	s_mov_b32 s28, 0
.LBB54_816:
	s_delay_alu instid0(SALU_CYCLE_1)
	s_and_b32 vcc_lo, exec_lo, s28
	s_cbranch_vccz .LBB54_849
; %bb.817:
	s_cmp_gt_i32 s26, 22
	s_cbranch_scc0 .LBB54_825
; %bb.818:
	s_cmp_lt_i32 s26, 24
	s_cbranch_scc1 .LBB54_828
; %bb.819:
	s_cmp_gt_i32 s26, 24
	s_cbranch_scc0 .LBB54_829
; %bb.820:
	s_wait_loadcnt 0x0
	global_load_u8 v1, v[2:3], off
	s_mov_b32 s28, 0
	s_mov_b32 s27, exec_lo
	s_wait_loadcnt 0x0
	v_cmpx_lt_i16_e32 0x7f, v1
	s_xor_b32 s27, exec_lo, s27
	s_cbranch_execz .LBB54_841
; %bb.821:
	v_cmp_ne_u16_e32 vcc_lo, 0x80, v1
	s_and_b32 s28, vcc_lo, exec_lo
	s_and_not1_saveexec_b32 s27, s27
	s_cbranch_execnz .LBB54_842
.LBB54_822:
	s_or_b32 exec_lo, exec_lo, s27
	v_mov_b32_e32 v0, 0
	s_and_saveexec_b32 s27, s28
	s_cbranch_execz .LBB54_824
.LBB54_823:
	v_and_b32_e32 v0, 0xffff, v1
	s_delay_alu instid0(VALU_DEP_1) | instskip(SKIP_1) | instid1(VALU_DEP_2)
	v_and_b32_e32 v4, 3, v0
	v_bfe_u32 v7, v0, 2, 5
	v_clz_i32_u32_e32 v5, v4
	s_delay_alu instid0(VALU_DEP_2) | instskip(NEXT) | instid1(VALU_DEP_2)
	v_cmp_eq_u32_e32 vcc_lo, 0, v7
	v_min_u32_e32 v5, 32, v5
	s_delay_alu instid0(VALU_DEP_1) | instskip(NEXT) | instid1(VALU_DEP_1)
	v_subrev_nc_u32_e32 v6, 29, v5
	v_dual_lshlrev_b32 v0, v6, v0 :: v_dual_sub_nc_u32 v5, 30, v5
	s_delay_alu instid0(VALU_DEP_1) | instskip(NEXT) | instid1(VALU_DEP_1)
	v_dual_lshlrev_b32 v1, 24, v1 :: v_dual_bitop2_b32 v0, 3, v0 bitop3:0x40
	v_dual_cndmask_b32 v0, v4, v0 :: v_dual_cndmask_b32 v5, v7, v5
	s_delay_alu instid0(VALU_DEP_2) | instskip(NEXT) | instid1(VALU_DEP_2)
	v_and_b32_e32 v1, 0x80000000, v1
	v_lshlrev_b32_e32 v0, 21, v0
	s_delay_alu instid0(VALU_DEP_3) | instskip(NEXT) | instid1(VALU_DEP_1)
	v_lshl_add_u32 v4, v5, 23, 0x37800000
	v_or3_b32 v0, v1, v4, v0
	s_delay_alu instid0(VALU_DEP_1)
	v_cvt_i32_f32_e32 v0, v0
.LBB54_824:
	s_or_b32 exec_lo, exec_lo, s27
	s_mov_b32 s27, 0
	s_branch .LBB54_830
.LBB54_825:
	s_mov_b32 s28, -1
                                        ; implicit-def: $vgpr0
	s_branch .LBB54_836
.LBB54_826:
	s_and_not1_saveexec_b32 s27, s27
	s_cbranch_execz .LBB54_811
.LBB54_827:
	v_cmp_ne_u16_e32 vcc_lo, 0, v1
	s_and_not1_b32 s28, s28, exec_lo
	s_and_b32 s29, vcc_lo, exec_lo
	s_delay_alu instid0(SALU_CYCLE_1)
	s_or_b32 s28, s28, s29
	s_or_b32 exec_lo, exec_lo, s27
	v_mov_b32_e32 v0, 0
	s_and_saveexec_b32 s27, s28
	s_cbranch_execnz .LBB54_812
	s_branch .LBB54_813
.LBB54_828:
	s_mov_b32 s27, -1
                                        ; implicit-def: $vgpr0
	s_branch .LBB54_833
.LBB54_829:
	s_mov_b32 s27, -1
                                        ; implicit-def: $vgpr0
.LBB54_830:
	s_delay_alu instid0(SALU_CYCLE_1)
	s_and_b32 vcc_lo, exec_lo, s27
	s_cbranch_vccz .LBB54_832
; %bb.831:
	s_wait_loadcnt 0x0
	global_load_u8 v0, v[2:3], off
	s_wait_loadcnt 0x0
	v_lshlrev_b32_e32 v0, 24, v0
	s_delay_alu instid0(VALU_DEP_1) | instskip(NEXT) | instid1(VALU_DEP_1)
	v_and_b32_e32 v1, 0x7f000000, v0
	v_clz_i32_u32_e32 v4, v1
	v_cmp_ne_u32_e32 vcc_lo, 0, v1
	v_add_nc_u32_e32 v6, 0x1000000, v1
	s_delay_alu instid0(VALU_DEP_3) | instskip(NEXT) | instid1(VALU_DEP_1)
	v_min_u32_e32 v4, 32, v4
	v_sub_nc_u32_e64 v4, v4, 4 clamp
	s_delay_alu instid0(VALU_DEP_1) | instskip(NEXT) | instid1(VALU_DEP_1)
	v_dual_lshlrev_b32 v5, v4, v1 :: v_dual_lshlrev_b32 v4, 23, v4
	v_lshrrev_b32_e32 v5, 4, v5
	s_delay_alu instid0(VALU_DEP_1) | instskip(NEXT) | instid1(VALU_DEP_1)
	v_dual_sub_nc_u32 v4, v5, v4 :: v_dual_ashrrev_i32 v5, 8, v6
	v_add_nc_u32_e32 v4, 0x3c000000, v4
	s_delay_alu instid0(VALU_DEP_1) | instskip(NEXT) | instid1(VALU_DEP_1)
	v_and_or_b32 v4, 0x7f800000, v5, v4
	v_cndmask_b32_e32 v1, 0, v4, vcc_lo
	s_delay_alu instid0(VALU_DEP_1) | instskip(NEXT) | instid1(VALU_DEP_1)
	v_and_or_b32 v0, 0x80000000, v0, v1
	v_cvt_i32_f32_e32 v0, v0
.LBB54_832:
	s_mov_b32 s27, 0
.LBB54_833:
	s_delay_alu instid0(SALU_CYCLE_1)
	s_and_not1_b32 vcc_lo, exec_lo, s27
	s_cbranch_vccnz .LBB54_835
; %bb.834:
	s_wait_loadcnt 0x0
	global_load_u8 v0, v[2:3], off
	s_wait_loadcnt 0x0
	v_lshlrev_b32_e32 v1, 25, v0
	v_lshlrev_b16 v0, 8, v0
	s_delay_alu instid0(VALU_DEP_1) | instskip(SKIP_1) | instid1(VALU_DEP_2)
	v_and_or_b32 v5, 0x7f00, v0, 0.5
	v_bfe_i32 v0, v0, 0, 16
	v_add_f32_e32 v5, -0.5, v5
	v_lshrrev_b32_e32 v4, 4, v1
	v_cmp_gt_u32_e32 vcc_lo, 0x8000000, v1
	s_delay_alu instid0(VALU_DEP_2) | instskip(NEXT) | instid1(VALU_DEP_1)
	v_or_b32_e32 v4, 0x70000000, v4
	v_mul_f32_e32 v4, 0x7800000, v4
	s_delay_alu instid0(VALU_DEP_1) | instskip(NEXT) | instid1(VALU_DEP_1)
	v_cndmask_b32_e32 v1, v4, v5, vcc_lo
	v_and_or_b32 v0, 0x80000000, v0, v1
	s_delay_alu instid0(VALU_DEP_1)
	v_cvt_i32_f32_e32 v0, v0
.LBB54_835:
	s_mov_b32 s28, 0
	s_mov_b32 s27, -1
.LBB54_836:
	s_and_not1_b32 vcc_lo, exec_lo, s28
	s_cbranch_vccnz .LBB54_849
; %bb.837:
	s_cmp_gt_i32 s26, 14
	s_cbranch_scc0 .LBB54_840
; %bb.838:
	s_cmp_eq_u32 s26, 15
	s_cbranch_scc0 .LBB54_843
; %bb.839:
	s_wait_loadcnt 0x0
	global_load_u16 v0, v[2:3], off
	s_mov_b32 s27, -1
	s_mov_b32 s25, 0
	s_wait_loadcnt 0x0
	v_lshlrev_b32_e32 v0, 16, v0
	s_delay_alu instid0(VALU_DEP_1)
	v_cvt_i32_f32_e32 v0, v0
	s_branch .LBB54_844
.LBB54_840:
	s_mov_b32 s28, -1
                                        ; implicit-def: $vgpr0
	s_branch .LBB54_845
.LBB54_841:
	s_and_not1_saveexec_b32 s27, s27
	s_cbranch_execz .LBB54_822
.LBB54_842:
	v_cmp_ne_u16_e32 vcc_lo, 0, v1
	s_and_not1_b32 s28, s28, exec_lo
	s_and_b32 s29, vcc_lo, exec_lo
	s_delay_alu instid0(SALU_CYCLE_1)
	s_or_b32 s28, s28, s29
	s_or_b32 exec_lo, exec_lo, s27
	v_mov_b32_e32 v0, 0
	s_and_saveexec_b32 s27, s28
	s_cbranch_execnz .LBB54_823
	s_branch .LBB54_824
.LBB54_843:
	s_mov_b32 s25, -1
                                        ; implicit-def: $vgpr0
.LBB54_844:
	s_mov_b32 s28, 0
.LBB54_845:
	s_delay_alu instid0(SALU_CYCLE_1)
	s_and_b32 vcc_lo, exec_lo, s28
	s_cbranch_vccz .LBB54_849
; %bb.846:
	s_cmp_eq_u32 s26, 11
	s_cbranch_scc0 .LBB54_848
; %bb.847:
	s_wait_loadcnt 0x0
	global_load_u8 v0, v[2:3], off
	s_mov_b32 s25, 0
	s_mov_b32 s27, -1
	s_wait_loadcnt 0x0
	v_cmp_ne_u16_e32 vcc_lo, 0, v0
	v_cndmask_b32_e64 v0, 0, 1, vcc_lo
	s_branch .LBB54_849
.LBB54_848:
	s_mov_b32 s25, -1
                                        ; implicit-def: $vgpr0
.LBB54_849:
	s_mov_b32 s26, 0
.LBB54_850:
	s_delay_alu instid0(SALU_CYCLE_1)
	s_and_b32 vcc_lo, exec_lo, s26
	s_cbranch_vccz .LBB54_899
; %bb.851:
	s_and_b32 s0, 0xffff, s0
	s_delay_alu instid0(SALU_CYCLE_1)
	s_cmp_lt_i32 s0, 5
	s_cbranch_scc1 .LBB54_856
; %bb.852:
	s_cmp_lt_i32 s0, 8
	s_cbranch_scc1 .LBB54_857
; %bb.853:
	;; [unrolled: 3-line block ×3, first 2 shown]
	s_cmp_gt_i32 s0, 9
	s_cbranch_scc0 .LBB54_859
; %bb.855:
	s_wait_loadcnt 0x0
	global_load_b64 v[0:1], v[2:3], off
	s_mov_b32 s26, 0
	s_wait_loadcnt 0x0
	v_cvt_i32_f64_e32 v0, v[0:1]
	s_branch .LBB54_860
.LBB54_856:
	s_mov_b32 s26, -1
                                        ; implicit-def: $vgpr0
	s_branch .LBB54_878
.LBB54_857:
	s_mov_b32 s26, -1
                                        ; implicit-def: $vgpr0
	s_branch .LBB54_866
.LBB54_858:
	s_mov_b32 s26, -1
                                        ; implicit-def: $vgpr0
	s_branch .LBB54_863
.LBB54_859:
	s_mov_b32 s26, -1
                                        ; implicit-def: $vgpr0
.LBB54_860:
	s_delay_alu instid0(SALU_CYCLE_1)
	s_and_not1_b32 vcc_lo, exec_lo, s26
	s_cbranch_vccnz .LBB54_862
; %bb.861:
	s_wait_loadcnt 0x0
	global_load_b32 v0, v[2:3], off
	s_wait_loadcnt 0x0
	v_cvt_i32_f32_e32 v0, v0
.LBB54_862:
	s_mov_b32 s26, 0
.LBB54_863:
	s_delay_alu instid0(SALU_CYCLE_1)
	s_and_not1_b32 vcc_lo, exec_lo, s26
	s_cbranch_vccnz .LBB54_865
; %bb.864:
	s_wait_loadcnt 0x0
	global_load_b32 v0, v[2:3], off
	s_wait_loadcnt 0x0
	v_cvt_i16_f16_e32 v0, v0
.LBB54_865:
	s_mov_b32 s26, 0
.LBB54_866:
	s_delay_alu instid0(SALU_CYCLE_1)
	s_and_not1_b32 vcc_lo, exec_lo, s26
	s_cbranch_vccnz .LBB54_877
; %bb.867:
	s_cmp_lt_i32 s0, 6
	s_cbranch_scc1 .LBB54_870
; %bb.868:
	s_cmp_gt_i32 s0, 6
	s_cbranch_scc0 .LBB54_871
; %bb.869:
	s_wait_loadcnt 0x0
	global_load_b64 v[0:1], v[2:3], off
	s_mov_b32 s26, 0
	s_wait_loadcnt 0x0
	v_cvt_i32_f64_e32 v0, v[0:1]
	s_branch .LBB54_872
.LBB54_870:
	s_mov_b32 s26, -1
                                        ; implicit-def: $vgpr0
	s_branch .LBB54_875
.LBB54_871:
	s_mov_b32 s26, -1
                                        ; implicit-def: $vgpr0
.LBB54_872:
	s_delay_alu instid0(SALU_CYCLE_1)
	s_and_not1_b32 vcc_lo, exec_lo, s26
	s_cbranch_vccnz .LBB54_874
; %bb.873:
	s_wait_loadcnt 0x0
	global_load_b32 v0, v[2:3], off
	s_wait_loadcnt 0x0
	v_cvt_i32_f32_e32 v0, v0
.LBB54_874:
	s_mov_b32 s26, 0
.LBB54_875:
	s_delay_alu instid0(SALU_CYCLE_1)
	s_and_not1_b32 vcc_lo, exec_lo, s26
	s_cbranch_vccnz .LBB54_877
; %bb.876:
	s_wait_loadcnt 0x0
	global_load_u16 v0, v[2:3], off
	s_wait_loadcnt 0x0
	v_cvt_i16_f16_e32 v0, v0
.LBB54_877:
	s_mov_b32 s26, 0
.LBB54_878:
	s_delay_alu instid0(SALU_CYCLE_1)
	s_and_not1_b32 vcc_lo, exec_lo, s26
	s_cbranch_vccnz .LBB54_898
; %bb.879:
	s_cmp_lt_i32 s0, 2
	s_cbranch_scc1 .LBB54_883
; %bb.880:
	s_cmp_lt_i32 s0, 3
	s_cbranch_scc1 .LBB54_884
; %bb.881:
	s_cmp_gt_i32 s0, 3
	s_cbranch_scc0 .LBB54_885
; %bb.882:
	s_wait_loadcnt 0x0
	global_load_b64 v[0:1], v[2:3], off
	s_mov_b32 s26, 0
	s_branch .LBB54_886
.LBB54_883:
	s_mov_b32 s26, -1
                                        ; implicit-def: $vgpr0
	s_branch .LBB54_892
.LBB54_884:
	s_mov_b32 s26, -1
                                        ; implicit-def: $vgpr0
	s_branch .LBB54_889
.LBB54_885:
	s_mov_b32 s26, -1
                                        ; implicit-def: $vgpr0
.LBB54_886:
	s_delay_alu instid0(SALU_CYCLE_1)
	s_and_not1_b32 vcc_lo, exec_lo, s26
	s_cbranch_vccnz .LBB54_888
; %bb.887:
	s_wait_loadcnt 0x0
	global_load_b32 v0, v[2:3], off
.LBB54_888:
	s_mov_b32 s26, 0
.LBB54_889:
	s_delay_alu instid0(SALU_CYCLE_1)
	s_and_not1_b32 vcc_lo, exec_lo, s26
	s_cbranch_vccnz .LBB54_891
; %bb.890:
	s_wait_loadcnt 0x0
	global_load_u16 v0, v[2:3], off
.LBB54_891:
	s_mov_b32 s26, 0
.LBB54_892:
	s_delay_alu instid0(SALU_CYCLE_1)
	s_and_not1_b32 vcc_lo, exec_lo, s26
	s_cbranch_vccnz .LBB54_898
; %bb.893:
	s_cmp_gt_i32 s0, 0
	s_mov_b32 s0, 0
	s_cbranch_scc0 .LBB54_895
; %bb.894:
	s_wait_loadcnt 0x0
	global_load_u8 v0, v[2:3], off
	s_branch .LBB54_896
.LBB54_895:
	s_mov_b32 s0, -1
                                        ; implicit-def: $vgpr0
.LBB54_896:
	s_delay_alu instid0(SALU_CYCLE_1)
	s_and_not1_b32 vcc_lo, exec_lo, s0
	s_cbranch_vccnz .LBB54_898
; %bb.897:
	s_wait_loadcnt 0x0
	global_load_u8 v0, v[2:3], off
.LBB54_898:
	s_mov_b32 s27, -1
.LBB54_899:
	s_delay_alu instid0(SALU_CYCLE_1)
	s_and_not1_b32 vcc_lo, exec_lo, s27
	s_cbranch_vccnz .LBB54_907
; %bb.900:
	s_wait_xcnt 0x0
	v_mul_lo_u32 v2, v10, s10
	s_and_b32 s0, s1, 0xff
	s_delay_alu instid0(SALU_CYCLE_1) | instskip(NEXT) | instid1(VALU_DEP_1)
	s_cmp_lt_i32 s0, 11
	v_ashrrev_i32_e32 v3, 31, v2
	s_delay_alu instid0(VALU_DEP_1)
	v_add_nc_u64_e32 v[2:3], s[2:3], v[2:3]
	s_cbranch_scc1 .LBB54_908
; %bb.901:
	s_and_b32 s27, 0xffff, s0
	s_delay_alu instid0(SALU_CYCLE_1)
	s_cmp_gt_i32 s27, 25
	s_cbranch_scc0 .LBB54_909
; %bb.902:
	s_cmp_gt_i32 s27, 28
	s_cbranch_scc0 .LBB54_910
; %bb.903:
	;; [unrolled: 3-line block ×4, first 2 shown]
	s_cmp_eq_u32 s27, 46
	s_mov_b32 s29, 0
	s_cbranch_scc0 .LBB54_915
; %bb.906:
	s_wait_loadcnt 0x0
	global_load_b32 v1, v[2:3], off
	s_mov_b32 s28, -1
	s_mov_b32 s26, 0
	s_wait_loadcnt 0x0
	v_lshlrev_b32_e32 v1, 16, v1
	s_delay_alu instid0(VALU_DEP_1)
	v_cvt_i32_f32_e32 v4, v1
	s_branch .LBB54_917
.LBB54_907:
	s_mov_b32 s28, 0
	s_mov_b32 s0, s21
	;; [unrolled: 1-line block ×3, first 2 shown]
	s_branch .LBB54_1158
.LBB54_908:
	s_mov_b32 s27, -1
	s_mov_b32 s28, 0
	s_mov_b32 s26, s22
                                        ; implicit-def: $vgpr4
	s_branch .LBB54_978
.LBB54_909:
	s_mov_b32 s29, -1
	s_mov_b32 s28, 0
	s_mov_b32 s26, s22
                                        ; implicit-def: $vgpr4
	s_branch .LBB54_944
.LBB54_910:
	s_mov_b32 s29, -1
	s_mov_b32 s28, 0
	s_mov_b32 s26, s22
                                        ; implicit-def: $vgpr4
	s_branch .LBB54_927
.LBB54_911:
	s_mov_b32 s29, -1
	s_mov_b32 s28, 0
	s_mov_b32 s26, s22
                                        ; implicit-def: $vgpr4
	s_branch .LBB54_922
.LBB54_912:
	s_mov_b32 s29, -1
	s_mov_b32 s28, 0
	s_mov_b32 s26, s22
	s_branch .LBB54_916
.LBB54_913:
	s_and_not1_saveexec_b32 s27, s27
	s_cbranch_execz .LBB54_692
.LBB54_914:
	v_add_f32_e64 v4, 0x42800000, |v3|
	s_and_not1_b32 s26, s26, exec_lo
	s_delay_alu instid0(VALU_DEP_1) | instskip(NEXT) | instid1(VALU_DEP_1)
	v_and_b32_e32 v4, 0xff, v4
	v_cmp_ne_u32_e32 vcc_lo, 0, v4
	s_and_b32 s28, vcc_lo, exec_lo
	s_delay_alu instid0(SALU_CYCLE_1)
	s_or_b32 s26, s26, s28
	s_or_b32 exec_lo, exec_lo, s27
	v_mov_b32_e32 v5, 0
	s_and_saveexec_b32 s27, s26
	s_cbranch_execnz .LBB54_693
	s_branch .LBB54_694
.LBB54_915:
	s_mov_b32 s26, -1
	s_mov_b32 s28, 0
.LBB54_916:
                                        ; implicit-def: $vgpr4
.LBB54_917:
	s_and_b32 vcc_lo, exec_lo, s29
	s_cbranch_vccz .LBB54_921
; %bb.918:
	s_cmp_eq_u32 s27, 44
	s_cbranch_scc0 .LBB54_920
; %bb.919:
	s_wait_loadcnt 0x0
	global_load_u8 v1, v[2:3], off
	s_mov_b32 s26, 0
	s_mov_b32 s28, -1
	s_wait_loadcnt 0x0
	v_lshlrev_b32_e32 v4, 23, v1
	v_cmp_ne_u32_e32 vcc_lo, 0, v1
	s_delay_alu instid0(VALU_DEP_2) | instskip(NEXT) | instid1(VALU_DEP_1)
	v_cvt_i32_f32_e32 v4, v4
	v_cndmask_b32_e32 v4, 0, v4, vcc_lo
	s_branch .LBB54_921
.LBB54_920:
	s_mov_b32 s26, -1
                                        ; implicit-def: $vgpr4
.LBB54_921:
	s_mov_b32 s29, 0
.LBB54_922:
	s_delay_alu instid0(SALU_CYCLE_1)
	s_and_b32 vcc_lo, exec_lo, s29
	s_cbranch_vccz .LBB54_926
; %bb.923:
	s_cmp_eq_u32 s27, 29
	s_cbranch_scc0 .LBB54_925
; %bb.924:
	global_load_b64 v[4:5], v[2:3], off
	s_mov_b32 s28, -1
	s_mov_b32 s26, 0
	s_branch .LBB54_926
.LBB54_925:
	s_mov_b32 s26, -1
                                        ; implicit-def: $vgpr4
.LBB54_926:
	s_mov_b32 s29, 0
.LBB54_927:
	s_delay_alu instid0(SALU_CYCLE_1)
	s_and_b32 vcc_lo, exec_lo, s29
	s_cbranch_vccz .LBB54_943
; %bb.928:
	s_cmp_lt_i32 s27, 27
	s_cbranch_scc1 .LBB54_931
; %bb.929:
	s_cmp_gt_i32 s27, 27
	s_cbranch_scc0 .LBB54_932
; %bb.930:
	s_wait_loadcnt 0x0
	global_load_b32 v4, v[2:3], off
	s_mov_b32 s28, 0
	s_branch .LBB54_933
.LBB54_931:
	s_mov_b32 s28, -1
                                        ; implicit-def: $vgpr4
	s_branch .LBB54_936
.LBB54_932:
	s_mov_b32 s28, -1
                                        ; implicit-def: $vgpr4
.LBB54_933:
	s_delay_alu instid0(SALU_CYCLE_1)
	s_and_not1_b32 vcc_lo, exec_lo, s28
	s_cbranch_vccnz .LBB54_935
; %bb.934:
	s_wait_loadcnt 0x0
	global_load_u16 v4, v[2:3], off
.LBB54_935:
	s_mov_b32 s28, 0
.LBB54_936:
	s_delay_alu instid0(SALU_CYCLE_1)
	s_and_not1_b32 vcc_lo, exec_lo, s28
	s_cbranch_vccnz .LBB54_942
; %bb.937:
	s_wait_loadcnt 0x0
	global_load_u8 v1, v[2:3], off
	s_mov_b32 s29, 0
	s_mov_b32 s28, exec_lo
	s_wait_loadcnt 0x0
	v_cmpx_lt_i16_e32 0x7f, v1
	s_xor_b32 s28, exec_lo, s28
	s_cbranch_execz .LBB54_954
; %bb.938:
	v_cmp_ne_u16_e32 vcc_lo, 0x80, v1
	s_and_b32 s29, vcc_lo, exec_lo
	s_and_not1_saveexec_b32 s28, s28
	s_cbranch_execnz .LBB54_955
.LBB54_939:
	s_or_b32 exec_lo, exec_lo, s28
	v_mov_b32_e32 v4, 0
	s_and_saveexec_b32 s28, s29
	s_cbranch_execz .LBB54_941
.LBB54_940:
	v_and_b32_e32 v4, 0xffff, v1
	s_delay_alu instid0(VALU_DEP_1) | instskip(SKIP_1) | instid1(VALU_DEP_2)
	v_and_b32_e32 v5, 7, v4
	v_bfe_u32 v8, v4, 3, 4
	v_clz_i32_u32_e32 v6, v5
	s_delay_alu instid0(VALU_DEP_2) | instskip(NEXT) | instid1(VALU_DEP_2)
	v_cmp_eq_u32_e32 vcc_lo, 0, v8
	v_min_u32_e32 v6, 32, v6
	s_delay_alu instid0(VALU_DEP_1) | instskip(NEXT) | instid1(VALU_DEP_1)
	v_subrev_nc_u32_e32 v7, 28, v6
	v_dual_lshlrev_b32 v4, v7, v4 :: v_dual_sub_nc_u32 v6, 29, v6
	s_delay_alu instid0(VALU_DEP_1) | instskip(NEXT) | instid1(VALU_DEP_1)
	v_dual_lshlrev_b32 v1, 24, v1 :: v_dual_bitop2_b32 v4, 7, v4 bitop3:0x40
	v_dual_cndmask_b32 v6, v8, v6, vcc_lo :: v_dual_cndmask_b32 v4, v5, v4, vcc_lo
	s_delay_alu instid0(VALU_DEP_2) | instskip(NEXT) | instid1(VALU_DEP_2)
	v_and_b32_e32 v1, 0x80000000, v1
	v_lshl_add_u32 v5, v6, 23, 0x3b800000
	s_delay_alu instid0(VALU_DEP_3) | instskip(NEXT) | instid1(VALU_DEP_1)
	v_lshlrev_b32_e32 v4, 20, v4
	v_or3_b32 v1, v1, v5, v4
	s_delay_alu instid0(VALU_DEP_1)
	v_cvt_i32_f32_e32 v4, v1
.LBB54_941:
	s_or_b32 exec_lo, exec_lo, s28
.LBB54_942:
	s_mov_b32 s28, -1
.LBB54_943:
	s_mov_b32 s29, 0
.LBB54_944:
	s_delay_alu instid0(SALU_CYCLE_1)
	s_and_b32 vcc_lo, exec_lo, s29
	s_cbranch_vccz .LBB54_977
; %bb.945:
	s_cmp_gt_i32 s27, 22
	s_cbranch_scc0 .LBB54_953
; %bb.946:
	s_cmp_lt_i32 s27, 24
	s_cbranch_scc1 .LBB54_956
; %bb.947:
	s_cmp_gt_i32 s27, 24
	s_cbranch_scc0 .LBB54_957
; %bb.948:
	s_wait_loadcnt 0x0
	global_load_u8 v1, v[2:3], off
	s_mov_b32 s29, 0
	s_mov_b32 s28, exec_lo
	s_wait_loadcnt 0x0
	v_cmpx_lt_i16_e32 0x7f, v1
	s_xor_b32 s28, exec_lo, s28
	s_cbranch_execz .LBB54_969
; %bb.949:
	v_cmp_ne_u16_e32 vcc_lo, 0x80, v1
	s_and_b32 s29, vcc_lo, exec_lo
	s_and_not1_saveexec_b32 s28, s28
	s_cbranch_execnz .LBB54_970
.LBB54_950:
	s_or_b32 exec_lo, exec_lo, s28
	v_mov_b32_e32 v4, 0
	s_and_saveexec_b32 s28, s29
	s_cbranch_execz .LBB54_952
.LBB54_951:
	v_and_b32_e32 v4, 0xffff, v1
	s_delay_alu instid0(VALU_DEP_1) | instskip(SKIP_1) | instid1(VALU_DEP_2)
	v_and_b32_e32 v5, 3, v4
	v_bfe_u32 v8, v4, 2, 5
	v_clz_i32_u32_e32 v6, v5
	s_delay_alu instid0(VALU_DEP_2) | instskip(NEXT) | instid1(VALU_DEP_2)
	v_cmp_eq_u32_e32 vcc_lo, 0, v8
	v_min_u32_e32 v6, 32, v6
	s_delay_alu instid0(VALU_DEP_1) | instskip(NEXT) | instid1(VALU_DEP_1)
	v_subrev_nc_u32_e32 v7, 29, v6
	v_dual_lshlrev_b32 v4, v7, v4 :: v_dual_sub_nc_u32 v6, 30, v6
	s_delay_alu instid0(VALU_DEP_1) | instskip(NEXT) | instid1(VALU_DEP_1)
	v_dual_lshlrev_b32 v1, 24, v1 :: v_dual_bitop2_b32 v4, 3, v4 bitop3:0x40
	v_dual_cndmask_b32 v6, v8, v6, vcc_lo :: v_dual_cndmask_b32 v4, v5, v4, vcc_lo
	s_delay_alu instid0(VALU_DEP_2) | instskip(NEXT) | instid1(VALU_DEP_2)
	v_and_b32_e32 v1, 0x80000000, v1
	v_lshl_add_u32 v5, v6, 23, 0x37800000
	s_delay_alu instid0(VALU_DEP_3) | instskip(NEXT) | instid1(VALU_DEP_1)
	v_lshlrev_b32_e32 v4, 21, v4
	v_or3_b32 v1, v1, v5, v4
	s_delay_alu instid0(VALU_DEP_1)
	v_cvt_i32_f32_e32 v4, v1
.LBB54_952:
	s_or_b32 exec_lo, exec_lo, s28
	s_mov_b32 s28, 0
	s_branch .LBB54_958
.LBB54_953:
	s_mov_b32 s29, -1
                                        ; implicit-def: $vgpr4
	s_branch .LBB54_964
.LBB54_954:
	s_and_not1_saveexec_b32 s28, s28
	s_cbranch_execz .LBB54_939
.LBB54_955:
	v_cmp_ne_u16_e32 vcc_lo, 0, v1
	s_and_not1_b32 s29, s29, exec_lo
	s_and_b32 s30, vcc_lo, exec_lo
	s_delay_alu instid0(SALU_CYCLE_1)
	s_or_b32 s29, s29, s30
	s_or_b32 exec_lo, exec_lo, s28
	v_mov_b32_e32 v4, 0
	s_and_saveexec_b32 s28, s29
	s_cbranch_execnz .LBB54_940
	s_branch .LBB54_941
.LBB54_956:
	s_mov_b32 s28, -1
                                        ; implicit-def: $vgpr4
	s_branch .LBB54_961
.LBB54_957:
	s_mov_b32 s28, -1
                                        ; implicit-def: $vgpr4
.LBB54_958:
	s_delay_alu instid0(SALU_CYCLE_1)
	s_and_b32 vcc_lo, exec_lo, s28
	s_cbranch_vccz .LBB54_960
; %bb.959:
	s_wait_loadcnt 0x0
	global_load_u8 v1, v[2:3], off
	s_wait_loadcnt 0x0
	v_lshlrev_b32_e32 v1, 24, v1
	s_delay_alu instid0(VALU_DEP_1) | instskip(NEXT) | instid1(VALU_DEP_1)
	v_and_b32_e32 v4, 0x7f000000, v1
	v_clz_i32_u32_e32 v5, v4
	v_cmp_ne_u32_e32 vcc_lo, 0, v4
	v_add_nc_u32_e32 v7, 0x1000000, v4
	s_delay_alu instid0(VALU_DEP_3) | instskip(NEXT) | instid1(VALU_DEP_1)
	v_min_u32_e32 v5, 32, v5
	v_sub_nc_u32_e64 v5, v5, 4 clamp
	s_delay_alu instid0(VALU_DEP_1) | instskip(NEXT) | instid1(VALU_DEP_1)
	v_dual_lshlrev_b32 v6, v5, v4 :: v_dual_lshlrev_b32 v5, 23, v5
	v_lshrrev_b32_e32 v6, 4, v6
	s_delay_alu instid0(VALU_DEP_1) | instskip(NEXT) | instid1(VALU_DEP_1)
	v_dual_sub_nc_u32 v5, v6, v5 :: v_dual_ashrrev_i32 v6, 8, v7
	v_add_nc_u32_e32 v5, 0x3c000000, v5
	s_delay_alu instid0(VALU_DEP_1) | instskip(NEXT) | instid1(VALU_DEP_1)
	v_and_or_b32 v5, 0x7f800000, v6, v5
	v_cndmask_b32_e32 v4, 0, v5, vcc_lo
	s_delay_alu instid0(VALU_DEP_1) | instskip(NEXT) | instid1(VALU_DEP_1)
	v_and_or_b32 v1, 0x80000000, v1, v4
	v_cvt_i32_f32_e32 v4, v1
.LBB54_960:
	s_mov_b32 s28, 0
.LBB54_961:
	s_delay_alu instid0(SALU_CYCLE_1)
	s_and_not1_b32 vcc_lo, exec_lo, s28
	s_cbranch_vccnz .LBB54_963
; %bb.962:
	s_wait_loadcnt 0x0
	global_load_u8 v1, v[2:3], off
	s_wait_loadcnt 0x0
	v_lshlrev_b32_e32 v4, 25, v1
	v_lshlrev_b16 v1, 8, v1
	s_delay_alu instid0(VALU_DEP_1) | instskip(SKIP_1) | instid1(VALU_DEP_2)
	v_and_or_b32 v6, 0x7f00, v1, 0.5
	v_bfe_i32 v1, v1, 0, 16
	v_dual_add_f32 v6, -0.5, v6 :: v_dual_lshrrev_b32 v5, 4, v4
	v_cmp_gt_u32_e32 vcc_lo, 0x8000000, v4
	s_delay_alu instid0(VALU_DEP_2) | instskip(NEXT) | instid1(VALU_DEP_1)
	v_or_b32_e32 v5, 0x70000000, v5
	v_mul_f32_e32 v5, 0x7800000, v5
	s_delay_alu instid0(VALU_DEP_1) | instskip(NEXT) | instid1(VALU_DEP_1)
	v_cndmask_b32_e32 v4, v5, v6, vcc_lo
	v_and_or_b32 v1, 0x80000000, v1, v4
	s_delay_alu instid0(VALU_DEP_1)
	v_cvt_i32_f32_e32 v4, v1
.LBB54_963:
	s_mov_b32 s29, 0
	s_mov_b32 s28, -1
.LBB54_964:
	s_and_not1_b32 vcc_lo, exec_lo, s29
	s_cbranch_vccnz .LBB54_977
; %bb.965:
	s_cmp_gt_i32 s27, 14
	s_cbranch_scc0 .LBB54_968
; %bb.966:
	s_cmp_eq_u32 s27, 15
	s_cbranch_scc0 .LBB54_971
; %bb.967:
	s_wait_loadcnt 0x0
	global_load_u16 v1, v[2:3], off
	s_mov_b32 s28, -1
	s_mov_b32 s26, 0
	s_wait_loadcnt 0x0
	v_lshlrev_b32_e32 v1, 16, v1
	s_delay_alu instid0(VALU_DEP_1)
	v_cvt_i32_f32_e32 v4, v1
	s_branch .LBB54_972
.LBB54_968:
	s_mov_b32 s29, -1
                                        ; implicit-def: $vgpr4
	s_branch .LBB54_973
.LBB54_969:
	s_and_not1_saveexec_b32 s28, s28
	s_cbranch_execz .LBB54_950
.LBB54_970:
	v_cmp_ne_u16_e32 vcc_lo, 0, v1
	s_and_not1_b32 s29, s29, exec_lo
	s_and_b32 s30, vcc_lo, exec_lo
	s_delay_alu instid0(SALU_CYCLE_1)
	s_or_b32 s29, s29, s30
	s_or_b32 exec_lo, exec_lo, s28
	v_mov_b32_e32 v4, 0
	s_and_saveexec_b32 s28, s29
	s_cbranch_execnz .LBB54_951
	s_branch .LBB54_952
.LBB54_971:
	s_mov_b32 s26, -1
                                        ; implicit-def: $vgpr4
.LBB54_972:
	s_mov_b32 s29, 0
.LBB54_973:
	s_delay_alu instid0(SALU_CYCLE_1)
	s_and_b32 vcc_lo, exec_lo, s29
	s_cbranch_vccz .LBB54_977
; %bb.974:
	s_cmp_eq_u32 s27, 11
	s_cbranch_scc0 .LBB54_976
; %bb.975:
	s_wait_loadcnt 0x0
	global_load_u8 v1, v[2:3], off
	s_mov_b32 s26, 0
	s_mov_b32 s28, -1
	s_wait_loadcnt 0x0
	v_cmp_ne_u16_e32 vcc_lo, 0, v1
	v_cndmask_b32_e64 v4, 0, 1, vcc_lo
	s_branch .LBB54_977
.LBB54_976:
	s_mov_b32 s26, -1
                                        ; implicit-def: $vgpr4
.LBB54_977:
	s_mov_b32 s27, 0
.LBB54_978:
	s_delay_alu instid0(SALU_CYCLE_1)
	s_and_b32 vcc_lo, exec_lo, s27
	s_cbranch_vccz .LBB54_1027
; %bb.979:
	s_and_b32 s0, 0xffff, s0
	s_delay_alu instid0(SALU_CYCLE_1)
	s_cmp_lt_i32 s0, 5
	s_cbranch_scc1 .LBB54_984
; %bb.980:
	s_cmp_lt_i32 s0, 8
	s_cbranch_scc1 .LBB54_985
; %bb.981:
	;; [unrolled: 3-line block ×3, first 2 shown]
	s_cmp_gt_i32 s0, 9
	s_cbranch_scc0 .LBB54_987
; %bb.983:
	s_wait_loadcnt 0x0
	global_load_b64 v[4:5], v[2:3], off
	s_mov_b32 s27, 0
	s_wait_loadcnt 0x0
	v_cvt_i32_f64_e32 v4, v[4:5]
	s_branch .LBB54_988
.LBB54_984:
	s_mov_b32 s27, -1
                                        ; implicit-def: $vgpr4
	s_branch .LBB54_1006
.LBB54_985:
	s_mov_b32 s27, -1
                                        ; implicit-def: $vgpr4
	s_branch .LBB54_994
.LBB54_986:
	s_mov_b32 s27, -1
                                        ; implicit-def: $vgpr4
	s_branch .LBB54_991
.LBB54_987:
	s_mov_b32 s27, -1
                                        ; implicit-def: $vgpr4
.LBB54_988:
	s_delay_alu instid0(SALU_CYCLE_1)
	s_and_not1_b32 vcc_lo, exec_lo, s27
	s_cbranch_vccnz .LBB54_990
; %bb.989:
	s_wait_loadcnt 0x0
	global_load_b32 v1, v[2:3], off
	s_wait_loadcnt 0x0
	v_cvt_i32_f32_e32 v4, v1
.LBB54_990:
	s_mov_b32 s27, 0
.LBB54_991:
	s_delay_alu instid0(SALU_CYCLE_1)
	s_and_not1_b32 vcc_lo, exec_lo, s27
	s_cbranch_vccnz .LBB54_993
; %bb.992:
	s_wait_loadcnt 0x0
	global_load_b32 v1, v[2:3], off
	s_wait_loadcnt 0x0
	v_cvt_i16_f16_e32 v4, v1
.LBB54_993:
	s_mov_b32 s27, 0
.LBB54_994:
	s_delay_alu instid0(SALU_CYCLE_1)
	s_and_not1_b32 vcc_lo, exec_lo, s27
	s_cbranch_vccnz .LBB54_1005
; %bb.995:
	s_cmp_lt_i32 s0, 6
	s_cbranch_scc1 .LBB54_998
; %bb.996:
	s_cmp_gt_i32 s0, 6
	s_cbranch_scc0 .LBB54_999
; %bb.997:
	s_wait_loadcnt 0x0
	global_load_b64 v[4:5], v[2:3], off
	s_mov_b32 s27, 0
	s_wait_loadcnt 0x0
	v_cvt_i32_f64_e32 v4, v[4:5]
	s_branch .LBB54_1000
.LBB54_998:
	s_mov_b32 s27, -1
                                        ; implicit-def: $vgpr4
	s_branch .LBB54_1003
.LBB54_999:
	s_mov_b32 s27, -1
                                        ; implicit-def: $vgpr4
.LBB54_1000:
	s_delay_alu instid0(SALU_CYCLE_1)
	s_and_not1_b32 vcc_lo, exec_lo, s27
	s_cbranch_vccnz .LBB54_1002
; %bb.1001:
	s_wait_loadcnt 0x0
	global_load_b32 v1, v[2:3], off
	s_wait_loadcnt 0x0
	v_cvt_i32_f32_e32 v4, v1
.LBB54_1002:
	s_mov_b32 s27, 0
.LBB54_1003:
	s_delay_alu instid0(SALU_CYCLE_1)
	s_and_not1_b32 vcc_lo, exec_lo, s27
	s_cbranch_vccnz .LBB54_1005
; %bb.1004:
	s_wait_loadcnt 0x0
	global_load_u16 v1, v[2:3], off
	s_wait_loadcnt 0x0
	v_cvt_i16_f16_e32 v4, v1
.LBB54_1005:
	s_mov_b32 s27, 0
.LBB54_1006:
	s_delay_alu instid0(SALU_CYCLE_1)
	s_and_not1_b32 vcc_lo, exec_lo, s27
	s_cbranch_vccnz .LBB54_1026
; %bb.1007:
	s_cmp_lt_i32 s0, 2
	s_cbranch_scc1 .LBB54_1011
; %bb.1008:
	s_cmp_lt_i32 s0, 3
	s_cbranch_scc1 .LBB54_1012
; %bb.1009:
	s_cmp_gt_i32 s0, 3
	s_cbranch_scc0 .LBB54_1013
; %bb.1010:
	s_wait_loadcnt 0x0
	global_load_b64 v[4:5], v[2:3], off
	s_mov_b32 s27, 0
	s_branch .LBB54_1014
.LBB54_1011:
	s_mov_b32 s27, -1
                                        ; implicit-def: $vgpr4
	s_branch .LBB54_1020
.LBB54_1012:
	s_mov_b32 s27, -1
                                        ; implicit-def: $vgpr4
	s_branch .LBB54_1017
.LBB54_1013:
	s_mov_b32 s27, -1
                                        ; implicit-def: $vgpr4
.LBB54_1014:
	s_delay_alu instid0(SALU_CYCLE_1)
	s_and_not1_b32 vcc_lo, exec_lo, s27
	s_cbranch_vccnz .LBB54_1016
; %bb.1015:
	s_wait_loadcnt 0x0
	global_load_b32 v4, v[2:3], off
.LBB54_1016:
	s_mov_b32 s27, 0
.LBB54_1017:
	s_delay_alu instid0(SALU_CYCLE_1)
	s_and_not1_b32 vcc_lo, exec_lo, s27
	s_cbranch_vccnz .LBB54_1019
; %bb.1018:
	s_wait_loadcnt 0x0
	global_load_u16 v4, v[2:3], off
.LBB54_1019:
	s_mov_b32 s27, 0
.LBB54_1020:
	s_delay_alu instid0(SALU_CYCLE_1)
	s_and_not1_b32 vcc_lo, exec_lo, s27
	s_cbranch_vccnz .LBB54_1026
; %bb.1021:
	s_cmp_gt_i32 s0, 0
	s_mov_b32 s0, 0
	s_cbranch_scc0 .LBB54_1023
; %bb.1022:
	s_wait_loadcnt 0x0
	global_load_u8 v4, v[2:3], off
	s_branch .LBB54_1024
.LBB54_1023:
	s_mov_b32 s0, -1
                                        ; implicit-def: $vgpr4
.LBB54_1024:
	s_delay_alu instid0(SALU_CYCLE_1)
	s_and_not1_b32 vcc_lo, exec_lo, s0
	s_cbranch_vccnz .LBB54_1026
; %bb.1025:
	s_wait_loadcnt 0x0
	global_load_u8 v4, v[2:3], off
.LBB54_1026:
	s_mov_b32 s28, -1
.LBB54_1027:
	s_delay_alu instid0(SALU_CYCLE_1)
	s_and_not1_b32 vcc_lo, exec_lo, s28
	s_cbranch_vccnz .LBB54_1041
; %bb.1028:
	s_wait_loadcnt 0x0
	s_delay_alu instid0(VALU_DEP_1)
	v_bfe_i32 v1, v4, 0, 8
	s_wait_xcnt 0x0
	v_and_b32_e32 v2, 0xff, v0
	v_bfe_i32 v0, v0, 0, 8
	s_mov_b32 s27, 0
	s_mov_b32 s0, exec_lo
	v_sub_nc_u16 v3, 0, v1
	s_delay_alu instid0(VALU_DEP_1)
	v_max_i16 v3, v1, v3
	v_cmpx_ne_u16_e32 0, v2
	s_cbranch_execz .LBB54_1032
; %bb.1029:
	v_sub_nc_u16 v2, 0, v0
	s_delay_alu instid0(VALU_DEP_1) | instskip(SKIP_1) | instid1(VALU_DEP_2)
	v_max_i16 v4, v0, v2
	v_and_b32_e32 v2, 0xff, v3
	v_and_b32_e32 v4, 0xffff, v4
.LBB54_1030:                            ; =>This Inner Loop Header: Depth=1
	s_delay_alu instid0(VALU_DEP_2) | instskip(NEXT) | instid1(VALU_DEP_2)
	v_bfe_i32 v6, v2, 0, 8
	v_mov_b32_e32 v3, v4
	s_delay_alu instid0(VALU_DEP_2) | instskip(NEXT) | instid1(VALU_DEP_2)
	v_cvt_f32_i32_e32 v8, v6
	v_bfe_i32 v4, v3, 0, 8
	s_delay_alu instid0(VALU_DEP_1) | instskip(SKIP_1) | instid1(VALU_DEP_2)
	v_cvt_f32_i32_e32 v5, v4
	v_xor_b32_e32 v4, v6, v4
	v_rcp_iflag_f32_e32 v7, v5
	v_nop
	s_delay_alu instid0(TRANS32_DEP_1) | instskip(NEXT) | instid1(VALU_DEP_1)
	v_dual_ashrrev_i32 v4, 30, v4 :: v_dual_mul_f32 v6, v8, v7
	v_trunc_f32_e32 v6, v6
	s_delay_alu instid0(VALU_DEP_1) | instskip(SKIP_1) | instid1(VALU_DEP_2)
	v_dual_fma_f32 v7, -v6, v5, v8 :: v_dual_bitop2_b32 v4, 1, v4 bitop3:0x54
	v_cvt_i32_f32_e32 v6, v6
	v_cmp_ge_f32_e64 vcc_lo, |v7|, |v5|
	s_delay_alu instid0(VALU_DEP_3) | instskip(NEXT) | instid1(VALU_DEP_1)
	v_cndmask_b32_e32 v4, 0, v4, vcc_lo
	v_add_nc_u32_e32 v4, v6, v4
	s_delay_alu instid0(VALU_DEP_1) | instskip(NEXT) | instid1(VALU_DEP_1)
	v_mul_lo_u32 v4, v4, v3
	v_sub_nc_u32_e32 v2, v2, v4
	s_delay_alu instid0(VALU_DEP_1) | instskip(SKIP_1) | instid1(VALU_DEP_2)
	v_bfe_i32 v4, v2, 0, 8
	v_mov_b32_e32 v2, v3
	v_cmp_eq_u16_e32 vcc_lo, 0, v4
	v_and_b32_e32 v4, 0xffff, v4
	s_or_b32 s27, vcc_lo, s27
	s_delay_alu instid0(SALU_CYCLE_1)
	s_and_not1_b32 exec_lo, exec_lo, s27
	s_cbranch_execnz .LBB54_1030
; %bb.1031:
	s_or_b32 exec_lo, exec_lo, s27
.LBB54_1032:
	s_delay_alu instid0(SALU_CYCLE_1) | instskip(NEXT) | instid1(VALU_DEP_2)
	s_or_b32 exec_lo, exec_lo, s0
	v_and_b32_e32 v4, 0xff, v3
	v_mov_b32_e32 v2, 0
	s_mov_b32 s0, exec_lo
	s_delay_alu instid0(VALU_DEP_2)
	v_cmpx_ne_u16_e32 0, v4
	s_cbranch_execz .LBB54_1034
; %bb.1033:
	v_bfe_i32 v2, v3, 0, 8
	v_cvt_f32_i32_e32 v5, v0
	s_delay_alu instid0(VALU_DEP_2) | instskip(SKIP_1) | instid1(VALU_DEP_2)
	v_cvt_f32_i32_e32 v3, v2
	v_xor_b32_e32 v0, v0, v2
	v_rcp_iflag_f32_e32 v4, v3
	v_nop
	s_delay_alu instid0(TRANS32_DEP_1) | instskip(NEXT) | instid1(VALU_DEP_1)
	v_mul_f32_e32 v4, v5, v4
	v_trunc_f32_e32 v2, v4
	s_delay_alu instid0(VALU_DEP_1) | instskip(NEXT) | instid1(VALU_DEP_1)
	v_dual_ashrrev_i32 v0, 30, v0 :: v_dual_fma_f32 v4, -v2, v3, v5
	v_or_b32_e32 v0, 1, v0
	v_cvt_i32_f32_e32 v2, v2
	s_delay_alu instid0(VALU_DEP_3) | instskip(NEXT) | instid1(VALU_DEP_3)
	v_cmp_ge_f32_e64 vcc_lo, |v4|, |v3|
	v_cndmask_b32_e32 v0, 0, v0, vcc_lo
	s_delay_alu instid0(VALU_DEP_1) | instskip(NEXT) | instid1(VALU_DEP_1)
	v_add_nc_u32_e32 v0, v2, v0
	v_bfe_i32 v0, v0, 0, 8
	s_delay_alu instid0(VALU_DEP_1) | instskip(NEXT) | instid1(VALU_DEP_1)
	v_mul_i32_i24_e32 v0, v0, v1
	v_sub_nc_u32_e32 v1, 0, v0
	s_delay_alu instid0(VALU_DEP_1)
	v_max_i32_e32 v2, v0, v1
.LBB54_1034:
	s_or_b32 exec_lo, exec_lo, s0
	v_mul_lo_u32 v0, v10, s8
	s_and_b32 s27, s11, 0xff
	s_delay_alu instid0(SALU_CYCLE_1) | instskip(NEXT) | instid1(VALU_DEP_1)
	s_cmp_lt_i32 s27, 11
	v_ashrrev_i32_e32 v1, 31, v0
	s_delay_alu instid0(VALU_DEP_1)
	v_add_nc_u64_e32 v[0:1], s[4:5], v[0:1]
	s_cbranch_scc1 .LBB54_1042
; %bb.1035:
	s_and_b32 s28, 0xffff, s27
	s_delay_alu instid0(SALU_CYCLE_1)
	s_cmp_gt_i32 s28, 25
	s_cbranch_scc0 .LBB54_1043
; %bb.1036:
	s_cmp_gt_i32 s28, 28
	s_cbranch_scc0 .LBB54_1044
; %bb.1037:
	;; [unrolled: 3-line block ×4, first 2 shown]
	s_mov_b32 s30, 0
	s_mov_b32 s0, -1
	s_cmp_eq_u32 s28, 46
	s_mov_b32 s29, 0
	s_cbranch_scc0 .LBB54_1047
; %bb.1040:
	v_bfe_i32 v3, v2, 0, 8
	s_mov_b32 s29, -1
	s_mov_b32 s0, 0
	s_delay_alu instid0(VALU_DEP_1) | instskip(NEXT) | instid1(VALU_DEP_1)
	v_bfe_i32 v3, v3, 0, 16
	v_cvt_f32_i32_e32 v3, v3
	s_delay_alu instid0(VALU_DEP_1) | instskip(NEXT) | instid1(VALU_DEP_1)
	v_bfe_u32 v4, v3, 16, 1
	v_add3_u32 v3, v3, v4, 0x7fff
	s_delay_alu instid0(VALU_DEP_1)
	v_lshrrev_b32_e32 v3, 16, v3
	global_store_b32 v[0:1], v3, off
	s_branch .LBB54_1047
.LBB54_1041:
	s_mov_b32 s28, 0
	s_mov_b32 s0, s21
	s_branch .LBB54_1158
.LBB54_1042:
	s_mov_b32 s28, -1
	s_mov_b32 s29, 0
	s_mov_b32 s0, s21
	s_branch .LBB54_1116
.LBB54_1043:
	s_mov_b32 s30, -1
	s_mov_b32 s29, 0
	s_mov_b32 s0, s21
	s_branch .LBB54_1074
.LBB54_1044:
	s_mov_b32 s30, -1
	s_mov_b32 s29, 0
	s_mov_b32 s0, s21
	s_branch .LBB54_1057
.LBB54_1045:
	s_mov_b32 s30, -1
	s_mov_b32 s29, 0
	s_mov_b32 s0, s21
	s_branch .LBB54_1053
.LBB54_1046:
	s_mov_b32 s30, -1
	s_mov_b32 s29, 0
	s_mov_b32 s0, s21
.LBB54_1047:
	s_and_b32 vcc_lo, exec_lo, s30
	s_cbranch_vccz .LBB54_1052
; %bb.1048:
	s_cmp_eq_u32 s28, 44
	s_mov_b32 s0, -1
	s_cbranch_scc0 .LBB54_1052
; %bb.1049:
	s_wait_xcnt 0x0
	v_bfe_i32 v3, v2, 0, 8
	v_mov_b32_e32 v4, 0xff
	s_mov_b32 s29, exec_lo
	s_delay_alu instid0(VALU_DEP_2) | instskip(NEXT) | instid1(VALU_DEP_1)
	v_bfe_i32 v3, v3, 0, 16
	v_cvt_f32_i32_e32 v3, v3
	s_delay_alu instid0(VALU_DEP_1) | instskip(NEXT) | instid1(VALU_DEP_1)
	v_bfe_u32 v5, v3, 23, 8
	v_cmpx_ne_u32_e32 0xff, v5
	s_cbranch_execz .LBB54_1051
; %bb.1050:
	v_and_b32_e32 v4, 0x400000, v3
	v_and_or_b32 v5, 0x3fffff, v3, v5
	v_lshrrev_b32_e32 v3, 23, v3
	s_delay_alu instid0(VALU_DEP_3) | instskip(NEXT) | instid1(VALU_DEP_3)
	v_cmp_ne_u32_e32 vcc_lo, 0, v4
	v_cmp_ne_u32_e64 s0, 0, v5
	s_and_b32 s0, vcc_lo, s0
	s_delay_alu instid0(SALU_CYCLE_1) | instskip(NEXT) | instid1(VALU_DEP_1)
	v_cndmask_b32_e64 v4, 0, 1, s0
	v_add_nc_u32_e32 v4, v3, v4
.LBB54_1051:
	s_or_b32 exec_lo, exec_lo, s29
	s_mov_b32 s29, -1
	s_mov_b32 s0, 0
	global_store_b8 v[0:1], v4, off
.LBB54_1052:
	s_mov_b32 s30, 0
.LBB54_1053:
	s_delay_alu instid0(SALU_CYCLE_1)
	s_and_b32 vcc_lo, exec_lo, s30
	s_cbranch_vccz .LBB54_1056
; %bb.1054:
	s_cmp_eq_u32 s28, 29
	s_mov_b32 s0, -1
	s_cbranch_scc0 .LBB54_1056
; %bb.1055:
	s_wait_xcnt 0x0
	v_bfe_i32 v4, v2, 0, 8
	s_mov_b32 s29, -1
	s_mov_b32 s0, 0
	s_mov_b32 s30, 0
	s_delay_alu instid0(VALU_DEP_1)
	v_ashrrev_i32_e32 v5, 31, v4
	global_store_b64 v[0:1], v[4:5], off
	s_branch .LBB54_1057
.LBB54_1056:
	s_mov_b32 s30, 0
.LBB54_1057:
	s_delay_alu instid0(SALU_CYCLE_1)
	s_and_b32 vcc_lo, exec_lo, s30
	s_cbranch_vccz .LBB54_1073
; %bb.1058:
	s_cmp_lt_i32 s28, 27
	s_mov_b32 s29, -1
	s_cbranch_scc1 .LBB54_1064
; %bb.1059:
	s_cmp_gt_i32 s28, 27
	s_cbranch_scc0 .LBB54_1061
; %bb.1060:
	s_wait_xcnt 0x0
	v_bfe_i32 v3, v2, 0, 8
	s_mov_b32 s29, 0
	global_store_b32 v[0:1], v3, off
.LBB54_1061:
	s_and_not1_b32 vcc_lo, exec_lo, s29
	s_cbranch_vccnz .LBB54_1063
; %bb.1062:
	s_wait_xcnt 0x0
	v_bfe_i32 v3, v2, 0, 8
	global_store_b16 v[0:1], v3, off
.LBB54_1063:
	s_mov_b32 s29, 0
.LBB54_1064:
	s_delay_alu instid0(SALU_CYCLE_1)
	s_and_not1_b32 vcc_lo, exec_lo, s29
	s_cbranch_vccnz .LBB54_1072
; %bb.1065:
	s_wait_xcnt 0x0
	v_bfe_i32 v3, v2, 0, 8
	v_mov_b32_e32 v5, 0x80
	s_mov_b32 s29, exec_lo
	s_delay_alu instid0(VALU_DEP_2) | instskip(NEXT) | instid1(VALU_DEP_1)
	v_bfe_i32 v3, v3, 0, 16
	v_cvt_f32_i32_e32 v3, v3
	s_delay_alu instid0(VALU_DEP_1) | instskip(NEXT) | instid1(VALU_DEP_1)
	v_and_b32_e32 v4, 0x7fffffff, v3
	v_cmpx_gt_u32_e32 0x43800000, v4
	s_cbranch_execz .LBB54_1071
; %bb.1066:
	v_cmp_lt_u32_e32 vcc_lo, 0x3bffffff, v4
	s_mov_b32 s30, 0
                                        ; implicit-def: $vgpr4
	s_and_saveexec_b32 s31, vcc_lo
	s_delay_alu instid0(SALU_CYCLE_1)
	s_xor_b32 s31, exec_lo, s31
	s_cbranch_execz .LBB54_1174
; %bb.1067:
	v_bfe_u32 v4, v3, 20, 1
	s_mov_b32 s30, exec_lo
	s_delay_alu instid0(VALU_DEP_1) | instskip(NEXT) | instid1(VALU_DEP_1)
	v_add3_u32 v4, v3, v4, 0x487ffff
	v_lshrrev_b32_e32 v4, 20, v4
	s_and_not1_saveexec_b32 s31, s31
	s_cbranch_execnz .LBB54_1175
.LBB54_1068:
	s_or_b32 exec_lo, exec_lo, s31
	v_mov_b32_e32 v5, 0
	s_and_saveexec_b32 s31, s30
.LBB54_1069:
	v_lshrrev_b32_e32 v3, 24, v3
	s_delay_alu instid0(VALU_DEP_1)
	v_and_or_b32 v5, 0x80, v3, v4
.LBB54_1070:
	s_or_b32 exec_lo, exec_lo, s31
.LBB54_1071:
	s_delay_alu instid0(SALU_CYCLE_1)
	s_or_b32 exec_lo, exec_lo, s29
	global_store_b8 v[0:1], v5, off
.LBB54_1072:
	s_mov_b32 s29, -1
.LBB54_1073:
	s_mov_b32 s30, 0
.LBB54_1074:
	s_delay_alu instid0(SALU_CYCLE_1)
	s_and_b32 vcc_lo, exec_lo, s30
	s_cbranch_vccz .LBB54_1115
; %bb.1075:
	s_cmp_gt_i32 s28, 22
	s_mov_b32 s30, -1
	s_cbranch_scc0 .LBB54_1107
; %bb.1076:
	s_cmp_lt_i32 s28, 24
	s_mov_b32 s29, -1
	s_cbranch_scc1 .LBB54_1096
; %bb.1077:
	s_cmp_gt_i32 s28, 24
	s_cbranch_scc0 .LBB54_1085
; %bb.1078:
	s_wait_xcnt 0x0
	v_bfe_i32 v3, v2, 0, 8
	v_mov_b32_e32 v5, 0x80
	s_mov_b32 s29, exec_lo
	s_delay_alu instid0(VALU_DEP_2) | instskip(NEXT) | instid1(VALU_DEP_1)
	v_bfe_i32 v3, v3, 0, 16
	v_cvt_f32_i32_e32 v3, v3
	s_delay_alu instid0(VALU_DEP_1) | instskip(NEXT) | instid1(VALU_DEP_1)
	v_and_b32_e32 v4, 0x7fffffff, v3
	v_cmpx_gt_u32_e32 0x47800000, v4
	s_cbranch_execz .LBB54_1084
; %bb.1079:
	v_cmp_lt_u32_e32 vcc_lo, 0x37ffffff, v4
	s_mov_b32 s30, 0
                                        ; implicit-def: $vgpr4
	s_and_saveexec_b32 s31, vcc_lo
	s_delay_alu instid0(SALU_CYCLE_1)
	s_xor_b32 s31, exec_lo, s31
	s_cbranch_execz .LBB54_2191
; %bb.1080:
	v_bfe_u32 v4, v3, 21, 1
	s_mov_b32 s30, exec_lo
	s_delay_alu instid0(VALU_DEP_1) | instskip(NEXT) | instid1(VALU_DEP_1)
	v_add3_u32 v4, v3, v4, 0x88fffff
	v_lshrrev_b32_e32 v4, 21, v4
	s_and_not1_saveexec_b32 s31, s31
	s_cbranch_execnz .LBB54_2192
.LBB54_1081:
	s_or_b32 exec_lo, exec_lo, s31
	v_mov_b32_e32 v5, 0
	s_and_saveexec_b32 s31, s30
.LBB54_1082:
	v_lshrrev_b32_e32 v3, 24, v3
	s_delay_alu instid0(VALU_DEP_1)
	v_and_or_b32 v5, 0x80, v3, v4
.LBB54_1083:
	s_or_b32 exec_lo, exec_lo, s31
.LBB54_1084:
	s_delay_alu instid0(SALU_CYCLE_1)
	s_or_b32 exec_lo, exec_lo, s29
	s_mov_b32 s29, 0
	global_store_b8 v[0:1], v5, off
.LBB54_1085:
	s_and_b32 vcc_lo, exec_lo, s29
	s_cbranch_vccz .LBB54_1095
; %bb.1086:
	s_wait_xcnt 0x0
	v_bfe_i32 v3, v2, 0, 8
	s_mov_b32 s29, exec_lo
                                        ; implicit-def: $vgpr4
	s_delay_alu instid0(VALU_DEP_1) | instskip(NEXT) | instid1(VALU_DEP_1)
	v_bfe_i32 v3, v3, 0, 16
	v_cvt_f32_i32_e32 v3, v3
	s_delay_alu instid0(VALU_DEP_1) | instskip(NEXT) | instid1(VALU_DEP_1)
	v_and_b32_e32 v5, 0x7fffffff, v3
	v_cmpx_gt_u32_e32 0x43f00000, v5
	s_xor_b32 s29, exec_lo, s29
	s_cbranch_execz .LBB54_1092
; %bb.1087:
	s_mov_b32 s30, exec_lo
                                        ; implicit-def: $vgpr4
	v_cmpx_lt_u32_e32 0x3c7fffff, v5
	s_xor_b32 s30, exec_lo, s30
; %bb.1088:
	v_bfe_u32 v4, v3, 20, 1
	s_delay_alu instid0(VALU_DEP_1) | instskip(NEXT) | instid1(VALU_DEP_1)
	v_add3_u32 v4, v3, v4, 0x407ffff
	v_and_b32_e32 v5, 0xff00000, v4
	v_lshrrev_b32_e32 v4, 20, v4
	s_delay_alu instid0(VALU_DEP_2) | instskip(NEXT) | instid1(VALU_DEP_2)
	v_cmp_ne_u32_e32 vcc_lo, 0x7f00000, v5
	v_cndmask_b32_e32 v4, 0x7e, v4, vcc_lo
; %bb.1089:
	s_and_not1_saveexec_b32 s30, s30
; %bb.1090:
	v_add_f32_e64 v4, 0x46800000, |v3|
; %bb.1091:
	s_or_b32 exec_lo, exec_lo, s30
                                        ; implicit-def: $vgpr5
.LBB54_1092:
	s_and_not1_saveexec_b32 s29, s29
; %bb.1093:
	v_mov_b32_e32 v4, 0x7f
	v_cmp_lt_u32_e32 vcc_lo, 0x7f800000, v5
	s_delay_alu instid0(VALU_DEP_2)
	v_cndmask_b32_e32 v4, 0x7e, v4, vcc_lo
; %bb.1094:
	s_or_b32 exec_lo, exec_lo, s29
	v_lshrrev_b32_e32 v3, 24, v3
	s_delay_alu instid0(VALU_DEP_1)
	v_and_or_b32 v3, 0x80, v3, v4
	global_store_b8 v[0:1], v3, off
.LBB54_1095:
	s_mov_b32 s29, 0
.LBB54_1096:
	s_delay_alu instid0(SALU_CYCLE_1)
	s_and_not1_b32 vcc_lo, exec_lo, s29
	s_cbranch_vccnz .LBB54_1106
; %bb.1097:
	s_wait_xcnt 0x0
	v_bfe_i32 v3, v2, 0, 8
	s_mov_b32 s29, exec_lo
                                        ; implicit-def: $vgpr4
	s_delay_alu instid0(VALU_DEP_1) | instskip(NEXT) | instid1(VALU_DEP_1)
	v_bfe_i32 v3, v3, 0, 16
	v_cvt_f32_i32_e32 v3, v3
	s_delay_alu instid0(VALU_DEP_1) | instskip(NEXT) | instid1(VALU_DEP_1)
	v_and_b32_e32 v5, 0x7fffffff, v3
	v_cmpx_gt_u32_e32 0x47800000, v5
	s_xor_b32 s29, exec_lo, s29
	s_cbranch_execz .LBB54_1103
; %bb.1098:
	s_mov_b32 s30, exec_lo
                                        ; implicit-def: $vgpr4
	v_cmpx_lt_u32_e32 0x387fffff, v5
	s_xor_b32 s30, exec_lo, s30
; %bb.1099:
	v_bfe_u32 v4, v3, 21, 1
	s_delay_alu instid0(VALU_DEP_1) | instskip(NEXT) | instid1(VALU_DEP_1)
	v_add3_u32 v4, v3, v4, 0x80fffff
	v_lshrrev_b32_e32 v4, 21, v4
; %bb.1100:
	s_and_not1_saveexec_b32 s30, s30
; %bb.1101:
	v_add_f32_e64 v4, 0x43000000, |v3|
; %bb.1102:
	s_or_b32 exec_lo, exec_lo, s30
                                        ; implicit-def: $vgpr5
.LBB54_1103:
	s_and_not1_saveexec_b32 s29, s29
; %bb.1104:
	v_mov_b32_e32 v4, 0x7f
	v_cmp_lt_u32_e32 vcc_lo, 0x7f800000, v5
	s_delay_alu instid0(VALU_DEP_2)
	v_cndmask_b32_e32 v4, 0x7c, v4, vcc_lo
; %bb.1105:
	s_or_b32 exec_lo, exec_lo, s29
	v_lshrrev_b32_e32 v3, 24, v3
	s_delay_alu instid0(VALU_DEP_1)
	v_and_or_b32 v3, 0x80, v3, v4
	global_store_b8 v[0:1], v3, off
.LBB54_1106:
	s_mov_b32 s30, 0
	s_mov_b32 s29, -1
.LBB54_1107:
	s_and_not1_b32 vcc_lo, exec_lo, s30
	s_cbranch_vccnz .LBB54_1115
; %bb.1108:
	s_cmp_gt_i32 s28, 14
	s_mov_b32 s30, -1
	s_cbranch_scc0 .LBB54_1112
; %bb.1109:
	s_cmp_eq_u32 s28, 15
	s_mov_b32 s0, -1
	s_cbranch_scc0 .LBB54_1111
; %bb.1110:
	s_wait_xcnt 0x0
	v_bfe_i32 v3, v2, 0, 8
	s_mov_b32 s29, -1
	s_mov_b32 s0, 0
	s_delay_alu instid0(VALU_DEP_1) | instskip(NEXT) | instid1(VALU_DEP_1)
	v_bfe_i32 v3, v3, 0, 16
	v_cvt_f32_i32_e32 v3, v3
	s_delay_alu instid0(VALU_DEP_1) | instskip(NEXT) | instid1(VALU_DEP_1)
	v_bfe_u32 v4, v3, 16, 1
	v_add3_u32 v3, v3, v4, 0x7fff
	global_store_d16_hi_b16 v[0:1], v3, off
.LBB54_1111:
	s_mov_b32 s30, 0
.LBB54_1112:
	s_delay_alu instid0(SALU_CYCLE_1)
	s_and_b32 vcc_lo, exec_lo, s30
	s_cbranch_vccz .LBB54_1115
; %bb.1113:
	s_cmp_eq_u32 s28, 11
	s_mov_b32 s0, -1
	s_cbranch_scc0 .LBB54_1115
; %bb.1114:
	s_wait_xcnt 0x0
	v_and_b32_e32 v3, 0xff, v2
	s_mov_b32 s0, 0
	s_mov_b32 s29, -1
	s_delay_alu instid0(VALU_DEP_1)
	v_cmp_ne_u16_e32 vcc_lo, 0, v3
	v_cndmask_b32_e64 v3, 0, 1, vcc_lo
	global_store_b8 v[0:1], v3, off
.LBB54_1115:
	s_mov_b32 s28, 0
.LBB54_1116:
	s_delay_alu instid0(SALU_CYCLE_1)
	s_and_b32 vcc_lo, exec_lo, s28
	s_cbranch_vccz .LBB54_1155
; %bb.1117:
	s_and_b32 s27, 0xffff, s27
	s_mov_b32 s28, -1
	s_cmp_lt_i32 s27, 5
	s_cbranch_scc1 .LBB54_1138
; %bb.1118:
	s_cmp_lt_i32 s27, 8
	s_cbranch_scc1 .LBB54_1128
; %bb.1119:
	;; [unrolled: 3-line block ×3, first 2 shown]
	s_cmp_gt_i32 s27, 9
	s_cbranch_scc0 .LBB54_1122
; %bb.1121:
	s_wait_xcnt 0x0
	v_bfe_i32 v3, v2, 0, 8
	v_mov_b32_e32 v6, 0
	s_mov_b32 s28, 0
	s_delay_alu instid0(VALU_DEP_2) | instskip(NEXT) | instid1(VALU_DEP_2)
	v_bfe_i32 v3, v3, 0, 16
	v_mov_b32_e32 v7, v6
	s_delay_alu instid0(VALU_DEP_2)
	v_cvt_f64_i32_e32 v[4:5], v3
	global_store_b128 v[0:1], v[4:7], off
.LBB54_1122:
	s_and_not1_b32 vcc_lo, exec_lo, s28
	s_cbranch_vccnz .LBB54_1124
; %bb.1123:
	s_wait_xcnt 0x0
	v_bfe_i32 v3, v2, 0, 8
	v_mov_b32_e32 v5, 0
	s_delay_alu instid0(VALU_DEP_2) | instskip(NEXT) | instid1(VALU_DEP_1)
	v_bfe_i32 v3, v3, 0, 16
	v_cvt_f32_i32_e32 v4, v3
	global_store_b64 v[0:1], v[4:5], off
.LBB54_1124:
	s_mov_b32 s28, 0
.LBB54_1125:
	s_delay_alu instid0(SALU_CYCLE_1)
	s_and_not1_b32 vcc_lo, exec_lo, s28
	s_cbranch_vccnz .LBB54_1127
; %bb.1126:
	s_wait_xcnt 0x0
	v_bfe_i32 v3, v2, 0, 8
	s_delay_alu instid0(VALU_DEP_1) | instskip(NEXT) | instid1(VALU_DEP_1)
	v_cvt_f16_i16_e32 v3, v3
	v_and_b32_e32 v3, 0xffff, v3
	global_store_b32 v[0:1], v3, off
.LBB54_1127:
	s_mov_b32 s28, 0
.LBB54_1128:
	s_delay_alu instid0(SALU_CYCLE_1)
	s_and_not1_b32 vcc_lo, exec_lo, s28
	s_cbranch_vccnz .LBB54_1137
; %bb.1129:
	s_cmp_lt_i32 s27, 6
	s_mov_b32 s28, -1
	s_cbranch_scc1 .LBB54_1135
; %bb.1130:
	s_cmp_gt_i32 s27, 6
	s_cbranch_scc0 .LBB54_1132
; %bb.1131:
	s_wait_xcnt 0x0
	v_bfe_i32 v3, v2, 0, 8
	s_mov_b32 s28, 0
	s_delay_alu instid0(VALU_DEP_1) | instskip(NEXT) | instid1(VALU_DEP_1)
	v_bfe_i32 v3, v3, 0, 16
	v_cvt_f64_i32_e32 v[4:5], v3
	global_store_b64 v[0:1], v[4:5], off
.LBB54_1132:
	s_and_not1_b32 vcc_lo, exec_lo, s28
	s_cbranch_vccnz .LBB54_1134
; %bb.1133:
	s_wait_xcnt 0x0
	v_bfe_i32 v3, v2, 0, 8
	s_delay_alu instid0(VALU_DEP_1) | instskip(NEXT) | instid1(VALU_DEP_1)
	v_bfe_i32 v3, v3, 0, 16
	v_cvt_f32_i32_e32 v3, v3
	global_store_b32 v[0:1], v3, off
.LBB54_1134:
	s_mov_b32 s28, 0
.LBB54_1135:
	s_delay_alu instid0(SALU_CYCLE_1)
	s_and_not1_b32 vcc_lo, exec_lo, s28
	s_cbranch_vccnz .LBB54_1137
; %bb.1136:
	s_wait_xcnt 0x0
	v_bfe_i32 v3, v2, 0, 8
	s_delay_alu instid0(VALU_DEP_1)
	v_cvt_f16_i16_e32 v3, v3
	global_store_b16 v[0:1], v3, off
.LBB54_1137:
	s_mov_b32 s28, 0
.LBB54_1138:
	s_delay_alu instid0(SALU_CYCLE_1)
	s_and_not1_b32 vcc_lo, exec_lo, s28
	s_cbranch_vccnz .LBB54_1154
; %bb.1139:
	s_cmp_lt_i32 s27, 2
	s_mov_b32 s28, -1
	s_cbranch_scc1 .LBB54_1149
; %bb.1140:
	s_cmp_lt_i32 s27, 3
	s_cbranch_scc1 .LBB54_1146
; %bb.1141:
	s_cmp_gt_i32 s27, 3
	s_cbranch_scc0 .LBB54_1143
; %bb.1142:
	s_wait_xcnt 0x0
	v_bfe_i32 v4, v2, 0, 8
	s_mov_b32 s28, 0
	s_delay_alu instid0(VALU_DEP_1)
	v_ashrrev_i32_e32 v5, 31, v4
	global_store_b64 v[0:1], v[4:5], off
.LBB54_1143:
	s_and_not1_b32 vcc_lo, exec_lo, s28
	s_cbranch_vccnz .LBB54_1145
; %bb.1144:
	s_wait_xcnt 0x0
	v_bfe_i32 v3, v2, 0, 8
	global_store_b32 v[0:1], v3, off
.LBB54_1145:
	s_mov_b32 s28, 0
.LBB54_1146:
	s_delay_alu instid0(SALU_CYCLE_1)
	s_and_not1_b32 vcc_lo, exec_lo, s28
	s_cbranch_vccnz .LBB54_1148
; %bb.1147:
	s_wait_xcnt 0x0
	v_bfe_i32 v3, v2, 0, 8
	global_store_b16 v[0:1], v3, off
.LBB54_1148:
	s_mov_b32 s28, 0
.LBB54_1149:
	s_delay_alu instid0(SALU_CYCLE_1)
	s_and_not1_b32 vcc_lo, exec_lo, s28
	s_cbranch_vccnz .LBB54_1154
; %bb.1150:
	s_cmp_gt_i32 s27, 0
	s_mov_b32 s27, -1
	s_cbranch_scc0 .LBB54_1152
; %bb.1151:
	s_mov_b32 s27, 0
	global_store_b8 v[0:1], v2, off
.LBB54_1152:
	s_and_not1_b32 vcc_lo, exec_lo, s27
	s_cbranch_vccnz .LBB54_1154
; %bb.1153:
	global_store_b8 v[0:1], v2, off
.LBB54_1154:
	s_mov_b32 s29, -1
.LBB54_1155:
	s_delay_alu instid0(SALU_CYCLE_1)
	s_and_not1_b32 vcc_lo, exec_lo, s29
	s_cbranch_vccnz .LBB54_1157
; %bb.1156:
	v_add_nc_u32_e32 v10, 0x80, v10
	s_mov_b32 s28, -1
	s_branch .LBB54_1159
.LBB54_1157:
	s_mov_b32 s28, 0
.LBB54_1158:
                                        ; implicit-def: $vgpr10
.LBB54_1159:
	s_and_not1_b32 s27, s21, exec_lo
	s_and_b32 s0, s0, exec_lo
	s_and_b32 s26, s26, exec_lo
	s_or_b32 s27, s27, s0
	s_and_not1_b32 s0, s22, exec_lo
	s_and_not1_b32 s29, s20, exec_lo
	s_and_b32 s25, s25, exec_lo
	s_or_b32 s26, s0, s26
	s_or_b32 s25, s29, s25
	s_or_not1_b32 s31, s28, exec_lo
.LBB54_1160:
	s_wait_xcnt 0x0
	s_or_b32 exec_lo, exec_lo, s24
	s_mov_b32 s28, 0
	s_mov_b32 s29, 0
	;; [unrolled: 1-line block ×3, first 2 shown]
                                        ; implicit-def: $sgpr0
                                        ; implicit-def: $vgpr2_vgpr3
                                        ; implicit-def: $vgpr0
	s_and_saveexec_b32 s24, s31
	s_cbranch_execz .LBB54_1239
; %bb.1161:
	v_cmp_gt_i32_e32 vcc_lo, s16, v10
	s_mov_b32 s33, s25
	s_mov_b32 s31, 0
	;; [unrolled: 1-line block ×3, first 2 shown]
                                        ; implicit-def: $sgpr0
                                        ; implicit-def: $vgpr2_vgpr3
                                        ; implicit-def: $vgpr0
	s_and_saveexec_b32 s16, vcc_lo
	s_cbranch_execz .LBB54_1238
; %bb.1162:
	s_wait_loadcnt 0x0
	v_mul_lo_u32 v0, v10, s9
	s_and_b32 s0, s13, 0xff
	s_delay_alu instid0(SALU_CYCLE_1) | instskip(NEXT) | instid1(VALU_DEP_1)
	s_cmp_lt_i32 s0, 11
	v_ashrrev_i32_e32 v1, 31, v0
	s_delay_alu instid0(VALU_DEP_1)
	v_add_nc_u64_e32 v[2:3], s[6:7], v[0:1]
	s_cbranch_scc1 .LBB54_1169
; %bb.1163:
	s_and_b32 s28, 0xffff, s0
	s_delay_alu instid0(SALU_CYCLE_1)
	s_cmp_gt_i32 s28, 25
	s_cbranch_scc0 .LBB54_1170
; %bb.1164:
	s_cmp_gt_i32 s28, 28
	s_cbranch_scc0 .LBB54_1171
; %bb.1165:
	;; [unrolled: 3-line block ×4, first 2 shown]
	s_cmp_eq_u32 s28, 46
	s_mov_b32 s33, 0
	s_cbranch_scc0 .LBB54_1176
; %bb.1168:
	global_load_b32 v0, v[2:3], off
	s_mov_b32 s31, -1
	s_wait_loadcnt 0x0
	v_lshlrev_b32_e32 v0, 16, v0
	s_delay_alu instid0(VALU_DEP_1)
	v_cvt_i32_f32_e32 v0, v0
	s_branch .LBB54_1178
.LBB54_1169:
	s_mov_b32 s28, -1
	s_mov_b32 s29, s25
                                        ; implicit-def: $vgpr0
	s_branch .LBB54_1237
.LBB54_1170:
	s_mov_b32 s33, -1
	s_mov_b32 s29, s25
                                        ; implicit-def: $vgpr0
	s_branch .LBB54_1205
.LBB54_1171:
	s_mov_b32 s33, -1
	s_mov_b32 s29, s25
                                        ; implicit-def: $vgpr0
	s_branch .LBB54_1188
.LBB54_1172:
	s_mov_b32 s33, -1
	s_mov_b32 s29, s25
                                        ; implicit-def: $vgpr0
	s_branch .LBB54_1183
.LBB54_1173:
	s_mov_b32 s33, -1
	s_mov_b32 s29, s25
	s_branch .LBB54_1177
.LBB54_1174:
	s_and_not1_saveexec_b32 s31, s31
	s_cbranch_execz .LBB54_1068
.LBB54_1175:
	v_add_f32_e64 v4, 0x46000000, |v3|
	s_and_not1_b32 s30, s30, exec_lo
	s_delay_alu instid0(VALU_DEP_1) | instskip(NEXT) | instid1(VALU_DEP_1)
	v_and_b32_e32 v4, 0xff, v4
	v_cmp_ne_u32_e32 vcc_lo, 0, v4
	s_and_b32 s33, vcc_lo, exec_lo
	s_delay_alu instid0(SALU_CYCLE_1)
	s_or_b32 s30, s30, s33
	s_or_b32 exec_lo, exec_lo, s31
	v_mov_b32_e32 v5, 0
	s_and_saveexec_b32 s31, s30
	s_cbranch_execnz .LBB54_1069
	s_branch .LBB54_1070
.LBB54_1176:
	s_mov_b32 s29, -1
.LBB54_1177:
                                        ; implicit-def: $vgpr0
.LBB54_1178:
	s_and_b32 vcc_lo, exec_lo, s33
	s_cbranch_vccz .LBB54_1182
; %bb.1179:
	s_cmp_eq_u32 s28, 44
	s_cbranch_scc0 .LBB54_1181
; %bb.1180:
	global_load_u8 v0, v[2:3], off
	s_mov_b32 s29, 0
	s_mov_b32 s31, -1
	s_wait_loadcnt 0x0
	v_lshlrev_b32_e32 v1, 23, v0
	v_cmp_ne_u32_e32 vcc_lo, 0, v0
	s_delay_alu instid0(VALU_DEP_2) | instskip(NEXT) | instid1(VALU_DEP_1)
	v_cvt_i32_f32_e32 v1, v1
	v_cndmask_b32_e32 v0, 0, v1, vcc_lo
	s_branch .LBB54_1182
.LBB54_1181:
	s_mov_b32 s29, -1
                                        ; implicit-def: $vgpr0
.LBB54_1182:
	s_mov_b32 s33, 0
.LBB54_1183:
	s_delay_alu instid0(SALU_CYCLE_1)
	s_and_b32 vcc_lo, exec_lo, s33
	s_cbranch_vccz .LBB54_1187
; %bb.1184:
	s_cmp_eq_u32 s28, 29
	s_cbranch_scc0 .LBB54_1186
; %bb.1185:
	global_load_b64 v[0:1], v[2:3], off
	s_mov_b32 s29, 0
	s_mov_b32 s31, -1
	s_branch .LBB54_1187
.LBB54_1186:
	s_mov_b32 s29, -1
                                        ; implicit-def: $vgpr0
.LBB54_1187:
	s_mov_b32 s33, 0
.LBB54_1188:
	s_delay_alu instid0(SALU_CYCLE_1)
	s_and_b32 vcc_lo, exec_lo, s33
	s_cbranch_vccz .LBB54_1204
; %bb.1189:
	s_cmp_lt_i32 s28, 27
	s_cbranch_scc1 .LBB54_1192
; %bb.1190:
	s_cmp_gt_i32 s28, 27
	s_cbranch_scc0 .LBB54_1193
; %bb.1191:
	s_wait_loadcnt 0x0
	global_load_b32 v0, v[2:3], off
	s_mov_b32 s31, 0
	s_branch .LBB54_1194
.LBB54_1192:
	s_mov_b32 s31, -1
                                        ; implicit-def: $vgpr0
	s_branch .LBB54_1197
.LBB54_1193:
	s_mov_b32 s31, -1
                                        ; implicit-def: $vgpr0
.LBB54_1194:
	s_delay_alu instid0(SALU_CYCLE_1)
	s_and_not1_b32 vcc_lo, exec_lo, s31
	s_cbranch_vccnz .LBB54_1196
; %bb.1195:
	s_wait_loadcnt 0x0
	global_load_u16 v0, v[2:3], off
.LBB54_1196:
	s_mov_b32 s31, 0
.LBB54_1197:
	s_delay_alu instid0(SALU_CYCLE_1)
	s_and_not1_b32 vcc_lo, exec_lo, s31
	s_cbranch_vccnz .LBB54_1203
; %bb.1198:
	s_wait_loadcnt 0x0
	global_load_u8 v1, v[2:3], off
	s_mov_b32 s33, 0
	s_mov_b32 s31, exec_lo
	s_wait_loadcnt 0x0
	v_cmpx_lt_i16_e32 0x7f, v1
	s_xor_b32 s31, exec_lo, s31
	s_cbranch_execz .LBB54_1215
; %bb.1199:
	v_cmp_ne_u16_e32 vcc_lo, 0x80, v1
	s_and_b32 s33, vcc_lo, exec_lo
	s_and_not1_saveexec_b32 s31, s31
	s_cbranch_execnz .LBB54_1216
.LBB54_1200:
	s_or_b32 exec_lo, exec_lo, s31
	v_mov_b32_e32 v0, 0
	s_and_saveexec_b32 s31, s33
	s_cbranch_execz .LBB54_1202
.LBB54_1201:
	v_and_b32_e32 v0, 0xffff, v1
	s_delay_alu instid0(VALU_DEP_1) | instskip(SKIP_1) | instid1(VALU_DEP_2)
	v_and_b32_e32 v4, 7, v0
	v_bfe_u32 v7, v0, 3, 4
	v_clz_i32_u32_e32 v5, v4
	s_delay_alu instid0(VALU_DEP_2) | instskip(NEXT) | instid1(VALU_DEP_2)
	v_cmp_eq_u32_e32 vcc_lo, 0, v7
	v_min_u32_e32 v5, 32, v5
	s_delay_alu instid0(VALU_DEP_1) | instskip(NEXT) | instid1(VALU_DEP_1)
	v_subrev_nc_u32_e32 v6, 28, v5
	v_dual_lshlrev_b32 v0, v6, v0 :: v_dual_sub_nc_u32 v5, 29, v5
	s_delay_alu instid0(VALU_DEP_1) | instskip(NEXT) | instid1(VALU_DEP_1)
	v_dual_lshlrev_b32 v1, 24, v1 :: v_dual_bitop2_b32 v0, 7, v0 bitop3:0x40
	v_dual_cndmask_b32 v0, v4, v0 :: v_dual_cndmask_b32 v5, v7, v5
	s_delay_alu instid0(VALU_DEP_2) | instskip(NEXT) | instid1(VALU_DEP_2)
	v_and_b32_e32 v1, 0x80000000, v1
	v_lshlrev_b32_e32 v0, 20, v0
	s_delay_alu instid0(VALU_DEP_3) | instskip(NEXT) | instid1(VALU_DEP_1)
	v_lshl_add_u32 v4, v5, 23, 0x3b800000
	v_or3_b32 v0, v1, v4, v0
	s_delay_alu instid0(VALU_DEP_1)
	v_cvt_i32_f32_e32 v0, v0
.LBB54_1202:
	s_or_b32 exec_lo, exec_lo, s31
.LBB54_1203:
	s_mov_b32 s31, -1
.LBB54_1204:
	s_mov_b32 s33, 0
.LBB54_1205:
	s_delay_alu instid0(SALU_CYCLE_1)
	s_and_b32 vcc_lo, exec_lo, s33
	s_cbranch_vccz .LBB54_1236
; %bb.1206:
	s_cmp_gt_i32 s28, 22
	s_cbranch_scc0 .LBB54_1214
; %bb.1207:
	s_cmp_lt_i32 s28, 24
	s_cbranch_scc1 .LBB54_1217
; %bb.1208:
	s_cmp_gt_i32 s28, 24
	s_cbranch_scc0 .LBB54_1218
; %bb.1209:
	s_wait_loadcnt 0x0
	global_load_u8 v1, v[2:3], off
	s_mov_b32 s31, 0
	s_mov_b32 s30, exec_lo
	s_wait_loadcnt 0x0
	v_cmpx_lt_i16_e32 0x7f, v1
	s_xor_b32 s30, exec_lo, s30
	s_cbranch_execz .LBB54_1230
; %bb.1210:
	v_cmp_ne_u16_e32 vcc_lo, 0x80, v1
	s_and_b32 s31, vcc_lo, exec_lo
	s_and_not1_saveexec_b32 s30, s30
	s_cbranch_execnz .LBB54_1231
.LBB54_1211:
	s_or_b32 exec_lo, exec_lo, s30
	v_mov_b32_e32 v0, 0
	s_and_saveexec_b32 s30, s31
	s_cbranch_execz .LBB54_1213
.LBB54_1212:
	v_and_b32_e32 v0, 0xffff, v1
	s_delay_alu instid0(VALU_DEP_1) | instskip(SKIP_1) | instid1(VALU_DEP_2)
	v_and_b32_e32 v4, 3, v0
	v_bfe_u32 v7, v0, 2, 5
	v_clz_i32_u32_e32 v5, v4
	s_delay_alu instid0(VALU_DEP_2) | instskip(NEXT) | instid1(VALU_DEP_2)
	v_cmp_eq_u32_e32 vcc_lo, 0, v7
	v_min_u32_e32 v5, 32, v5
	s_delay_alu instid0(VALU_DEP_1) | instskip(NEXT) | instid1(VALU_DEP_1)
	v_subrev_nc_u32_e32 v6, 29, v5
	v_dual_lshlrev_b32 v0, v6, v0 :: v_dual_sub_nc_u32 v5, 30, v5
	s_delay_alu instid0(VALU_DEP_1) | instskip(NEXT) | instid1(VALU_DEP_1)
	v_dual_lshlrev_b32 v1, 24, v1 :: v_dual_bitop2_b32 v0, 3, v0 bitop3:0x40
	v_dual_cndmask_b32 v0, v4, v0 :: v_dual_cndmask_b32 v5, v7, v5
	s_delay_alu instid0(VALU_DEP_2) | instskip(NEXT) | instid1(VALU_DEP_2)
	v_and_b32_e32 v1, 0x80000000, v1
	v_lshlrev_b32_e32 v0, 21, v0
	s_delay_alu instid0(VALU_DEP_3) | instskip(NEXT) | instid1(VALU_DEP_1)
	v_lshl_add_u32 v4, v5, 23, 0x37800000
	v_or3_b32 v0, v1, v4, v0
	s_delay_alu instid0(VALU_DEP_1)
	v_cvt_i32_f32_e32 v0, v0
.LBB54_1213:
	s_or_b32 exec_lo, exec_lo, s30
	s_mov_b32 s30, 0
	s_branch .LBB54_1219
.LBB54_1214:
	s_mov_b32 s30, -1
                                        ; implicit-def: $vgpr0
	s_branch .LBB54_1225
.LBB54_1215:
	s_and_not1_saveexec_b32 s31, s31
	s_cbranch_execz .LBB54_1200
.LBB54_1216:
	v_cmp_ne_u16_e32 vcc_lo, 0, v1
	s_and_not1_b32 s33, s33, exec_lo
	s_and_b32 s34, vcc_lo, exec_lo
	s_delay_alu instid0(SALU_CYCLE_1)
	s_or_b32 s33, s33, s34
	s_or_b32 exec_lo, exec_lo, s31
	v_mov_b32_e32 v0, 0
	s_and_saveexec_b32 s31, s33
	s_cbranch_execnz .LBB54_1201
	s_branch .LBB54_1202
.LBB54_1217:
	s_mov_b32 s30, -1
                                        ; implicit-def: $vgpr0
	s_branch .LBB54_1222
.LBB54_1218:
	s_mov_b32 s30, -1
                                        ; implicit-def: $vgpr0
.LBB54_1219:
	s_delay_alu instid0(SALU_CYCLE_1)
	s_and_b32 vcc_lo, exec_lo, s30
	s_cbranch_vccz .LBB54_1221
; %bb.1220:
	s_wait_loadcnt 0x0
	global_load_u8 v0, v[2:3], off
	s_wait_loadcnt 0x0
	v_lshlrev_b32_e32 v0, 24, v0
	s_delay_alu instid0(VALU_DEP_1) | instskip(NEXT) | instid1(VALU_DEP_1)
	v_and_b32_e32 v1, 0x7f000000, v0
	v_clz_i32_u32_e32 v4, v1
	v_cmp_ne_u32_e32 vcc_lo, 0, v1
	v_add_nc_u32_e32 v6, 0x1000000, v1
	s_delay_alu instid0(VALU_DEP_3) | instskip(NEXT) | instid1(VALU_DEP_1)
	v_min_u32_e32 v4, 32, v4
	v_sub_nc_u32_e64 v4, v4, 4 clamp
	s_delay_alu instid0(VALU_DEP_1) | instskip(NEXT) | instid1(VALU_DEP_1)
	v_dual_lshlrev_b32 v5, v4, v1 :: v_dual_lshlrev_b32 v4, 23, v4
	v_lshrrev_b32_e32 v5, 4, v5
	s_delay_alu instid0(VALU_DEP_1) | instskip(NEXT) | instid1(VALU_DEP_1)
	v_dual_sub_nc_u32 v4, v5, v4 :: v_dual_ashrrev_i32 v5, 8, v6
	v_add_nc_u32_e32 v4, 0x3c000000, v4
	s_delay_alu instid0(VALU_DEP_1) | instskip(NEXT) | instid1(VALU_DEP_1)
	v_and_or_b32 v4, 0x7f800000, v5, v4
	v_cndmask_b32_e32 v1, 0, v4, vcc_lo
	s_delay_alu instid0(VALU_DEP_1) | instskip(NEXT) | instid1(VALU_DEP_1)
	v_and_or_b32 v0, 0x80000000, v0, v1
	v_cvt_i32_f32_e32 v0, v0
.LBB54_1221:
	s_mov_b32 s30, 0
.LBB54_1222:
	s_delay_alu instid0(SALU_CYCLE_1)
	s_and_not1_b32 vcc_lo, exec_lo, s30
	s_cbranch_vccnz .LBB54_1224
; %bb.1223:
	s_wait_loadcnt 0x0
	global_load_u8 v0, v[2:3], off
	s_wait_loadcnt 0x0
	v_lshlrev_b32_e32 v1, 25, v0
	v_lshlrev_b16 v0, 8, v0
	s_delay_alu instid0(VALU_DEP_1) | instskip(SKIP_1) | instid1(VALU_DEP_2)
	v_and_or_b32 v5, 0x7f00, v0, 0.5
	v_bfe_i32 v0, v0, 0, 16
	v_add_f32_e32 v5, -0.5, v5
	v_lshrrev_b32_e32 v4, 4, v1
	v_cmp_gt_u32_e32 vcc_lo, 0x8000000, v1
	s_delay_alu instid0(VALU_DEP_2) | instskip(NEXT) | instid1(VALU_DEP_1)
	v_or_b32_e32 v4, 0x70000000, v4
	v_mul_f32_e32 v4, 0x7800000, v4
	s_delay_alu instid0(VALU_DEP_1) | instskip(NEXT) | instid1(VALU_DEP_1)
	v_cndmask_b32_e32 v1, v4, v5, vcc_lo
	v_and_or_b32 v0, 0x80000000, v0, v1
	s_delay_alu instid0(VALU_DEP_1)
	v_cvt_i32_f32_e32 v0, v0
.LBB54_1224:
	s_mov_b32 s30, 0
	s_mov_b32 s31, -1
.LBB54_1225:
	s_and_not1_b32 vcc_lo, exec_lo, s30
	s_mov_b32 s30, 0
	s_cbranch_vccnz .LBB54_1236
; %bb.1226:
	s_cmp_gt_i32 s28, 14
	s_cbranch_scc0 .LBB54_1229
; %bb.1227:
	s_cmp_eq_u32 s28, 15
	s_cbranch_scc0 .LBB54_1232
; %bb.1228:
	s_wait_loadcnt 0x0
	global_load_u16 v0, v[2:3], off
	s_mov_b32 s29, 0
	s_mov_b32 s31, -1
	s_wait_loadcnt 0x0
	v_lshlrev_b32_e32 v0, 16, v0
	s_delay_alu instid0(VALU_DEP_1)
	v_cvt_i32_f32_e32 v0, v0
	s_branch .LBB54_1234
.LBB54_1229:
	s_mov_b32 s30, -1
	s_branch .LBB54_1233
.LBB54_1230:
	s_and_not1_saveexec_b32 s30, s30
	s_cbranch_execz .LBB54_1211
.LBB54_1231:
	v_cmp_ne_u16_e32 vcc_lo, 0, v1
	s_and_not1_b32 s31, s31, exec_lo
	s_and_b32 s33, vcc_lo, exec_lo
	s_delay_alu instid0(SALU_CYCLE_1)
	s_or_b32 s31, s31, s33
	s_or_b32 exec_lo, exec_lo, s30
	v_mov_b32_e32 v0, 0
	s_and_saveexec_b32 s30, s31
	s_cbranch_execnz .LBB54_1212
	s_branch .LBB54_1213
.LBB54_1232:
	s_mov_b32 s29, -1
.LBB54_1233:
                                        ; implicit-def: $vgpr0
.LBB54_1234:
	s_and_b32 vcc_lo, exec_lo, s30
	s_mov_b32 s30, 0
	s_cbranch_vccz .LBB54_1236
; %bb.1235:
	s_cmp_lg_u32 s28, 11
	s_mov_b32 s30, -1
	s_cselect_b32 s28, -1, 0
	s_and_not1_b32 s29, s29, exec_lo
	s_and_b32 s28, s28, exec_lo
	s_delay_alu instid0(SALU_CYCLE_1)
	s_or_b32 s29, s29, s28
.LBB54_1236:
	s_mov_b32 s28, 0
.LBB54_1237:
	s_and_not1_b32 s33, s25, exec_lo
	s_and_b32 s29, s29, exec_lo
	s_and_b32 s34, s31, exec_lo
	;; [unrolled: 1-line block ×4, first 2 shown]
	s_or_b32 s33, s33, s29
.LBB54_1238:
	s_wait_xcnt 0x0
	s_or_b32 exec_lo, exec_lo, s16
	s_delay_alu instid0(SALU_CYCLE_1)
	s_and_not1_b32 s16, s25, exec_lo
	s_and_b32 s25, s33, exec_lo
	s_and_b32 s30, s34, exec_lo
	;; [unrolled: 1-line block ×4, first 2 shown]
	s_or_b32 s25, s16, s25
.LBB54_1239:
	s_or_b32 exec_lo, exec_lo, s24
	s_delay_alu instid0(SALU_CYCLE_1)
	s_and_not1_b32 s16, s21, exec_lo
	s_and_b32 s21, s27, exec_lo
	s_and_not1_b32 s22, s22, exec_lo
	s_and_b32 s24, s26, exec_lo
	s_or_b32 s21, s16, s21
	s_and_not1_b32 s16, s20, exec_lo
	s_and_b32 s20, s25, exec_lo
	s_or_b32 s22, s22, s24
	s_and_b32 s27, s30, exec_lo
	s_and_b32 s26, s29, exec_lo
	s_and_b32 s24, s28, exec_lo
	s_or_b32 s20, s16, s20
.LBB54_1240:
	s_or_b32 exec_lo, exec_lo, s23
	s_delay_alu instid0(SALU_CYCLE_1)
	s_and_not1_b32 s15, s15, exec_lo
	s_and_b32 s16, s21, exec_lo
	s_and_not1_b32 s17, s17, exec_lo
	s_and_b32 s21, s22, exec_lo
	s_or_b32 s15, s15, s16
	s_and_not1_b32 s16, s18, exec_lo
	s_and_b32 s18, s20, exec_lo
	s_or_b32 s17, s17, s21
	s_and_b32 s21, s27, exec_lo
	s_and_b32 s22, s26, exec_lo
	;; [unrolled: 1-line block ×3, first 2 shown]
	s_or_b32 s18, s16, s18
	s_or_b32 exec_lo, exec_lo, s19
	s_mov_b32 s16, 0
	s_and_saveexec_b32 s19, s18
	s_cbranch_execz .LBB54_390
.LBB54_1241:
	s_mov_b32 s16, exec_lo
	s_and_not1_b32 s20, s20, exec_lo
	s_trap 2
	s_or_b32 exec_lo, exec_lo, s19
	s_and_saveexec_b32 s18, s20
	s_delay_alu instid0(SALU_CYCLE_1)
	s_xor_b32 s18, exec_lo, s18
	s_cbranch_execnz .LBB54_391
.LBB54_1242:
	s_or_b32 exec_lo, exec_lo, s18
	s_and_saveexec_b32 s18, s22
	s_cbranch_execz .LBB54_1288
.LBB54_1243:
	s_sext_i32_i16 s19, s0
	s_delay_alu instid0(SALU_CYCLE_1)
	s_cmp_lt_i32 s19, 5
	s_cbranch_scc1 .LBB54_1248
; %bb.1244:
	s_cmp_lt_i32 s19, 8
	s_cbranch_scc1 .LBB54_1249
; %bb.1245:
	;; [unrolled: 3-line block ×3, first 2 shown]
	s_cmp_gt_i32 s19, 9
	s_cbranch_scc0 .LBB54_1251
; %bb.1247:
	s_wait_loadcnt 0x0
	global_load_b64 v[0:1], v[2:3], off
	s_mov_b32 s19, 0
	s_wait_loadcnt 0x0
	v_cvt_i32_f64_e32 v0, v[0:1]
	s_branch .LBB54_1252
.LBB54_1248:
                                        ; implicit-def: $vgpr0
	s_branch .LBB54_1269
.LBB54_1249:
                                        ; implicit-def: $vgpr0
	s_branch .LBB54_1258
.LBB54_1250:
	s_mov_b32 s19, -1
                                        ; implicit-def: $vgpr0
	s_branch .LBB54_1255
.LBB54_1251:
	s_mov_b32 s19, -1
                                        ; implicit-def: $vgpr0
.LBB54_1252:
	s_delay_alu instid0(SALU_CYCLE_1)
	s_and_not1_b32 vcc_lo, exec_lo, s19
	s_cbranch_vccnz .LBB54_1254
; %bb.1253:
	s_wait_loadcnt 0x0
	global_load_b32 v0, v[2:3], off
	s_wait_loadcnt 0x0
	v_cvt_i32_f32_e32 v0, v0
.LBB54_1254:
	s_mov_b32 s19, 0
.LBB54_1255:
	s_delay_alu instid0(SALU_CYCLE_1)
	s_and_not1_b32 vcc_lo, exec_lo, s19
	s_cbranch_vccnz .LBB54_1257
; %bb.1256:
	s_wait_loadcnt 0x0
	global_load_b32 v0, v[2:3], off
	s_wait_loadcnt 0x0
	v_cvt_i16_f16_e32 v0, v0
.LBB54_1257:
	s_cbranch_execnz .LBB54_1268
.LBB54_1258:
	s_sext_i32_i16 s19, s0
	s_delay_alu instid0(SALU_CYCLE_1)
	s_cmp_lt_i32 s19, 6
	s_cbranch_scc1 .LBB54_1261
; %bb.1259:
	s_cmp_gt_i32 s19, 6
	s_cbranch_scc0 .LBB54_1262
; %bb.1260:
	s_wait_loadcnt 0x0
	global_load_b64 v[0:1], v[2:3], off
	s_mov_b32 s19, 0
	s_wait_loadcnt 0x0
	v_cvt_i32_f64_e32 v0, v[0:1]
	s_branch .LBB54_1263
.LBB54_1261:
	s_mov_b32 s19, -1
                                        ; implicit-def: $vgpr0
	s_branch .LBB54_1266
.LBB54_1262:
	s_mov_b32 s19, -1
                                        ; implicit-def: $vgpr0
.LBB54_1263:
	s_delay_alu instid0(SALU_CYCLE_1)
	s_and_not1_b32 vcc_lo, exec_lo, s19
	s_cbranch_vccnz .LBB54_1265
; %bb.1264:
	s_wait_loadcnt 0x0
	global_load_b32 v0, v[2:3], off
	s_wait_loadcnt 0x0
	v_cvt_i32_f32_e32 v0, v0
.LBB54_1265:
	s_mov_b32 s19, 0
.LBB54_1266:
	s_delay_alu instid0(SALU_CYCLE_1)
	s_and_not1_b32 vcc_lo, exec_lo, s19
	s_cbranch_vccnz .LBB54_1268
; %bb.1267:
	s_wait_loadcnt 0x0
	global_load_u16 v0, v[2:3], off
	s_wait_loadcnt 0x0
	v_cvt_i16_f16_e32 v0, v0
.LBB54_1268:
	s_cbranch_execnz .LBB54_1287
.LBB54_1269:
	s_sext_i32_i16 s19, s0
	s_delay_alu instid0(SALU_CYCLE_1)
	s_cmp_lt_i32 s19, 2
	s_cbranch_scc1 .LBB54_1273
; %bb.1270:
	s_cmp_lt_i32 s19, 3
	s_cbranch_scc1 .LBB54_1274
; %bb.1271:
	s_cmp_gt_i32 s19, 3
	s_cbranch_scc0 .LBB54_1275
; %bb.1272:
	s_wait_loadcnt 0x0
	global_load_b64 v[0:1], v[2:3], off
	s_mov_b32 s19, 0
	s_branch .LBB54_1276
.LBB54_1273:
                                        ; implicit-def: $vgpr0
	s_branch .LBB54_1282
.LBB54_1274:
	s_mov_b32 s19, -1
                                        ; implicit-def: $vgpr0
	s_branch .LBB54_1279
.LBB54_1275:
	s_mov_b32 s19, -1
                                        ; implicit-def: $vgpr0
.LBB54_1276:
	s_delay_alu instid0(SALU_CYCLE_1)
	s_and_not1_b32 vcc_lo, exec_lo, s19
	s_cbranch_vccnz .LBB54_1278
; %bb.1277:
	s_wait_loadcnt 0x0
	global_load_b32 v0, v[2:3], off
.LBB54_1278:
	s_mov_b32 s19, 0
.LBB54_1279:
	s_delay_alu instid0(SALU_CYCLE_1)
	s_and_not1_b32 vcc_lo, exec_lo, s19
	s_cbranch_vccnz .LBB54_1281
; %bb.1280:
	s_wait_loadcnt 0x0
	global_load_u16 v0, v[2:3], off
.LBB54_1281:
	s_cbranch_execnz .LBB54_1287
.LBB54_1282:
	s_sext_i32_i16 s0, s0
	s_delay_alu instid0(SALU_CYCLE_1)
	s_cmp_gt_i32 s0, 0
	s_mov_b32 s0, 0
	s_cbranch_scc0 .LBB54_1284
; %bb.1283:
	s_wait_loadcnt 0x0
	global_load_u8 v0, v[2:3], off
	s_branch .LBB54_1285
.LBB54_1284:
	s_mov_b32 s0, -1
                                        ; implicit-def: $vgpr0
.LBB54_1285:
	s_delay_alu instid0(SALU_CYCLE_1)
	s_and_not1_b32 vcc_lo, exec_lo, s0
	s_cbranch_vccnz .LBB54_1287
; %bb.1286:
	s_wait_loadcnt 0x0
	global_load_u8 v0, v[2:3], off
.LBB54_1287:
	s_or_b32 s21, s21, exec_lo
.LBB54_1288:
	s_wait_xcnt 0x0
	s_or_b32 exec_lo, exec_lo, s18
	s_mov_b32 s20, 0
	s_mov_b32 s22, 0
	;; [unrolled: 1-line block ×3, first 2 shown]
                                        ; implicit-def: $sgpr0
                                        ; implicit-def: $vgpr2_vgpr3
                                        ; implicit-def: $vgpr4
	s_and_saveexec_b32 s18, s21
	s_cbranch_execz .LBB54_1296
; %bb.1289:
	v_mul_lo_u32 v2, v10, s10
	s_and_b32 s0, s1, 0xff
	s_delay_alu instid0(SALU_CYCLE_1) | instskip(NEXT) | instid1(VALU_DEP_1)
	s_cmp_lt_i32 s0, 11
	v_ashrrev_i32_e32 v3, 31, v2
	s_delay_alu instid0(VALU_DEP_1)
	v_add_nc_u64_e32 v[2:3], s[2:3], v[2:3]
	s_cbranch_scc1 .LBB54_1299
; %bb.1290:
	s_and_b32 s19, 0xffff, s0
	s_mov_b32 s21, 0
	s_cmp_gt_i32 s19, 25
	s_cbranch_scc0 .LBB54_1300
; %bb.1291:
	s_cmp_gt_i32 s19, 28
	s_cbranch_scc0 .LBB54_1301
; %bb.1292:
	;; [unrolled: 3-line block ×4, first 2 shown]
	s_cmp_eq_u32 s19, 46
	s_mov_b32 s23, 0
	s_cbranch_scc0 .LBB54_1304
; %bb.1295:
	s_wait_loadcnt 0x0
	global_load_b32 v1, v[2:3], off
	s_mov_b32 s22, -1
	s_wait_loadcnt 0x0
	v_lshlrev_b32_e32 v1, 16, v1
	s_delay_alu instid0(VALU_DEP_1)
	v_cvt_i32_f32_e32 v4, v1
	s_branch .LBB54_1306
.LBB54_1296:
	s_or_b32 exec_lo, exec_lo, s18
	s_and_saveexec_b32 s18, s17
	s_cbranch_execnz .LBB54_1365
.LBB54_1297:
	s_or_b32 exec_lo, exec_lo, s18
	s_and_saveexec_b32 s17, s20
	s_delay_alu instid0(SALU_CYCLE_1)
	s_xor_b32 s17, exec_lo, s17
	s_cbranch_execz .LBB54_1366
.LBB54_1298:
	s_wait_loadcnt 0x0
	global_load_u8 v1, v[2:3], off
	s_or_b32 s19, s19, exec_lo
	s_wait_loadcnt 0x0
	v_cmp_ne_u16_e32 vcc_lo, 0, v1
	v_cndmask_b32_e64 v4, 0, 1, vcc_lo
	s_wait_xcnt 0x0
	s_or_b32 exec_lo, exec_lo, s17
	s_and_saveexec_b32 s17, s22
	s_cbranch_execz .LBB54_1412
	s_branch .LBB54_1367
.LBB54_1299:
	s_mov_b32 s23, -1
	s_mov_b32 s21, 0
	s_mov_b32 s20, s17
                                        ; implicit-def: $vgpr4
	s_branch .LBB54_1364
.LBB54_1300:
	s_mov_b32 s20, s17
                                        ; implicit-def: $vgpr4
	s_cbranch_execnz .LBB54_1333
	s_branch .LBB54_1363
.LBB54_1301:
	s_mov_b32 s23, -1
	s_mov_b32 s20, s17
                                        ; implicit-def: $vgpr4
	s_branch .LBB54_1316
.LBB54_1302:
	s_mov_b32 s23, -1
	s_mov_b32 s20, s17
                                        ; implicit-def: $vgpr4
	s_branch .LBB54_1311
.LBB54_1303:
	s_mov_b32 s23, -1
	s_mov_b32 s20, s17
	s_branch .LBB54_1305
.LBB54_1304:
	s_mov_b32 s20, -1
.LBB54_1305:
                                        ; implicit-def: $vgpr4
.LBB54_1306:
	s_and_b32 vcc_lo, exec_lo, s23
	s_cbranch_vccz .LBB54_1310
; %bb.1307:
	s_cmp_eq_u32 s19, 44
	s_cbranch_scc0 .LBB54_1309
; %bb.1308:
	s_wait_loadcnt 0x0
	global_load_u8 v1, v[2:3], off
	s_mov_b32 s20, 0
	s_mov_b32 s22, -1
	s_wait_loadcnt 0x0
	v_lshlrev_b32_e32 v4, 23, v1
	v_cmp_ne_u32_e32 vcc_lo, 0, v1
	s_delay_alu instid0(VALU_DEP_2) | instskip(NEXT) | instid1(VALU_DEP_1)
	v_cvt_i32_f32_e32 v4, v4
	v_cndmask_b32_e32 v4, 0, v4, vcc_lo
	s_branch .LBB54_1310
.LBB54_1309:
	s_mov_b32 s20, -1
                                        ; implicit-def: $vgpr4
.LBB54_1310:
	s_mov_b32 s23, 0
.LBB54_1311:
	s_delay_alu instid0(SALU_CYCLE_1)
	s_and_b32 vcc_lo, exec_lo, s23
	s_cbranch_vccz .LBB54_1315
; %bb.1312:
	s_cmp_eq_u32 s19, 29
	s_cbranch_scc0 .LBB54_1314
; %bb.1313:
	s_wait_loadcnt 0x0
	global_load_b64 v[4:5], v[2:3], off
	s_mov_b32 s20, 0
	s_mov_b32 s22, -1
	s_branch .LBB54_1315
.LBB54_1314:
	s_mov_b32 s20, -1
                                        ; implicit-def: $vgpr4
.LBB54_1315:
	s_mov_b32 s23, 0
.LBB54_1316:
	s_delay_alu instid0(SALU_CYCLE_1)
	s_and_b32 vcc_lo, exec_lo, s23
	s_cbranch_vccz .LBB54_1332
; %bb.1317:
	s_cmp_lt_i32 s19, 27
	s_cbranch_scc1 .LBB54_1320
; %bb.1318:
	s_cmp_gt_i32 s19, 27
	s_cbranch_scc0 .LBB54_1321
; %bb.1319:
	s_wait_loadcnt 0x0
	global_load_b32 v4, v[2:3], off
	s_mov_b32 s22, 0
	s_branch .LBB54_1322
.LBB54_1320:
	s_mov_b32 s22, -1
                                        ; implicit-def: $vgpr4
	s_branch .LBB54_1325
.LBB54_1321:
	s_mov_b32 s22, -1
                                        ; implicit-def: $vgpr4
.LBB54_1322:
	s_delay_alu instid0(SALU_CYCLE_1)
	s_and_not1_b32 vcc_lo, exec_lo, s22
	s_cbranch_vccnz .LBB54_1324
; %bb.1323:
	s_wait_loadcnt 0x0
	global_load_u16 v4, v[2:3], off
.LBB54_1324:
	s_mov_b32 s22, 0
.LBB54_1325:
	s_delay_alu instid0(SALU_CYCLE_1)
	s_and_not1_b32 vcc_lo, exec_lo, s22
	s_cbranch_vccnz .LBB54_1331
; %bb.1326:
	s_wait_loadcnt 0x0
	global_load_u8 v1, v[2:3], off
	s_mov_b32 s23, 0
	s_mov_b32 s22, exec_lo
	s_wait_loadcnt 0x0
	v_cmpx_lt_i16_e32 0x7f, v1
	s_xor_b32 s22, exec_lo, s22
	s_cbranch_execz .LBB54_1342
; %bb.1327:
	v_cmp_ne_u16_e32 vcc_lo, 0x80, v1
	s_and_b32 s23, vcc_lo, exec_lo
	s_and_not1_saveexec_b32 s22, s22
	s_cbranch_execnz .LBB54_1343
.LBB54_1328:
	s_or_b32 exec_lo, exec_lo, s22
	v_mov_b32_e32 v4, 0
	s_and_saveexec_b32 s22, s23
	s_cbranch_execz .LBB54_1330
.LBB54_1329:
	v_and_b32_e32 v4, 0xffff, v1
	s_delay_alu instid0(VALU_DEP_1) | instskip(SKIP_1) | instid1(VALU_DEP_2)
	v_and_b32_e32 v5, 7, v4
	v_bfe_u32 v8, v4, 3, 4
	v_clz_i32_u32_e32 v6, v5
	s_delay_alu instid0(VALU_DEP_2) | instskip(NEXT) | instid1(VALU_DEP_2)
	v_cmp_eq_u32_e32 vcc_lo, 0, v8
	v_min_u32_e32 v6, 32, v6
	s_delay_alu instid0(VALU_DEP_1) | instskip(NEXT) | instid1(VALU_DEP_1)
	v_subrev_nc_u32_e32 v7, 28, v6
	v_dual_lshlrev_b32 v4, v7, v4 :: v_dual_sub_nc_u32 v6, 29, v6
	s_delay_alu instid0(VALU_DEP_1) | instskip(NEXT) | instid1(VALU_DEP_1)
	v_dual_lshlrev_b32 v1, 24, v1 :: v_dual_bitop2_b32 v4, 7, v4 bitop3:0x40
	v_dual_cndmask_b32 v6, v8, v6, vcc_lo :: v_dual_cndmask_b32 v4, v5, v4, vcc_lo
	s_delay_alu instid0(VALU_DEP_2) | instskip(NEXT) | instid1(VALU_DEP_2)
	v_and_b32_e32 v1, 0x80000000, v1
	v_lshl_add_u32 v5, v6, 23, 0x3b800000
	s_delay_alu instid0(VALU_DEP_3) | instskip(NEXT) | instid1(VALU_DEP_1)
	v_lshlrev_b32_e32 v4, 20, v4
	v_or3_b32 v1, v1, v5, v4
	s_delay_alu instid0(VALU_DEP_1)
	v_cvt_i32_f32_e32 v4, v1
.LBB54_1330:
	s_or_b32 exec_lo, exec_lo, s22
.LBB54_1331:
	s_mov_b32 s22, -1
.LBB54_1332:
	s_branch .LBB54_1363
.LBB54_1333:
	s_cmp_gt_i32 s19, 22
	s_cbranch_scc0 .LBB54_1341
; %bb.1334:
	s_cmp_lt_i32 s19, 24
	s_cbranch_scc1 .LBB54_1344
; %bb.1335:
	s_cmp_gt_i32 s19, 24
	s_cbranch_scc0 .LBB54_1345
; %bb.1336:
	s_wait_loadcnt 0x0
	global_load_u8 v1, v[2:3], off
	s_mov_b32 s22, 0
	s_mov_b32 s21, exec_lo
	s_wait_loadcnt 0x0
	v_cmpx_lt_i16_e32 0x7f, v1
	s_xor_b32 s21, exec_lo, s21
	s_cbranch_execz .LBB54_1357
; %bb.1337:
	v_cmp_ne_u16_e32 vcc_lo, 0x80, v1
	s_and_b32 s22, vcc_lo, exec_lo
	s_and_not1_saveexec_b32 s21, s21
	s_cbranch_execnz .LBB54_1358
.LBB54_1338:
	s_or_b32 exec_lo, exec_lo, s21
	v_mov_b32_e32 v4, 0
	s_and_saveexec_b32 s21, s22
	s_cbranch_execz .LBB54_1340
.LBB54_1339:
	v_and_b32_e32 v4, 0xffff, v1
	s_delay_alu instid0(VALU_DEP_1) | instskip(SKIP_1) | instid1(VALU_DEP_2)
	v_and_b32_e32 v5, 3, v4
	v_bfe_u32 v8, v4, 2, 5
	v_clz_i32_u32_e32 v6, v5
	s_delay_alu instid0(VALU_DEP_2) | instskip(NEXT) | instid1(VALU_DEP_2)
	v_cmp_eq_u32_e32 vcc_lo, 0, v8
	v_min_u32_e32 v6, 32, v6
	s_delay_alu instid0(VALU_DEP_1) | instskip(NEXT) | instid1(VALU_DEP_1)
	v_subrev_nc_u32_e32 v7, 29, v6
	v_dual_lshlrev_b32 v4, v7, v4 :: v_dual_sub_nc_u32 v6, 30, v6
	s_delay_alu instid0(VALU_DEP_1) | instskip(NEXT) | instid1(VALU_DEP_1)
	v_dual_lshlrev_b32 v1, 24, v1 :: v_dual_bitop2_b32 v4, 3, v4 bitop3:0x40
	v_dual_cndmask_b32 v6, v8, v6, vcc_lo :: v_dual_cndmask_b32 v4, v5, v4, vcc_lo
	s_delay_alu instid0(VALU_DEP_2) | instskip(NEXT) | instid1(VALU_DEP_2)
	v_and_b32_e32 v1, 0x80000000, v1
	v_lshl_add_u32 v5, v6, 23, 0x37800000
	s_delay_alu instid0(VALU_DEP_3) | instskip(NEXT) | instid1(VALU_DEP_1)
	v_lshlrev_b32_e32 v4, 21, v4
	v_or3_b32 v1, v1, v5, v4
	s_delay_alu instid0(VALU_DEP_1)
	v_cvt_i32_f32_e32 v4, v1
.LBB54_1340:
	s_or_b32 exec_lo, exec_lo, s21
	s_mov_b32 s21, 0
	s_branch .LBB54_1346
.LBB54_1341:
	s_mov_b32 s21, -1
                                        ; implicit-def: $vgpr4
	s_branch .LBB54_1352
.LBB54_1342:
	s_and_not1_saveexec_b32 s22, s22
	s_cbranch_execz .LBB54_1328
.LBB54_1343:
	v_cmp_ne_u16_e32 vcc_lo, 0, v1
	s_and_not1_b32 s23, s23, exec_lo
	s_and_b32 s24, vcc_lo, exec_lo
	s_delay_alu instid0(SALU_CYCLE_1)
	s_or_b32 s23, s23, s24
	s_or_b32 exec_lo, exec_lo, s22
	v_mov_b32_e32 v4, 0
	s_and_saveexec_b32 s22, s23
	s_cbranch_execnz .LBB54_1329
	s_branch .LBB54_1330
.LBB54_1344:
	s_mov_b32 s21, -1
                                        ; implicit-def: $vgpr4
	s_branch .LBB54_1349
.LBB54_1345:
	s_mov_b32 s21, -1
                                        ; implicit-def: $vgpr4
.LBB54_1346:
	s_delay_alu instid0(SALU_CYCLE_1)
	s_and_b32 vcc_lo, exec_lo, s21
	s_cbranch_vccz .LBB54_1348
; %bb.1347:
	s_wait_loadcnt 0x0
	global_load_u8 v1, v[2:3], off
	s_wait_loadcnt 0x0
	v_lshlrev_b32_e32 v1, 24, v1
	s_delay_alu instid0(VALU_DEP_1) | instskip(NEXT) | instid1(VALU_DEP_1)
	v_and_b32_e32 v4, 0x7f000000, v1
	v_clz_i32_u32_e32 v5, v4
	v_cmp_ne_u32_e32 vcc_lo, 0, v4
	v_add_nc_u32_e32 v7, 0x1000000, v4
	s_delay_alu instid0(VALU_DEP_3) | instskip(NEXT) | instid1(VALU_DEP_1)
	v_min_u32_e32 v5, 32, v5
	v_sub_nc_u32_e64 v5, v5, 4 clamp
	s_delay_alu instid0(VALU_DEP_1) | instskip(NEXT) | instid1(VALU_DEP_1)
	v_dual_lshlrev_b32 v6, v5, v4 :: v_dual_lshlrev_b32 v5, 23, v5
	v_lshrrev_b32_e32 v6, 4, v6
	s_delay_alu instid0(VALU_DEP_1) | instskip(NEXT) | instid1(VALU_DEP_1)
	v_dual_sub_nc_u32 v5, v6, v5 :: v_dual_ashrrev_i32 v6, 8, v7
	v_add_nc_u32_e32 v5, 0x3c000000, v5
	s_delay_alu instid0(VALU_DEP_1) | instskip(NEXT) | instid1(VALU_DEP_1)
	v_and_or_b32 v5, 0x7f800000, v6, v5
	v_cndmask_b32_e32 v4, 0, v5, vcc_lo
	s_delay_alu instid0(VALU_DEP_1) | instskip(NEXT) | instid1(VALU_DEP_1)
	v_and_or_b32 v1, 0x80000000, v1, v4
	v_cvt_i32_f32_e32 v4, v1
.LBB54_1348:
	s_mov_b32 s21, 0
.LBB54_1349:
	s_delay_alu instid0(SALU_CYCLE_1)
	s_and_not1_b32 vcc_lo, exec_lo, s21
	s_cbranch_vccnz .LBB54_1351
; %bb.1350:
	s_wait_loadcnt 0x0
	global_load_u8 v1, v[2:3], off
	s_wait_loadcnt 0x0
	v_lshlrev_b32_e32 v4, 25, v1
	v_lshlrev_b16 v1, 8, v1
	s_delay_alu instid0(VALU_DEP_1) | instskip(SKIP_1) | instid1(VALU_DEP_2)
	v_and_or_b32 v6, 0x7f00, v1, 0.5
	v_bfe_i32 v1, v1, 0, 16
	v_dual_add_f32 v6, -0.5, v6 :: v_dual_lshrrev_b32 v5, 4, v4
	v_cmp_gt_u32_e32 vcc_lo, 0x8000000, v4
	s_delay_alu instid0(VALU_DEP_2) | instskip(NEXT) | instid1(VALU_DEP_1)
	v_or_b32_e32 v5, 0x70000000, v5
	v_mul_f32_e32 v5, 0x7800000, v5
	s_delay_alu instid0(VALU_DEP_1) | instskip(NEXT) | instid1(VALU_DEP_1)
	v_cndmask_b32_e32 v4, v5, v6, vcc_lo
	v_and_or_b32 v1, 0x80000000, v1, v4
	s_delay_alu instid0(VALU_DEP_1)
	v_cvt_i32_f32_e32 v4, v1
.LBB54_1351:
	s_mov_b32 s21, 0
	s_mov_b32 s22, -1
.LBB54_1352:
	s_and_not1_b32 vcc_lo, exec_lo, s21
	s_mov_b32 s21, 0
	s_cbranch_vccnz .LBB54_1363
; %bb.1353:
	s_cmp_gt_i32 s19, 14
	s_cbranch_scc0 .LBB54_1356
; %bb.1354:
	s_cmp_eq_u32 s19, 15
	s_cbranch_scc0 .LBB54_1359
; %bb.1355:
	s_wait_loadcnt 0x0
	global_load_u16 v1, v[2:3], off
	s_mov_b32 s20, 0
	s_mov_b32 s22, -1
	s_wait_loadcnt 0x0
	v_lshlrev_b32_e32 v1, 16, v1
	s_delay_alu instid0(VALU_DEP_1)
	v_cvt_i32_f32_e32 v4, v1
	s_branch .LBB54_1361
.LBB54_1356:
	s_mov_b32 s21, -1
	s_branch .LBB54_1360
.LBB54_1357:
	s_and_not1_saveexec_b32 s21, s21
	s_cbranch_execz .LBB54_1338
.LBB54_1358:
	v_cmp_ne_u16_e32 vcc_lo, 0, v1
	s_and_not1_b32 s22, s22, exec_lo
	s_and_b32 s23, vcc_lo, exec_lo
	s_delay_alu instid0(SALU_CYCLE_1)
	s_or_b32 s22, s22, s23
	s_or_b32 exec_lo, exec_lo, s21
	v_mov_b32_e32 v4, 0
	s_and_saveexec_b32 s21, s22
	s_cbranch_execnz .LBB54_1339
	s_branch .LBB54_1340
.LBB54_1359:
	s_mov_b32 s20, -1
.LBB54_1360:
                                        ; implicit-def: $vgpr4
.LBB54_1361:
	s_and_b32 vcc_lo, exec_lo, s21
	s_mov_b32 s21, 0
	s_cbranch_vccz .LBB54_1363
; %bb.1362:
	s_cmp_lg_u32 s19, 11
	s_mov_b32 s21, -1
	s_cselect_b32 s19, -1, 0
	s_and_not1_b32 s20, s20, exec_lo
	s_and_b32 s19, s19, exec_lo
	s_delay_alu instid0(SALU_CYCLE_1)
	s_or_b32 s20, s20, s19
.LBB54_1363:
	s_mov_b32 s23, 0
.LBB54_1364:
	s_and_b32 s19, s22, exec_lo
	s_and_b32 s22, s23, exec_lo
	s_and_not1_b32 s17, s17, exec_lo
	s_and_b32 s23, s20, exec_lo
	s_and_b32 s20, s21, exec_lo
	s_or_b32 s17, s17, s23
	s_wait_xcnt 0x0
	s_or_b32 exec_lo, exec_lo, s18
	s_and_saveexec_b32 s18, s17
	s_cbranch_execz .LBB54_1297
.LBB54_1365:
	s_or_b32 s16, s16, exec_lo
	s_and_not1_b32 s20, s20, exec_lo
	s_trap 2
	s_or_b32 exec_lo, exec_lo, s18
	s_and_saveexec_b32 s17, s20
	s_delay_alu instid0(SALU_CYCLE_1)
	s_xor_b32 s17, exec_lo, s17
	s_cbranch_execnz .LBB54_1298
.LBB54_1366:
	s_or_b32 exec_lo, exec_lo, s17
	s_and_saveexec_b32 s17, s22
	s_cbranch_execz .LBB54_1412
.LBB54_1367:
	s_sext_i32_i16 s18, s0
	s_delay_alu instid0(SALU_CYCLE_1)
	s_cmp_lt_i32 s18, 5
	s_cbranch_scc1 .LBB54_1372
; %bb.1368:
	s_cmp_lt_i32 s18, 8
	s_cbranch_scc1 .LBB54_1373
; %bb.1369:
	;; [unrolled: 3-line block ×3, first 2 shown]
	s_cmp_gt_i32 s18, 9
	s_cbranch_scc0 .LBB54_1375
; %bb.1371:
	s_wait_loadcnt 0x0
	global_load_b64 v[4:5], v[2:3], off
	s_mov_b32 s18, 0
	s_wait_loadcnt 0x0
	v_cvt_i32_f64_e32 v4, v[4:5]
	s_branch .LBB54_1376
.LBB54_1372:
                                        ; implicit-def: $vgpr4
	s_branch .LBB54_1393
.LBB54_1373:
                                        ; implicit-def: $vgpr4
	s_branch .LBB54_1382
.LBB54_1374:
	s_mov_b32 s18, -1
                                        ; implicit-def: $vgpr4
	s_branch .LBB54_1379
.LBB54_1375:
	s_mov_b32 s18, -1
                                        ; implicit-def: $vgpr4
.LBB54_1376:
	s_delay_alu instid0(SALU_CYCLE_1)
	s_and_not1_b32 vcc_lo, exec_lo, s18
	s_cbranch_vccnz .LBB54_1378
; %bb.1377:
	s_wait_loadcnt 0x0
	global_load_b32 v1, v[2:3], off
	s_wait_loadcnt 0x0
	v_cvt_i32_f32_e32 v4, v1
.LBB54_1378:
	s_mov_b32 s18, 0
.LBB54_1379:
	s_delay_alu instid0(SALU_CYCLE_1)
	s_and_not1_b32 vcc_lo, exec_lo, s18
	s_cbranch_vccnz .LBB54_1381
; %bb.1380:
	s_wait_loadcnt 0x0
	global_load_b32 v1, v[2:3], off
	s_wait_loadcnt 0x0
	v_cvt_i16_f16_e32 v4, v1
.LBB54_1381:
	s_cbranch_execnz .LBB54_1392
.LBB54_1382:
	s_sext_i32_i16 s18, s0
	s_delay_alu instid0(SALU_CYCLE_1)
	s_cmp_lt_i32 s18, 6
	s_cbranch_scc1 .LBB54_1385
; %bb.1383:
	s_cmp_gt_i32 s18, 6
	s_cbranch_scc0 .LBB54_1386
; %bb.1384:
	s_wait_loadcnt 0x0
	global_load_b64 v[4:5], v[2:3], off
	s_mov_b32 s18, 0
	s_wait_loadcnt 0x0
	v_cvt_i32_f64_e32 v4, v[4:5]
	s_branch .LBB54_1387
.LBB54_1385:
	s_mov_b32 s18, -1
                                        ; implicit-def: $vgpr4
	s_branch .LBB54_1390
.LBB54_1386:
	s_mov_b32 s18, -1
                                        ; implicit-def: $vgpr4
.LBB54_1387:
	s_delay_alu instid0(SALU_CYCLE_1)
	s_and_not1_b32 vcc_lo, exec_lo, s18
	s_cbranch_vccnz .LBB54_1389
; %bb.1388:
	s_wait_loadcnt 0x0
	global_load_b32 v1, v[2:3], off
	s_wait_loadcnt 0x0
	v_cvt_i32_f32_e32 v4, v1
.LBB54_1389:
	s_mov_b32 s18, 0
.LBB54_1390:
	s_delay_alu instid0(SALU_CYCLE_1)
	s_and_not1_b32 vcc_lo, exec_lo, s18
	s_cbranch_vccnz .LBB54_1392
; %bb.1391:
	s_wait_loadcnt 0x0
	global_load_u16 v1, v[2:3], off
	s_wait_loadcnt 0x0
	v_cvt_i16_f16_e32 v4, v1
.LBB54_1392:
	s_cbranch_execnz .LBB54_1411
.LBB54_1393:
	s_sext_i32_i16 s18, s0
	s_delay_alu instid0(SALU_CYCLE_1)
	s_cmp_lt_i32 s18, 2
	s_cbranch_scc1 .LBB54_1397
; %bb.1394:
	s_cmp_lt_i32 s18, 3
	s_cbranch_scc1 .LBB54_1398
; %bb.1395:
	s_cmp_gt_i32 s18, 3
	s_cbranch_scc0 .LBB54_1399
; %bb.1396:
	s_wait_loadcnt 0x0
	global_load_b64 v[4:5], v[2:3], off
	s_mov_b32 s18, 0
	s_branch .LBB54_1400
.LBB54_1397:
                                        ; implicit-def: $vgpr4
	s_branch .LBB54_1406
.LBB54_1398:
	s_mov_b32 s18, -1
                                        ; implicit-def: $vgpr4
	s_branch .LBB54_1403
.LBB54_1399:
	s_mov_b32 s18, -1
                                        ; implicit-def: $vgpr4
.LBB54_1400:
	s_delay_alu instid0(SALU_CYCLE_1)
	s_and_not1_b32 vcc_lo, exec_lo, s18
	s_cbranch_vccnz .LBB54_1402
; %bb.1401:
	s_wait_loadcnt 0x0
	global_load_b32 v4, v[2:3], off
.LBB54_1402:
	s_mov_b32 s18, 0
.LBB54_1403:
	s_delay_alu instid0(SALU_CYCLE_1)
	s_and_not1_b32 vcc_lo, exec_lo, s18
	s_cbranch_vccnz .LBB54_1405
; %bb.1404:
	s_wait_loadcnt 0x0
	global_load_u16 v4, v[2:3], off
.LBB54_1405:
	s_cbranch_execnz .LBB54_1411
.LBB54_1406:
	s_sext_i32_i16 s0, s0
	s_delay_alu instid0(SALU_CYCLE_1)
	s_cmp_gt_i32 s0, 0
	s_mov_b32 s0, 0
	s_cbranch_scc0 .LBB54_1408
; %bb.1407:
	s_wait_loadcnt 0x0
	global_load_u8 v4, v[2:3], off
	s_branch .LBB54_1409
.LBB54_1408:
	s_mov_b32 s0, -1
                                        ; implicit-def: $vgpr4
.LBB54_1409:
	s_delay_alu instid0(SALU_CYCLE_1)
	s_and_not1_b32 vcc_lo, exec_lo, s0
	s_cbranch_vccnz .LBB54_1411
; %bb.1410:
	s_wait_loadcnt 0x0
	global_load_u8 v4, v[2:3], off
.LBB54_1411:
	s_or_b32 s19, s19, exec_lo
.LBB54_1412:
	s_wait_xcnt 0x0
	s_or_b32 exec_lo, exec_lo, s17
	s_mov_b32 s0, 0
	s_mov_b32 s20, 0
                                        ; implicit-def: $sgpr17
                                        ; implicit-def: $vgpr2_vgpr3
                                        ; implicit-def: $vgpr1
	s_and_saveexec_b32 s18, s19
	s_cbranch_execz .LBB54_1426
; %bb.1413:
	s_wait_loadcnt 0x0
	s_delay_alu instid0(VALU_DEP_1)
	v_bfe_i32 v2, v4, 0, 8
	v_and_b32_e32 v1, 0xff, v0
	v_bfe_i32 v0, v0, 0, 8
	s_mov_b32 s17, 0
	s_mov_b32 s0, exec_lo
	v_sub_nc_u16 v3, 0, v2
	s_delay_alu instid0(VALU_DEP_1)
	v_max_i16 v3, v2, v3
	v_cmpx_ne_u16_e32 0, v1
	s_cbranch_execz .LBB54_1417
; %bb.1414:
	v_sub_nc_u16 v1, 0, v0
	s_delay_alu instid0(VALU_DEP_1) | instskip(SKIP_1) | instid1(VALU_DEP_2)
	v_max_i16 v4, v0, v1
	v_and_b32_e32 v1, 0xff, v3
	v_and_b32_e32 v4, 0xffff, v4
.LBB54_1415:                            ; =>This Inner Loop Header: Depth=1
	s_delay_alu instid0(VALU_DEP_2) | instskip(NEXT) | instid1(VALU_DEP_2)
	v_bfe_i32 v6, v1, 0, 8
	v_mov_b32_e32 v3, v4
	s_delay_alu instid0(VALU_DEP_2) | instskip(NEXT) | instid1(VALU_DEP_2)
	v_cvt_f32_i32_e32 v8, v6
	v_bfe_i32 v4, v3, 0, 8
	s_delay_alu instid0(VALU_DEP_1) | instskip(SKIP_1) | instid1(VALU_DEP_2)
	v_cvt_f32_i32_e32 v5, v4
	v_xor_b32_e32 v4, v6, v4
	v_rcp_iflag_f32_e32 v7, v5
	v_nop
	s_delay_alu instid0(TRANS32_DEP_1) | instskip(NEXT) | instid1(VALU_DEP_1)
	v_dual_ashrrev_i32 v4, 30, v4 :: v_dual_mul_f32 v6, v8, v7
	v_trunc_f32_e32 v6, v6
	s_delay_alu instid0(VALU_DEP_1) | instskip(SKIP_1) | instid1(VALU_DEP_2)
	v_dual_fma_f32 v7, -v6, v5, v8 :: v_dual_bitop2_b32 v4, 1, v4 bitop3:0x54
	v_cvt_i32_f32_e32 v6, v6
	v_cmp_ge_f32_e64 vcc_lo, |v7|, |v5|
	s_delay_alu instid0(VALU_DEP_3) | instskip(NEXT) | instid1(VALU_DEP_1)
	v_cndmask_b32_e32 v4, 0, v4, vcc_lo
	v_add_nc_u32_e32 v4, v6, v4
	s_delay_alu instid0(VALU_DEP_1) | instskip(NEXT) | instid1(VALU_DEP_1)
	v_mul_lo_u32 v4, v4, v3
	v_sub_nc_u32_e32 v1, v1, v4
	s_delay_alu instid0(VALU_DEP_1) | instskip(SKIP_1) | instid1(VALU_DEP_2)
	v_bfe_i32 v4, v1, 0, 8
	v_mov_b32_e32 v1, v3
	v_cmp_eq_u16_e32 vcc_lo, 0, v4
	v_and_b32_e32 v4, 0xffff, v4
	s_or_b32 s17, vcc_lo, s17
	s_delay_alu instid0(SALU_CYCLE_1)
	s_and_not1_b32 exec_lo, exec_lo, s17
	s_cbranch_execnz .LBB54_1415
; %bb.1416:
	s_or_b32 exec_lo, exec_lo, s17
.LBB54_1417:
	s_delay_alu instid0(SALU_CYCLE_1) | instskip(NEXT) | instid1(VALU_DEP_2)
	s_or_b32 exec_lo, exec_lo, s0
	v_and_b32_e32 v4, 0xff, v3
	v_mov_b32_e32 v1, 0
	s_mov_b32 s0, exec_lo
	s_delay_alu instid0(VALU_DEP_2)
	v_cmpx_ne_u16_e32 0, v4
	s_cbranch_execz .LBB54_1419
; %bb.1418:
	v_bfe_i32 v1, v3, 0, 8
	v_cvt_f32_i32_e32 v5, v0
	s_delay_alu instid0(VALU_DEP_2) | instskip(SKIP_1) | instid1(VALU_DEP_2)
	v_cvt_f32_i32_e32 v3, v1
	v_xor_b32_e32 v0, v0, v1
	v_rcp_iflag_f32_e32 v4, v3
	v_nop
	s_delay_alu instid0(TRANS32_DEP_1) | instskip(NEXT) | instid1(VALU_DEP_1)
	v_mul_f32_e32 v4, v5, v4
	v_trunc_f32_e32 v1, v4
	s_delay_alu instid0(VALU_DEP_1) | instskip(NEXT) | instid1(VALU_DEP_1)
	v_dual_ashrrev_i32 v0, 30, v0 :: v_dual_fma_f32 v4, -v1, v3, v5
	v_or_b32_e32 v0, 1, v0
	v_cvt_i32_f32_e32 v1, v1
	s_delay_alu instid0(VALU_DEP_3) | instskip(NEXT) | instid1(VALU_DEP_3)
	v_cmp_ge_f32_e64 vcc_lo, |v4|, |v3|
	v_cndmask_b32_e32 v0, 0, v0, vcc_lo
	s_delay_alu instid0(VALU_DEP_1) | instskip(NEXT) | instid1(VALU_DEP_1)
	v_add_nc_u32_e32 v0, v1, v0
	v_bfe_i32 v0, v0, 0, 8
	s_delay_alu instid0(VALU_DEP_1) | instskip(NEXT) | instid1(VALU_DEP_1)
	v_mul_i32_i24_e32 v0, v0, v2
	v_sub_nc_u32_e32 v1, 0, v0
	s_delay_alu instid0(VALU_DEP_1)
	v_max_i32_e32 v1, v0, v1
.LBB54_1419:
	s_or_b32 exec_lo, exec_lo, s0
	v_mul_lo_u32 v2, v10, s8
	s_and_b32 s17, s11, 0xff
	s_delay_alu instid0(SALU_CYCLE_1) | instskip(NEXT) | instid1(VALU_DEP_1)
	s_cmp_lt_i32 s17, 11
	v_ashrrev_i32_e32 v3, 31, v2
	s_delay_alu instid0(VALU_DEP_1)
	v_add_nc_u64_e32 v[2:3], s[4:5], v[2:3]
	s_cbranch_scc1 .LBB54_1429
; %bb.1420:
	s_and_b32 s19, 0xffff, s17
	s_mov_b32 s20, -1
	s_cmp_gt_i32 s19, 25
	s_mov_b32 s0, s15
	s_cbranch_scc0 .LBB54_1457
; %bb.1421:
	s_cmp_gt_i32 s19, 28
	s_mov_b32 s0, s15
	s_cbranch_scc0 .LBB54_1441
; %bb.1422:
	;; [unrolled: 4-line block ×4, first 2 shown]
	s_cmp_eq_u32 s19, 46
	s_mov_b32 s0, -1
	s_cbranch_scc0 .LBB54_1430
; %bb.1425:
	v_bfe_i32 v0, v1, 0, 8
	s_mov_b32 s0, 0
	s_mov_b32 s20, 0
	s_delay_alu instid0(VALU_DEP_1) | instskip(NEXT) | instid1(VALU_DEP_1)
	v_bfe_i32 v0, v0, 0, 16
	v_cvt_f32_i32_e32 v0, v0
	s_delay_alu instid0(VALU_DEP_1) | instskip(NEXT) | instid1(VALU_DEP_1)
	v_bfe_u32 v4, v0, 16, 1
	v_add3_u32 v0, v0, v4, 0x7fff
	s_delay_alu instid0(VALU_DEP_1)
	v_lshrrev_b32_e32 v0, 16, v0
	global_store_b32 v[2:3], v0, off
	s_branch .LBB54_1431
.LBB54_1426:
	s_or_b32 exec_lo, exec_lo, s18
	s_and_saveexec_b32 s18, s15
	s_cbranch_execnz .LBB54_1499
.LBB54_1427:
	s_or_b32 exec_lo, exec_lo, s18
	s_and_saveexec_b32 s15, s0
	s_delay_alu instid0(SALU_CYCLE_1)
	s_xor_b32 s0, exec_lo, s15
	s_cbranch_execz .LBB54_1500
.LBB54_1428:
	s_wait_loadcnt 0x0
	v_and_b32_e32 v0, 0xff, v1
	s_delay_alu instid0(VALU_DEP_1)
	v_cmp_ne_u16_e32 vcc_lo, 0, v0
	v_cndmask_b32_e64 v0, 0, 1, vcc_lo
	global_store_b8 v[2:3], v0, off
	s_wait_xcnt 0x0
	s_or_b32 exec_lo, exec_lo, s0
	s_and_saveexec_b32 s0, s20
	s_delay_alu instid0(SALU_CYCLE_1)
	s_xor_b32 s0, exec_lo, s0
	s_cbranch_execz .LBB54_1538
	s_branch .LBB54_1501
.LBB54_1429:
	s_mov_b32 s21, 0
	s_mov_b32 s20, -1
	s_mov_b32 s0, s15
	s_branch .LBB54_1498
.LBB54_1430:
	s_mov_b32 s20, 0
.LBB54_1431:
	s_delay_alu instid0(SALU_CYCLE_1)
	s_and_b32 vcc_lo, exec_lo, s20
	s_cbranch_vccz .LBB54_1436
; %bb.1432:
	s_cmp_eq_u32 s19, 44
	s_mov_b32 s0, -1
	s_cbranch_scc0 .LBB54_1436
; %bb.1433:
	s_wait_xcnt 0x0
	v_bfe_i32 v0, v1, 0, 8
	v_mov_b32_e32 v4, 0xff
	s_mov_b32 s20, exec_lo
	s_delay_alu instid0(VALU_DEP_2) | instskip(NEXT) | instid1(VALU_DEP_1)
	v_bfe_i32 v0, v0, 0, 16
	v_cvt_f32_i32_e32 v0, v0
	s_delay_alu instid0(VALU_DEP_1) | instskip(NEXT) | instid1(VALU_DEP_1)
	v_bfe_u32 v5, v0, 23, 8
	v_cmpx_ne_u32_e32 0xff, v5
	s_cbranch_execz .LBB54_1435
; %bb.1434:
	v_and_b32_e32 v4, 0x400000, v0
	v_and_or_b32 v5, 0x3fffff, v0, v5
	v_lshrrev_b32_e32 v0, 23, v0
	s_delay_alu instid0(VALU_DEP_3) | instskip(NEXT) | instid1(VALU_DEP_3)
	v_cmp_ne_u32_e32 vcc_lo, 0, v4
	v_cmp_ne_u32_e64 s0, 0, v5
	s_and_b32 s0, vcc_lo, s0
	s_delay_alu instid0(SALU_CYCLE_1) | instskip(NEXT) | instid1(VALU_DEP_1)
	v_cndmask_b32_e64 v4, 0, 1, s0
	v_add_nc_u32_e32 v4, v0, v4
.LBB54_1435:
	s_or_b32 exec_lo, exec_lo, s20
	s_mov_b32 s0, 0
	global_store_b8 v[2:3], v4, off
.LBB54_1436:
	s_mov_b32 s20, 0
.LBB54_1437:
	s_delay_alu instid0(SALU_CYCLE_1)
	s_and_b32 vcc_lo, exec_lo, s20
	s_cbranch_vccz .LBB54_1440
; %bb.1438:
	s_cmp_eq_u32 s19, 29
	s_mov_b32 s0, -1
	s_cbranch_scc0 .LBB54_1440
; %bb.1439:
	s_wait_xcnt 0x0
	v_bfe_i32 v4, v1, 0, 8
	s_mov_b32 s0, 0
	s_mov_b32 s20, 0
	s_delay_alu instid0(VALU_DEP_1)
	v_ashrrev_i32_e32 v5, 31, v4
	global_store_b64 v[2:3], v[4:5], off
	s_branch .LBB54_1441
.LBB54_1440:
	s_mov_b32 s20, 0
.LBB54_1441:
	s_delay_alu instid0(SALU_CYCLE_1)
	s_and_b32 vcc_lo, exec_lo, s20
	s_cbranch_vccz .LBB54_1456
; %bb.1442:
	s_cmp_lt_i32 s19, 27
	s_mov_b32 s20, -1
	s_cbranch_scc1 .LBB54_1448
; %bb.1443:
	s_cmp_gt_i32 s19, 27
	s_cbranch_scc0 .LBB54_1445
; %bb.1444:
	s_wait_xcnt 0x0
	v_bfe_i32 v0, v1, 0, 8
	s_mov_b32 s20, 0
	global_store_b32 v[2:3], v0, off
.LBB54_1445:
	s_and_not1_b32 vcc_lo, exec_lo, s20
	s_cbranch_vccnz .LBB54_1447
; %bb.1446:
	s_wait_xcnt 0x0
	v_bfe_i32 v0, v1, 0, 8
	global_store_b16 v[2:3], v0, off
.LBB54_1447:
	s_mov_b32 s20, 0
.LBB54_1448:
	s_delay_alu instid0(SALU_CYCLE_1)
	s_and_not1_b32 vcc_lo, exec_lo, s20
	s_cbranch_vccnz .LBB54_1456
; %bb.1449:
	s_wait_xcnt 0x0
	v_bfe_i32 v0, v1, 0, 8
	v_mov_b32_e32 v5, 0x80
	s_mov_b32 s20, exec_lo
	s_delay_alu instid0(VALU_DEP_2) | instskip(NEXT) | instid1(VALU_DEP_1)
	v_bfe_i32 v0, v0, 0, 16
	v_cvt_f32_i32_e32 v0, v0
	s_delay_alu instid0(VALU_DEP_1) | instskip(NEXT) | instid1(VALU_DEP_1)
	v_and_b32_e32 v4, 0x7fffffff, v0
	v_cmpx_gt_u32_e32 0x43800000, v4
	s_cbranch_execz .LBB54_1455
; %bb.1450:
	v_cmp_lt_u32_e32 vcc_lo, 0x3bffffff, v4
	s_mov_b32 s21, 0
                                        ; implicit-def: $vgpr4
	s_and_saveexec_b32 s22, vcc_lo
	s_delay_alu instid0(SALU_CYCLE_1)
	s_xor_b32 s22, exec_lo, s22
	s_cbranch_execz .LBB54_1553
; %bb.1451:
	v_bfe_u32 v4, v0, 20, 1
	s_mov_b32 s21, exec_lo
	s_delay_alu instid0(VALU_DEP_1) | instskip(NEXT) | instid1(VALU_DEP_1)
	v_add3_u32 v4, v0, v4, 0x487ffff
	v_lshrrev_b32_e32 v4, 20, v4
	s_and_not1_saveexec_b32 s22, s22
	s_cbranch_execnz .LBB54_1554
.LBB54_1452:
	s_or_b32 exec_lo, exec_lo, s22
	v_mov_b32_e32 v5, 0
	s_and_saveexec_b32 s22, s21
.LBB54_1453:
	v_lshrrev_b32_e32 v0, 24, v0
	s_delay_alu instid0(VALU_DEP_1)
	v_and_or_b32 v5, 0x80, v0, v4
.LBB54_1454:
	s_or_b32 exec_lo, exec_lo, s22
.LBB54_1455:
	s_delay_alu instid0(SALU_CYCLE_1)
	s_or_b32 exec_lo, exec_lo, s20
	global_store_b8 v[2:3], v5, off
.LBB54_1456:
	s_mov_b32 s20, 0
.LBB54_1457:
	s_delay_alu instid0(SALU_CYCLE_1)
	s_and_b32 vcc_lo, exec_lo, s20
	s_mov_b32 s20, 0
	s_cbranch_vccz .LBB54_1497
; %bb.1458:
	s_cmp_gt_i32 s19, 22
	s_mov_b32 s21, -1
	s_cbranch_scc0 .LBB54_1490
; %bb.1459:
	s_cmp_lt_i32 s19, 24
	s_cbranch_scc1 .LBB54_1479
; %bb.1460:
	s_cmp_gt_i32 s19, 24
	s_cbranch_scc0 .LBB54_1468
; %bb.1461:
	s_wait_xcnt 0x0
	v_bfe_i32 v0, v1, 0, 8
	v_mov_b32_e32 v5, 0x80
	s_mov_b32 s21, exec_lo
	s_delay_alu instid0(VALU_DEP_2) | instskip(NEXT) | instid1(VALU_DEP_1)
	v_bfe_i32 v0, v0, 0, 16
	v_cvt_f32_i32_e32 v0, v0
	s_delay_alu instid0(VALU_DEP_1) | instskip(NEXT) | instid1(VALU_DEP_1)
	v_and_b32_e32 v4, 0x7fffffff, v0
	v_cmpx_gt_u32_e32 0x47800000, v4
	s_cbranch_execz .LBB54_1467
; %bb.1462:
	v_cmp_lt_u32_e32 vcc_lo, 0x37ffffff, v4
	s_mov_b32 s22, 0
                                        ; implicit-def: $vgpr4
	s_and_saveexec_b32 s23, vcc_lo
	s_delay_alu instid0(SALU_CYCLE_1)
	s_xor_b32 s23, exec_lo, s23
	s_cbranch_execz .LBB54_1674
; %bb.1463:
	v_bfe_u32 v4, v0, 21, 1
	s_mov_b32 s22, exec_lo
	s_delay_alu instid0(VALU_DEP_1) | instskip(NEXT) | instid1(VALU_DEP_1)
	v_add3_u32 v4, v0, v4, 0x88fffff
	v_lshrrev_b32_e32 v4, 21, v4
	s_and_not1_saveexec_b32 s23, s23
	s_cbranch_execnz .LBB54_1675
.LBB54_1464:
	s_or_b32 exec_lo, exec_lo, s23
	v_mov_b32_e32 v5, 0
	s_and_saveexec_b32 s23, s22
.LBB54_1465:
	v_lshrrev_b32_e32 v0, 24, v0
	s_delay_alu instid0(VALU_DEP_1)
	v_and_or_b32 v5, 0x80, v0, v4
.LBB54_1466:
	s_or_b32 exec_lo, exec_lo, s23
.LBB54_1467:
	s_delay_alu instid0(SALU_CYCLE_1)
	s_or_b32 exec_lo, exec_lo, s21
	s_mov_b32 s21, 0
	global_store_b8 v[2:3], v5, off
.LBB54_1468:
	s_and_b32 vcc_lo, exec_lo, s21
	s_cbranch_vccz .LBB54_1478
; %bb.1469:
	s_wait_xcnt 0x0
	v_bfe_i32 v0, v1, 0, 8
	s_mov_b32 s21, exec_lo
                                        ; implicit-def: $vgpr4
	s_delay_alu instid0(VALU_DEP_1) | instskip(NEXT) | instid1(VALU_DEP_1)
	v_bfe_i32 v0, v0, 0, 16
	v_cvt_f32_i32_e32 v0, v0
	s_delay_alu instid0(VALU_DEP_1) | instskip(NEXT) | instid1(VALU_DEP_1)
	v_and_b32_e32 v5, 0x7fffffff, v0
	v_cmpx_gt_u32_e32 0x43f00000, v5
	s_xor_b32 s21, exec_lo, s21
	s_cbranch_execz .LBB54_1475
; %bb.1470:
	s_mov_b32 s22, exec_lo
                                        ; implicit-def: $vgpr4
	v_cmpx_lt_u32_e32 0x3c7fffff, v5
	s_xor_b32 s22, exec_lo, s22
; %bb.1471:
	v_bfe_u32 v4, v0, 20, 1
	s_delay_alu instid0(VALU_DEP_1) | instskip(NEXT) | instid1(VALU_DEP_1)
	v_add3_u32 v4, v0, v4, 0x407ffff
	v_and_b32_e32 v5, 0xff00000, v4
	v_lshrrev_b32_e32 v4, 20, v4
	s_delay_alu instid0(VALU_DEP_2) | instskip(NEXT) | instid1(VALU_DEP_2)
	v_cmp_ne_u32_e32 vcc_lo, 0x7f00000, v5
	v_cndmask_b32_e32 v4, 0x7e, v4, vcc_lo
; %bb.1472:
	s_and_not1_saveexec_b32 s22, s22
; %bb.1473:
	v_add_f32_e64 v4, 0x46800000, |v0|
; %bb.1474:
	s_or_b32 exec_lo, exec_lo, s22
                                        ; implicit-def: $vgpr5
.LBB54_1475:
	s_and_not1_saveexec_b32 s21, s21
; %bb.1476:
	v_mov_b32_e32 v4, 0x7f
	v_cmp_lt_u32_e32 vcc_lo, 0x7f800000, v5
	s_delay_alu instid0(VALU_DEP_2)
	v_cndmask_b32_e32 v4, 0x7e, v4, vcc_lo
; %bb.1477:
	s_or_b32 exec_lo, exec_lo, s21
	v_lshrrev_b32_e32 v0, 24, v0
	s_delay_alu instid0(VALU_DEP_1)
	v_and_or_b32 v0, 0x80, v0, v4
	global_store_b8 v[2:3], v0, off
.LBB54_1478:
	s_mov_b32 s21, 0
.LBB54_1479:
	s_delay_alu instid0(SALU_CYCLE_1)
	s_and_not1_b32 vcc_lo, exec_lo, s21
	s_cbranch_vccnz .LBB54_1489
; %bb.1480:
	s_wait_xcnt 0x0
	v_bfe_i32 v0, v1, 0, 8
	s_mov_b32 s21, exec_lo
                                        ; implicit-def: $vgpr4
	s_delay_alu instid0(VALU_DEP_1) | instskip(NEXT) | instid1(VALU_DEP_1)
	v_bfe_i32 v0, v0, 0, 16
	v_cvt_f32_i32_e32 v0, v0
	s_delay_alu instid0(VALU_DEP_1) | instskip(NEXT) | instid1(VALU_DEP_1)
	v_and_b32_e32 v5, 0x7fffffff, v0
	v_cmpx_gt_u32_e32 0x47800000, v5
	s_xor_b32 s21, exec_lo, s21
	s_cbranch_execz .LBB54_1486
; %bb.1481:
	s_mov_b32 s22, exec_lo
                                        ; implicit-def: $vgpr4
	v_cmpx_lt_u32_e32 0x387fffff, v5
	s_xor_b32 s22, exec_lo, s22
; %bb.1482:
	v_bfe_u32 v4, v0, 21, 1
	s_delay_alu instid0(VALU_DEP_1) | instskip(NEXT) | instid1(VALU_DEP_1)
	v_add3_u32 v4, v0, v4, 0x80fffff
	v_lshrrev_b32_e32 v4, 21, v4
; %bb.1483:
	s_and_not1_saveexec_b32 s22, s22
; %bb.1484:
	v_add_f32_e64 v4, 0x43000000, |v0|
; %bb.1485:
	s_or_b32 exec_lo, exec_lo, s22
                                        ; implicit-def: $vgpr5
.LBB54_1486:
	s_and_not1_saveexec_b32 s21, s21
; %bb.1487:
	v_mov_b32_e32 v4, 0x7f
	v_cmp_lt_u32_e32 vcc_lo, 0x7f800000, v5
	s_delay_alu instid0(VALU_DEP_2)
	v_cndmask_b32_e32 v4, 0x7c, v4, vcc_lo
; %bb.1488:
	s_or_b32 exec_lo, exec_lo, s21
	v_lshrrev_b32_e32 v0, 24, v0
	s_delay_alu instid0(VALU_DEP_1)
	v_and_or_b32 v0, 0x80, v0, v4
	global_store_b8 v[2:3], v0, off
.LBB54_1489:
	s_mov_b32 s21, 0
.LBB54_1490:
	s_delay_alu instid0(SALU_CYCLE_1)
	s_and_not1_b32 vcc_lo, exec_lo, s21
	s_mov_b32 s21, 0
	s_cbranch_vccnz .LBB54_1498
; %bb.1491:
	s_cmp_gt_i32 s19, 14
	s_mov_b32 s21, -1
	s_cbranch_scc0 .LBB54_1495
; %bb.1492:
	s_cmp_eq_u32 s19, 15
	s_mov_b32 s0, -1
	s_cbranch_scc0 .LBB54_1494
; %bb.1493:
	s_wait_xcnt 0x0
	v_bfe_i32 v0, v1, 0, 8
	s_mov_b32 s0, 0
	s_delay_alu instid0(VALU_DEP_1) | instskip(NEXT) | instid1(VALU_DEP_1)
	v_bfe_i32 v0, v0, 0, 16
	v_cvt_f32_i32_e32 v0, v0
	s_delay_alu instid0(VALU_DEP_1) | instskip(NEXT) | instid1(VALU_DEP_1)
	v_bfe_u32 v4, v0, 16, 1
	v_add3_u32 v0, v0, v4, 0x7fff
	global_store_d16_hi_b16 v[2:3], v0, off
.LBB54_1494:
	s_mov_b32 s21, 0
.LBB54_1495:
	s_delay_alu instid0(SALU_CYCLE_1)
	s_and_b32 vcc_lo, exec_lo, s21
	s_mov_b32 s21, 0
	s_cbranch_vccz .LBB54_1498
; %bb.1496:
	s_cmp_lg_u32 s19, 11
	s_mov_b32 s21, -1
	s_cselect_b32 s19, -1, 0
	s_and_not1_b32 s0, s0, exec_lo
	s_and_b32 s19, s19, exec_lo
	s_delay_alu instid0(SALU_CYCLE_1)
	s_or_b32 s0, s0, s19
	s_branch .LBB54_1498
.LBB54_1497:
	s_mov_b32 s21, 0
.LBB54_1498:
	s_and_not1_b32 s15, s15, exec_lo
	s_and_b32 s19, s0, exec_lo
	s_and_b32 s20, s20, exec_lo
	;; [unrolled: 1-line block ×3, first 2 shown]
	s_or_b32 s15, s15, s19
	s_wait_xcnt 0x0
	s_or_b32 exec_lo, exec_lo, s18
	s_and_saveexec_b32 s18, s15
	s_cbranch_execz .LBB54_1427
.LBB54_1499:
	s_or_b32 s16, s16, exec_lo
	s_and_not1_b32 s0, s0, exec_lo
	s_trap 2
	s_or_b32 exec_lo, exec_lo, s18
	s_and_saveexec_b32 s15, s0
	s_delay_alu instid0(SALU_CYCLE_1)
	s_xor_b32 s0, exec_lo, s15
	s_cbranch_execnz .LBB54_1428
.LBB54_1500:
	s_or_b32 exec_lo, exec_lo, s0
	s_and_saveexec_b32 s0, s20
	s_delay_alu instid0(SALU_CYCLE_1)
	s_xor_b32 s0, exec_lo, s0
	s_cbranch_execz .LBB54_1538
.LBB54_1501:
	s_sext_i32_i16 s18, s17
	s_mov_b32 s15, -1
	s_cmp_lt_i32 s18, 5
	s_cbranch_scc1 .LBB54_1522
; %bb.1502:
	s_cmp_lt_i32 s18, 8
	s_cbranch_scc1 .LBB54_1512
; %bb.1503:
	;; [unrolled: 3-line block ×3, first 2 shown]
	s_cmp_gt_i32 s18, 9
	s_cbranch_scc0 .LBB54_1506
; %bb.1505:
	s_wait_loadcnt 0x0
	v_bfe_i32 v0, v1, 0, 8
	v_mov_b32_e32 v6, 0
	s_mov_b32 s15, 0
	s_delay_alu instid0(VALU_DEP_2) | instskip(NEXT) | instid1(VALU_DEP_2)
	v_bfe_i32 v0, v0, 0, 16
	v_mov_b32_e32 v7, v6
	s_delay_alu instid0(VALU_DEP_2)
	v_cvt_f64_i32_e32 v[4:5], v0
	global_store_b128 v[2:3], v[4:7], off
.LBB54_1506:
	s_and_not1_b32 vcc_lo, exec_lo, s15
	s_cbranch_vccnz .LBB54_1508
; %bb.1507:
	s_wait_loadcnt 0x0
	v_bfe_i32 v0, v1, 0, 8
	s_wait_xcnt 0x0
	v_mov_b32_e32 v5, 0
	s_delay_alu instid0(VALU_DEP_2) | instskip(NEXT) | instid1(VALU_DEP_1)
	v_bfe_i32 v0, v0, 0, 16
	v_cvt_f32_i32_e32 v4, v0
	global_store_b64 v[2:3], v[4:5], off
.LBB54_1508:
	s_mov_b32 s15, 0
.LBB54_1509:
	s_delay_alu instid0(SALU_CYCLE_1)
	s_and_not1_b32 vcc_lo, exec_lo, s15
	s_cbranch_vccnz .LBB54_1511
; %bb.1510:
	s_wait_loadcnt 0x0
	v_bfe_i32 v0, v1, 0, 8
	s_delay_alu instid0(VALU_DEP_1) | instskip(NEXT) | instid1(VALU_DEP_1)
	v_cvt_f16_i16_e32 v0, v0
	v_and_b32_e32 v0, 0xffff, v0
	global_store_b32 v[2:3], v0, off
.LBB54_1511:
	s_mov_b32 s15, 0
.LBB54_1512:
	s_delay_alu instid0(SALU_CYCLE_1)
	s_and_not1_b32 vcc_lo, exec_lo, s15
	s_cbranch_vccnz .LBB54_1521
; %bb.1513:
	s_sext_i32_i16 s18, s17
	s_mov_b32 s15, -1
	s_cmp_lt_i32 s18, 6
	s_cbranch_scc1 .LBB54_1519
; %bb.1514:
	s_cmp_gt_i32 s18, 6
	s_cbranch_scc0 .LBB54_1516
; %bb.1515:
	s_wait_loadcnt 0x0
	v_bfe_i32 v0, v1, 0, 8
	s_mov_b32 s15, 0
	s_delay_alu instid0(VALU_DEP_1) | instskip(NEXT) | instid1(VALU_DEP_1)
	v_bfe_i32 v0, v0, 0, 16
	v_cvt_f64_i32_e32 v[4:5], v0
	global_store_b64 v[2:3], v[4:5], off
.LBB54_1516:
	s_and_not1_b32 vcc_lo, exec_lo, s15
	s_cbranch_vccnz .LBB54_1518
; %bb.1517:
	s_wait_loadcnt 0x0
	v_bfe_i32 v0, v1, 0, 8
	s_delay_alu instid0(VALU_DEP_1) | instskip(NEXT) | instid1(VALU_DEP_1)
	v_bfe_i32 v0, v0, 0, 16
	v_cvt_f32_i32_e32 v0, v0
	global_store_b32 v[2:3], v0, off
.LBB54_1518:
	s_mov_b32 s15, 0
.LBB54_1519:
	s_delay_alu instid0(SALU_CYCLE_1)
	s_and_not1_b32 vcc_lo, exec_lo, s15
	s_cbranch_vccnz .LBB54_1521
; %bb.1520:
	s_wait_loadcnt 0x0
	v_bfe_i32 v0, v1, 0, 8
	s_delay_alu instid0(VALU_DEP_1)
	v_cvt_f16_i16_e32 v0, v0
	global_store_b16 v[2:3], v0, off
.LBB54_1521:
	s_mov_b32 s15, 0
.LBB54_1522:
	s_delay_alu instid0(SALU_CYCLE_1)
	s_and_not1_b32 vcc_lo, exec_lo, s15
	s_cbranch_vccnz .LBB54_1538
; %bb.1523:
	s_sext_i32_i16 s18, s17
	s_mov_b32 s15, -1
	s_cmp_lt_i32 s18, 2
	s_cbranch_scc1 .LBB54_1533
; %bb.1524:
	s_cmp_lt_i32 s18, 3
	s_cbranch_scc1 .LBB54_1530
; %bb.1525:
	s_cmp_gt_i32 s18, 3
	s_cbranch_scc0 .LBB54_1527
; %bb.1526:
	s_wait_loadcnt 0x0
	v_bfe_i32 v4, v1, 0, 8
	s_mov_b32 s15, 0
	s_delay_alu instid0(VALU_DEP_1)
	v_ashrrev_i32_e32 v5, 31, v4
	global_store_b64 v[2:3], v[4:5], off
.LBB54_1527:
	s_and_not1_b32 vcc_lo, exec_lo, s15
	s_cbranch_vccnz .LBB54_1529
; %bb.1528:
	s_wait_loadcnt 0x0
	v_bfe_i32 v0, v1, 0, 8
	global_store_b32 v[2:3], v0, off
.LBB54_1529:
	s_mov_b32 s15, 0
.LBB54_1530:
	s_delay_alu instid0(SALU_CYCLE_1)
	s_and_not1_b32 vcc_lo, exec_lo, s15
	s_cbranch_vccnz .LBB54_1532
; %bb.1531:
	s_wait_loadcnt 0x0
	v_bfe_i32 v0, v1, 0, 8
	global_store_b16 v[2:3], v0, off
.LBB54_1532:
	s_mov_b32 s15, 0
.LBB54_1533:
	s_delay_alu instid0(SALU_CYCLE_1)
	s_and_not1_b32 vcc_lo, exec_lo, s15
	s_cbranch_vccnz .LBB54_1538
; %bb.1534:
	s_sext_i32_i16 s15, s17
	s_delay_alu instid0(SALU_CYCLE_1)
	s_cmp_gt_i32 s15, 0
	s_mov_b32 s15, -1
	s_cbranch_scc0 .LBB54_1536
; %bb.1535:
	s_mov_b32 s15, 0
	s_wait_loadcnt 0x0
	global_store_b8 v[2:3], v1, off
.LBB54_1536:
	s_and_not1_b32 vcc_lo, exec_lo, s15
	s_cbranch_vccnz .LBB54_1538
; %bb.1537:
	s_wait_loadcnt 0x0
	global_store_b8 v[2:3], v1, off
.LBB54_1538:
	s_wait_xcnt 0x0
	s_or_b32 exec_lo, exec_lo, s0
	s_delay_alu instid0(SALU_CYCLE_1)
	s_and_b32 s15, s16, exec_lo
                                        ; implicit-def: $vgpr10
.LBB54_1539:
	s_or_saveexec_b32 s14, s14
	s_mov_b32 s0, 0
                                        ; implicit-def: $sgpr16
                                        ; implicit-def: $vgpr0_vgpr1
                                        ; implicit-def: $vgpr4
	s_xor_b32 exec_lo, exec_lo, s14
	s_cbranch_execz .LBB54_2653
; %bb.1540:
	s_wait_loadcnt 0x0
	v_mul_lo_u32 v0, s9, v10
	s_and_b32 s0, s13, 0xff
	s_delay_alu instid0(SALU_CYCLE_1) | instskip(NEXT) | instid1(VALU_DEP_1)
	s_cmp_lt_i32 s0, 11
	v_ashrrev_i32_e32 v1, 31, v0
	s_delay_alu instid0(VALU_DEP_1)
	v_add_nc_u64_e32 v[2:3], s[6:7], v[0:1]
	s_cbranch_scc1 .LBB54_1547
; %bb.1541:
	s_and_b32 s12, 0xffff, s0
	s_mov_b32 s16, 0
	s_cmp_gt_i32 s12, 25
	s_cbranch_scc0 .LBB54_1549
; %bb.1542:
	s_cmp_gt_i32 s12, 28
	s_cbranch_scc0 .LBB54_1550
; %bb.1543:
	;; [unrolled: 3-line block ×4, first 2 shown]
	s_cmp_eq_u32 s12, 46
	s_mov_b32 s18, 0
	s_cbranch_scc0 .LBB54_1555
; %bb.1546:
	global_load_b32 v1, v[2:3], off
	s_mov_b32 s13, 0
	s_mov_b32 s17, -1
	s_wait_loadcnt 0x0
	v_lshlrev_b32_e32 v1, 16, v1
	s_delay_alu instid0(VALU_DEP_1)
	v_cvt_i32_f32_e32 v4, v1
	s_branch .LBB54_1557
.LBB54_1547:
	s_mov_b32 s17, 0
	s_mov_b32 s12, s15
                                        ; implicit-def: $vgpr4
	s_cbranch_execnz .LBB54_1615
.LBB54_1548:
	s_and_not1_b32 vcc_lo, exec_lo, s17
	s_cbranch_vccz .LBB54_1660
	s_branch .LBB54_2651
.LBB54_1549:
	s_mov_b32 s17, 0
	s_mov_b32 s13, 0
                                        ; implicit-def: $vgpr4
	s_cbranch_execnz .LBB54_1582
	s_branch .LBB54_1611
.LBB54_1550:
	s_mov_b32 s17, 0
	s_mov_b32 s13, 0
                                        ; implicit-def: $vgpr4
	s_cbranch_execz .LBB54_1581
	s_branch .LBB54_1566
.LBB54_1551:
	s_mov_b32 s17, 0
	s_mov_b32 s13, 0
                                        ; implicit-def: $vgpr4
	s_cbranch_execnz .LBB54_1562
	s_branch .LBB54_1565
.LBB54_1552:
	s_mov_b32 s18, -1
	s_mov_b32 s17, 0
	s_mov_b32 s13, 0
	s_branch .LBB54_1556
.LBB54_1553:
	s_and_not1_saveexec_b32 s22, s22
	s_cbranch_execz .LBB54_1452
.LBB54_1554:
	v_add_f32_e64 v4, 0x46000000, |v0|
	s_and_not1_b32 s21, s21, exec_lo
	s_delay_alu instid0(VALU_DEP_1) | instskip(NEXT) | instid1(VALU_DEP_1)
	v_and_b32_e32 v4, 0xff, v4
	v_cmp_ne_u32_e32 vcc_lo, 0, v4
	s_and_b32 s23, vcc_lo, exec_lo
	s_delay_alu instid0(SALU_CYCLE_1)
	s_or_b32 s21, s21, s23
	s_or_b32 exec_lo, exec_lo, s22
	v_mov_b32_e32 v5, 0
	s_and_saveexec_b32 s22, s21
	s_cbranch_execnz .LBB54_1453
	s_branch .LBB54_1454
.LBB54_1555:
	s_mov_b32 s13, -1
	s_mov_b32 s17, 0
.LBB54_1556:
                                        ; implicit-def: $vgpr4
.LBB54_1557:
	s_and_b32 vcc_lo, exec_lo, s18
	s_cbranch_vccz .LBB54_1560
; %bb.1558:
	s_cmp_eq_u32 s12, 44
	s_cbranch_scc0 .LBB54_1561
; %bb.1559:
	global_load_u8 v1, v[2:3], off
	s_mov_b32 s13, 0
	s_mov_b32 s17, -1
	s_wait_loadcnt 0x0
	v_lshlrev_b32_e32 v4, 23, v1
	v_cmp_ne_u32_e32 vcc_lo, 0, v1
	s_delay_alu instid0(VALU_DEP_2) | instskip(NEXT) | instid1(VALU_DEP_1)
	v_cvt_i32_f32_e32 v4, v4
	v_cndmask_b32_e32 v4, 0, v4, vcc_lo
.LBB54_1560:
	s_branch .LBB54_1565
.LBB54_1561:
	s_mov_b32 s13, -1
                                        ; implicit-def: $vgpr4
	s_branch .LBB54_1565
.LBB54_1562:
	s_cmp_eq_u32 s12, 29
	s_cbranch_scc0 .LBB54_1564
; %bb.1563:
	global_load_b64 v[4:5], v[2:3], off
	s_mov_b32 s13, 0
	s_mov_b32 s17, -1
	s_branch .LBB54_1565
.LBB54_1564:
	s_mov_b32 s13, -1
                                        ; implicit-def: $vgpr4
.LBB54_1565:
	s_branch .LBB54_1581
.LBB54_1566:
	s_cmp_lt_i32 s12, 27
	s_cbranch_scc1 .LBB54_1569
; %bb.1567:
	s_cmp_gt_i32 s12, 27
	s_cbranch_scc0 .LBB54_1570
; %bb.1568:
	s_wait_loadcnt 0x0
	global_load_b32 v4, v[2:3], off
	s_mov_b32 s17, 0
	s_branch .LBB54_1571
.LBB54_1569:
	s_mov_b32 s17, -1
                                        ; implicit-def: $vgpr4
	s_branch .LBB54_1574
.LBB54_1570:
	s_mov_b32 s17, -1
                                        ; implicit-def: $vgpr4
.LBB54_1571:
	s_delay_alu instid0(SALU_CYCLE_1)
	s_and_not1_b32 vcc_lo, exec_lo, s17
	s_cbranch_vccnz .LBB54_1573
; %bb.1572:
	s_wait_loadcnt 0x0
	global_load_u16 v4, v[2:3], off
.LBB54_1573:
	s_mov_b32 s17, 0
.LBB54_1574:
	s_delay_alu instid0(SALU_CYCLE_1)
	s_and_not1_b32 vcc_lo, exec_lo, s17
	s_cbranch_vccnz .LBB54_1580
; %bb.1575:
	global_load_u8 v1, v[2:3], off
	s_mov_b32 s18, 0
	s_mov_b32 s17, exec_lo
	s_wait_loadcnt 0x0
	v_cmpx_lt_i16_e32 0x7f, v1
	s_xor_b32 s17, exec_lo, s17
	s_cbranch_execz .LBB54_1591
; %bb.1576:
	v_cmp_ne_u16_e32 vcc_lo, 0x80, v1
	s_and_b32 s18, vcc_lo, exec_lo
	s_and_not1_saveexec_b32 s17, s17
	s_cbranch_execnz .LBB54_1592
.LBB54_1577:
	s_or_b32 exec_lo, exec_lo, s17
	v_mov_b32_e32 v4, 0
	s_and_saveexec_b32 s17, s18
	s_cbranch_execz .LBB54_1579
.LBB54_1578:
	v_and_b32_e32 v4, 0xffff, v1
	s_delay_alu instid0(VALU_DEP_1) | instskip(SKIP_1) | instid1(VALU_DEP_2)
	v_and_b32_e32 v5, 7, v4
	v_bfe_u32 v8, v4, 3, 4
	v_clz_i32_u32_e32 v6, v5
	s_delay_alu instid0(VALU_DEP_2) | instskip(NEXT) | instid1(VALU_DEP_2)
	v_cmp_eq_u32_e32 vcc_lo, 0, v8
	v_min_u32_e32 v6, 32, v6
	s_delay_alu instid0(VALU_DEP_1) | instskip(NEXT) | instid1(VALU_DEP_1)
	v_subrev_nc_u32_e32 v7, 28, v6
	v_dual_lshlrev_b32 v4, v7, v4 :: v_dual_sub_nc_u32 v6, 29, v6
	s_delay_alu instid0(VALU_DEP_1) | instskip(NEXT) | instid1(VALU_DEP_1)
	v_dual_lshlrev_b32 v1, 24, v1 :: v_dual_bitop2_b32 v4, 7, v4 bitop3:0x40
	v_dual_cndmask_b32 v6, v8, v6, vcc_lo :: v_dual_cndmask_b32 v4, v5, v4, vcc_lo
	s_delay_alu instid0(VALU_DEP_2) | instskip(NEXT) | instid1(VALU_DEP_2)
	v_and_b32_e32 v1, 0x80000000, v1
	v_lshl_add_u32 v5, v6, 23, 0x3b800000
	s_delay_alu instid0(VALU_DEP_3) | instskip(NEXT) | instid1(VALU_DEP_1)
	v_lshlrev_b32_e32 v4, 20, v4
	v_or3_b32 v1, v1, v5, v4
	s_delay_alu instid0(VALU_DEP_1)
	v_cvt_i32_f32_e32 v4, v1
.LBB54_1579:
	s_or_b32 exec_lo, exec_lo, s17
.LBB54_1580:
	s_mov_b32 s17, -1
.LBB54_1581:
	s_branch .LBB54_1611
.LBB54_1582:
	s_cmp_gt_i32 s12, 22
	s_cbranch_scc0 .LBB54_1590
; %bb.1583:
	s_cmp_lt_i32 s12, 24
	s_cbranch_scc1 .LBB54_1593
; %bb.1584:
	s_cmp_gt_i32 s12, 24
	s_cbranch_scc0 .LBB54_1594
; %bb.1585:
	global_load_u8 v1, v[2:3], off
	s_mov_b32 s17, 0
	s_mov_b32 s16, exec_lo
	s_wait_loadcnt 0x0
	v_cmpx_lt_i16_e32 0x7f, v1
	s_xor_b32 s16, exec_lo, s16
	s_cbranch_execz .LBB54_1605
; %bb.1586:
	v_cmp_ne_u16_e32 vcc_lo, 0x80, v1
	s_and_b32 s17, vcc_lo, exec_lo
	s_and_not1_saveexec_b32 s16, s16
	s_cbranch_execnz .LBB54_1606
.LBB54_1587:
	s_or_b32 exec_lo, exec_lo, s16
	v_mov_b32_e32 v4, 0
	s_and_saveexec_b32 s16, s17
	s_cbranch_execz .LBB54_1589
.LBB54_1588:
	v_and_b32_e32 v4, 0xffff, v1
	s_delay_alu instid0(VALU_DEP_1) | instskip(SKIP_1) | instid1(VALU_DEP_2)
	v_and_b32_e32 v5, 3, v4
	v_bfe_u32 v8, v4, 2, 5
	v_clz_i32_u32_e32 v6, v5
	s_delay_alu instid0(VALU_DEP_2) | instskip(NEXT) | instid1(VALU_DEP_2)
	v_cmp_eq_u32_e32 vcc_lo, 0, v8
	v_min_u32_e32 v6, 32, v6
	s_delay_alu instid0(VALU_DEP_1) | instskip(NEXT) | instid1(VALU_DEP_1)
	v_subrev_nc_u32_e32 v7, 29, v6
	v_dual_lshlrev_b32 v4, v7, v4 :: v_dual_sub_nc_u32 v6, 30, v6
	s_delay_alu instid0(VALU_DEP_1) | instskip(NEXT) | instid1(VALU_DEP_1)
	v_dual_lshlrev_b32 v1, 24, v1 :: v_dual_bitop2_b32 v4, 3, v4 bitop3:0x40
	v_dual_cndmask_b32 v6, v8, v6, vcc_lo :: v_dual_cndmask_b32 v4, v5, v4, vcc_lo
	s_delay_alu instid0(VALU_DEP_2) | instskip(NEXT) | instid1(VALU_DEP_2)
	v_and_b32_e32 v1, 0x80000000, v1
	v_lshl_add_u32 v5, v6, 23, 0x37800000
	s_delay_alu instid0(VALU_DEP_3) | instskip(NEXT) | instid1(VALU_DEP_1)
	v_lshlrev_b32_e32 v4, 21, v4
	v_or3_b32 v1, v1, v5, v4
	s_delay_alu instid0(VALU_DEP_1)
	v_cvt_i32_f32_e32 v4, v1
.LBB54_1589:
	s_or_b32 exec_lo, exec_lo, s16
	s_mov_b32 s16, 0
	s_branch .LBB54_1595
.LBB54_1590:
                                        ; implicit-def: $vgpr4
	s_mov_b32 s16, 0
	s_branch .LBB54_1601
.LBB54_1591:
	s_and_not1_saveexec_b32 s17, s17
	s_cbranch_execz .LBB54_1577
.LBB54_1592:
	v_cmp_ne_u16_e32 vcc_lo, 0, v1
	s_and_not1_b32 s18, s18, exec_lo
	s_and_b32 s19, vcc_lo, exec_lo
	s_delay_alu instid0(SALU_CYCLE_1)
	s_or_b32 s18, s18, s19
	s_or_b32 exec_lo, exec_lo, s17
	v_mov_b32_e32 v4, 0
	s_and_saveexec_b32 s17, s18
	s_cbranch_execnz .LBB54_1578
	s_branch .LBB54_1579
.LBB54_1593:
	s_mov_b32 s16, -1
                                        ; implicit-def: $vgpr4
	s_branch .LBB54_1598
.LBB54_1594:
	s_mov_b32 s16, -1
                                        ; implicit-def: $vgpr4
.LBB54_1595:
	s_delay_alu instid0(SALU_CYCLE_1)
	s_and_b32 vcc_lo, exec_lo, s16
	s_cbranch_vccz .LBB54_1597
; %bb.1596:
	global_load_u8 v1, v[2:3], off
	s_wait_loadcnt 0x0
	v_lshlrev_b32_e32 v1, 24, v1
	s_delay_alu instid0(VALU_DEP_1) | instskip(NEXT) | instid1(VALU_DEP_1)
	v_and_b32_e32 v4, 0x7f000000, v1
	v_clz_i32_u32_e32 v5, v4
	v_cmp_ne_u32_e32 vcc_lo, 0, v4
	v_add_nc_u32_e32 v7, 0x1000000, v4
	s_delay_alu instid0(VALU_DEP_3) | instskip(NEXT) | instid1(VALU_DEP_1)
	v_min_u32_e32 v5, 32, v5
	v_sub_nc_u32_e64 v5, v5, 4 clamp
	s_delay_alu instid0(VALU_DEP_1) | instskip(NEXT) | instid1(VALU_DEP_1)
	v_dual_lshlrev_b32 v6, v5, v4 :: v_dual_lshlrev_b32 v5, 23, v5
	v_lshrrev_b32_e32 v6, 4, v6
	s_delay_alu instid0(VALU_DEP_1) | instskip(NEXT) | instid1(VALU_DEP_1)
	v_dual_sub_nc_u32 v5, v6, v5 :: v_dual_ashrrev_i32 v6, 8, v7
	v_add_nc_u32_e32 v5, 0x3c000000, v5
	s_delay_alu instid0(VALU_DEP_1) | instskip(NEXT) | instid1(VALU_DEP_1)
	v_and_or_b32 v5, 0x7f800000, v6, v5
	v_cndmask_b32_e32 v4, 0, v5, vcc_lo
	s_delay_alu instid0(VALU_DEP_1) | instskip(NEXT) | instid1(VALU_DEP_1)
	v_and_or_b32 v1, 0x80000000, v1, v4
	v_cvt_i32_f32_e32 v4, v1
.LBB54_1597:
	s_mov_b32 s16, 0
.LBB54_1598:
	s_delay_alu instid0(SALU_CYCLE_1)
	s_and_not1_b32 vcc_lo, exec_lo, s16
	s_cbranch_vccnz .LBB54_1600
; %bb.1599:
	global_load_u8 v1, v[2:3], off
	s_wait_loadcnt 0x0
	v_lshlrev_b32_e32 v4, 25, v1
	v_lshlrev_b16 v1, 8, v1
	s_delay_alu instid0(VALU_DEP_1) | instskip(SKIP_1) | instid1(VALU_DEP_2)
	v_and_or_b32 v6, 0x7f00, v1, 0.5
	v_bfe_i32 v1, v1, 0, 16
	v_dual_add_f32 v6, -0.5, v6 :: v_dual_lshrrev_b32 v5, 4, v4
	v_cmp_gt_u32_e32 vcc_lo, 0x8000000, v4
	s_delay_alu instid0(VALU_DEP_2) | instskip(NEXT) | instid1(VALU_DEP_1)
	v_or_b32_e32 v5, 0x70000000, v5
	v_mul_f32_e32 v5, 0x7800000, v5
	s_delay_alu instid0(VALU_DEP_1) | instskip(NEXT) | instid1(VALU_DEP_1)
	v_cndmask_b32_e32 v4, v5, v6, vcc_lo
	v_and_or_b32 v1, 0x80000000, v1, v4
	s_delay_alu instid0(VALU_DEP_1)
	v_cvt_i32_f32_e32 v4, v1
.LBB54_1600:
	s_mov_b32 s17, -1
	s_mov_b32 s16, 0
	s_cbranch_execnz .LBB54_1611
.LBB54_1601:
	s_cmp_gt_i32 s12, 14
	s_cbranch_scc0 .LBB54_1604
; %bb.1602:
	s_cmp_eq_u32 s12, 15
	s_cbranch_scc0 .LBB54_1607
; %bb.1603:
	global_load_u16 v1, v[2:3], off
	s_mov_b32 s13, 0
	s_mov_b32 s17, -1
	s_wait_loadcnt 0x0
	v_lshlrev_b32_e32 v1, 16, v1
	s_delay_alu instid0(VALU_DEP_1)
	v_cvt_i32_f32_e32 v4, v1
	s_branch .LBB54_1609
.LBB54_1604:
	s_mov_b32 s16, -1
	s_branch .LBB54_1608
.LBB54_1605:
	s_and_not1_saveexec_b32 s16, s16
	s_cbranch_execz .LBB54_1587
.LBB54_1606:
	v_cmp_ne_u16_e32 vcc_lo, 0, v1
	s_and_not1_b32 s17, s17, exec_lo
	s_and_b32 s18, vcc_lo, exec_lo
	s_delay_alu instid0(SALU_CYCLE_1)
	s_or_b32 s17, s17, s18
	s_or_b32 exec_lo, exec_lo, s16
	v_mov_b32_e32 v4, 0
	s_and_saveexec_b32 s16, s17
	s_cbranch_execnz .LBB54_1588
	s_branch .LBB54_1589
.LBB54_1607:
	s_mov_b32 s13, -1
.LBB54_1608:
                                        ; implicit-def: $vgpr4
.LBB54_1609:
	s_and_b32 vcc_lo, exec_lo, s16
	s_mov_b32 s16, 0
	s_cbranch_vccz .LBB54_1611
; %bb.1610:
	s_cmp_lg_u32 s12, 11
	s_mov_b32 s16, -1
	s_cselect_b32 s13, -1, 0
.LBB54_1611:
	s_delay_alu instid0(SALU_CYCLE_1)
	s_and_b32 vcc_lo, exec_lo, s13
	s_mov_b32 s12, s15
	s_cbranch_vccnz .LBB54_1672
; %bb.1612:
	s_and_not1_b32 vcc_lo, exec_lo, s16
	s_cbranch_vccnz .LBB54_1614
.LBB54_1613:
	global_load_u8 v1, v[2:3], off
	s_mov_b32 s17, -1
	s_wait_loadcnt 0x0
	v_cmp_ne_u16_e32 vcc_lo, 0, v1
	v_cndmask_b32_e64 v4, 0, 1, vcc_lo
.LBB54_1614:
	s_branch .LBB54_1548
.LBB54_1615:
	s_and_b32 s13, 0xffff, s0
	s_delay_alu instid0(SALU_CYCLE_1)
	s_cmp_lt_i32 s13, 5
	s_cbranch_scc1 .LBB54_1620
; %bb.1616:
	s_cmp_lt_i32 s13, 8
	s_cbranch_scc1 .LBB54_1621
; %bb.1617:
	;; [unrolled: 3-line block ×3, first 2 shown]
	s_cmp_gt_i32 s13, 9
	s_cbranch_scc0 .LBB54_1623
; %bb.1619:
	s_wait_loadcnt 0x0
	global_load_b64 v[4:5], v[2:3], off
	s_mov_b32 s16, 0
	s_wait_loadcnt 0x0
	v_cvt_i32_f64_e32 v4, v[4:5]
	s_branch .LBB54_1624
.LBB54_1620:
                                        ; implicit-def: $vgpr4
	s_branch .LBB54_1641
.LBB54_1621:
                                        ; implicit-def: $vgpr4
	s_branch .LBB54_1630
.LBB54_1622:
	s_mov_b32 s16, -1
                                        ; implicit-def: $vgpr4
	s_branch .LBB54_1627
.LBB54_1623:
	s_mov_b32 s16, -1
                                        ; implicit-def: $vgpr4
.LBB54_1624:
	s_delay_alu instid0(SALU_CYCLE_1)
	s_and_not1_b32 vcc_lo, exec_lo, s16
	s_cbranch_vccnz .LBB54_1626
; %bb.1625:
	global_load_b32 v1, v[2:3], off
	s_wait_loadcnt 0x0
	v_cvt_i32_f32_e32 v4, v1
.LBB54_1626:
	s_mov_b32 s16, 0
.LBB54_1627:
	s_delay_alu instid0(SALU_CYCLE_1)
	s_and_not1_b32 vcc_lo, exec_lo, s16
	s_cbranch_vccnz .LBB54_1629
; %bb.1628:
	global_load_b32 v1, v[2:3], off
	s_wait_loadcnt 0x0
	v_cvt_i16_f16_e32 v4, v1
.LBB54_1629:
	s_cbranch_execnz .LBB54_1640
.LBB54_1630:
	s_cmp_lt_i32 s13, 6
	s_cbranch_scc1 .LBB54_1633
; %bb.1631:
	s_cmp_gt_i32 s13, 6
	s_cbranch_scc0 .LBB54_1634
; %bb.1632:
	s_wait_loadcnt 0x0
	global_load_b64 v[4:5], v[2:3], off
	s_mov_b32 s16, 0
	s_wait_loadcnt 0x0
	v_cvt_i32_f64_e32 v4, v[4:5]
	s_branch .LBB54_1635
.LBB54_1633:
	s_mov_b32 s16, -1
                                        ; implicit-def: $vgpr4
	s_branch .LBB54_1638
.LBB54_1634:
	s_mov_b32 s16, -1
                                        ; implicit-def: $vgpr4
.LBB54_1635:
	s_delay_alu instid0(SALU_CYCLE_1)
	s_and_not1_b32 vcc_lo, exec_lo, s16
	s_cbranch_vccnz .LBB54_1637
; %bb.1636:
	global_load_b32 v1, v[2:3], off
	s_wait_loadcnt 0x0
	v_cvt_i32_f32_e32 v4, v1
.LBB54_1637:
	s_mov_b32 s16, 0
.LBB54_1638:
	s_delay_alu instid0(SALU_CYCLE_1)
	s_and_not1_b32 vcc_lo, exec_lo, s16
	s_cbranch_vccnz .LBB54_1640
; %bb.1639:
	global_load_u16 v1, v[2:3], off
	s_wait_loadcnt 0x0
	v_cvt_i16_f16_e32 v4, v1
.LBB54_1640:
	s_cbranch_execnz .LBB54_1659
.LBB54_1641:
	s_cmp_lt_i32 s13, 2
	s_cbranch_scc1 .LBB54_1645
; %bb.1642:
	s_cmp_lt_i32 s13, 3
	s_cbranch_scc1 .LBB54_1646
; %bb.1643:
	s_cmp_gt_i32 s13, 3
	s_cbranch_scc0 .LBB54_1647
; %bb.1644:
	s_wait_loadcnt 0x0
	global_load_b64 v[4:5], v[2:3], off
	s_mov_b32 s16, 0
	s_branch .LBB54_1648
.LBB54_1645:
                                        ; implicit-def: $vgpr4
	s_branch .LBB54_1654
.LBB54_1646:
	s_mov_b32 s16, -1
                                        ; implicit-def: $vgpr4
	s_branch .LBB54_1651
.LBB54_1647:
	s_mov_b32 s16, -1
                                        ; implicit-def: $vgpr4
.LBB54_1648:
	s_delay_alu instid0(SALU_CYCLE_1)
	s_and_not1_b32 vcc_lo, exec_lo, s16
	s_cbranch_vccnz .LBB54_1650
; %bb.1649:
	s_wait_loadcnt 0x0
	global_load_b32 v4, v[2:3], off
.LBB54_1650:
	s_mov_b32 s16, 0
.LBB54_1651:
	s_delay_alu instid0(SALU_CYCLE_1)
	s_and_not1_b32 vcc_lo, exec_lo, s16
	s_cbranch_vccnz .LBB54_1653
; %bb.1652:
	s_wait_loadcnt 0x0
	global_load_u16 v4, v[2:3], off
.LBB54_1653:
	s_cbranch_execnz .LBB54_1659
.LBB54_1654:
	s_cmp_gt_i32 s13, 0
	s_mov_b32 s13, 0
	s_cbranch_scc0 .LBB54_1656
; %bb.1655:
	s_wait_loadcnt 0x0
	global_load_u8 v4, v[2:3], off
	s_branch .LBB54_1657
.LBB54_1656:
	s_mov_b32 s13, -1
                                        ; implicit-def: $vgpr4
.LBB54_1657:
	s_delay_alu instid0(SALU_CYCLE_1)
	s_and_not1_b32 vcc_lo, exec_lo, s13
	s_cbranch_vccnz .LBB54_1659
; %bb.1658:
	s_wait_loadcnt 0x0
	global_load_u8 v4, v[2:3], off
.LBB54_1659:
.LBB54_1660:
	s_wait_xcnt 0x0
	v_mul_lo_u32 v2, s10, v10
	s_and_b32 s1, s1, 0xff
	s_delay_alu instid0(SALU_CYCLE_1) | instskip(NEXT) | instid1(VALU_DEP_1)
	s_cmp_lt_i32 s1, 11
	v_ashrrev_i32_e32 v3, 31, v2
	s_delay_alu instid0(VALU_DEP_1)
	v_add_nc_u64_e32 v[6:7], s[2:3], v[2:3]
	s_cbranch_scc1 .LBB54_1667
; %bb.1661:
	s_and_b32 s13, 0xffff, s1
	s_mov_b32 s17, 0
	s_cmp_gt_i32 s13, 25
	s_cbranch_scc0 .LBB54_1669
; %bb.1662:
	s_cmp_gt_i32 s13, 28
	s_cbranch_scc0 .LBB54_1670
; %bb.1663:
	;; [unrolled: 3-line block ×4, first 2 shown]
	s_cmp_eq_u32 s13, 46
	s_mov_b32 s19, 0
	s_cbranch_scc0 .LBB54_1676
; %bb.1666:
	global_load_b32 v1, v[6:7], off
	s_mov_b32 s16, 0
	s_mov_b32 s18, -1
	s_wait_loadcnt 0x0
	v_lshlrev_b32_e32 v1, 16, v1
	s_delay_alu instid0(VALU_DEP_1)
	v_cvt_i32_f32_e32 v8, v1
	s_branch .LBB54_1678
.LBB54_1667:
	s_mov_b32 s18, 0
                                        ; implicit-def: $vgpr8
	s_cbranch_execnz .LBB54_1739
.LBB54_1668:
	s_and_not1_b32 vcc_lo, exec_lo, s18
	s_cbranch_vccnz .LBB54_2651
	s_branch .LBB54_1786
.LBB54_1669:
	s_mov_b32 s18, 0
	s_mov_b32 s16, 0
                                        ; implicit-def: $vgpr8
	s_cbranch_execnz .LBB54_1705
	s_branch .LBB54_1735
.LBB54_1670:
	s_mov_b32 s19, -1
	s_mov_b32 s18, 0
	s_mov_b32 s16, 0
                                        ; implicit-def: $vgpr8
	s_branch .LBB54_1688
.LBB54_1671:
	s_mov_b32 s19, -1
	s_mov_b32 s18, 0
	s_mov_b32 s16, 0
                                        ; implicit-def: $vgpr8
	s_branch .LBB54_1683
.LBB54_1672:
	s_or_b32 s12, s15, exec_lo
	s_trap 2
	s_cbranch_execz .LBB54_1613
	s_branch .LBB54_1614
.LBB54_1673:
	s_mov_b32 s19, -1
	s_mov_b32 s18, 0
	s_mov_b32 s16, 0
	s_branch .LBB54_1677
.LBB54_1674:
	s_and_not1_saveexec_b32 s23, s23
	s_cbranch_execz .LBB54_1464
.LBB54_1675:
	v_add_f32_e64 v4, 0x42800000, |v0|
	s_and_not1_b32 s22, s22, exec_lo
	s_delay_alu instid0(VALU_DEP_1) | instskip(NEXT) | instid1(VALU_DEP_1)
	v_and_b32_e32 v4, 0xff, v4
	v_cmp_ne_u32_e32 vcc_lo, 0, v4
	s_and_b32 s24, vcc_lo, exec_lo
	s_delay_alu instid0(SALU_CYCLE_1)
	s_or_b32 s22, s22, s24
	s_or_b32 exec_lo, exec_lo, s23
	v_mov_b32_e32 v5, 0
	s_and_saveexec_b32 s23, s22
	s_cbranch_execnz .LBB54_1465
	s_branch .LBB54_1466
.LBB54_1676:
	s_mov_b32 s16, -1
	s_mov_b32 s18, 0
.LBB54_1677:
                                        ; implicit-def: $vgpr8
.LBB54_1678:
	s_and_b32 vcc_lo, exec_lo, s19
	s_cbranch_vccz .LBB54_1682
; %bb.1679:
	s_cmp_eq_u32 s13, 44
	s_cbranch_scc0 .LBB54_1681
; %bb.1680:
	global_load_u8 v1, v[6:7], off
	s_mov_b32 s16, 0
	s_mov_b32 s18, -1
	s_wait_loadcnt 0x0
	v_lshlrev_b32_e32 v3, 23, v1
	v_cmp_ne_u32_e32 vcc_lo, 0, v1
	s_delay_alu instid0(VALU_DEP_2) | instskip(NEXT) | instid1(VALU_DEP_1)
	v_cvt_i32_f32_e32 v3, v3
	v_cndmask_b32_e32 v8, 0, v3, vcc_lo
	s_branch .LBB54_1682
.LBB54_1681:
	s_mov_b32 s16, -1
                                        ; implicit-def: $vgpr8
.LBB54_1682:
	s_mov_b32 s19, 0
.LBB54_1683:
	s_delay_alu instid0(SALU_CYCLE_1)
	s_and_b32 vcc_lo, exec_lo, s19
	s_cbranch_vccz .LBB54_1687
; %bb.1684:
	s_cmp_eq_u32 s13, 29
	s_cbranch_scc0 .LBB54_1686
; %bb.1685:
	global_load_b64 v[8:9], v[6:7], off
	s_mov_b32 s16, 0
	s_mov_b32 s18, -1
	s_branch .LBB54_1687
.LBB54_1686:
	s_mov_b32 s16, -1
                                        ; implicit-def: $vgpr8
.LBB54_1687:
	s_mov_b32 s19, 0
.LBB54_1688:
	s_delay_alu instid0(SALU_CYCLE_1)
	s_and_b32 vcc_lo, exec_lo, s19
	s_cbranch_vccz .LBB54_1704
; %bb.1689:
	s_cmp_lt_i32 s13, 27
	s_cbranch_scc1 .LBB54_1692
; %bb.1690:
	s_cmp_gt_i32 s13, 27
	s_cbranch_scc0 .LBB54_1693
; %bb.1691:
	s_wait_loadcnt 0x0
	global_load_b32 v8, v[6:7], off
	s_mov_b32 s18, 0
	s_branch .LBB54_1694
.LBB54_1692:
	s_mov_b32 s18, -1
                                        ; implicit-def: $vgpr8
	s_branch .LBB54_1697
.LBB54_1693:
	s_mov_b32 s18, -1
                                        ; implicit-def: $vgpr8
.LBB54_1694:
	s_delay_alu instid0(SALU_CYCLE_1)
	s_and_not1_b32 vcc_lo, exec_lo, s18
	s_cbranch_vccnz .LBB54_1696
; %bb.1695:
	s_wait_loadcnt 0x0
	global_load_u16 v8, v[6:7], off
.LBB54_1696:
	s_mov_b32 s18, 0
.LBB54_1697:
	s_delay_alu instid0(SALU_CYCLE_1)
	s_and_not1_b32 vcc_lo, exec_lo, s18
	s_cbranch_vccnz .LBB54_1703
; %bb.1698:
	global_load_u8 v1, v[6:7], off
	s_mov_b32 s19, 0
	s_mov_b32 s18, exec_lo
	s_wait_loadcnt 0x0
	v_cmpx_lt_i16_e32 0x7f, v1
	s_xor_b32 s18, exec_lo, s18
	s_cbranch_execz .LBB54_1714
; %bb.1699:
	v_cmp_ne_u16_e32 vcc_lo, 0x80, v1
	s_and_b32 s19, vcc_lo, exec_lo
	s_and_not1_saveexec_b32 s18, s18
	s_cbranch_execnz .LBB54_1715
.LBB54_1700:
	s_or_b32 exec_lo, exec_lo, s18
	v_mov_b32_e32 v8, 0
	s_and_saveexec_b32 s18, s19
	s_cbranch_execz .LBB54_1702
.LBB54_1701:
	v_and_b32_e32 v3, 0xffff, v1
	s_delay_alu instid0(VALU_DEP_1) | instskip(SKIP_1) | instid1(VALU_DEP_2)
	v_and_b32_e32 v5, 7, v3
	v_bfe_u32 v11, v3, 3, 4
	v_clz_i32_u32_e32 v8, v5
	s_delay_alu instid0(VALU_DEP_2) | instskip(NEXT) | instid1(VALU_DEP_2)
	v_cmp_eq_u32_e32 vcc_lo, 0, v11
	v_min_u32_e32 v8, 32, v8
	s_delay_alu instid0(VALU_DEP_1) | instskip(NEXT) | instid1(VALU_DEP_1)
	v_subrev_nc_u32_e32 v9, 28, v8
	v_dual_lshlrev_b32 v3, v9, v3 :: v_dual_sub_nc_u32 v8, 29, v8
	s_delay_alu instid0(VALU_DEP_1) | instskip(NEXT) | instid1(VALU_DEP_1)
	v_dual_lshlrev_b32 v1, 24, v1 :: v_dual_bitop2_b32 v3, 7, v3 bitop3:0x40
	v_dual_cndmask_b32 v8, v11, v8 :: v_dual_cndmask_b32 v3, v5, v3
	s_delay_alu instid0(VALU_DEP_2) | instskip(NEXT) | instid1(VALU_DEP_2)
	v_and_b32_e32 v1, 0x80000000, v1
	v_lshl_add_u32 v5, v8, 23, 0x3b800000
	s_delay_alu instid0(VALU_DEP_3) | instskip(NEXT) | instid1(VALU_DEP_1)
	v_lshlrev_b32_e32 v3, 20, v3
	v_or3_b32 v1, v1, v5, v3
	s_delay_alu instid0(VALU_DEP_1)
	v_cvt_i32_f32_e32 v8, v1
.LBB54_1702:
	s_or_b32 exec_lo, exec_lo, s18
.LBB54_1703:
	s_mov_b32 s18, -1
.LBB54_1704:
	s_branch .LBB54_1735
.LBB54_1705:
	s_cmp_gt_i32 s13, 22
	s_cbranch_scc0 .LBB54_1713
; %bb.1706:
	s_cmp_lt_i32 s13, 24
	s_cbranch_scc1 .LBB54_1716
; %bb.1707:
	s_cmp_gt_i32 s13, 24
	s_cbranch_scc0 .LBB54_1717
; %bb.1708:
	global_load_u8 v1, v[6:7], off
	s_mov_b32 s18, 0
	s_mov_b32 s17, exec_lo
	s_wait_loadcnt 0x0
	v_cmpx_lt_i16_e32 0x7f, v1
	s_xor_b32 s17, exec_lo, s17
	s_cbranch_execz .LBB54_1729
; %bb.1709:
	v_cmp_ne_u16_e32 vcc_lo, 0x80, v1
	s_and_b32 s18, vcc_lo, exec_lo
	s_and_not1_saveexec_b32 s17, s17
	s_cbranch_execnz .LBB54_1730
.LBB54_1710:
	s_or_b32 exec_lo, exec_lo, s17
	v_mov_b32_e32 v8, 0
	s_and_saveexec_b32 s17, s18
	s_cbranch_execz .LBB54_1712
.LBB54_1711:
	v_and_b32_e32 v3, 0xffff, v1
	s_delay_alu instid0(VALU_DEP_1) | instskip(SKIP_1) | instid1(VALU_DEP_2)
	v_and_b32_e32 v5, 3, v3
	v_bfe_u32 v11, v3, 2, 5
	v_clz_i32_u32_e32 v8, v5
	s_delay_alu instid0(VALU_DEP_2) | instskip(NEXT) | instid1(VALU_DEP_2)
	v_cmp_eq_u32_e32 vcc_lo, 0, v11
	v_min_u32_e32 v8, 32, v8
	s_delay_alu instid0(VALU_DEP_1) | instskip(NEXT) | instid1(VALU_DEP_1)
	v_subrev_nc_u32_e32 v9, 29, v8
	v_dual_lshlrev_b32 v3, v9, v3 :: v_dual_sub_nc_u32 v8, 30, v8
	s_delay_alu instid0(VALU_DEP_1) | instskip(NEXT) | instid1(VALU_DEP_1)
	v_dual_lshlrev_b32 v1, 24, v1 :: v_dual_bitop2_b32 v3, 3, v3 bitop3:0x40
	v_dual_cndmask_b32 v8, v11, v8 :: v_dual_cndmask_b32 v3, v5, v3
	s_delay_alu instid0(VALU_DEP_2) | instskip(NEXT) | instid1(VALU_DEP_2)
	v_and_b32_e32 v1, 0x80000000, v1
	v_lshl_add_u32 v5, v8, 23, 0x37800000
	s_delay_alu instid0(VALU_DEP_3) | instskip(NEXT) | instid1(VALU_DEP_1)
	v_lshlrev_b32_e32 v3, 21, v3
	v_or3_b32 v1, v1, v5, v3
	s_delay_alu instid0(VALU_DEP_1)
	v_cvt_i32_f32_e32 v8, v1
.LBB54_1712:
	s_or_b32 exec_lo, exec_lo, s17
	s_mov_b32 s17, 0
	s_branch .LBB54_1718
.LBB54_1713:
	s_mov_b32 s17, -1
                                        ; implicit-def: $vgpr8
	s_branch .LBB54_1724
.LBB54_1714:
	s_and_not1_saveexec_b32 s18, s18
	s_cbranch_execz .LBB54_1700
.LBB54_1715:
	v_cmp_ne_u16_e32 vcc_lo, 0, v1
	s_and_not1_b32 s19, s19, exec_lo
	s_and_b32 s20, vcc_lo, exec_lo
	s_delay_alu instid0(SALU_CYCLE_1)
	s_or_b32 s19, s19, s20
	s_or_b32 exec_lo, exec_lo, s18
	v_mov_b32_e32 v8, 0
	s_and_saveexec_b32 s18, s19
	s_cbranch_execnz .LBB54_1701
	s_branch .LBB54_1702
.LBB54_1716:
	s_mov_b32 s17, -1
                                        ; implicit-def: $vgpr8
	s_branch .LBB54_1721
.LBB54_1717:
	s_mov_b32 s17, -1
                                        ; implicit-def: $vgpr8
.LBB54_1718:
	s_delay_alu instid0(SALU_CYCLE_1)
	s_and_b32 vcc_lo, exec_lo, s17
	s_cbranch_vccz .LBB54_1720
; %bb.1719:
	global_load_u8 v1, v[6:7], off
	s_wait_loadcnt 0x0
	v_lshlrev_b32_e32 v1, 24, v1
	s_delay_alu instid0(VALU_DEP_1) | instskip(NEXT) | instid1(VALU_DEP_1)
	v_and_b32_e32 v3, 0x7f000000, v1
	v_clz_i32_u32_e32 v5, v3
	v_add_nc_u32_e32 v9, 0x1000000, v3
	v_cmp_ne_u32_e32 vcc_lo, 0, v3
	s_delay_alu instid0(VALU_DEP_3) | instskip(NEXT) | instid1(VALU_DEP_1)
	v_min_u32_e32 v5, 32, v5
	v_sub_nc_u32_e64 v5, v5, 4 clamp
	s_delay_alu instid0(VALU_DEP_1) | instskip(NEXT) | instid1(VALU_DEP_1)
	v_dual_lshlrev_b32 v8, v5, v3 :: v_dual_lshlrev_b32 v5, 23, v5
	v_lshrrev_b32_e32 v8, 4, v8
	s_delay_alu instid0(VALU_DEP_1) | instskip(SKIP_1) | instid1(VALU_DEP_2)
	v_sub_nc_u32_e32 v5, v8, v5
	v_ashrrev_i32_e32 v8, 8, v9
	v_add_nc_u32_e32 v5, 0x3c000000, v5
	s_delay_alu instid0(VALU_DEP_1) | instskip(NEXT) | instid1(VALU_DEP_1)
	v_and_or_b32 v5, 0x7f800000, v8, v5
	v_cndmask_b32_e32 v3, 0, v5, vcc_lo
	s_delay_alu instid0(VALU_DEP_1) | instskip(NEXT) | instid1(VALU_DEP_1)
	v_and_or_b32 v1, 0x80000000, v1, v3
	v_cvt_i32_f32_e32 v8, v1
.LBB54_1720:
	s_mov_b32 s17, 0
.LBB54_1721:
	s_delay_alu instid0(SALU_CYCLE_1)
	s_and_not1_b32 vcc_lo, exec_lo, s17
	s_cbranch_vccnz .LBB54_1723
; %bb.1722:
	global_load_u8 v1, v[6:7], off
	s_wait_loadcnt 0x0
	v_lshlrev_b32_e32 v3, 25, v1
	v_lshlrev_b16 v1, 8, v1
	s_delay_alu instid0(VALU_DEP_1) | instskip(SKIP_1) | instid1(VALU_DEP_2)
	v_and_or_b32 v8, 0x7f00, v1, 0.5
	v_bfe_i32 v1, v1, 0, 16
	v_dual_add_f32 v8, -0.5, v8 :: v_dual_lshrrev_b32 v5, 4, v3
	v_cmp_gt_u32_e32 vcc_lo, 0x8000000, v3
	s_delay_alu instid0(VALU_DEP_2) | instskip(NEXT) | instid1(VALU_DEP_1)
	v_or_b32_e32 v5, 0x70000000, v5
	v_mul_f32_e32 v5, 0x7800000, v5
	s_delay_alu instid0(VALU_DEP_1) | instskip(NEXT) | instid1(VALU_DEP_1)
	v_cndmask_b32_e32 v3, v5, v8, vcc_lo
	v_and_or_b32 v1, 0x80000000, v1, v3
	s_delay_alu instid0(VALU_DEP_1)
	v_cvt_i32_f32_e32 v8, v1
.LBB54_1723:
	s_mov_b32 s17, 0
	s_mov_b32 s18, -1
.LBB54_1724:
	s_and_not1_b32 vcc_lo, exec_lo, s17
	s_mov_b32 s17, 0
	s_cbranch_vccnz .LBB54_1735
; %bb.1725:
	s_cmp_gt_i32 s13, 14
	s_cbranch_scc0 .LBB54_1728
; %bb.1726:
	s_cmp_eq_u32 s13, 15
	s_cbranch_scc0 .LBB54_1731
; %bb.1727:
	global_load_u16 v1, v[6:7], off
	s_mov_b32 s16, 0
	s_mov_b32 s18, -1
	s_wait_loadcnt 0x0
	v_lshlrev_b32_e32 v1, 16, v1
	s_delay_alu instid0(VALU_DEP_1)
	v_cvt_i32_f32_e32 v8, v1
	s_branch .LBB54_1733
.LBB54_1728:
	s_mov_b32 s17, -1
	s_branch .LBB54_1732
.LBB54_1729:
	s_and_not1_saveexec_b32 s17, s17
	s_cbranch_execz .LBB54_1710
.LBB54_1730:
	v_cmp_ne_u16_e32 vcc_lo, 0, v1
	s_and_not1_b32 s18, s18, exec_lo
	s_and_b32 s19, vcc_lo, exec_lo
	s_delay_alu instid0(SALU_CYCLE_1)
	s_or_b32 s18, s18, s19
	s_or_b32 exec_lo, exec_lo, s17
	v_mov_b32_e32 v8, 0
	s_and_saveexec_b32 s17, s18
	s_cbranch_execnz .LBB54_1711
	s_branch .LBB54_1712
.LBB54_1731:
	s_mov_b32 s16, -1
.LBB54_1732:
                                        ; implicit-def: $vgpr8
.LBB54_1733:
	s_and_b32 vcc_lo, exec_lo, s17
	s_mov_b32 s17, 0
	s_cbranch_vccz .LBB54_1735
; %bb.1734:
	s_cmp_lg_u32 s13, 11
	s_mov_b32 s17, -1
	s_cselect_b32 s16, -1, 0
.LBB54_1735:
	s_delay_alu instid0(SALU_CYCLE_1)
	s_and_b32 vcc_lo, exec_lo, s16
	s_cbranch_vccnz .LBB54_1804
; %bb.1736:
	s_and_not1_b32 vcc_lo, exec_lo, s17
	s_cbranch_vccnz .LBB54_1738
.LBB54_1737:
	global_load_u8 v1, v[6:7], off
	s_mov_b32 s18, -1
	s_wait_loadcnt 0x0
	v_cmp_ne_u16_e32 vcc_lo, 0, v1
	v_cndmask_b32_e64 v8, 0, 1, vcc_lo
.LBB54_1738:
	s_branch .LBB54_1668
.LBB54_1739:
	s_and_b32 s13, 0xffff, s1
	s_delay_alu instid0(SALU_CYCLE_1)
	s_cmp_lt_i32 s13, 5
	s_cbranch_scc1 .LBB54_1744
; %bb.1740:
	s_cmp_lt_i32 s13, 8
	s_cbranch_scc1 .LBB54_1745
; %bb.1741:
	;; [unrolled: 3-line block ×3, first 2 shown]
	s_cmp_gt_i32 s13, 9
	s_cbranch_scc0 .LBB54_1747
; %bb.1743:
	s_wait_loadcnt 0x0
	global_load_b64 v[8:9], v[6:7], off
	s_mov_b32 s16, 0
	s_wait_loadcnt 0x0
	v_cvt_i32_f64_e32 v8, v[8:9]
	s_branch .LBB54_1748
.LBB54_1744:
                                        ; implicit-def: $vgpr8
	s_branch .LBB54_1766
.LBB54_1745:
	s_mov_b32 s16, -1
                                        ; implicit-def: $vgpr8
	s_branch .LBB54_1754
.LBB54_1746:
	s_mov_b32 s16, -1
                                        ; implicit-def: $vgpr8
	s_branch .LBB54_1751
.LBB54_1747:
	s_mov_b32 s16, -1
                                        ; implicit-def: $vgpr8
.LBB54_1748:
	s_delay_alu instid0(SALU_CYCLE_1)
	s_and_not1_b32 vcc_lo, exec_lo, s16
	s_cbranch_vccnz .LBB54_1750
; %bb.1749:
	global_load_b32 v1, v[6:7], off
	s_wait_loadcnt 0x0
	v_cvt_i32_f32_e32 v8, v1
.LBB54_1750:
	s_mov_b32 s16, 0
.LBB54_1751:
	s_delay_alu instid0(SALU_CYCLE_1)
	s_and_not1_b32 vcc_lo, exec_lo, s16
	s_cbranch_vccnz .LBB54_1753
; %bb.1752:
	global_load_b32 v1, v[6:7], off
	s_wait_loadcnt 0x0
	v_cvt_i16_f16_e32 v8, v1
.LBB54_1753:
	s_mov_b32 s16, 0
.LBB54_1754:
	s_delay_alu instid0(SALU_CYCLE_1)
	s_and_not1_b32 vcc_lo, exec_lo, s16
	s_cbranch_vccnz .LBB54_1765
; %bb.1755:
	s_cmp_lt_i32 s13, 6
	s_cbranch_scc1 .LBB54_1758
; %bb.1756:
	s_cmp_gt_i32 s13, 6
	s_cbranch_scc0 .LBB54_1759
; %bb.1757:
	s_wait_loadcnt 0x0
	global_load_b64 v[8:9], v[6:7], off
	s_mov_b32 s16, 0
	s_wait_loadcnt 0x0
	v_cvt_i32_f64_e32 v8, v[8:9]
	s_branch .LBB54_1760
.LBB54_1758:
	s_mov_b32 s16, -1
                                        ; implicit-def: $vgpr8
	s_branch .LBB54_1763
.LBB54_1759:
	s_mov_b32 s16, -1
                                        ; implicit-def: $vgpr8
.LBB54_1760:
	s_delay_alu instid0(SALU_CYCLE_1)
	s_and_not1_b32 vcc_lo, exec_lo, s16
	s_cbranch_vccnz .LBB54_1762
; %bb.1761:
	global_load_b32 v1, v[6:7], off
	s_wait_loadcnt 0x0
	v_cvt_i32_f32_e32 v8, v1
.LBB54_1762:
	s_mov_b32 s16, 0
.LBB54_1763:
	s_delay_alu instid0(SALU_CYCLE_1)
	s_and_not1_b32 vcc_lo, exec_lo, s16
	s_cbranch_vccnz .LBB54_1765
; %bb.1764:
	global_load_u16 v1, v[6:7], off
	s_wait_loadcnt 0x0
	v_cvt_i16_f16_e32 v8, v1
.LBB54_1765:
	s_cbranch_execnz .LBB54_1785
.LBB54_1766:
	s_cmp_lt_i32 s13, 2
	s_cbranch_scc1 .LBB54_1770
; %bb.1767:
	s_cmp_lt_i32 s13, 3
	s_cbranch_scc1 .LBB54_1771
; %bb.1768:
	s_cmp_gt_i32 s13, 3
	s_cbranch_scc0 .LBB54_1772
; %bb.1769:
	s_wait_loadcnt 0x0
	global_load_b64 v[8:9], v[6:7], off
	s_mov_b32 s16, 0
	s_branch .LBB54_1773
.LBB54_1770:
	s_mov_b32 s16, -1
                                        ; implicit-def: $vgpr8
	s_branch .LBB54_1779
.LBB54_1771:
	s_mov_b32 s16, -1
                                        ; implicit-def: $vgpr8
	s_branch .LBB54_1776
.LBB54_1772:
	s_mov_b32 s16, -1
                                        ; implicit-def: $vgpr8
.LBB54_1773:
	s_delay_alu instid0(SALU_CYCLE_1)
	s_and_not1_b32 vcc_lo, exec_lo, s16
	s_cbranch_vccnz .LBB54_1775
; %bb.1774:
	s_wait_loadcnt 0x0
	global_load_b32 v8, v[6:7], off
.LBB54_1775:
	s_mov_b32 s16, 0
.LBB54_1776:
	s_delay_alu instid0(SALU_CYCLE_1)
	s_and_not1_b32 vcc_lo, exec_lo, s16
	s_cbranch_vccnz .LBB54_1778
; %bb.1777:
	s_wait_loadcnt 0x0
	global_load_u16 v8, v[6:7], off
.LBB54_1778:
	s_mov_b32 s16, 0
.LBB54_1779:
	s_delay_alu instid0(SALU_CYCLE_1)
	s_and_not1_b32 vcc_lo, exec_lo, s16
	s_cbranch_vccnz .LBB54_1785
; %bb.1780:
	s_cmp_gt_i32 s13, 0
	s_mov_b32 s13, 0
	s_cbranch_scc0 .LBB54_1782
; %bb.1781:
	s_wait_loadcnt 0x0
	global_load_u8 v8, v[6:7], off
	s_branch .LBB54_1783
.LBB54_1782:
	s_mov_b32 s13, -1
                                        ; implicit-def: $vgpr8
.LBB54_1783:
	s_delay_alu instid0(SALU_CYCLE_1)
	s_and_not1_b32 vcc_lo, exec_lo, s13
	s_cbranch_vccnz .LBB54_1785
; %bb.1784:
	s_wait_loadcnt 0x0
	global_load_u8 v8, v[6:7], off
.LBB54_1785:
.LBB54_1786:
	s_wait_loadcnt 0x0
	s_delay_alu instid0(VALU_DEP_1) | instskip(SKIP_2) | instid1(VALU_DEP_2)
	v_bfe_i32 v1, v8, 0, 8
	v_and_b32_e32 v3, 0xff, v4
	s_mov_b32 s16, 0
	v_sub_nc_u16 v5, 0, v1
	s_delay_alu instid0(VALU_DEP_2) | instskip(SKIP_1) | instid1(VALU_DEP_3)
	v_cmp_ne_u16_e32 vcc_lo, 0, v3
	v_bfe_i32 v3, v4, 0, 8
	v_max_i16 v5, v1, v5
	s_wait_xcnt 0x0
	s_and_saveexec_b32 s13, vcc_lo
	s_cbranch_execz .LBB54_1790
; %bb.1787:
	v_sub_nc_u16 v4, 0, v3
	s_delay_alu instid0(VALU_DEP_1) | instskip(SKIP_1) | instid1(VALU_DEP_2)
	v_max_i16 v6, v3, v4
	v_and_b32_e32 v4, 0xff, v5
	v_and_b32_e32 v6, 0xffff, v6
.LBB54_1788:                            ; =>This Inner Loop Header: Depth=1
	s_delay_alu instid0(VALU_DEP_2) | instskip(NEXT) | instid1(VALU_DEP_2)
	v_bfe_i32 v8, v4, 0, 8
	v_mov_b32_e32 v5, v6
	s_delay_alu instid0(VALU_DEP_2) | instskip(NEXT) | instid1(VALU_DEP_2)
	v_cvt_f32_i32_e32 v11, v8
	v_bfe_i32 v6, v5, 0, 8
	s_delay_alu instid0(VALU_DEP_1) | instskip(SKIP_1) | instid1(VALU_DEP_2)
	v_cvt_f32_i32_e32 v7, v6
	v_xor_b32_e32 v6, v8, v6
	v_rcp_iflag_f32_e32 v9, v7
	v_nop
	s_delay_alu instid0(TRANS32_DEP_1) | instskip(NEXT) | instid1(VALU_DEP_1)
	v_dual_ashrrev_i32 v6, 30, v6 :: v_dual_mul_f32 v8, v11, v9
	v_trunc_f32_e32 v8, v8
	s_delay_alu instid0(VALU_DEP_1) | instskip(SKIP_1) | instid1(VALU_DEP_2)
	v_dual_fma_f32 v9, -v8, v7, v11 :: v_dual_bitop2_b32 v6, 1, v6 bitop3:0x54
	v_cvt_i32_f32_e32 v8, v8
	v_cmp_ge_f32_e64 vcc_lo, |v9|, |v7|
	s_delay_alu instid0(VALU_DEP_3) | instskip(NEXT) | instid1(VALU_DEP_1)
	v_cndmask_b32_e32 v6, 0, v6, vcc_lo
	v_add_nc_u32_e32 v6, v8, v6
	s_delay_alu instid0(VALU_DEP_1) | instskip(NEXT) | instid1(VALU_DEP_1)
	v_mul_lo_u32 v6, v6, v5
	v_sub_nc_u32_e32 v4, v4, v6
	s_delay_alu instid0(VALU_DEP_1) | instskip(SKIP_1) | instid1(VALU_DEP_2)
	v_bfe_i32 v6, v4, 0, 8
	v_mov_b32_e32 v4, v5
	v_cmp_eq_u16_e32 vcc_lo, 0, v6
	v_and_b32_e32 v6, 0xffff, v6
	s_or_b32 s16, vcc_lo, s16
	s_delay_alu instid0(SALU_CYCLE_1)
	s_and_not1_b32 exec_lo, exec_lo, s16
	s_cbranch_execnz .LBB54_1788
; %bb.1789:
	s_or_b32 exec_lo, exec_lo, s16
.LBB54_1790:
	s_delay_alu instid0(SALU_CYCLE_1) | instskip(SKIP_3) | instid1(VALU_DEP_2)
	s_or_b32 exec_lo, exec_lo, s13
	v_and_b32_e32 v4, 0xff, v5
	v_mov_b32_e32 v11, 0
	s_mov_b32 s13, exec_lo
	v_cmpx_ne_u16_e32 0, v4
	s_cbranch_execz .LBB54_1792
; %bb.1791:
	v_bfe_i32 v4, v5, 0, 8
	v_cvt_f32_i32_e32 v7, v3
	s_delay_alu instid0(VALU_DEP_2) | instskip(SKIP_1) | instid1(VALU_DEP_2)
	v_cvt_f32_i32_e32 v5, v4
	v_xor_b32_e32 v3, v3, v4
	v_rcp_iflag_f32_e32 v6, v5
	s_delay_alu instid0(VALU_DEP_1)
	v_ashrrev_i32_e32 v3, 30, v3
	s_delay_alu instid0(TRANS32_DEP_1) | instid1(VALU_DEP_1)
	v_dual_mul_f32 v6, v7, v6 :: v_dual_bitop2_b32 v3, 1, v3 bitop3:0x54
	s_delay_alu instid0(VALU_DEP_1) | instskip(NEXT) | instid1(VALU_DEP_1)
	v_trunc_f32_e32 v4, v6
	v_fma_f32 v6, -v4, v5, v7
	v_cvt_i32_f32_e32 v4, v4
	s_delay_alu instid0(VALU_DEP_2) | instskip(SKIP_1) | instid1(VALU_DEP_1)
	v_cmp_ge_f32_e64 vcc_lo, |v6|, |v5|
	v_cndmask_b32_e32 v3, 0, v3, vcc_lo
	v_add_nc_u32_e32 v3, v4, v3
	s_delay_alu instid0(VALU_DEP_1) | instskip(NEXT) | instid1(VALU_DEP_1)
	v_bfe_i32 v3, v3, 0, 8
	v_mul_i32_i24_e32 v1, v3, v1
	s_delay_alu instid0(VALU_DEP_1) | instskip(NEXT) | instid1(VALU_DEP_1)
	v_sub_nc_u32_e32 v3, 0, v1
	v_max_i32_e32 v11, v1, v3
.LBB54_1792:
	s_or_b32 exec_lo, exec_lo, s13
	s_lshl_b32 s9, s9, 7
	s_cmp_lt_i32 s0, 11
	v_add_nc_u32_e32 v0, s9, v0
	s_delay_alu instid0(VALU_DEP_1) | instskip(NEXT) | instid1(VALU_DEP_1)
	v_ashrrev_i32_e32 v1, 31, v0
	v_add_nc_u64_e32 v[6:7], s[6:7], v[0:1]
	s_cbranch_scc1 .LBB54_1799
; %bb.1793:
	s_and_b32 s13, 0xffff, s0
	s_mov_b32 s17, 0
	s_cmp_gt_i32 s13, 25
	s_cbranch_scc0 .LBB54_1801
; %bb.1794:
	s_cmp_gt_i32 s13, 28
	s_cbranch_scc0 .LBB54_1802
; %bb.1795:
	;; [unrolled: 3-line block ×4, first 2 shown]
	s_cmp_eq_u32 s13, 46
	s_mov_b32 s19, 0
	s_cbranch_scc0 .LBB54_1806
; %bb.1798:
	global_load_b32 v1, v[6:7], off
	s_mov_b32 s16, 0
	s_mov_b32 s18, -1
	s_wait_loadcnt 0x0
	v_lshlrev_b32_e32 v1, 16, v1
	s_delay_alu instid0(VALU_DEP_1)
	v_cvt_i32_f32_e32 v4, v1
	s_branch .LBB54_1808
.LBB54_1799:
	s_mov_b32 s18, 0
                                        ; implicit-def: $vgpr4
	s_cbranch_execnz .LBB54_1870
.LBB54_1800:
	s_and_not1_b32 vcc_lo, exec_lo, s18
	s_cbranch_vccnz .LBB54_2651
	s_branch .LBB54_1918
.LBB54_1801:
	s_mov_b32 s19, -1
	s_mov_b32 s18, 0
	s_mov_b32 s16, 0
                                        ; implicit-def: $vgpr4
	s_branch .LBB54_1835
.LBB54_1802:
	s_mov_b32 s19, -1
	s_mov_b32 s18, 0
	s_mov_b32 s16, 0
                                        ; implicit-def: $vgpr4
	s_branch .LBB54_1818
.LBB54_1803:
	s_mov_b32 s19, -1
	s_mov_b32 s18, 0
	s_mov_b32 s16, 0
                                        ; implicit-def: $vgpr4
	s_branch .LBB54_1813
.LBB54_1804:
	s_or_b32 s12, s12, exec_lo
	s_trap 2
	s_cbranch_execz .LBB54_1737
	s_branch .LBB54_1738
.LBB54_1805:
	s_mov_b32 s19, -1
	s_mov_b32 s18, 0
	s_mov_b32 s16, 0
	s_branch .LBB54_1807
.LBB54_1806:
	s_mov_b32 s16, -1
	s_mov_b32 s18, 0
.LBB54_1807:
                                        ; implicit-def: $vgpr4
.LBB54_1808:
	s_and_b32 vcc_lo, exec_lo, s19
	s_cbranch_vccz .LBB54_1812
; %bb.1809:
	s_cmp_eq_u32 s13, 44
	s_cbranch_scc0 .LBB54_1811
; %bb.1810:
	global_load_u8 v1, v[6:7], off
	s_mov_b32 s16, 0
	s_mov_b32 s18, -1
	s_wait_loadcnt 0x0
	v_lshlrev_b32_e32 v3, 23, v1
	v_cmp_ne_u32_e32 vcc_lo, 0, v1
	s_delay_alu instid0(VALU_DEP_2) | instskip(NEXT) | instid1(VALU_DEP_1)
	v_cvt_i32_f32_e32 v3, v3
	v_cndmask_b32_e32 v4, 0, v3, vcc_lo
	s_branch .LBB54_1812
.LBB54_1811:
	s_mov_b32 s16, -1
                                        ; implicit-def: $vgpr4
.LBB54_1812:
	s_mov_b32 s19, 0
.LBB54_1813:
	s_delay_alu instid0(SALU_CYCLE_1)
	s_and_b32 vcc_lo, exec_lo, s19
	s_cbranch_vccz .LBB54_1817
; %bb.1814:
	s_cmp_eq_u32 s13, 29
	s_cbranch_scc0 .LBB54_1816
; %bb.1815:
	global_load_b64 v[4:5], v[6:7], off
	s_mov_b32 s16, 0
	s_mov_b32 s18, -1
	s_branch .LBB54_1817
.LBB54_1816:
	s_mov_b32 s16, -1
                                        ; implicit-def: $vgpr4
.LBB54_1817:
	s_mov_b32 s19, 0
.LBB54_1818:
	s_delay_alu instid0(SALU_CYCLE_1)
	s_and_b32 vcc_lo, exec_lo, s19
	s_cbranch_vccz .LBB54_1834
; %bb.1819:
	s_cmp_lt_i32 s13, 27
	s_cbranch_scc1 .LBB54_1822
; %bb.1820:
	s_cmp_gt_i32 s13, 27
	s_cbranch_scc0 .LBB54_1823
; %bb.1821:
	s_wait_loadcnt 0x0
	global_load_b32 v4, v[6:7], off
	s_mov_b32 s18, 0
	s_branch .LBB54_1824
.LBB54_1822:
	s_mov_b32 s18, -1
                                        ; implicit-def: $vgpr4
	s_branch .LBB54_1827
.LBB54_1823:
	s_mov_b32 s18, -1
                                        ; implicit-def: $vgpr4
.LBB54_1824:
	s_delay_alu instid0(SALU_CYCLE_1)
	s_and_not1_b32 vcc_lo, exec_lo, s18
	s_cbranch_vccnz .LBB54_1826
; %bb.1825:
	s_wait_loadcnt 0x0
	global_load_u16 v4, v[6:7], off
.LBB54_1826:
	s_mov_b32 s18, 0
.LBB54_1827:
	s_delay_alu instid0(SALU_CYCLE_1)
	s_and_not1_b32 vcc_lo, exec_lo, s18
	s_cbranch_vccnz .LBB54_1833
; %bb.1828:
	global_load_u8 v1, v[6:7], off
	s_mov_b32 s19, 0
	s_mov_b32 s18, exec_lo
	s_wait_loadcnt 0x0
	v_cmpx_lt_i16_e32 0x7f, v1
	s_xor_b32 s18, exec_lo, s18
	s_cbranch_execz .LBB54_1845
; %bb.1829:
	v_cmp_ne_u16_e32 vcc_lo, 0x80, v1
	s_and_b32 s19, vcc_lo, exec_lo
	s_and_not1_saveexec_b32 s18, s18
	s_cbranch_execnz .LBB54_1846
.LBB54_1830:
	s_or_b32 exec_lo, exec_lo, s18
	v_mov_b32_e32 v4, 0
	s_and_saveexec_b32 s18, s19
	s_cbranch_execz .LBB54_1832
.LBB54_1831:
	v_and_b32_e32 v3, 0xffff, v1
	s_delay_alu instid0(VALU_DEP_1) | instskip(SKIP_1) | instid1(VALU_DEP_2)
	v_and_b32_e32 v4, 7, v3
	v_bfe_u32 v9, v3, 3, 4
	v_clz_i32_u32_e32 v5, v4
	s_delay_alu instid0(VALU_DEP_2) | instskip(NEXT) | instid1(VALU_DEP_2)
	v_cmp_eq_u32_e32 vcc_lo, 0, v9
	v_min_u32_e32 v5, 32, v5
	s_delay_alu instid0(VALU_DEP_1) | instskip(NEXT) | instid1(VALU_DEP_1)
	v_subrev_nc_u32_e32 v8, 28, v5
	v_dual_lshlrev_b32 v3, v8, v3 :: v_dual_sub_nc_u32 v5, 29, v5
	s_delay_alu instid0(VALU_DEP_1) | instskip(NEXT) | instid1(VALU_DEP_1)
	v_dual_lshlrev_b32 v1, 24, v1 :: v_dual_bitop2_b32 v3, 7, v3 bitop3:0x40
	v_dual_cndmask_b32 v3, v4, v3, vcc_lo :: v_dual_cndmask_b32 v5, v9, v5, vcc_lo
	s_delay_alu instid0(VALU_DEP_2) | instskip(NEXT) | instid1(VALU_DEP_2)
	v_and_b32_e32 v1, 0x80000000, v1
	v_lshlrev_b32_e32 v3, 20, v3
	s_delay_alu instid0(VALU_DEP_3) | instskip(NEXT) | instid1(VALU_DEP_1)
	v_lshl_add_u32 v4, v5, 23, 0x3b800000
	v_or3_b32 v1, v1, v4, v3
	s_delay_alu instid0(VALU_DEP_1)
	v_cvt_i32_f32_e32 v4, v1
.LBB54_1832:
	s_or_b32 exec_lo, exec_lo, s18
.LBB54_1833:
	s_mov_b32 s18, -1
.LBB54_1834:
	s_mov_b32 s19, 0
.LBB54_1835:
	s_delay_alu instid0(SALU_CYCLE_1)
	s_and_b32 vcc_lo, exec_lo, s19
	s_cbranch_vccz .LBB54_1866
; %bb.1836:
	s_cmp_gt_i32 s13, 22
	s_cbranch_scc0 .LBB54_1844
; %bb.1837:
	s_cmp_lt_i32 s13, 24
	s_cbranch_scc1 .LBB54_1847
; %bb.1838:
	s_cmp_gt_i32 s13, 24
	s_cbranch_scc0 .LBB54_1848
; %bb.1839:
	global_load_u8 v1, v[6:7], off
	s_mov_b32 s18, 0
	s_mov_b32 s17, exec_lo
	s_wait_loadcnt 0x0
	v_cmpx_lt_i16_e32 0x7f, v1
	s_xor_b32 s17, exec_lo, s17
	s_cbranch_execz .LBB54_1860
; %bb.1840:
	v_cmp_ne_u16_e32 vcc_lo, 0x80, v1
	s_and_b32 s18, vcc_lo, exec_lo
	s_and_not1_saveexec_b32 s17, s17
	s_cbranch_execnz .LBB54_1861
.LBB54_1841:
	s_or_b32 exec_lo, exec_lo, s17
	v_mov_b32_e32 v4, 0
	s_and_saveexec_b32 s17, s18
	s_cbranch_execz .LBB54_1843
.LBB54_1842:
	v_and_b32_e32 v3, 0xffff, v1
	s_delay_alu instid0(VALU_DEP_1) | instskip(SKIP_1) | instid1(VALU_DEP_2)
	v_and_b32_e32 v4, 3, v3
	v_bfe_u32 v9, v3, 2, 5
	v_clz_i32_u32_e32 v5, v4
	s_delay_alu instid0(VALU_DEP_2) | instskip(NEXT) | instid1(VALU_DEP_2)
	v_cmp_eq_u32_e32 vcc_lo, 0, v9
	v_min_u32_e32 v5, 32, v5
	s_delay_alu instid0(VALU_DEP_1) | instskip(NEXT) | instid1(VALU_DEP_1)
	v_subrev_nc_u32_e32 v8, 29, v5
	v_dual_lshlrev_b32 v3, v8, v3 :: v_dual_sub_nc_u32 v5, 30, v5
	s_delay_alu instid0(VALU_DEP_1) | instskip(NEXT) | instid1(VALU_DEP_1)
	v_dual_lshlrev_b32 v1, 24, v1 :: v_dual_bitop2_b32 v3, 3, v3 bitop3:0x40
	v_dual_cndmask_b32 v3, v4, v3, vcc_lo :: v_dual_cndmask_b32 v5, v9, v5, vcc_lo
	s_delay_alu instid0(VALU_DEP_2) | instskip(NEXT) | instid1(VALU_DEP_2)
	v_and_b32_e32 v1, 0x80000000, v1
	v_lshlrev_b32_e32 v3, 21, v3
	s_delay_alu instid0(VALU_DEP_3) | instskip(NEXT) | instid1(VALU_DEP_1)
	v_lshl_add_u32 v4, v5, 23, 0x37800000
	v_or3_b32 v1, v1, v4, v3
	s_delay_alu instid0(VALU_DEP_1)
	v_cvt_i32_f32_e32 v4, v1
.LBB54_1843:
	s_or_b32 exec_lo, exec_lo, s17
	s_mov_b32 s17, 0
	s_branch .LBB54_1849
.LBB54_1844:
	s_mov_b32 s17, -1
                                        ; implicit-def: $vgpr4
	s_branch .LBB54_1855
.LBB54_1845:
	s_and_not1_saveexec_b32 s18, s18
	s_cbranch_execz .LBB54_1830
.LBB54_1846:
	v_cmp_ne_u16_e32 vcc_lo, 0, v1
	s_and_not1_b32 s19, s19, exec_lo
	s_and_b32 s20, vcc_lo, exec_lo
	s_delay_alu instid0(SALU_CYCLE_1)
	s_or_b32 s19, s19, s20
	s_or_b32 exec_lo, exec_lo, s18
	v_mov_b32_e32 v4, 0
	s_and_saveexec_b32 s18, s19
	s_cbranch_execnz .LBB54_1831
	s_branch .LBB54_1832
.LBB54_1847:
	s_mov_b32 s17, -1
                                        ; implicit-def: $vgpr4
	s_branch .LBB54_1852
.LBB54_1848:
	s_mov_b32 s17, -1
                                        ; implicit-def: $vgpr4
.LBB54_1849:
	s_delay_alu instid0(SALU_CYCLE_1)
	s_and_b32 vcc_lo, exec_lo, s17
	s_cbranch_vccz .LBB54_1851
; %bb.1850:
	global_load_u8 v1, v[6:7], off
	s_wait_loadcnt 0x0
	v_lshlrev_b32_e32 v1, 24, v1
	s_delay_alu instid0(VALU_DEP_1) | instskip(NEXT) | instid1(VALU_DEP_1)
	v_and_b32_e32 v3, 0x7f000000, v1
	v_clz_i32_u32_e32 v4, v3
	v_cmp_ne_u32_e32 vcc_lo, 0, v3
	v_add_nc_u32_e32 v8, 0x1000000, v3
	s_delay_alu instid0(VALU_DEP_3) | instskip(NEXT) | instid1(VALU_DEP_1)
	v_min_u32_e32 v4, 32, v4
	v_sub_nc_u32_e64 v4, v4, 4 clamp
	s_delay_alu instid0(VALU_DEP_1) | instskip(NEXT) | instid1(VALU_DEP_1)
	v_dual_lshlrev_b32 v5, v4, v3 :: v_dual_lshlrev_b32 v4, 23, v4
	v_lshrrev_b32_e32 v5, 4, v5
	s_delay_alu instid0(VALU_DEP_1) | instskip(SKIP_1) | instid1(VALU_DEP_2)
	v_sub_nc_u32_e32 v4, v5, v4
	v_ashrrev_i32_e32 v5, 8, v8
	v_add_nc_u32_e32 v4, 0x3c000000, v4
	s_delay_alu instid0(VALU_DEP_1) | instskip(NEXT) | instid1(VALU_DEP_1)
	v_and_or_b32 v4, 0x7f800000, v5, v4
	v_cndmask_b32_e32 v3, 0, v4, vcc_lo
	s_delay_alu instid0(VALU_DEP_1) | instskip(NEXT) | instid1(VALU_DEP_1)
	v_and_or_b32 v1, 0x80000000, v1, v3
	v_cvt_i32_f32_e32 v4, v1
.LBB54_1851:
	s_mov_b32 s17, 0
.LBB54_1852:
	s_delay_alu instid0(SALU_CYCLE_1)
	s_and_not1_b32 vcc_lo, exec_lo, s17
	s_cbranch_vccnz .LBB54_1854
; %bb.1853:
	global_load_u8 v1, v[6:7], off
	s_wait_loadcnt 0x0
	v_lshlrev_b32_e32 v3, 25, v1
	v_lshlrev_b16 v1, 8, v1
	s_delay_alu instid0(VALU_DEP_1) | instskip(NEXT) | instid1(VALU_DEP_3)
	v_and_or_b32 v5, 0x7f00, v1, 0.5
	v_lshrrev_b32_e32 v4, 4, v3
	v_bfe_i32 v1, v1, 0, 16
	s_delay_alu instid0(VALU_DEP_3) | instskip(NEXT) | instid1(VALU_DEP_3)
	v_add_f32_e32 v5, -0.5, v5
	v_or_b32_e32 v4, 0x70000000, v4
	s_delay_alu instid0(VALU_DEP_1) | instskip(SKIP_1) | instid1(VALU_DEP_2)
	v_mul_f32_e32 v4, 0x7800000, v4
	v_cmp_gt_u32_e32 vcc_lo, 0x8000000, v3
	v_cndmask_b32_e32 v3, v4, v5, vcc_lo
	s_delay_alu instid0(VALU_DEP_1) | instskip(NEXT) | instid1(VALU_DEP_1)
	v_and_or_b32 v1, 0x80000000, v1, v3
	v_cvt_i32_f32_e32 v4, v1
.LBB54_1854:
	s_mov_b32 s17, 0
	s_mov_b32 s18, -1
.LBB54_1855:
	s_and_not1_b32 vcc_lo, exec_lo, s17
	s_mov_b32 s17, 0
	s_cbranch_vccnz .LBB54_1866
; %bb.1856:
	s_cmp_gt_i32 s13, 14
	s_cbranch_scc0 .LBB54_1859
; %bb.1857:
	s_cmp_eq_u32 s13, 15
	s_cbranch_scc0 .LBB54_1862
; %bb.1858:
	global_load_u16 v1, v[6:7], off
	s_mov_b32 s16, 0
	s_mov_b32 s18, -1
	s_wait_loadcnt 0x0
	v_lshlrev_b32_e32 v1, 16, v1
	s_delay_alu instid0(VALU_DEP_1)
	v_cvt_i32_f32_e32 v4, v1
	s_branch .LBB54_1864
.LBB54_1859:
	s_mov_b32 s17, -1
	s_branch .LBB54_1863
.LBB54_1860:
	s_and_not1_saveexec_b32 s17, s17
	s_cbranch_execz .LBB54_1841
.LBB54_1861:
	v_cmp_ne_u16_e32 vcc_lo, 0, v1
	s_and_not1_b32 s18, s18, exec_lo
	s_and_b32 s19, vcc_lo, exec_lo
	s_delay_alu instid0(SALU_CYCLE_1)
	s_or_b32 s18, s18, s19
	s_or_b32 exec_lo, exec_lo, s17
	v_mov_b32_e32 v4, 0
	s_and_saveexec_b32 s17, s18
	s_cbranch_execnz .LBB54_1842
	s_branch .LBB54_1843
.LBB54_1862:
	s_mov_b32 s16, -1
.LBB54_1863:
                                        ; implicit-def: $vgpr4
.LBB54_1864:
	s_and_b32 vcc_lo, exec_lo, s17
	s_mov_b32 s17, 0
	s_cbranch_vccz .LBB54_1866
; %bb.1865:
	s_cmp_lg_u32 s13, 11
	s_mov_b32 s17, -1
	s_cselect_b32 s16, -1, 0
.LBB54_1866:
	s_delay_alu instid0(SALU_CYCLE_1)
	s_and_b32 vcc_lo, exec_lo, s16
	s_cbranch_vccnz .LBB54_1929
; %bb.1867:
	s_and_not1_b32 vcc_lo, exec_lo, s17
	s_cbranch_vccnz .LBB54_1869
.LBB54_1868:
	global_load_u8 v1, v[6:7], off
	s_mov_b32 s18, -1
	s_wait_loadcnt 0x0
	v_cmp_ne_u16_e32 vcc_lo, 0, v1
	v_cndmask_b32_e64 v4, 0, 1, vcc_lo
.LBB54_1869:
	s_branch .LBB54_1800
.LBB54_1870:
	s_and_b32 s13, 0xffff, s0
	s_delay_alu instid0(SALU_CYCLE_1)
	s_cmp_lt_i32 s13, 5
	s_cbranch_scc1 .LBB54_1875
; %bb.1871:
	s_cmp_lt_i32 s13, 8
	s_cbranch_scc1 .LBB54_1876
; %bb.1872:
	;; [unrolled: 3-line block ×3, first 2 shown]
	s_cmp_gt_i32 s13, 9
	s_cbranch_scc0 .LBB54_1878
; %bb.1874:
	s_wait_loadcnt 0x0
	global_load_b64 v[4:5], v[6:7], off
	s_mov_b32 s16, 0
	s_wait_loadcnt 0x0
	v_cvt_i32_f64_e32 v4, v[4:5]
	s_branch .LBB54_1879
.LBB54_1875:
	s_mov_b32 s16, -1
                                        ; implicit-def: $vgpr4
	s_branch .LBB54_1897
.LBB54_1876:
	s_mov_b32 s16, -1
                                        ; implicit-def: $vgpr4
	s_branch .LBB54_1885
.LBB54_1877:
	s_mov_b32 s16, -1
                                        ; implicit-def: $vgpr4
	s_branch .LBB54_1882
.LBB54_1878:
	s_mov_b32 s16, -1
                                        ; implicit-def: $vgpr4
.LBB54_1879:
	s_delay_alu instid0(SALU_CYCLE_1)
	s_and_not1_b32 vcc_lo, exec_lo, s16
	s_cbranch_vccnz .LBB54_1881
; %bb.1880:
	global_load_b32 v1, v[6:7], off
	s_wait_loadcnt 0x0
	v_cvt_i32_f32_e32 v4, v1
.LBB54_1881:
	s_mov_b32 s16, 0
.LBB54_1882:
	s_delay_alu instid0(SALU_CYCLE_1)
	s_and_not1_b32 vcc_lo, exec_lo, s16
	s_cbranch_vccnz .LBB54_1884
; %bb.1883:
	global_load_b32 v1, v[6:7], off
	s_wait_loadcnt 0x0
	v_cvt_i16_f16_e32 v4, v1
.LBB54_1884:
	s_mov_b32 s16, 0
.LBB54_1885:
	s_delay_alu instid0(SALU_CYCLE_1)
	s_and_not1_b32 vcc_lo, exec_lo, s16
	s_cbranch_vccnz .LBB54_1896
; %bb.1886:
	s_cmp_lt_i32 s13, 6
	s_cbranch_scc1 .LBB54_1889
; %bb.1887:
	s_cmp_gt_i32 s13, 6
	s_cbranch_scc0 .LBB54_1890
; %bb.1888:
	s_wait_loadcnt 0x0
	global_load_b64 v[4:5], v[6:7], off
	s_mov_b32 s16, 0
	s_wait_loadcnt 0x0
	v_cvt_i32_f64_e32 v4, v[4:5]
	s_branch .LBB54_1891
.LBB54_1889:
	s_mov_b32 s16, -1
                                        ; implicit-def: $vgpr4
	s_branch .LBB54_1894
.LBB54_1890:
	s_mov_b32 s16, -1
                                        ; implicit-def: $vgpr4
.LBB54_1891:
	s_delay_alu instid0(SALU_CYCLE_1)
	s_and_not1_b32 vcc_lo, exec_lo, s16
	s_cbranch_vccnz .LBB54_1893
; %bb.1892:
	global_load_b32 v1, v[6:7], off
	s_wait_loadcnt 0x0
	v_cvt_i32_f32_e32 v4, v1
.LBB54_1893:
	s_mov_b32 s16, 0
.LBB54_1894:
	s_delay_alu instid0(SALU_CYCLE_1)
	s_and_not1_b32 vcc_lo, exec_lo, s16
	s_cbranch_vccnz .LBB54_1896
; %bb.1895:
	global_load_u16 v1, v[6:7], off
	s_wait_loadcnt 0x0
	v_cvt_i16_f16_e32 v4, v1
.LBB54_1896:
	s_mov_b32 s16, 0
.LBB54_1897:
	s_delay_alu instid0(SALU_CYCLE_1)
	s_and_not1_b32 vcc_lo, exec_lo, s16
	s_cbranch_vccnz .LBB54_1917
; %bb.1898:
	s_cmp_lt_i32 s13, 2
	s_cbranch_scc1 .LBB54_1902
; %bb.1899:
	s_cmp_lt_i32 s13, 3
	s_cbranch_scc1 .LBB54_1903
; %bb.1900:
	s_cmp_gt_i32 s13, 3
	s_cbranch_scc0 .LBB54_1904
; %bb.1901:
	s_wait_loadcnt 0x0
	global_load_b64 v[4:5], v[6:7], off
	s_mov_b32 s16, 0
	s_branch .LBB54_1905
.LBB54_1902:
	s_mov_b32 s16, -1
                                        ; implicit-def: $vgpr4
	s_branch .LBB54_1911
.LBB54_1903:
	s_mov_b32 s16, -1
                                        ; implicit-def: $vgpr4
	s_branch .LBB54_1908
.LBB54_1904:
	s_mov_b32 s16, -1
                                        ; implicit-def: $vgpr4
.LBB54_1905:
	s_delay_alu instid0(SALU_CYCLE_1)
	s_and_not1_b32 vcc_lo, exec_lo, s16
	s_cbranch_vccnz .LBB54_1907
; %bb.1906:
	s_wait_loadcnt 0x0
	global_load_b32 v4, v[6:7], off
.LBB54_1907:
	s_mov_b32 s16, 0
.LBB54_1908:
	s_delay_alu instid0(SALU_CYCLE_1)
	s_and_not1_b32 vcc_lo, exec_lo, s16
	s_cbranch_vccnz .LBB54_1910
; %bb.1909:
	s_wait_loadcnt 0x0
	global_load_u16 v4, v[6:7], off
.LBB54_1910:
	s_mov_b32 s16, 0
.LBB54_1911:
	s_delay_alu instid0(SALU_CYCLE_1)
	s_and_not1_b32 vcc_lo, exec_lo, s16
	s_cbranch_vccnz .LBB54_1917
; %bb.1912:
	s_cmp_gt_i32 s13, 0
	s_mov_b32 s13, 0
	s_cbranch_scc0 .LBB54_1914
; %bb.1913:
	s_wait_loadcnt 0x0
	global_load_u8 v4, v[6:7], off
	s_branch .LBB54_1915
.LBB54_1914:
	s_mov_b32 s13, -1
                                        ; implicit-def: $vgpr4
.LBB54_1915:
	s_delay_alu instid0(SALU_CYCLE_1)
	s_and_not1_b32 vcc_lo, exec_lo, s13
	s_cbranch_vccnz .LBB54_1917
; %bb.1916:
	s_wait_loadcnt 0x0
	global_load_u8 v4, v[6:7], off
.LBB54_1917:
.LBB54_1918:
	s_lshl_b32 s10, s10, 7
	s_cmp_lt_i32 s1, 11
	v_add_nc_u32_e32 v2, s10, v2
	s_delay_alu instid0(VALU_DEP_1) | instskip(SKIP_1) | instid1(VALU_DEP_1)
	v_ashrrev_i32_e32 v3, 31, v2
	s_wait_xcnt 0x0
	v_add_nc_u64_e32 v[6:7], s[2:3], v[2:3]
	s_cbranch_scc1 .LBB54_1925
; %bb.1919:
	s_and_b32 s13, 0xffff, s1
	s_mov_b32 s17, 0
	s_cmp_gt_i32 s13, 25
	s_cbranch_scc0 .LBB54_1926
; %bb.1920:
	s_cmp_gt_i32 s13, 28
	s_cbranch_scc0 .LBB54_1927
; %bb.1921:
	;; [unrolled: 3-line block ×4, first 2 shown]
	s_cmp_eq_u32 s13, 46
	s_mov_b32 s19, 0
	s_cbranch_scc0 .LBB54_1931
; %bb.1924:
	global_load_b32 v1, v[6:7], off
	s_mov_b32 s16, 0
	s_mov_b32 s18, -1
	s_wait_loadcnt 0x0
	v_lshlrev_b32_e32 v1, 16, v1
	s_delay_alu instid0(VALU_DEP_1)
	v_cvt_i32_f32_e32 v8, v1
	s_branch .LBB54_1933
.LBB54_1925:
	s_mov_b32 s13, -1
	s_mov_b32 s18, 0
                                        ; implicit-def: $vgpr8
	s_branch .LBB54_1995
.LBB54_1926:
	s_mov_b32 s19, -1
	s_mov_b32 s18, 0
	s_mov_b32 s16, 0
                                        ; implicit-def: $vgpr8
	s_branch .LBB54_1960
.LBB54_1927:
	s_mov_b32 s19, -1
	s_mov_b32 s18, 0
	s_mov_b32 s16, 0
                                        ; implicit-def: $vgpr8
	s_branch .LBB54_1943
.LBB54_1928:
	s_mov_b32 s19, -1
	s_mov_b32 s18, 0
	s_mov_b32 s16, 0
                                        ; implicit-def: $vgpr8
	s_branch .LBB54_1938
.LBB54_1929:
	s_or_b32 s12, s12, exec_lo
	s_trap 2
	s_cbranch_execz .LBB54_1868
	s_branch .LBB54_1869
.LBB54_1930:
	s_mov_b32 s19, -1
	s_mov_b32 s18, 0
	s_mov_b32 s16, 0
	s_branch .LBB54_1932
.LBB54_1931:
	s_mov_b32 s16, -1
	s_mov_b32 s18, 0
.LBB54_1932:
                                        ; implicit-def: $vgpr8
.LBB54_1933:
	s_and_b32 vcc_lo, exec_lo, s19
	s_cbranch_vccz .LBB54_1937
; %bb.1934:
	s_cmp_eq_u32 s13, 44
	s_cbranch_scc0 .LBB54_1936
; %bb.1935:
	global_load_u8 v1, v[6:7], off
	s_mov_b32 s16, 0
	s_mov_b32 s18, -1
	s_wait_loadcnt 0x0
	v_lshlrev_b32_e32 v3, 23, v1
	v_cmp_ne_u32_e32 vcc_lo, 0, v1
	s_delay_alu instid0(VALU_DEP_2) | instskip(NEXT) | instid1(VALU_DEP_1)
	v_cvt_i32_f32_e32 v3, v3
	v_cndmask_b32_e32 v8, 0, v3, vcc_lo
	s_branch .LBB54_1937
.LBB54_1936:
	s_mov_b32 s16, -1
                                        ; implicit-def: $vgpr8
.LBB54_1937:
	s_mov_b32 s19, 0
.LBB54_1938:
	s_delay_alu instid0(SALU_CYCLE_1)
	s_and_b32 vcc_lo, exec_lo, s19
	s_cbranch_vccz .LBB54_1942
; %bb.1939:
	s_cmp_eq_u32 s13, 29
	s_cbranch_scc0 .LBB54_1941
; %bb.1940:
	global_load_b64 v[8:9], v[6:7], off
	s_mov_b32 s16, 0
	s_mov_b32 s18, -1
	s_branch .LBB54_1942
.LBB54_1941:
	s_mov_b32 s16, -1
                                        ; implicit-def: $vgpr8
.LBB54_1942:
	s_mov_b32 s19, 0
.LBB54_1943:
	s_delay_alu instid0(SALU_CYCLE_1)
	s_and_b32 vcc_lo, exec_lo, s19
	s_cbranch_vccz .LBB54_1959
; %bb.1944:
	s_cmp_lt_i32 s13, 27
	s_cbranch_scc1 .LBB54_1947
; %bb.1945:
	s_cmp_gt_i32 s13, 27
	s_cbranch_scc0 .LBB54_1948
; %bb.1946:
	s_wait_loadcnt 0x0
	global_load_b32 v8, v[6:7], off
	s_mov_b32 s18, 0
	s_branch .LBB54_1949
.LBB54_1947:
	s_mov_b32 s18, -1
                                        ; implicit-def: $vgpr8
	s_branch .LBB54_1952
.LBB54_1948:
	s_mov_b32 s18, -1
                                        ; implicit-def: $vgpr8
.LBB54_1949:
	s_delay_alu instid0(SALU_CYCLE_1)
	s_and_not1_b32 vcc_lo, exec_lo, s18
	s_cbranch_vccnz .LBB54_1951
; %bb.1950:
	s_wait_loadcnt 0x0
	global_load_u16 v8, v[6:7], off
.LBB54_1951:
	s_mov_b32 s18, 0
.LBB54_1952:
	s_delay_alu instid0(SALU_CYCLE_1)
	s_and_not1_b32 vcc_lo, exec_lo, s18
	s_cbranch_vccnz .LBB54_1958
; %bb.1953:
	global_load_u8 v1, v[6:7], off
	s_mov_b32 s19, 0
	s_mov_b32 s18, exec_lo
	s_wait_loadcnt 0x0
	v_cmpx_lt_i16_e32 0x7f, v1
	s_xor_b32 s18, exec_lo, s18
	s_cbranch_execz .LBB54_1970
; %bb.1954:
	v_cmp_ne_u16_e32 vcc_lo, 0x80, v1
	s_and_b32 s19, vcc_lo, exec_lo
	s_and_not1_saveexec_b32 s18, s18
	s_cbranch_execnz .LBB54_1971
.LBB54_1955:
	s_or_b32 exec_lo, exec_lo, s18
	v_mov_b32_e32 v8, 0
	s_and_saveexec_b32 s18, s19
	s_cbranch_execz .LBB54_1957
.LBB54_1956:
	v_and_b32_e32 v3, 0xffff, v1
	s_delay_alu instid0(VALU_DEP_1) | instskip(SKIP_1) | instid1(VALU_DEP_2)
	v_and_b32_e32 v5, 7, v3
	v_bfe_u32 v12, v3, 3, 4
	v_clz_i32_u32_e32 v8, v5
	s_delay_alu instid0(VALU_DEP_2) | instskip(NEXT) | instid1(VALU_DEP_2)
	v_cmp_eq_u32_e32 vcc_lo, 0, v12
	v_min_u32_e32 v8, 32, v8
	s_delay_alu instid0(VALU_DEP_1) | instskip(NEXT) | instid1(VALU_DEP_1)
	v_subrev_nc_u32_e32 v9, 28, v8
	v_dual_lshlrev_b32 v3, v9, v3 :: v_dual_sub_nc_u32 v8, 29, v8
	s_delay_alu instid0(VALU_DEP_1) | instskip(NEXT) | instid1(VALU_DEP_1)
	v_dual_lshlrev_b32 v1, 24, v1 :: v_dual_bitop2_b32 v3, 7, v3 bitop3:0x40
	v_dual_cndmask_b32 v8, v12, v8 :: v_dual_cndmask_b32 v3, v5, v3
	s_delay_alu instid0(VALU_DEP_2) | instskip(NEXT) | instid1(VALU_DEP_2)
	v_and_b32_e32 v1, 0x80000000, v1
	v_lshl_add_u32 v5, v8, 23, 0x3b800000
	s_delay_alu instid0(VALU_DEP_3) | instskip(NEXT) | instid1(VALU_DEP_1)
	v_lshlrev_b32_e32 v3, 20, v3
	v_or3_b32 v1, v1, v5, v3
	s_delay_alu instid0(VALU_DEP_1)
	v_cvt_i32_f32_e32 v8, v1
.LBB54_1957:
	s_or_b32 exec_lo, exec_lo, s18
.LBB54_1958:
	s_mov_b32 s18, -1
.LBB54_1959:
	s_mov_b32 s19, 0
.LBB54_1960:
	s_delay_alu instid0(SALU_CYCLE_1)
	s_and_b32 vcc_lo, exec_lo, s19
	s_cbranch_vccz .LBB54_1991
; %bb.1961:
	s_cmp_gt_i32 s13, 22
	s_cbranch_scc0 .LBB54_1969
; %bb.1962:
	s_cmp_lt_i32 s13, 24
	s_cbranch_scc1 .LBB54_1972
; %bb.1963:
	s_cmp_gt_i32 s13, 24
	s_cbranch_scc0 .LBB54_1973
; %bb.1964:
	global_load_u8 v1, v[6:7], off
	s_mov_b32 s18, 0
	s_mov_b32 s17, exec_lo
	s_wait_loadcnt 0x0
	v_cmpx_lt_i16_e32 0x7f, v1
	s_xor_b32 s17, exec_lo, s17
	s_cbranch_execz .LBB54_1985
; %bb.1965:
	v_cmp_ne_u16_e32 vcc_lo, 0x80, v1
	s_and_b32 s18, vcc_lo, exec_lo
	s_and_not1_saveexec_b32 s17, s17
	s_cbranch_execnz .LBB54_1986
.LBB54_1966:
	s_or_b32 exec_lo, exec_lo, s17
	v_mov_b32_e32 v8, 0
	s_and_saveexec_b32 s17, s18
	s_cbranch_execz .LBB54_1968
.LBB54_1967:
	v_and_b32_e32 v3, 0xffff, v1
	s_delay_alu instid0(VALU_DEP_1) | instskip(SKIP_1) | instid1(VALU_DEP_2)
	v_and_b32_e32 v5, 3, v3
	v_bfe_u32 v12, v3, 2, 5
	v_clz_i32_u32_e32 v8, v5
	s_delay_alu instid0(VALU_DEP_2) | instskip(NEXT) | instid1(VALU_DEP_2)
	v_cmp_eq_u32_e32 vcc_lo, 0, v12
	v_min_u32_e32 v8, 32, v8
	s_delay_alu instid0(VALU_DEP_1) | instskip(NEXT) | instid1(VALU_DEP_1)
	v_subrev_nc_u32_e32 v9, 29, v8
	v_dual_lshlrev_b32 v3, v9, v3 :: v_dual_sub_nc_u32 v8, 30, v8
	s_delay_alu instid0(VALU_DEP_1) | instskip(NEXT) | instid1(VALU_DEP_1)
	v_dual_lshlrev_b32 v1, 24, v1 :: v_dual_bitop2_b32 v3, 3, v3 bitop3:0x40
	v_dual_cndmask_b32 v8, v12, v8 :: v_dual_cndmask_b32 v3, v5, v3
	s_delay_alu instid0(VALU_DEP_2) | instskip(NEXT) | instid1(VALU_DEP_2)
	v_and_b32_e32 v1, 0x80000000, v1
	v_lshl_add_u32 v5, v8, 23, 0x37800000
	s_delay_alu instid0(VALU_DEP_3) | instskip(NEXT) | instid1(VALU_DEP_1)
	v_lshlrev_b32_e32 v3, 21, v3
	v_or3_b32 v1, v1, v5, v3
	s_delay_alu instid0(VALU_DEP_1)
	v_cvt_i32_f32_e32 v8, v1
.LBB54_1968:
	s_or_b32 exec_lo, exec_lo, s17
	s_mov_b32 s17, 0
	s_branch .LBB54_1974
.LBB54_1969:
	s_mov_b32 s17, -1
                                        ; implicit-def: $vgpr8
	s_branch .LBB54_1980
.LBB54_1970:
	s_and_not1_saveexec_b32 s18, s18
	s_cbranch_execz .LBB54_1955
.LBB54_1971:
	v_cmp_ne_u16_e32 vcc_lo, 0, v1
	s_and_not1_b32 s19, s19, exec_lo
	s_and_b32 s20, vcc_lo, exec_lo
	s_delay_alu instid0(SALU_CYCLE_1)
	s_or_b32 s19, s19, s20
	s_or_b32 exec_lo, exec_lo, s18
	v_mov_b32_e32 v8, 0
	s_and_saveexec_b32 s18, s19
	s_cbranch_execnz .LBB54_1956
	s_branch .LBB54_1957
.LBB54_1972:
	s_mov_b32 s17, -1
                                        ; implicit-def: $vgpr8
	s_branch .LBB54_1977
.LBB54_1973:
	s_mov_b32 s17, -1
                                        ; implicit-def: $vgpr8
.LBB54_1974:
	s_delay_alu instid0(SALU_CYCLE_1)
	s_and_b32 vcc_lo, exec_lo, s17
	s_cbranch_vccz .LBB54_1976
; %bb.1975:
	global_load_u8 v1, v[6:7], off
	s_wait_loadcnt 0x0
	v_lshlrev_b32_e32 v1, 24, v1
	s_delay_alu instid0(VALU_DEP_1) | instskip(NEXT) | instid1(VALU_DEP_1)
	v_and_b32_e32 v3, 0x7f000000, v1
	v_clz_i32_u32_e32 v5, v3
	v_add_nc_u32_e32 v9, 0x1000000, v3
	v_cmp_ne_u32_e32 vcc_lo, 0, v3
	s_delay_alu instid0(VALU_DEP_3) | instskip(NEXT) | instid1(VALU_DEP_1)
	v_min_u32_e32 v5, 32, v5
	v_sub_nc_u32_e64 v5, v5, 4 clamp
	s_delay_alu instid0(VALU_DEP_1) | instskip(NEXT) | instid1(VALU_DEP_1)
	v_dual_lshlrev_b32 v8, v5, v3 :: v_dual_lshlrev_b32 v5, 23, v5
	v_lshrrev_b32_e32 v8, 4, v8
	s_delay_alu instid0(VALU_DEP_1) | instskip(SKIP_1) | instid1(VALU_DEP_2)
	v_sub_nc_u32_e32 v5, v8, v5
	v_ashrrev_i32_e32 v8, 8, v9
	v_add_nc_u32_e32 v5, 0x3c000000, v5
	s_delay_alu instid0(VALU_DEP_1) | instskip(NEXT) | instid1(VALU_DEP_1)
	v_and_or_b32 v5, 0x7f800000, v8, v5
	v_cndmask_b32_e32 v3, 0, v5, vcc_lo
	s_delay_alu instid0(VALU_DEP_1) | instskip(NEXT) | instid1(VALU_DEP_1)
	v_and_or_b32 v1, 0x80000000, v1, v3
	v_cvt_i32_f32_e32 v8, v1
.LBB54_1976:
	s_mov_b32 s17, 0
.LBB54_1977:
	s_delay_alu instid0(SALU_CYCLE_1)
	s_and_not1_b32 vcc_lo, exec_lo, s17
	s_cbranch_vccnz .LBB54_1979
; %bb.1978:
	global_load_u8 v1, v[6:7], off
	s_wait_loadcnt 0x0
	v_lshlrev_b32_e32 v3, 25, v1
	v_lshlrev_b16 v1, 8, v1
	s_delay_alu instid0(VALU_DEP_1) | instskip(SKIP_1) | instid1(VALU_DEP_2)
	v_and_or_b32 v8, 0x7f00, v1, 0.5
	v_bfe_i32 v1, v1, 0, 16
	v_dual_add_f32 v8, -0.5, v8 :: v_dual_lshrrev_b32 v5, 4, v3
	v_cmp_gt_u32_e32 vcc_lo, 0x8000000, v3
	s_delay_alu instid0(VALU_DEP_2) | instskip(NEXT) | instid1(VALU_DEP_1)
	v_or_b32_e32 v5, 0x70000000, v5
	v_mul_f32_e32 v5, 0x7800000, v5
	s_delay_alu instid0(VALU_DEP_1) | instskip(NEXT) | instid1(VALU_DEP_1)
	v_cndmask_b32_e32 v3, v5, v8, vcc_lo
	v_and_or_b32 v1, 0x80000000, v1, v3
	s_delay_alu instid0(VALU_DEP_1)
	v_cvt_i32_f32_e32 v8, v1
.LBB54_1979:
	s_mov_b32 s17, 0
	s_mov_b32 s18, -1
.LBB54_1980:
	s_and_not1_b32 vcc_lo, exec_lo, s17
	s_mov_b32 s17, 0
	s_cbranch_vccnz .LBB54_1991
; %bb.1981:
	s_cmp_gt_i32 s13, 14
	s_cbranch_scc0 .LBB54_1984
; %bb.1982:
	s_cmp_eq_u32 s13, 15
	s_cbranch_scc0 .LBB54_1987
; %bb.1983:
	global_load_u16 v1, v[6:7], off
	s_mov_b32 s16, 0
	s_mov_b32 s18, -1
	s_wait_loadcnt 0x0
	v_lshlrev_b32_e32 v1, 16, v1
	s_delay_alu instid0(VALU_DEP_1)
	v_cvt_i32_f32_e32 v8, v1
	s_branch .LBB54_1989
.LBB54_1984:
	s_mov_b32 s17, -1
	s_branch .LBB54_1988
.LBB54_1985:
	s_and_not1_saveexec_b32 s17, s17
	s_cbranch_execz .LBB54_1966
.LBB54_1986:
	v_cmp_ne_u16_e32 vcc_lo, 0, v1
	s_and_not1_b32 s18, s18, exec_lo
	s_and_b32 s19, vcc_lo, exec_lo
	s_delay_alu instid0(SALU_CYCLE_1)
	s_or_b32 s18, s18, s19
	s_or_b32 exec_lo, exec_lo, s17
	v_mov_b32_e32 v8, 0
	s_and_saveexec_b32 s17, s18
	s_cbranch_execnz .LBB54_1967
	s_branch .LBB54_1968
.LBB54_1987:
	s_mov_b32 s16, -1
.LBB54_1988:
                                        ; implicit-def: $vgpr8
.LBB54_1989:
	s_and_b32 vcc_lo, exec_lo, s17
	s_mov_b32 s17, 0
	s_cbranch_vccz .LBB54_1991
; %bb.1990:
	s_cmp_lg_u32 s13, 11
	s_mov_b32 s17, -1
	s_cselect_b32 s16, -1, 0
.LBB54_1991:
	s_delay_alu instid0(SALU_CYCLE_1)
	s_and_b32 vcc_lo, exec_lo, s16
	s_cbranch_vccnz .LBB54_2062
; %bb.1992:
	s_and_not1_b32 vcc_lo, exec_lo, s17
	s_cbranch_vccnz .LBB54_1994
.LBB54_1993:
	global_load_u8 v1, v[6:7], off
	s_mov_b32 s18, -1
	s_wait_loadcnt 0x0
	v_cmp_ne_u16_e32 vcc_lo, 0, v1
	v_cndmask_b32_e64 v8, 0, 1, vcc_lo
.LBB54_1994:
	s_mov_b32 s13, 0
.LBB54_1995:
	s_delay_alu instid0(SALU_CYCLE_1)
	s_and_b32 vcc_lo, exec_lo, s13
	s_cbranch_vccz .LBB54_2044
; %bb.1996:
	s_and_b32 s13, 0xffff, s1
	s_delay_alu instid0(SALU_CYCLE_1)
	s_cmp_lt_i32 s13, 5
	s_cbranch_scc1 .LBB54_2001
; %bb.1997:
	s_cmp_lt_i32 s13, 8
	s_cbranch_scc1 .LBB54_2002
; %bb.1998:
	;; [unrolled: 3-line block ×3, first 2 shown]
	s_cmp_gt_i32 s13, 9
	s_cbranch_scc0 .LBB54_2004
; %bb.2000:
	s_wait_loadcnt 0x0
	global_load_b64 v[8:9], v[6:7], off
	s_mov_b32 s16, 0
	s_wait_loadcnt 0x0
	v_cvt_i32_f64_e32 v8, v[8:9]
	s_branch .LBB54_2005
.LBB54_2001:
	s_mov_b32 s16, -1
                                        ; implicit-def: $vgpr8
	s_branch .LBB54_2023
.LBB54_2002:
	s_mov_b32 s16, -1
                                        ; implicit-def: $vgpr8
	s_branch .LBB54_2011
.LBB54_2003:
	s_mov_b32 s16, -1
                                        ; implicit-def: $vgpr8
	s_branch .LBB54_2008
.LBB54_2004:
	s_mov_b32 s16, -1
                                        ; implicit-def: $vgpr8
.LBB54_2005:
	s_delay_alu instid0(SALU_CYCLE_1)
	s_and_not1_b32 vcc_lo, exec_lo, s16
	s_cbranch_vccnz .LBB54_2007
; %bb.2006:
	global_load_b32 v1, v[6:7], off
	s_wait_loadcnt 0x0
	v_cvt_i32_f32_e32 v8, v1
.LBB54_2007:
	s_mov_b32 s16, 0
.LBB54_2008:
	s_delay_alu instid0(SALU_CYCLE_1)
	s_and_not1_b32 vcc_lo, exec_lo, s16
	s_cbranch_vccnz .LBB54_2010
; %bb.2009:
	global_load_b32 v1, v[6:7], off
	s_wait_loadcnt 0x0
	v_cvt_i16_f16_e32 v8, v1
.LBB54_2010:
	s_mov_b32 s16, 0
.LBB54_2011:
	s_delay_alu instid0(SALU_CYCLE_1)
	s_and_not1_b32 vcc_lo, exec_lo, s16
	s_cbranch_vccnz .LBB54_2022
; %bb.2012:
	s_cmp_lt_i32 s13, 6
	s_cbranch_scc1 .LBB54_2015
; %bb.2013:
	s_cmp_gt_i32 s13, 6
	s_cbranch_scc0 .LBB54_2016
; %bb.2014:
	s_wait_loadcnt 0x0
	global_load_b64 v[8:9], v[6:7], off
	s_mov_b32 s16, 0
	s_wait_loadcnt 0x0
	v_cvt_i32_f64_e32 v8, v[8:9]
	s_branch .LBB54_2017
.LBB54_2015:
	s_mov_b32 s16, -1
                                        ; implicit-def: $vgpr8
	s_branch .LBB54_2020
.LBB54_2016:
	s_mov_b32 s16, -1
                                        ; implicit-def: $vgpr8
.LBB54_2017:
	s_delay_alu instid0(SALU_CYCLE_1)
	s_and_not1_b32 vcc_lo, exec_lo, s16
	s_cbranch_vccnz .LBB54_2019
; %bb.2018:
	global_load_b32 v1, v[6:7], off
	s_wait_loadcnt 0x0
	v_cvt_i32_f32_e32 v8, v1
.LBB54_2019:
	s_mov_b32 s16, 0
.LBB54_2020:
	s_delay_alu instid0(SALU_CYCLE_1)
	s_and_not1_b32 vcc_lo, exec_lo, s16
	s_cbranch_vccnz .LBB54_2022
; %bb.2021:
	global_load_u16 v1, v[6:7], off
	s_wait_loadcnt 0x0
	v_cvt_i16_f16_e32 v8, v1
.LBB54_2022:
	s_mov_b32 s16, 0
.LBB54_2023:
	s_delay_alu instid0(SALU_CYCLE_1)
	s_and_not1_b32 vcc_lo, exec_lo, s16
	s_cbranch_vccnz .LBB54_2043
; %bb.2024:
	s_cmp_lt_i32 s13, 2
	s_cbranch_scc1 .LBB54_2028
; %bb.2025:
	s_cmp_lt_i32 s13, 3
	s_cbranch_scc1 .LBB54_2029
; %bb.2026:
	s_cmp_gt_i32 s13, 3
	s_cbranch_scc0 .LBB54_2030
; %bb.2027:
	s_wait_loadcnt 0x0
	global_load_b64 v[8:9], v[6:7], off
	s_mov_b32 s16, 0
	s_branch .LBB54_2031
.LBB54_2028:
	s_mov_b32 s16, -1
                                        ; implicit-def: $vgpr8
	s_branch .LBB54_2037
.LBB54_2029:
	s_mov_b32 s16, -1
                                        ; implicit-def: $vgpr8
	s_branch .LBB54_2034
.LBB54_2030:
	s_mov_b32 s16, -1
                                        ; implicit-def: $vgpr8
.LBB54_2031:
	s_delay_alu instid0(SALU_CYCLE_1)
	s_and_not1_b32 vcc_lo, exec_lo, s16
	s_cbranch_vccnz .LBB54_2033
; %bb.2032:
	s_wait_loadcnt 0x0
	global_load_b32 v8, v[6:7], off
.LBB54_2033:
	s_mov_b32 s16, 0
.LBB54_2034:
	s_delay_alu instid0(SALU_CYCLE_1)
	s_and_not1_b32 vcc_lo, exec_lo, s16
	s_cbranch_vccnz .LBB54_2036
; %bb.2035:
	s_wait_loadcnt 0x0
	global_load_u16 v8, v[6:7], off
.LBB54_2036:
	s_mov_b32 s16, 0
.LBB54_2037:
	s_delay_alu instid0(SALU_CYCLE_1)
	s_and_not1_b32 vcc_lo, exec_lo, s16
	s_cbranch_vccnz .LBB54_2043
; %bb.2038:
	s_cmp_gt_i32 s13, 0
	s_mov_b32 s13, 0
	s_cbranch_scc0 .LBB54_2040
; %bb.2039:
	s_wait_loadcnt 0x0
	global_load_u8 v8, v[6:7], off
	s_branch .LBB54_2041
.LBB54_2040:
	s_mov_b32 s13, -1
                                        ; implicit-def: $vgpr8
.LBB54_2041:
	s_delay_alu instid0(SALU_CYCLE_1)
	s_and_not1_b32 vcc_lo, exec_lo, s13
	s_cbranch_vccnz .LBB54_2043
; %bb.2042:
	s_wait_loadcnt 0x0
	global_load_u8 v8, v[6:7], off
.LBB54_2043:
	s_mov_b32 s18, -1
.LBB54_2044:
	s_delay_alu instid0(SALU_CYCLE_1)
	s_and_not1_b32 vcc_lo, exec_lo, s18
	s_cbranch_vccnz .LBB54_2651
; %bb.2045:
	s_wait_loadcnt 0x0
	s_delay_alu instid0(VALU_DEP_1) | instskip(SKIP_2) | instid1(VALU_DEP_2)
	v_bfe_i32 v1, v8, 0, 8
	v_and_b32_e32 v3, 0xff, v4
	s_mov_b32 s16, 0
	v_sub_nc_u16 v5, 0, v1
	s_delay_alu instid0(VALU_DEP_2) | instskip(SKIP_1) | instid1(VALU_DEP_3)
	v_cmp_ne_u16_e32 vcc_lo, 0, v3
	v_bfe_i32 v3, v4, 0, 8
	v_max_i16 v5, v1, v5
	s_wait_xcnt 0x0
	s_and_saveexec_b32 s13, vcc_lo
	s_cbranch_execz .LBB54_2049
; %bb.2046:
	v_sub_nc_u16 v4, 0, v3
	s_delay_alu instid0(VALU_DEP_1) | instskip(SKIP_1) | instid1(VALU_DEP_2)
	v_max_i16 v6, v3, v4
	v_and_b32_e32 v4, 0xff, v5
	v_and_b32_e32 v6, 0xffff, v6
.LBB54_2047:                            ; =>This Inner Loop Header: Depth=1
	s_delay_alu instid0(VALU_DEP_2) | instskip(NEXT) | instid1(VALU_DEP_2)
	v_bfe_i32 v8, v4, 0, 8
	v_mov_b32_e32 v5, v6
	s_delay_alu instid0(VALU_DEP_2) | instskip(NEXT) | instid1(VALU_DEP_2)
	v_cvt_f32_i32_e32 v12, v8
	v_bfe_i32 v6, v5, 0, 8
	s_delay_alu instid0(VALU_DEP_1) | instskip(SKIP_1) | instid1(VALU_DEP_2)
	v_cvt_f32_i32_e32 v7, v6
	v_xor_b32_e32 v6, v8, v6
	v_rcp_iflag_f32_e32 v9, v7
	v_nop
	s_delay_alu instid0(TRANS32_DEP_1) | instskip(NEXT) | instid1(VALU_DEP_1)
	v_dual_ashrrev_i32 v6, 30, v6 :: v_dual_mul_f32 v8, v12, v9
	v_trunc_f32_e32 v8, v8
	s_delay_alu instid0(VALU_DEP_1) | instskip(SKIP_1) | instid1(VALU_DEP_2)
	v_dual_fma_f32 v9, -v8, v7, v12 :: v_dual_bitop2_b32 v6, 1, v6 bitop3:0x54
	v_cvt_i32_f32_e32 v8, v8
	v_cmp_ge_f32_e64 vcc_lo, |v9|, |v7|
	s_delay_alu instid0(VALU_DEP_3) | instskip(NEXT) | instid1(VALU_DEP_1)
	v_cndmask_b32_e32 v6, 0, v6, vcc_lo
	v_add_nc_u32_e32 v6, v8, v6
	s_delay_alu instid0(VALU_DEP_1) | instskip(NEXT) | instid1(VALU_DEP_1)
	v_mul_lo_u32 v6, v6, v5
	v_sub_nc_u32_e32 v4, v4, v6
	s_delay_alu instid0(VALU_DEP_1) | instskip(SKIP_1) | instid1(VALU_DEP_2)
	v_bfe_i32 v6, v4, 0, 8
	v_mov_b32_e32 v4, v5
	v_cmp_eq_u16_e32 vcc_lo, 0, v6
	v_and_b32_e32 v6, 0xffff, v6
	s_or_b32 s16, vcc_lo, s16
	s_delay_alu instid0(SALU_CYCLE_1)
	s_and_not1_b32 exec_lo, exec_lo, s16
	s_cbranch_execnz .LBB54_2047
; %bb.2048:
	s_or_b32 exec_lo, exec_lo, s16
.LBB54_2049:
	s_delay_alu instid0(SALU_CYCLE_1) | instskip(SKIP_3) | instid1(VALU_DEP_2)
	s_or_b32 exec_lo, exec_lo, s13
	v_and_b32_e32 v4, 0xff, v5
	v_mov_b32_e32 v12, 0
	s_mov_b32 s13, exec_lo
	v_cmpx_ne_u16_e32 0, v4
	s_cbranch_execz .LBB54_2051
; %bb.2050:
	v_bfe_i32 v4, v5, 0, 8
	v_cvt_f32_i32_e32 v7, v3
	s_delay_alu instid0(VALU_DEP_2) | instskip(SKIP_1) | instid1(VALU_DEP_2)
	v_cvt_f32_i32_e32 v5, v4
	v_xor_b32_e32 v3, v3, v4
	v_rcp_iflag_f32_e32 v6, v5
	s_delay_alu instid0(VALU_DEP_1)
	v_ashrrev_i32_e32 v3, 30, v3
	s_delay_alu instid0(TRANS32_DEP_1) | instid1(VALU_DEP_1)
	v_dual_mul_f32 v6, v7, v6 :: v_dual_bitop2_b32 v3, 1, v3 bitop3:0x54
	s_delay_alu instid0(VALU_DEP_1) | instskip(NEXT) | instid1(VALU_DEP_1)
	v_trunc_f32_e32 v4, v6
	v_fma_f32 v6, -v4, v5, v7
	v_cvt_i32_f32_e32 v4, v4
	s_delay_alu instid0(VALU_DEP_2) | instskip(SKIP_1) | instid1(VALU_DEP_1)
	v_cmp_ge_f32_e64 vcc_lo, |v6|, |v5|
	v_cndmask_b32_e32 v3, 0, v3, vcc_lo
	v_add_nc_u32_e32 v3, v4, v3
	s_delay_alu instid0(VALU_DEP_1) | instskip(NEXT) | instid1(VALU_DEP_1)
	v_bfe_i32 v3, v3, 0, 8
	v_mul_i32_i24_e32 v1, v3, v1
	s_delay_alu instid0(VALU_DEP_1) | instskip(NEXT) | instid1(VALU_DEP_1)
	v_sub_nc_u32_e32 v3, 0, v1
	v_max_i32_e32 v12, v1, v3
.LBB54_2051:
	s_or_b32 exec_lo, exec_lo, s13
	v_add_nc_u32_e32 v0, s9, v0
	s_cmp_lt_i32 s0, 11
	s_delay_alu instid0(VALU_DEP_1) | instskip(NEXT) | instid1(VALU_DEP_1)
	v_ashrrev_i32_e32 v1, 31, v0
	v_add_nc_u64_e32 v[6:7], s[6:7], v[0:1]
	s_cbranch_scc1 .LBB54_2058
; %bb.2052:
	s_and_b32 s13, 0xffff, s0
	s_mov_b32 s17, 0
	s_cmp_gt_i32 s13, 25
	s_cbranch_scc0 .LBB54_2059
; %bb.2053:
	s_cmp_gt_i32 s13, 28
	s_cbranch_scc0 .LBB54_2060
; %bb.2054:
	;; [unrolled: 3-line block ×4, first 2 shown]
	s_cmp_eq_u32 s13, 46
	s_mov_b32 s19, 0
	s_cbranch_scc0 .LBB54_2064
; %bb.2057:
	global_load_b32 v1, v[6:7], off
	s_mov_b32 s16, 0
	s_mov_b32 s18, -1
	s_wait_loadcnt 0x0
	v_lshlrev_b32_e32 v1, 16, v1
	s_delay_alu instid0(VALU_DEP_1)
	v_cvt_i32_f32_e32 v4, v1
	s_branch .LBB54_2066
.LBB54_2058:
	s_mov_b32 s13, -1
	s_mov_b32 s18, 0
                                        ; implicit-def: $vgpr4
	s_branch .LBB54_2128
.LBB54_2059:
	s_mov_b32 s19, -1
	s_mov_b32 s18, 0
	s_mov_b32 s16, 0
                                        ; implicit-def: $vgpr4
	s_branch .LBB54_2093
.LBB54_2060:
	s_mov_b32 s19, -1
	s_mov_b32 s18, 0
	s_mov_b32 s16, 0
                                        ; implicit-def: $vgpr4
	s_branch .LBB54_2076
.LBB54_2061:
	s_mov_b32 s19, -1
	s_mov_b32 s18, 0
	s_mov_b32 s16, 0
                                        ; implicit-def: $vgpr4
	s_branch .LBB54_2071
.LBB54_2062:
	s_or_b32 s12, s12, exec_lo
	s_trap 2
	s_cbranch_execz .LBB54_1993
	s_branch .LBB54_1994
.LBB54_2063:
	s_mov_b32 s19, -1
	s_mov_b32 s18, 0
	s_mov_b32 s16, 0
	s_branch .LBB54_2065
.LBB54_2064:
	s_mov_b32 s16, -1
	s_mov_b32 s18, 0
.LBB54_2065:
                                        ; implicit-def: $vgpr4
.LBB54_2066:
	s_and_b32 vcc_lo, exec_lo, s19
	s_cbranch_vccz .LBB54_2070
; %bb.2067:
	s_cmp_eq_u32 s13, 44
	s_cbranch_scc0 .LBB54_2069
; %bb.2068:
	global_load_u8 v1, v[6:7], off
	s_mov_b32 s16, 0
	s_mov_b32 s18, -1
	s_wait_loadcnt 0x0
	v_lshlrev_b32_e32 v3, 23, v1
	v_cmp_ne_u32_e32 vcc_lo, 0, v1
	s_delay_alu instid0(VALU_DEP_2) | instskip(NEXT) | instid1(VALU_DEP_1)
	v_cvt_i32_f32_e32 v3, v3
	v_cndmask_b32_e32 v4, 0, v3, vcc_lo
	s_branch .LBB54_2070
.LBB54_2069:
	s_mov_b32 s16, -1
                                        ; implicit-def: $vgpr4
.LBB54_2070:
	s_mov_b32 s19, 0
.LBB54_2071:
	s_delay_alu instid0(SALU_CYCLE_1)
	s_and_b32 vcc_lo, exec_lo, s19
	s_cbranch_vccz .LBB54_2075
; %bb.2072:
	s_cmp_eq_u32 s13, 29
	s_cbranch_scc0 .LBB54_2074
; %bb.2073:
	global_load_b64 v[4:5], v[6:7], off
	s_mov_b32 s16, 0
	s_mov_b32 s18, -1
	s_branch .LBB54_2075
.LBB54_2074:
	s_mov_b32 s16, -1
                                        ; implicit-def: $vgpr4
.LBB54_2075:
	s_mov_b32 s19, 0
.LBB54_2076:
	s_delay_alu instid0(SALU_CYCLE_1)
	s_and_b32 vcc_lo, exec_lo, s19
	s_cbranch_vccz .LBB54_2092
; %bb.2077:
	s_cmp_lt_i32 s13, 27
	s_cbranch_scc1 .LBB54_2080
; %bb.2078:
	s_cmp_gt_i32 s13, 27
	s_cbranch_scc0 .LBB54_2081
; %bb.2079:
	s_wait_loadcnt 0x0
	global_load_b32 v4, v[6:7], off
	s_mov_b32 s18, 0
	s_branch .LBB54_2082
.LBB54_2080:
	s_mov_b32 s18, -1
                                        ; implicit-def: $vgpr4
	s_branch .LBB54_2085
.LBB54_2081:
	s_mov_b32 s18, -1
                                        ; implicit-def: $vgpr4
.LBB54_2082:
	s_delay_alu instid0(SALU_CYCLE_1)
	s_and_not1_b32 vcc_lo, exec_lo, s18
	s_cbranch_vccnz .LBB54_2084
; %bb.2083:
	s_wait_loadcnt 0x0
	global_load_u16 v4, v[6:7], off
.LBB54_2084:
	s_mov_b32 s18, 0
.LBB54_2085:
	s_delay_alu instid0(SALU_CYCLE_1)
	s_and_not1_b32 vcc_lo, exec_lo, s18
	s_cbranch_vccnz .LBB54_2091
; %bb.2086:
	global_load_u8 v1, v[6:7], off
	s_mov_b32 s19, 0
	s_mov_b32 s18, exec_lo
	s_wait_loadcnt 0x0
	v_cmpx_lt_i16_e32 0x7f, v1
	s_xor_b32 s18, exec_lo, s18
	s_cbranch_execz .LBB54_2103
; %bb.2087:
	v_cmp_ne_u16_e32 vcc_lo, 0x80, v1
	s_and_b32 s19, vcc_lo, exec_lo
	s_and_not1_saveexec_b32 s18, s18
	s_cbranch_execnz .LBB54_2104
.LBB54_2088:
	s_or_b32 exec_lo, exec_lo, s18
	v_mov_b32_e32 v4, 0
	s_and_saveexec_b32 s18, s19
	s_cbranch_execz .LBB54_2090
.LBB54_2089:
	v_and_b32_e32 v3, 0xffff, v1
	s_delay_alu instid0(VALU_DEP_1) | instskip(SKIP_1) | instid1(VALU_DEP_2)
	v_and_b32_e32 v4, 7, v3
	v_bfe_u32 v9, v3, 3, 4
	v_clz_i32_u32_e32 v5, v4
	s_delay_alu instid0(VALU_DEP_2) | instskip(NEXT) | instid1(VALU_DEP_2)
	v_cmp_eq_u32_e32 vcc_lo, 0, v9
	v_min_u32_e32 v5, 32, v5
	s_delay_alu instid0(VALU_DEP_1) | instskip(NEXT) | instid1(VALU_DEP_1)
	v_subrev_nc_u32_e32 v8, 28, v5
	v_dual_lshlrev_b32 v3, v8, v3 :: v_dual_sub_nc_u32 v5, 29, v5
	s_delay_alu instid0(VALU_DEP_1) | instskip(NEXT) | instid1(VALU_DEP_1)
	v_dual_lshlrev_b32 v1, 24, v1 :: v_dual_bitop2_b32 v3, 7, v3 bitop3:0x40
	v_dual_cndmask_b32 v3, v4, v3, vcc_lo :: v_dual_cndmask_b32 v5, v9, v5, vcc_lo
	s_delay_alu instid0(VALU_DEP_2) | instskip(NEXT) | instid1(VALU_DEP_2)
	v_and_b32_e32 v1, 0x80000000, v1
	v_lshlrev_b32_e32 v3, 20, v3
	s_delay_alu instid0(VALU_DEP_3) | instskip(NEXT) | instid1(VALU_DEP_1)
	v_lshl_add_u32 v4, v5, 23, 0x3b800000
	v_or3_b32 v1, v1, v4, v3
	s_delay_alu instid0(VALU_DEP_1)
	v_cvt_i32_f32_e32 v4, v1
.LBB54_2090:
	s_or_b32 exec_lo, exec_lo, s18
.LBB54_2091:
	s_mov_b32 s18, -1
.LBB54_2092:
	s_mov_b32 s19, 0
.LBB54_2093:
	s_delay_alu instid0(SALU_CYCLE_1)
	s_and_b32 vcc_lo, exec_lo, s19
	s_cbranch_vccz .LBB54_2124
; %bb.2094:
	s_cmp_gt_i32 s13, 22
	s_cbranch_scc0 .LBB54_2102
; %bb.2095:
	s_cmp_lt_i32 s13, 24
	s_cbranch_scc1 .LBB54_2105
; %bb.2096:
	s_cmp_gt_i32 s13, 24
	s_cbranch_scc0 .LBB54_2106
; %bb.2097:
	global_load_u8 v1, v[6:7], off
	s_mov_b32 s18, 0
	s_mov_b32 s17, exec_lo
	s_wait_loadcnt 0x0
	v_cmpx_lt_i16_e32 0x7f, v1
	s_xor_b32 s17, exec_lo, s17
	s_cbranch_execz .LBB54_2118
; %bb.2098:
	v_cmp_ne_u16_e32 vcc_lo, 0x80, v1
	s_and_b32 s18, vcc_lo, exec_lo
	s_and_not1_saveexec_b32 s17, s17
	s_cbranch_execnz .LBB54_2119
.LBB54_2099:
	s_or_b32 exec_lo, exec_lo, s17
	v_mov_b32_e32 v4, 0
	s_and_saveexec_b32 s17, s18
	s_cbranch_execz .LBB54_2101
.LBB54_2100:
	v_and_b32_e32 v3, 0xffff, v1
	s_delay_alu instid0(VALU_DEP_1) | instskip(SKIP_1) | instid1(VALU_DEP_2)
	v_and_b32_e32 v4, 3, v3
	v_bfe_u32 v9, v3, 2, 5
	v_clz_i32_u32_e32 v5, v4
	s_delay_alu instid0(VALU_DEP_2) | instskip(NEXT) | instid1(VALU_DEP_2)
	v_cmp_eq_u32_e32 vcc_lo, 0, v9
	v_min_u32_e32 v5, 32, v5
	s_delay_alu instid0(VALU_DEP_1) | instskip(NEXT) | instid1(VALU_DEP_1)
	v_subrev_nc_u32_e32 v8, 29, v5
	v_dual_lshlrev_b32 v3, v8, v3 :: v_dual_sub_nc_u32 v5, 30, v5
	s_delay_alu instid0(VALU_DEP_1) | instskip(NEXT) | instid1(VALU_DEP_1)
	v_dual_lshlrev_b32 v1, 24, v1 :: v_dual_bitop2_b32 v3, 3, v3 bitop3:0x40
	v_dual_cndmask_b32 v3, v4, v3, vcc_lo :: v_dual_cndmask_b32 v5, v9, v5, vcc_lo
	s_delay_alu instid0(VALU_DEP_2) | instskip(NEXT) | instid1(VALU_DEP_2)
	v_and_b32_e32 v1, 0x80000000, v1
	v_lshlrev_b32_e32 v3, 21, v3
	s_delay_alu instid0(VALU_DEP_3) | instskip(NEXT) | instid1(VALU_DEP_1)
	v_lshl_add_u32 v4, v5, 23, 0x37800000
	v_or3_b32 v1, v1, v4, v3
	s_delay_alu instid0(VALU_DEP_1)
	v_cvt_i32_f32_e32 v4, v1
.LBB54_2101:
	s_or_b32 exec_lo, exec_lo, s17
	s_mov_b32 s17, 0
	s_branch .LBB54_2107
.LBB54_2102:
	s_mov_b32 s17, -1
                                        ; implicit-def: $vgpr4
	s_branch .LBB54_2113
.LBB54_2103:
	s_and_not1_saveexec_b32 s18, s18
	s_cbranch_execz .LBB54_2088
.LBB54_2104:
	v_cmp_ne_u16_e32 vcc_lo, 0, v1
	s_and_not1_b32 s19, s19, exec_lo
	s_and_b32 s20, vcc_lo, exec_lo
	s_delay_alu instid0(SALU_CYCLE_1)
	s_or_b32 s19, s19, s20
	s_or_b32 exec_lo, exec_lo, s18
	v_mov_b32_e32 v4, 0
	s_and_saveexec_b32 s18, s19
	s_cbranch_execnz .LBB54_2089
	s_branch .LBB54_2090
.LBB54_2105:
	s_mov_b32 s17, -1
                                        ; implicit-def: $vgpr4
	s_branch .LBB54_2110
.LBB54_2106:
	s_mov_b32 s17, -1
                                        ; implicit-def: $vgpr4
.LBB54_2107:
	s_delay_alu instid0(SALU_CYCLE_1)
	s_and_b32 vcc_lo, exec_lo, s17
	s_cbranch_vccz .LBB54_2109
; %bb.2108:
	global_load_u8 v1, v[6:7], off
	s_wait_loadcnt 0x0
	v_lshlrev_b32_e32 v1, 24, v1
	s_delay_alu instid0(VALU_DEP_1) | instskip(NEXT) | instid1(VALU_DEP_1)
	v_and_b32_e32 v3, 0x7f000000, v1
	v_clz_i32_u32_e32 v4, v3
	v_cmp_ne_u32_e32 vcc_lo, 0, v3
	v_add_nc_u32_e32 v8, 0x1000000, v3
	s_delay_alu instid0(VALU_DEP_3) | instskip(NEXT) | instid1(VALU_DEP_1)
	v_min_u32_e32 v4, 32, v4
	v_sub_nc_u32_e64 v4, v4, 4 clamp
	s_delay_alu instid0(VALU_DEP_1) | instskip(NEXT) | instid1(VALU_DEP_1)
	v_dual_lshlrev_b32 v5, v4, v3 :: v_dual_lshlrev_b32 v4, 23, v4
	v_lshrrev_b32_e32 v5, 4, v5
	s_delay_alu instid0(VALU_DEP_1) | instskip(SKIP_1) | instid1(VALU_DEP_2)
	v_sub_nc_u32_e32 v4, v5, v4
	v_ashrrev_i32_e32 v5, 8, v8
	v_add_nc_u32_e32 v4, 0x3c000000, v4
	s_delay_alu instid0(VALU_DEP_1) | instskip(NEXT) | instid1(VALU_DEP_1)
	v_and_or_b32 v4, 0x7f800000, v5, v4
	v_cndmask_b32_e32 v3, 0, v4, vcc_lo
	s_delay_alu instid0(VALU_DEP_1) | instskip(NEXT) | instid1(VALU_DEP_1)
	v_and_or_b32 v1, 0x80000000, v1, v3
	v_cvt_i32_f32_e32 v4, v1
.LBB54_2109:
	s_mov_b32 s17, 0
.LBB54_2110:
	s_delay_alu instid0(SALU_CYCLE_1)
	s_and_not1_b32 vcc_lo, exec_lo, s17
	s_cbranch_vccnz .LBB54_2112
; %bb.2111:
	global_load_u8 v1, v[6:7], off
	s_wait_loadcnt 0x0
	v_lshlrev_b32_e32 v3, 25, v1
	v_lshlrev_b16 v1, 8, v1
	s_delay_alu instid0(VALU_DEP_1) | instskip(NEXT) | instid1(VALU_DEP_3)
	v_and_or_b32 v5, 0x7f00, v1, 0.5
	v_lshrrev_b32_e32 v4, 4, v3
	v_bfe_i32 v1, v1, 0, 16
	s_delay_alu instid0(VALU_DEP_3) | instskip(NEXT) | instid1(VALU_DEP_3)
	v_add_f32_e32 v5, -0.5, v5
	v_or_b32_e32 v4, 0x70000000, v4
	s_delay_alu instid0(VALU_DEP_1) | instskip(SKIP_1) | instid1(VALU_DEP_2)
	v_mul_f32_e32 v4, 0x7800000, v4
	v_cmp_gt_u32_e32 vcc_lo, 0x8000000, v3
	v_cndmask_b32_e32 v3, v4, v5, vcc_lo
	s_delay_alu instid0(VALU_DEP_1) | instskip(NEXT) | instid1(VALU_DEP_1)
	v_and_or_b32 v1, 0x80000000, v1, v3
	v_cvt_i32_f32_e32 v4, v1
.LBB54_2112:
	s_mov_b32 s17, 0
	s_mov_b32 s18, -1
.LBB54_2113:
	s_and_not1_b32 vcc_lo, exec_lo, s17
	s_mov_b32 s17, 0
	s_cbranch_vccnz .LBB54_2124
; %bb.2114:
	s_cmp_gt_i32 s13, 14
	s_cbranch_scc0 .LBB54_2117
; %bb.2115:
	s_cmp_eq_u32 s13, 15
	s_cbranch_scc0 .LBB54_2120
; %bb.2116:
	global_load_u16 v1, v[6:7], off
	s_mov_b32 s16, 0
	s_mov_b32 s18, -1
	s_wait_loadcnt 0x0
	v_lshlrev_b32_e32 v1, 16, v1
	s_delay_alu instid0(VALU_DEP_1)
	v_cvt_i32_f32_e32 v4, v1
	s_branch .LBB54_2122
.LBB54_2117:
	s_mov_b32 s17, -1
	s_branch .LBB54_2121
.LBB54_2118:
	s_and_not1_saveexec_b32 s17, s17
	s_cbranch_execz .LBB54_2099
.LBB54_2119:
	v_cmp_ne_u16_e32 vcc_lo, 0, v1
	s_and_not1_b32 s18, s18, exec_lo
	s_and_b32 s19, vcc_lo, exec_lo
	s_delay_alu instid0(SALU_CYCLE_1)
	s_or_b32 s18, s18, s19
	s_or_b32 exec_lo, exec_lo, s17
	v_mov_b32_e32 v4, 0
	s_and_saveexec_b32 s17, s18
	s_cbranch_execnz .LBB54_2100
	s_branch .LBB54_2101
.LBB54_2120:
	s_mov_b32 s16, -1
.LBB54_2121:
                                        ; implicit-def: $vgpr4
.LBB54_2122:
	s_and_b32 vcc_lo, exec_lo, s17
	s_mov_b32 s17, 0
	s_cbranch_vccz .LBB54_2124
; %bb.2123:
	s_cmp_lg_u32 s13, 11
	s_mov_b32 s17, -1
	s_cselect_b32 s16, -1, 0
.LBB54_2124:
	s_delay_alu instid0(SALU_CYCLE_1)
	s_and_b32 vcc_lo, exec_lo, s16
	s_cbranch_vccnz .LBB54_2189
; %bb.2125:
	s_and_not1_b32 vcc_lo, exec_lo, s17
	s_cbranch_vccnz .LBB54_2127
.LBB54_2126:
	global_load_u8 v1, v[6:7], off
	s_mov_b32 s18, -1
	s_wait_loadcnt 0x0
	v_cmp_ne_u16_e32 vcc_lo, 0, v1
	v_cndmask_b32_e64 v4, 0, 1, vcc_lo
.LBB54_2127:
	s_mov_b32 s13, 0
.LBB54_2128:
	s_delay_alu instid0(SALU_CYCLE_1)
	s_and_b32 vcc_lo, exec_lo, s13
	s_cbranch_vccz .LBB54_2177
; %bb.2129:
	s_and_b32 s13, 0xffff, s0
	s_delay_alu instid0(SALU_CYCLE_1)
	s_cmp_lt_i32 s13, 5
	s_cbranch_scc1 .LBB54_2134
; %bb.2130:
	s_cmp_lt_i32 s13, 8
	s_cbranch_scc1 .LBB54_2135
; %bb.2131:
	;; [unrolled: 3-line block ×3, first 2 shown]
	s_cmp_gt_i32 s13, 9
	s_cbranch_scc0 .LBB54_2137
; %bb.2133:
	s_wait_loadcnt 0x0
	global_load_b64 v[4:5], v[6:7], off
	s_mov_b32 s16, 0
	s_wait_loadcnt 0x0
	v_cvt_i32_f64_e32 v4, v[4:5]
	s_branch .LBB54_2138
.LBB54_2134:
	s_mov_b32 s16, -1
                                        ; implicit-def: $vgpr4
	s_branch .LBB54_2156
.LBB54_2135:
	s_mov_b32 s16, -1
                                        ; implicit-def: $vgpr4
	s_branch .LBB54_2144
.LBB54_2136:
	s_mov_b32 s16, -1
                                        ; implicit-def: $vgpr4
	s_branch .LBB54_2141
.LBB54_2137:
	s_mov_b32 s16, -1
                                        ; implicit-def: $vgpr4
.LBB54_2138:
	s_delay_alu instid0(SALU_CYCLE_1)
	s_and_not1_b32 vcc_lo, exec_lo, s16
	s_cbranch_vccnz .LBB54_2140
; %bb.2139:
	global_load_b32 v1, v[6:7], off
	s_wait_loadcnt 0x0
	v_cvt_i32_f32_e32 v4, v1
.LBB54_2140:
	s_mov_b32 s16, 0
.LBB54_2141:
	s_delay_alu instid0(SALU_CYCLE_1)
	s_and_not1_b32 vcc_lo, exec_lo, s16
	s_cbranch_vccnz .LBB54_2143
; %bb.2142:
	global_load_b32 v1, v[6:7], off
	s_wait_loadcnt 0x0
	v_cvt_i16_f16_e32 v4, v1
.LBB54_2143:
	s_mov_b32 s16, 0
.LBB54_2144:
	s_delay_alu instid0(SALU_CYCLE_1)
	s_and_not1_b32 vcc_lo, exec_lo, s16
	s_cbranch_vccnz .LBB54_2155
; %bb.2145:
	s_cmp_lt_i32 s13, 6
	s_cbranch_scc1 .LBB54_2148
; %bb.2146:
	s_cmp_gt_i32 s13, 6
	s_cbranch_scc0 .LBB54_2149
; %bb.2147:
	s_wait_loadcnt 0x0
	global_load_b64 v[4:5], v[6:7], off
	s_mov_b32 s16, 0
	s_wait_loadcnt 0x0
	v_cvt_i32_f64_e32 v4, v[4:5]
	s_branch .LBB54_2150
.LBB54_2148:
	s_mov_b32 s16, -1
                                        ; implicit-def: $vgpr4
	s_branch .LBB54_2153
.LBB54_2149:
	s_mov_b32 s16, -1
                                        ; implicit-def: $vgpr4
.LBB54_2150:
	s_delay_alu instid0(SALU_CYCLE_1)
	s_and_not1_b32 vcc_lo, exec_lo, s16
	s_cbranch_vccnz .LBB54_2152
; %bb.2151:
	global_load_b32 v1, v[6:7], off
	s_wait_loadcnt 0x0
	v_cvt_i32_f32_e32 v4, v1
.LBB54_2152:
	s_mov_b32 s16, 0
.LBB54_2153:
	s_delay_alu instid0(SALU_CYCLE_1)
	s_and_not1_b32 vcc_lo, exec_lo, s16
	s_cbranch_vccnz .LBB54_2155
; %bb.2154:
	global_load_u16 v1, v[6:7], off
	s_wait_loadcnt 0x0
	v_cvt_i16_f16_e32 v4, v1
.LBB54_2155:
	s_mov_b32 s16, 0
.LBB54_2156:
	s_delay_alu instid0(SALU_CYCLE_1)
	s_and_not1_b32 vcc_lo, exec_lo, s16
	s_cbranch_vccnz .LBB54_2176
; %bb.2157:
	s_cmp_lt_i32 s13, 2
	s_cbranch_scc1 .LBB54_2161
; %bb.2158:
	s_cmp_lt_i32 s13, 3
	s_cbranch_scc1 .LBB54_2162
; %bb.2159:
	s_cmp_gt_i32 s13, 3
	s_cbranch_scc0 .LBB54_2163
; %bb.2160:
	s_wait_loadcnt 0x0
	global_load_b64 v[4:5], v[6:7], off
	s_mov_b32 s16, 0
	s_branch .LBB54_2164
.LBB54_2161:
	s_mov_b32 s16, -1
                                        ; implicit-def: $vgpr4
	s_branch .LBB54_2170
.LBB54_2162:
	s_mov_b32 s16, -1
                                        ; implicit-def: $vgpr4
	s_branch .LBB54_2167
.LBB54_2163:
	s_mov_b32 s16, -1
                                        ; implicit-def: $vgpr4
.LBB54_2164:
	s_delay_alu instid0(SALU_CYCLE_1)
	s_and_not1_b32 vcc_lo, exec_lo, s16
	s_cbranch_vccnz .LBB54_2166
; %bb.2165:
	s_wait_loadcnt 0x0
	global_load_b32 v4, v[6:7], off
.LBB54_2166:
	s_mov_b32 s16, 0
.LBB54_2167:
	s_delay_alu instid0(SALU_CYCLE_1)
	s_and_not1_b32 vcc_lo, exec_lo, s16
	s_cbranch_vccnz .LBB54_2169
; %bb.2168:
	s_wait_loadcnt 0x0
	global_load_u16 v4, v[6:7], off
.LBB54_2169:
	s_mov_b32 s16, 0
.LBB54_2170:
	s_delay_alu instid0(SALU_CYCLE_1)
	s_and_not1_b32 vcc_lo, exec_lo, s16
	s_cbranch_vccnz .LBB54_2176
; %bb.2171:
	s_cmp_gt_i32 s13, 0
	s_mov_b32 s13, 0
	s_cbranch_scc0 .LBB54_2173
; %bb.2172:
	s_wait_loadcnt 0x0
	global_load_u8 v4, v[6:7], off
	s_branch .LBB54_2174
.LBB54_2173:
	s_mov_b32 s13, -1
                                        ; implicit-def: $vgpr4
.LBB54_2174:
	s_delay_alu instid0(SALU_CYCLE_1)
	s_and_not1_b32 vcc_lo, exec_lo, s13
	s_cbranch_vccnz .LBB54_2176
; %bb.2175:
	s_wait_loadcnt 0x0
	global_load_u8 v4, v[6:7], off
.LBB54_2176:
	s_mov_b32 s18, -1
.LBB54_2177:
	s_delay_alu instid0(SALU_CYCLE_1)
	s_and_not1_b32 vcc_lo, exec_lo, s18
	s_cbranch_vccnz .LBB54_2651
; %bb.2178:
	v_add_nc_u32_e32 v2, s10, v2
	s_cmp_lt_i32 s1, 11
	s_delay_alu instid0(VALU_DEP_1) | instskip(SKIP_1) | instid1(VALU_DEP_1)
	v_ashrrev_i32_e32 v3, 31, v2
	s_wait_xcnt 0x0
	v_add_nc_u64_e32 v[6:7], s[2:3], v[2:3]
	s_cbranch_scc1 .LBB54_2185
; %bb.2179:
	s_and_b32 s13, 0xffff, s1
	s_mov_b32 s17, 0
	s_cmp_gt_i32 s13, 25
	s_cbranch_scc0 .LBB54_2186
; %bb.2180:
	s_cmp_gt_i32 s13, 28
	s_cbranch_scc0 .LBB54_2187
; %bb.2181:
	;; [unrolled: 3-line block ×4, first 2 shown]
	s_cmp_eq_u32 s13, 46
	s_mov_b32 s19, 0
	s_cbranch_scc0 .LBB54_2193
; %bb.2184:
	global_load_b32 v1, v[6:7], off
	s_mov_b32 s16, 0
	s_mov_b32 s18, -1
	s_wait_loadcnt 0x0
	v_lshlrev_b32_e32 v1, 16, v1
	s_delay_alu instid0(VALU_DEP_1)
	v_cvt_i32_f32_e32 v8, v1
	s_branch .LBB54_2195
.LBB54_2185:
	s_mov_b32 s13, -1
	s_mov_b32 s18, 0
                                        ; implicit-def: $vgpr8
	s_branch .LBB54_2257
.LBB54_2186:
	s_mov_b32 s19, -1
	s_mov_b32 s18, 0
	s_mov_b32 s16, 0
                                        ; implicit-def: $vgpr8
	s_branch .LBB54_2222
.LBB54_2187:
	s_mov_b32 s19, -1
	s_mov_b32 s18, 0
	s_mov_b32 s16, 0
                                        ; implicit-def: $vgpr8
	s_branch .LBB54_2205
.LBB54_2188:
	s_mov_b32 s19, -1
	s_mov_b32 s18, 0
	s_mov_b32 s16, 0
                                        ; implicit-def: $vgpr8
	s_branch .LBB54_2200
.LBB54_2189:
	s_or_b32 s12, s12, exec_lo
	s_trap 2
	s_cbranch_execz .LBB54_2126
	s_branch .LBB54_2127
.LBB54_2190:
	s_mov_b32 s19, -1
	s_mov_b32 s18, 0
	s_mov_b32 s16, 0
	s_branch .LBB54_2194
.LBB54_2191:
	s_and_not1_saveexec_b32 s31, s31
	s_cbranch_execz .LBB54_1081
.LBB54_2192:
	v_add_f32_e64 v4, 0x42800000, |v3|
	s_and_not1_b32 s30, s30, exec_lo
	s_delay_alu instid0(VALU_DEP_1) | instskip(NEXT) | instid1(VALU_DEP_1)
	v_and_b32_e32 v4, 0xff, v4
	v_cmp_ne_u32_e32 vcc_lo, 0, v4
	s_and_b32 s33, vcc_lo, exec_lo
	s_delay_alu instid0(SALU_CYCLE_1)
	s_or_b32 s30, s30, s33
	s_or_b32 exec_lo, exec_lo, s31
	v_mov_b32_e32 v5, 0
	s_and_saveexec_b32 s31, s30
	s_cbranch_execnz .LBB54_1082
	s_branch .LBB54_1083
.LBB54_2193:
	s_mov_b32 s16, -1
	s_mov_b32 s18, 0
.LBB54_2194:
                                        ; implicit-def: $vgpr8
.LBB54_2195:
	s_and_b32 vcc_lo, exec_lo, s19
	s_cbranch_vccz .LBB54_2199
; %bb.2196:
	s_cmp_eq_u32 s13, 44
	s_cbranch_scc0 .LBB54_2198
; %bb.2197:
	global_load_u8 v1, v[6:7], off
	s_mov_b32 s16, 0
	s_mov_b32 s18, -1
	s_wait_loadcnt 0x0
	v_lshlrev_b32_e32 v3, 23, v1
	v_cmp_ne_u32_e32 vcc_lo, 0, v1
	s_delay_alu instid0(VALU_DEP_2) | instskip(NEXT) | instid1(VALU_DEP_1)
	v_cvt_i32_f32_e32 v3, v3
	v_cndmask_b32_e32 v8, 0, v3, vcc_lo
	s_branch .LBB54_2199
.LBB54_2198:
	s_mov_b32 s16, -1
                                        ; implicit-def: $vgpr8
.LBB54_2199:
	s_mov_b32 s19, 0
.LBB54_2200:
	s_delay_alu instid0(SALU_CYCLE_1)
	s_and_b32 vcc_lo, exec_lo, s19
	s_cbranch_vccz .LBB54_2204
; %bb.2201:
	s_cmp_eq_u32 s13, 29
	s_cbranch_scc0 .LBB54_2203
; %bb.2202:
	global_load_b64 v[8:9], v[6:7], off
	s_mov_b32 s16, 0
	s_mov_b32 s18, -1
	s_branch .LBB54_2204
.LBB54_2203:
	s_mov_b32 s16, -1
                                        ; implicit-def: $vgpr8
.LBB54_2204:
	s_mov_b32 s19, 0
.LBB54_2205:
	s_delay_alu instid0(SALU_CYCLE_1)
	s_and_b32 vcc_lo, exec_lo, s19
	s_cbranch_vccz .LBB54_2221
; %bb.2206:
	s_cmp_lt_i32 s13, 27
	s_cbranch_scc1 .LBB54_2209
; %bb.2207:
	s_cmp_gt_i32 s13, 27
	s_cbranch_scc0 .LBB54_2210
; %bb.2208:
	s_wait_loadcnt 0x0
	global_load_b32 v8, v[6:7], off
	s_mov_b32 s18, 0
	s_branch .LBB54_2211
.LBB54_2209:
	s_mov_b32 s18, -1
                                        ; implicit-def: $vgpr8
	s_branch .LBB54_2214
.LBB54_2210:
	s_mov_b32 s18, -1
                                        ; implicit-def: $vgpr8
.LBB54_2211:
	s_delay_alu instid0(SALU_CYCLE_1)
	s_and_not1_b32 vcc_lo, exec_lo, s18
	s_cbranch_vccnz .LBB54_2213
; %bb.2212:
	s_wait_loadcnt 0x0
	global_load_u16 v8, v[6:7], off
.LBB54_2213:
	s_mov_b32 s18, 0
.LBB54_2214:
	s_delay_alu instid0(SALU_CYCLE_1)
	s_and_not1_b32 vcc_lo, exec_lo, s18
	s_cbranch_vccnz .LBB54_2220
; %bb.2215:
	global_load_u8 v1, v[6:7], off
	s_mov_b32 s19, 0
	s_mov_b32 s18, exec_lo
	s_wait_loadcnt 0x0
	v_cmpx_lt_i16_e32 0x7f, v1
	s_xor_b32 s18, exec_lo, s18
	s_cbranch_execz .LBB54_2232
; %bb.2216:
	v_cmp_ne_u16_e32 vcc_lo, 0x80, v1
	s_and_b32 s19, vcc_lo, exec_lo
	s_and_not1_saveexec_b32 s18, s18
	s_cbranch_execnz .LBB54_2233
.LBB54_2217:
	s_or_b32 exec_lo, exec_lo, s18
	v_mov_b32_e32 v8, 0
	s_and_saveexec_b32 s18, s19
	s_cbranch_execz .LBB54_2219
.LBB54_2218:
	v_and_b32_e32 v3, 0xffff, v1
	s_delay_alu instid0(VALU_DEP_1) | instskip(SKIP_1) | instid1(VALU_DEP_2)
	v_and_b32_e32 v5, 7, v3
	v_bfe_u32 v13, v3, 3, 4
	v_clz_i32_u32_e32 v8, v5
	s_delay_alu instid0(VALU_DEP_2) | instskip(NEXT) | instid1(VALU_DEP_2)
	v_cmp_eq_u32_e32 vcc_lo, 0, v13
	v_min_u32_e32 v8, 32, v8
	s_delay_alu instid0(VALU_DEP_1) | instskip(NEXT) | instid1(VALU_DEP_1)
	v_subrev_nc_u32_e32 v9, 28, v8
	v_dual_lshlrev_b32 v3, v9, v3 :: v_dual_sub_nc_u32 v8, 29, v8
	s_delay_alu instid0(VALU_DEP_1) | instskip(NEXT) | instid1(VALU_DEP_2)
	v_dual_lshlrev_b32 v1, 24, v1 :: v_dual_bitop2_b32 v3, 7, v3 bitop3:0x40
	v_cndmask_b32_e32 v8, v13, v8, vcc_lo
	s_delay_alu instid0(VALU_DEP_2) | instskip(NEXT) | instid1(VALU_DEP_3)
	v_cndmask_b32_e32 v3, v5, v3, vcc_lo
	v_and_b32_e32 v1, 0x80000000, v1
	s_delay_alu instid0(VALU_DEP_3) | instskip(NEXT) | instid1(VALU_DEP_3)
	v_lshl_add_u32 v5, v8, 23, 0x3b800000
	v_lshlrev_b32_e32 v3, 20, v3
	s_delay_alu instid0(VALU_DEP_1) | instskip(NEXT) | instid1(VALU_DEP_1)
	v_or3_b32 v1, v1, v5, v3
	v_cvt_i32_f32_e32 v8, v1
.LBB54_2219:
	s_or_b32 exec_lo, exec_lo, s18
.LBB54_2220:
	s_mov_b32 s18, -1
.LBB54_2221:
	s_mov_b32 s19, 0
.LBB54_2222:
	s_delay_alu instid0(SALU_CYCLE_1)
	s_and_b32 vcc_lo, exec_lo, s19
	s_cbranch_vccz .LBB54_2253
; %bb.2223:
	s_cmp_gt_i32 s13, 22
	s_cbranch_scc0 .LBB54_2231
; %bb.2224:
	s_cmp_lt_i32 s13, 24
	s_cbranch_scc1 .LBB54_2234
; %bb.2225:
	s_cmp_gt_i32 s13, 24
	s_cbranch_scc0 .LBB54_2235
; %bb.2226:
	global_load_u8 v1, v[6:7], off
	s_mov_b32 s18, 0
	s_mov_b32 s17, exec_lo
	s_wait_loadcnt 0x0
	v_cmpx_lt_i16_e32 0x7f, v1
	s_xor_b32 s17, exec_lo, s17
	s_cbranch_execz .LBB54_2247
; %bb.2227:
	v_cmp_ne_u16_e32 vcc_lo, 0x80, v1
	s_and_b32 s18, vcc_lo, exec_lo
	s_and_not1_saveexec_b32 s17, s17
	s_cbranch_execnz .LBB54_2248
.LBB54_2228:
	s_or_b32 exec_lo, exec_lo, s17
	v_mov_b32_e32 v8, 0
	s_and_saveexec_b32 s17, s18
	s_cbranch_execz .LBB54_2230
.LBB54_2229:
	v_and_b32_e32 v3, 0xffff, v1
	s_delay_alu instid0(VALU_DEP_1) | instskip(SKIP_1) | instid1(VALU_DEP_2)
	v_and_b32_e32 v5, 3, v3
	v_bfe_u32 v13, v3, 2, 5
	v_clz_i32_u32_e32 v8, v5
	s_delay_alu instid0(VALU_DEP_2) | instskip(NEXT) | instid1(VALU_DEP_2)
	v_cmp_eq_u32_e32 vcc_lo, 0, v13
	v_min_u32_e32 v8, 32, v8
	s_delay_alu instid0(VALU_DEP_1) | instskip(NEXT) | instid1(VALU_DEP_1)
	v_subrev_nc_u32_e32 v9, 29, v8
	v_dual_lshlrev_b32 v3, v9, v3 :: v_dual_sub_nc_u32 v8, 30, v8
	s_delay_alu instid0(VALU_DEP_1) | instskip(NEXT) | instid1(VALU_DEP_2)
	v_dual_lshlrev_b32 v1, 24, v1 :: v_dual_bitop2_b32 v3, 3, v3 bitop3:0x40
	v_cndmask_b32_e32 v8, v13, v8, vcc_lo
	s_delay_alu instid0(VALU_DEP_2) | instskip(NEXT) | instid1(VALU_DEP_3)
	v_cndmask_b32_e32 v3, v5, v3, vcc_lo
	v_and_b32_e32 v1, 0x80000000, v1
	s_delay_alu instid0(VALU_DEP_3) | instskip(NEXT) | instid1(VALU_DEP_3)
	v_lshl_add_u32 v5, v8, 23, 0x37800000
	v_lshlrev_b32_e32 v3, 21, v3
	s_delay_alu instid0(VALU_DEP_1) | instskip(NEXT) | instid1(VALU_DEP_1)
	v_or3_b32 v1, v1, v5, v3
	v_cvt_i32_f32_e32 v8, v1
.LBB54_2230:
	s_or_b32 exec_lo, exec_lo, s17
	s_mov_b32 s17, 0
	s_branch .LBB54_2236
.LBB54_2231:
	s_mov_b32 s17, -1
                                        ; implicit-def: $vgpr8
	s_branch .LBB54_2242
.LBB54_2232:
	s_and_not1_saveexec_b32 s18, s18
	s_cbranch_execz .LBB54_2217
.LBB54_2233:
	v_cmp_ne_u16_e32 vcc_lo, 0, v1
	s_and_not1_b32 s19, s19, exec_lo
	s_and_b32 s20, vcc_lo, exec_lo
	s_delay_alu instid0(SALU_CYCLE_1)
	s_or_b32 s19, s19, s20
	s_or_b32 exec_lo, exec_lo, s18
	v_mov_b32_e32 v8, 0
	s_and_saveexec_b32 s18, s19
	s_cbranch_execnz .LBB54_2218
	s_branch .LBB54_2219
.LBB54_2234:
	s_mov_b32 s17, -1
                                        ; implicit-def: $vgpr8
	s_branch .LBB54_2239
.LBB54_2235:
	s_mov_b32 s17, -1
                                        ; implicit-def: $vgpr8
.LBB54_2236:
	s_delay_alu instid0(SALU_CYCLE_1)
	s_and_b32 vcc_lo, exec_lo, s17
	s_cbranch_vccz .LBB54_2238
; %bb.2237:
	global_load_u8 v1, v[6:7], off
	s_wait_loadcnt 0x0
	v_lshlrev_b32_e32 v1, 24, v1
	s_delay_alu instid0(VALU_DEP_1) | instskip(NEXT) | instid1(VALU_DEP_1)
	v_and_b32_e32 v3, 0x7f000000, v1
	v_clz_i32_u32_e32 v5, v3
	v_add_nc_u32_e32 v9, 0x1000000, v3
	v_cmp_ne_u32_e32 vcc_lo, 0, v3
	s_delay_alu instid0(VALU_DEP_3) | instskip(NEXT) | instid1(VALU_DEP_1)
	v_min_u32_e32 v5, 32, v5
	v_sub_nc_u32_e64 v5, v5, 4 clamp
	s_delay_alu instid0(VALU_DEP_1) | instskip(NEXT) | instid1(VALU_DEP_1)
	v_dual_lshlrev_b32 v8, v5, v3 :: v_dual_lshlrev_b32 v5, 23, v5
	v_lshrrev_b32_e32 v8, 4, v8
	s_delay_alu instid0(VALU_DEP_1) | instskip(SKIP_1) | instid1(VALU_DEP_2)
	v_sub_nc_u32_e32 v5, v8, v5
	v_ashrrev_i32_e32 v8, 8, v9
	v_add_nc_u32_e32 v5, 0x3c000000, v5
	s_delay_alu instid0(VALU_DEP_1) | instskip(NEXT) | instid1(VALU_DEP_1)
	v_and_or_b32 v5, 0x7f800000, v8, v5
	v_cndmask_b32_e32 v3, 0, v5, vcc_lo
	s_delay_alu instid0(VALU_DEP_1) | instskip(NEXT) | instid1(VALU_DEP_1)
	v_and_or_b32 v1, 0x80000000, v1, v3
	v_cvt_i32_f32_e32 v8, v1
.LBB54_2238:
	s_mov_b32 s17, 0
.LBB54_2239:
	s_delay_alu instid0(SALU_CYCLE_1)
	s_and_not1_b32 vcc_lo, exec_lo, s17
	s_cbranch_vccnz .LBB54_2241
; %bb.2240:
	global_load_u8 v1, v[6:7], off
	s_wait_loadcnt 0x0
	v_lshlrev_b32_e32 v3, 25, v1
	v_lshlrev_b16 v1, 8, v1
	s_delay_alu instid0(VALU_DEP_1) | instskip(SKIP_1) | instid1(VALU_DEP_2)
	v_and_or_b32 v8, 0x7f00, v1, 0.5
	v_bfe_i32 v1, v1, 0, 16
	v_dual_add_f32 v8, -0.5, v8 :: v_dual_lshrrev_b32 v5, 4, v3
	v_cmp_gt_u32_e32 vcc_lo, 0x8000000, v3
	s_delay_alu instid0(VALU_DEP_2) | instskip(NEXT) | instid1(VALU_DEP_1)
	v_or_b32_e32 v5, 0x70000000, v5
	v_mul_f32_e32 v5, 0x7800000, v5
	s_delay_alu instid0(VALU_DEP_1) | instskip(NEXT) | instid1(VALU_DEP_1)
	v_cndmask_b32_e32 v3, v5, v8, vcc_lo
	v_and_or_b32 v1, 0x80000000, v1, v3
	s_delay_alu instid0(VALU_DEP_1)
	v_cvt_i32_f32_e32 v8, v1
.LBB54_2241:
	s_mov_b32 s17, 0
	s_mov_b32 s18, -1
.LBB54_2242:
	s_and_not1_b32 vcc_lo, exec_lo, s17
	s_mov_b32 s17, 0
	s_cbranch_vccnz .LBB54_2253
; %bb.2243:
	s_cmp_gt_i32 s13, 14
	s_cbranch_scc0 .LBB54_2246
; %bb.2244:
	s_cmp_eq_u32 s13, 15
	s_cbranch_scc0 .LBB54_2249
; %bb.2245:
	global_load_u16 v1, v[6:7], off
	s_mov_b32 s16, 0
	s_mov_b32 s18, -1
	s_wait_loadcnt 0x0
	v_lshlrev_b32_e32 v1, 16, v1
	s_delay_alu instid0(VALU_DEP_1)
	v_cvt_i32_f32_e32 v8, v1
	s_branch .LBB54_2251
.LBB54_2246:
	s_mov_b32 s17, -1
	s_branch .LBB54_2250
.LBB54_2247:
	s_and_not1_saveexec_b32 s17, s17
	s_cbranch_execz .LBB54_2228
.LBB54_2248:
	v_cmp_ne_u16_e32 vcc_lo, 0, v1
	s_and_not1_b32 s18, s18, exec_lo
	s_and_b32 s19, vcc_lo, exec_lo
	s_delay_alu instid0(SALU_CYCLE_1)
	s_or_b32 s18, s18, s19
	s_or_b32 exec_lo, exec_lo, s17
	v_mov_b32_e32 v8, 0
	s_and_saveexec_b32 s17, s18
	s_cbranch_execnz .LBB54_2229
	s_branch .LBB54_2230
.LBB54_2249:
	s_mov_b32 s16, -1
.LBB54_2250:
                                        ; implicit-def: $vgpr8
.LBB54_2251:
	s_and_b32 vcc_lo, exec_lo, s17
	s_mov_b32 s17, 0
	s_cbranch_vccz .LBB54_2253
; %bb.2252:
	s_cmp_lg_u32 s13, 11
	s_mov_b32 s17, -1
	s_cselect_b32 s16, -1, 0
.LBB54_2253:
	s_delay_alu instid0(SALU_CYCLE_1)
	s_and_b32 vcc_lo, exec_lo, s16
	s_cbranch_vccnz .LBB54_2324
; %bb.2254:
	s_and_not1_b32 vcc_lo, exec_lo, s17
	s_cbranch_vccnz .LBB54_2256
.LBB54_2255:
	global_load_u8 v1, v[6:7], off
	s_mov_b32 s18, -1
	s_wait_loadcnt 0x0
	v_cmp_ne_u16_e32 vcc_lo, 0, v1
	v_cndmask_b32_e64 v8, 0, 1, vcc_lo
.LBB54_2256:
	s_mov_b32 s13, 0
.LBB54_2257:
	s_delay_alu instid0(SALU_CYCLE_1)
	s_and_b32 vcc_lo, exec_lo, s13
	s_cbranch_vccz .LBB54_2306
; %bb.2258:
	s_and_b32 s13, 0xffff, s1
	s_delay_alu instid0(SALU_CYCLE_1)
	s_cmp_lt_i32 s13, 5
	s_cbranch_scc1 .LBB54_2263
; %bb.2259:
	s_cmp_lt_i32 s13, 8
	s_cbranch_scc1 .LBB54_2264
; %bb.2260:
	;; [unrolled: 3-line block ×3, first 2 shown]
	s_cmp_gt_i32 s13, 9
	s_cbranch_scc0 .LBB54_2266
; %bb.2262:
	s_wait_loadcnt 0x0
	global_load_b64 v[8:9], v[6:7], off
	s_mov_b32 s16, 0
	s_wait_loadcnt 0x0
	v_cvt_i32_f64_e32 v8, v[8:9]
	s_branch .LBB54_2267
.LBB54_2263:
	s_mov_b32 s16, -1
                                        ; implicit-def: $vgpr8
	s_branch .LBB54_2285
.LBB54_2264:
	s_mov_b32 s16, -1
                                        ; implicit-def: $vgpr8
	s_branch .LBB54_2273
.LBB54_2265:
	s_mov_b32 s16, -1
                                        ; implicit-def: $vgpr8
	s_branch .LBB54_2270
.LBB54_2266:
	s_mov_b32 s16, -1
                                        ; implicit-def: $vgpr8
.LBB54_2267:
	s_delay_alu instid0(SALU_CYCLE_1)
	s_and_not1_b32 vcc_lo, exec_lo, s16
	s_cbranch_vccnz .LBB54_2269
; %bb.2268:
	global_load_b32 v1, v[6:7], off
	s_wait_loadcnt 0x0
	v_cvt_i32_f32_e32 v8, v1
.LBB54_2269:
	s_mov_b32 s16, 0
.LBB54_2270:
	s_delay_alu instid0(SALU_CYCLE_1)
	s_and_not1_b32 vcc_lo, exec_lo, s16
	s_cbranch_vccnz .LBB54_2272
; %bb.2271:
	global_load_b32 v1, v[6:7], off
	s_wait_loadcnt 0x0
	v_cvt_i16_f16_e32 v8, v1
.LBB54_2272:
	s_mov_b32 s16, 0
.LBB54_2273:
	s_delay_alu instid0(SALU_CYCLE_1)
	s_and_not1_b32 vcc_lo, exec_lo, s16
	s_cbranch_vccnz .LBB54_2284
; %bb.2274:
	s_cmp_lt_i32 s13, 6
	s_cbranch_scc1 .LBB54_2277
; %bb.2275:
	s_cmp_gt_i32 s13, 6
	s_cbranch_scc0 .LBB54_2278
; %bb.2276:
	s_wait_loadcnt 0x0
	global_load_b64 v[8:9], v[6:7], off
	s_mov_b32 s16, 0
	s_wait_loadcnt 0x0
	v_cvt_i32_f64_e32 v8, v[8:9]
	s_branch .LBB54_2279
.LBB54_2277:
	s_mov_b32 s16, -1
                                        ; implicit-def: $vgpr8
	s_branch .LBB54_2282
.LBB54_2278:
	s_mov_b32 s16, -1
                                        ; implicit-def: $vgpr8
.LBB54_2279:
	s_delay_alu instid0(SALU_CYCLE_1)
	s_and_not1_b32 vcc_lo, exec_lo, s16
	s_cbranch_vccnz .LBB54_2281
; %bb.2280:
	global_load_b32 v1, v[6:7], off
	s_wait_loadcnt 0x0
	v_cvt_i32_f32_e32 v8, v1
.LBB54_2281:
	s_mov_b32 s16, 0
.LBB54_2282:
	s_delay_alu instid0(SALU_CYCLE_1)
	s_and_not1_b32 vcc_lo, exec_lo, s16
	s_cbranch_vccnz .LBB54_2284
; %bb.2283:
	global_load_u16 v1, v[6:7], off
	s_wait_loadcnt 0x0
	v_cvt_i16_f16_e32 v8, v1
.LBB54_2284:
	s_mov_b32 s16, 0
.LBB54_2285:
	s_delay_alu instid0(SALU_CYCLE_1)
	s_and_not1_b32 vcc_lo, exec_lo, s16
	s_cbranch_vccnz .LBB54_2305
; %bb.2286:
	s_cmp_lt_i32 s13, 2
	s_cbranch_scc1 .LBB54_2290
; %bb.2287:
	s_cmp_lt_i32 s13, 3
	s_cbranch_scc1 .LBB54_2291
; %bb.2288:
	s_cmp_gt_i32 s13, 3
	s_cbranch_scc0 .LBB54_2292
; %bb.2289:
	s_wait_loadcnt 0x0
	global_load_b64 v[8:9], v[6:7], off
	s_mov_b32 s16, 0
	s_branch .LBB54_2293
.LBB54_2290:
	s_mov_b32 s16, -1
                                        ; implicit-def: $vgpr8
	s_branch .LBB54_2299
.LBB54_2291:
	s_mov_b32 s16, -1
                                        ; implicit-def: $vgpr8
	s_branch .LBB54_2296
.LBB54_2292:
	s_mov_b32 s16, -1
                                        ; implicit-def: $vgpr8
.LBB54_2293:
	s_delay_alu instid0(SALU_CYCLE_1)
	s_and_not1_b32 vcc_lo, exec_lo, s16
	s_cbranch_vccnz .LBB54_2295
; %bb.2294:
	s_wait_loadcnt 0x0
	global_load_b32 v8, v[6:7], off
.LBB54_2295:
	s_mov_b32 s16, 0
.LBB54_2296:
	s_delay_alu instid0(SALU_CYCLE_1)
	s_and_not1_b32 vcc_lo, exec_lo, s16
	s_cbranch_vccnz .LBB54_2298
; %bb.2297:
	s_wait_loadcnt 0x0
	global_load_u16 v8, v[6:7], off
.LBB54_2298:
	s_mov_b32 s16, 0
.LBB54_2299:
	s_delay_alu instid0(SALU_CYCLE_1)
	s_and_not1_b32 vcc_lo, exec_lo, s16
	s_cbranch_vccnz .LBB54_2305
; %bb.2300:
	s_cmp_gt_i32 s13, 0
	s_mov_b32 s13, 0
	s_cbranch_scc0 .LBB54_2302
; %bb.2301:
	s_wait_loadcnt 0x0
	global_load_u8 v8, v[6:7], off
	s_branch .LBB54_2303
.LBB54_2302:
	s_mov_b32 s13, -1
                                        ; implicit-def: $vgpr8
.LBB54_2303:
	s_delay_alu instid0(SALU_CYCLE_1)
	s_and_not1_b32 vcc_lo, exec_lo, s13
	s_cbranch_vccnz .LBB54_2305
; %bb.2304:
	s_wait_loadcnt 0x0
	global_load_u8 v8, v[6:7], off
.LBB54_2305:
	s_mov_b32 s18, -1
.LBB54_2306:
	s_delay_alu instid0(SALU_CYCLE_1)
	s_and_not1_b32 vcc_lo, exec_lo, s18
	s_cbranch_vccnz .LBB54_2651
; %bb.2307:
	s_wait_loadcnt 0x0
	s_delay_alu instid0(VALU_DEP_1) | instskip(SKIP_2) | instid1(VALU_DEP_2)
	v_bfe_i32 v1, v8, 0, 8
	v_and_b32_e32 v3, 0xff, v4
	s_mov_b32 s16, 0
	v_sub_nc_u16 v5, 0, v1
	s_delay_alu instid0(VALU_DEP_2) | instskip(SKIP_1) | instid1(VALU_DEP_3)
	v_cmp_ne_u16_e32 vcc_lo, 0, v3
	v_bfe_i32 v3, v4, 0, 8
	v_max_i16 v5, v1, v5
	s_wait_xcnt 0x0
	s_and_saveexec_b32 s13, vcc_lo
	s_cbranch_execz .LBB54_2311
; %bb.2308:
	v_sub_nc_u16 v4, 0, v3
	s_delay_alu instid0(VALU_DEP_1) | instskip(SKIP_1) | instid1(VALU_DEP_2)
	v_max_i16 v6, v3, v4
	v_and_b32_e32 v4, 0xff, v5
	v_and_b32_e32 v6, 0xffff, v6
.LBB54_2309:                            ; =>This Inner Loop Header: Depth=1
	s_delay_alu instid0(VALU_DEP_2) | instskip(NEXT) | instid1(VALU_DEP_2)
	v_bfe_i32 v8, v4, 0, 8
	v_mov_b32_e32 v5, v6
	s_delay_alu instid0(VALU_DEP_2) | instskip(NEXT) | instid1(VALU_DEP_2)
	v_cvt_f32_i32_e32 v13, v8
	v_bfe_i32 v6, v5, 0, 8
	s_delay_alu instid0(VALU_DEP_1) | instskip(SKIP_1) | instid1(VALU_DEP_2)
	v_cvt_f32_i32_e32 v7, v6
	v_xor_b32_e32 v6, v8, v6
	v_rcp_iflag_f32_e32 v9, v7
	v_nop
	s_delay_alu instid0(TRANS32_DEP_1) | instskip(NEXT) | instid1(VALU_DEP_1)
	v_dual_ashrrev_i32 v6, 30, v6 :: v_dual_mul_f32 v8, v13, v9
	v_trunc_f32_e32 v8, v8
	s_delay_alu instid0(VALU_DEP_1) | instskip(SKIP_1) | instid1(VALU_DEP_2)
	v_dual_fma_f32 v9, -v8, v7, v13 :: v_dual_bitop2_b32 v6, 1, v6 bitop3:0x54
	v_cvt_i32_f32_e32 v8, v8
	v_cmp_ge_f32_e64 vcc_lo, |v9|, |v7|
	s_delay_alu instid0(VALU_DEP_3) | instskip(NEXT) | instid1(VALU_DEP_1)
	v_cndmask_b32_e32 v6, 0, v6, vcc_lo
	v_add_nc_u32_e32 v6, v8, v6
	s_delay_alu instid0(VALU_DEP_1) | instskip(NEXT) | instid1(VALU_DEP_1)
	v_mul_lo_u32 v6, v6, v5
	v_sub_nc_u32_e32 v4, v4, v6
	s_delay_alu instid0(VALU_DEP_1) | instskip(SKIP_1) | instid1(VALU_DEP_2)
	v_bfe_i32 v6, v4, 0, 8
	v_mov_b32_e32 v4, v5
	v_cmp_eq_u16_e32 vcc_lo, 0, v6
	v_and_b32_e32 v6, 0xffff, v6
	s_or_b32 s16, vcc_lo, s16
	s_delay_alu instid0(SALU_CYCLE_1)
	s_and_not1_b32 exec_lo, exec_lo, s16
	s_cbranch_execnz .LBB54_2309
; %bb.2310:
	s_or_b32 exec_lo, exec_lo, s16
.LBB54_2311:
	s_delay_alu instid0(SALU_CYCLE_1) | instskip(SKIP_3) | instid1(VALU_DEP_2)
	s_or_b32 exec_lo, exec_lo, s13
	v_and_b32_e32 v4, 0xff, v5
	v_mov_b32_e32 v6, 0
	s_mov_b32 s13, exec_lo
	v_cmpx_ne_u16_e32 0, v4
	s_cbranch_execz .LBB54_2313
; %bb.2312:
	v_bfe_i32 v4, v5, 0, 8
	v_cvt_f32_i32_e32 v7, v3
	s_delay_alu instid0(VALU_DEP_2) | instskip(SKIP_1) | instid1(VALU_DEP_2)
	v_cvt_f32_i32_e32 v5, v4
	v_xor_b32_e32 v3, v3, v4
	v_rcp_iflag_f32_e32 v6, v5
	s_delay_alu instid0(VALU_DEP_1)
	v_ashrrev_i32_e32 v3, 30, v3
	s_delay_alu instid0(TRANS32_DEP_1) | instid1(VALU_DEP_1)
	v_dual_mul_f32 v6, v7, v6 :: v_dual_bitop2_b32 v3, 1, v3 bitop3:0x54
	s_delay_alu instid0(VALU_DEP_1) | instskip(NEXT) | instid1(VALU_DEP_1)
	v_trunc_f32_e32 v4, v6
	v_fma_f32 v6, -v4, v5, v7
	v_cvt_i32_f32_e32 v4, v4
	s_delay_alu instid0(VALU_DEP_2) | instskip(SKIP_1) | instid1(VALU_DEP_1)
	v_cmp_ge_f32_e64 vcc_lo, |v6|, |v5|
	v_cndmask_b32_e32 v3, 0, v3, vcc_lo
	v_add_nc_u32_e32 v3, v4, v3
	s_delay_alu instid0(VALU_DEP_1) | instskip(NEXT) | instid1(VALU_DEP_1)
	v_bfe_i32 v3, v3, 0, 8
	v_mul_i32_i24_e32 v1, v3, v1
	s_delay_alu instid0(VALU_DEP_1) | instskip(NEXT) | instid1(VALU_DEP_1)
	v_sub_nc_u32_e32 v3, 0, v1
	v_max_i32_e32 v6, v1, v3
.LBB54_2313:
	s_or_b32 exec_lo, exec_lo, s13
	v_add_nc_u32_e32 v0, s9, v0
	s_cmp_lt_i32 s0, 11
	s_delay_alu instid0(VALU_DEP_1) | instskip(NEXT) | instid1(VALU_DEP_1)
	v_ashrrev_i32_e32 v1, 31, v0
	v_add_nc_u64_e32 v[4:5], s[6:7], v[0:1]
	s_cbranch_scc1 .LBB54_2320
; %bb.2314:
	s_and_b32 s6, 0xffff, s0
	s_mov_b32 s9, 0
	s_cmp_gt_i32 s6, 25
	s_cbranch_scc0 .LBB54_2321
; %bb.2315:
	s_cmp_gt_i32 s6, 28
	s_cbranch_scc0 .LBB54_2322
; %bb.2316:
	;; [unrolled: 3-line block ×4, first 2 shown]
	s_cmp_eq_u32 s6, 46
	s_mov_b32 s16, 0
	s_cbranch_scc0 .LBB54_2326
; %bb.2319:
	global_load_b32 v0, v[4:5], off
	s_mov_b32 s7, 0
	s_mov_b32 s13, -1
	s_wait_loadcnt 0x0
	v_lshlrev_b32_e32 v0, 16, v0
	s_delay_alu instid0(VALU_DEP_1)
	v_cvt_i32_f32_e32 v0, v0
	s_branch .LBB54_2328
.LBB54_2320:
	s_mov_b32 s6, -1
	s_mov_b32 s13, 0
                                        ; implicit-def: $vgpr0
	s_branch .LBB54_2390
.LBB54_2321:
	s_mov_b32 s16, -1
	s_mov_b32 s13, 0
	s_mov_b32 s7, 0
                                        ; implicit-def: $vgpr0
	s_branch .LBB54_2355
.LBB54_2322:
	s_mov_b32 s16, -1
	s_mov_b32 s13, 0
	s_mov_b32 s7, 0
                                        ; implicit-def: $vgpr0
	s_branch .LBB54_2338
.LBB54_2323:
	s_mov_b32 s16, -1
	s_mov_b32 s13, 0
	s_mov_b32 s7, 0
                                        ; implicit-def: $vgpr0
	s_branch .LBB54_2333
.LBB54_2324:
	s_or_b32 s12, s12, exec_lo
	s_trap 2
	s_cbranch_execz .LBB54_2255
	s_branch .LBB54_2256
.LBB54_2325:
	s_mov_b32 s16, -1
	s_mov_b32 s13, 0
	s_mov_b32 s7, 0
	s_branch .LBB54_2327
.LBB54_2326:
	s_mov_b32 s7, -1
	s_mov_b32 s13, 0
.LBB54_2327:
                                        ; implicit-def: $vgpr0
.LBB54_2328:
	s_and_b32 vcc_lo, exec_lo, s16
	s_cbranch_vccz .LBB54_2332
; %bb.2329:
	s_cmp_eq_u32 s6, 44
	s_cbranch_scc0 .LBB54_2331
; %bb.2330:
	global_load_u8 v0, v[4:5], off
	s_mov_b32 s7, 0
	s_mov_b32 s13, -1
	s_wait_loadcnt 0x0
	v_lshlrev_b32_e32 v1, 23, v0
	v_cmp_ne_u32_e32 vcc_lo, 0, v0
	s_delay_alu instid0(VALU_DEP_2) | instskip(NEXT) | instid1(VALU_DEP_1)
	v_cvt_i32_f32_e32 v1, v1
	v_cndmask_b32_e32 v0, 0, v1, vcc_lo
	s_branch .LBB54_2332
.LBB54_2331:
	s_mov_b32 s7, -1
                                        ; implicit-def: $vgpr0
.LBB54_2332:
	s_mov_b32 s16, 0
.LBB54_2333:
	s_delay_alu instid0(SALU_CYCLE_1)
	s_and_b32 vcc_lo, exec_lo, s16
	s_cbranch_vccz .LBB54_2337
; %bb.2334:
	s_cmp_eq_u32 s6, 29
	s_cbranch_scc0 .LBB54_2336
; %bb.2335:
	global_load_b64 v[0:1], v[4:5], off
	s_mov_b32 s7, 0
	s_mov_b32 s13, -1
	s_branch .LBB54_2337
.LBB54_2336:
	s_mov_b32 s7, -1
                                        ; implicit-def: $vgpr0
.LBB54_2337:
	s_mov_b32 s16, 0
.LBB54_2338:
	s_delay_alu instid0(SALU_CYCLE_1)
	s_and_b32 vcc_lo, exec_lo, s16
	s_cbranch_vccz .LBB54_2354
; %bb.2339:
	s_cmp_lt_i32 s6, 27
	s_cbranch_scc1 .LBB54_2342
; %bb.2340:
	s_cmp_gt_i32 s6, 27
	s_cbranch_scc0 .LBB54_2343
; %bb.2341:
	s_wait_loadcnt 0x0
	global_load_b32 v0, v[4:5], off
	s_mov_b32 s13, 0
	s_branch .LBB54_2344
.LBB54_2342:
	s_mov_b32 s13, -1
                                        ; implicit-def: $vgpr0
	s_branch .LBB54_2347
.LBB54_2343:
	s_mov_b32 s13, -1
                                        ; implicit-def: $vgpr0
.LBB54_2344:
	s_delay_alu instid0(SALU_CYCLE_1)
	s_and_not1_b32 vcc_lo, exec_lo, s13
	s_cbranch_vccnz .LBB54_2346
; %bb.2345:
	s_wait_loadcnt 0x0
	global_load_u16 v0, v[4:5], off
.LBB54_2346:
	s_mov_b32 s13, 0
.LBB54_2347:
	s_delay_alu instid0(SALU_CYCLE_1)
	s_and_not1_b32 vcc_lo, exec_lo, s13
	s_cbranch_vccnz .LBB54_2353
; %bb.2348:
	s_wait_loadcnt 0x0
	global_load_u8 v1, v[4:5], off
	s_mov_b32 s16, 0
	s_mov_b32 s13, exec_lo
	s_wait_loadcnt 0x0
	v_cmpx_lt_i16_e32 0x7f, v1
	s_xor_b32 s13, exec_lo, s13
	s_cbranch_execz .LBB54_2365
; %bb.2349:
	v_cmp_ne_u16_e32 vcc_lo, 0x80, v1
	s_and_b32 s16, vcc_lo, exec_lo
	s_and_not1_saveexec_b32 s13, s13
	s_cbranch_execnz .LBB54_2366
.LBB54_2350:
	s_or_b32 exec_lo, exec_lo, s13
	v_mov_b32_e32 v0, 0
	s_and_saveexec_b32 s13, s16
	s_cbranch_execz .LBB54_2352
.LBB54_2351:
	v_and_b32_e32 v0, 0xffff, v1
	s_delay_alu instid0(VALU_DEP_1) | instskip(SKIP_1) | instid1(VALU_DEP_2)
	v_and_b32_e32 v3, 7, v0
	v_bfe_u32 v9, v0, 3, 4
	v_clz_i32_u32_e32 v7, v3
	s_delay_alu instid0(VALU_DEP_2) | instskip(NEXT) | instid1(VALU_DEP_2)
	v_cmp_eq_u32_e32 vcc_lo, 0, v9
	v_min_u32_e32 v7, 32, v7
	s_delay_alu instid0(VALU_DEP_1) | instskip(NEXT) | instid1(VALU_DEP_1)
	v_subrev_nc_u32_e32 v8, 28, v7
	v_dual_lshlrev_b32 v0, v8, v0 :: v_dual_sub_nc_u32 v7, 29, v7
	s_delay_alu instid0(VALU_DEP_1) | instskip(NEXT) | instid1(VALU_DEP_1)
	v_dual_lshlrev_b32 v1, 24, v1 :: v_dual_bitop2_b32 v0, 7, v0 bitop3:0x40
	v_dual_cndmask_b32 v7, v9, v7 :: v_dual_cndmask_b32 v0, v3, v0
	s_delay_alu instid0(VALU_DEP_2) | instskip(NEXT) | instid1(VALU_DEP_2)
	v_and_b32_e32 v1, 0x80000000, v1
	v_lshl_add_u32 v3, v7, 23, 0x3b800000
	s_delay_alu instid0(VALU_DEP_3) | instskip(NEXT) | instid1(VALU_DEP_1)
	v_lshlrev_b32_e32 v0, 20, v0
	v_or3_b32 v0, v1, v3, v0
	s_delay_alu instid0(VALU_DEP_1)
	v_cvt_i32_f32_e32 v0, v0
.LBB54_2352:
	s_or_b32 exec_lo, exec_lo, s13
.LBB54_2353:
	s_mov_b32 s13, -1
.LBB54_2354:
	s_mov_b32 s16, 0
.LBB54_2355:
	s_delay_alu instid0(SALU_CYCLE_1)
	s_and_b32 vcc_lo, exec_lo, s16
	s_cbranch_vccz .LBB54_2386
; %bb.2356:
	s_cmp_gt_i32 s6, 22
	s_cbranch_scc0 .LBB54_2364
; %bb.2357:
	s_cmp_lt_i32 s6, 24
	s_cbranch_scc1 .LBB54_2367
; %bb.2358:
	s_cmp_gt_i32 s6, 24
	s_cbranch_scc0 .LBB54_2368
; %bb.2359:
	s_wait_loadcnt 0x0
	global_load_u8 v1, v[4:5], off
	s_mov_b32 s13, 0
	s_mov_b32 s9, exec_lo
	s_wait_loadcnt 0x0
	v_cmpx_lt_i16_e32 0x7f, v1
	s_xor_b32 s9, exec_lo, s9
	s_cbranch_execz .LBB54_2380
; %bb.2360:
	v_cmp_ne_u16_e32 vcc_lo, 0x80, v1
	s_and_b32 s13, vcc_lo, exec_lo
	s_and_not1_saveexec_b32 s9, s9
	s_cbranch_execnz .LBB54_2381
.LBB54_2361:
	s_or_b32 exec_lo, exec_lo, s9
	v_mov_b32_e32 v0, 0
	s_and_saveexec_b32 s9, s13
	s_cbranch_execz .LBB54_2363
.LBB54_2362:
	v_and_b32_e32 v0, 0xffff, v1
	s_delay_alu instid0(VALU_DEP_1) | instskip(SKIP_1) | instid1(VALU_DEP_2)
	v_and_b32_e32 v3, 3, v0
	v_bfe_u32 v9, v0, 2, 5
	v_clz_i32_u32_e32 v7, v3
	s_delay_alu instid0(VALU_DEP_2) | instskip(NEXT) | instid1(VALU_DEP_2)
	v_cmp_eq_u32_e32 vcc_lo, 0, v9
	v_min_u32_e32 v7, 32, v7
	s_delay_alu instid0(VALU_DEP_1) | instskip(NEXT) | instid1(VALU_DEP_1)
	v_subrev_nc_u32_e32 v8, 29, v7
	v_dual_lshlrev_b32 v0, v8, v0 :: v_dual_sub_nc_u32 v7, 30, v7
	s_delay_alu instid0(VALU_DEP_1) | instskip(NEXT) | instid1(VALU_DEP_1)
	v_dual_lshlrev_b32 v1, 24, v1 :: v_dual_bitop2_b32 v0, 3, v0 bitop3:0x40
	v_dual_cndmask_b32 v7, v9, v7 :: v_dual_cndmask_b32 v0, v3, v0
	s_delay_alu instid0(VALU_DEP_2) | instskip(NEXT) | instid1(VALU_DEP_2)
	v_and_b32_e32 v1, 0x80000000, v1
	v_lshl_add_u32 v3, v7, 23, 0x37800000
	s_delay_alu instid0(VALU_DEP_3) | instskip(NEXT) | instid1(VALU_DEP_1)
	v_lshlrev_b32_e32 v0, 21, v0
	v_or3_b32 v0, v1, v3, v0
	s_delay_alu instid0(VALU_DEP_1)
	v_cvt_i32_f32_e32 v0, v0
.LBB54_2363:
	s_or_b32 exec_lo, exec_lo, s9
	s_mov_b32 s9, 0
	s_branch .LBB54_2369
.LBB54_2364:
	s_mov_b32 s9, -1
                                        ; implicit-def: $vgpr0
	s_branch .LBB54_2375
.LBB54_2365:
	s_and_not1_saveexec_b32 s13, s13
	s_cbranch_execz .LBB54_2350
.LBB54_2366:
	v_cmp_ne_u16_e32 vcc_lo, 0, v1
	s_and_not1_b32 s16, s16, exec_lo
	s_and_b32 s17, vcc_lo, exec_lo
	s_delay_alu instid0(SALU_CYCLE_1)
	s_or_b32 s16, s16, s17
	s_or_b32 exec_lo, exec_lo, s13
	v_mov_b32_e32 v0, 0
	s_and_saveexec_b32 s13, s16
	s_cbranch_execnz .LBB54_2351
	s_branch .LBB54_2352
.LBB54_2367:
	s_mov_b32 s9, -1
                                        ; implicit-def: $vgpr0
	s_branch .LBB54_2372
.LBB54_2368:
	s_mov_b32 s9, -1
                                        ; implicit-def: $vgpr0
.LBB54_2369:
	s_delay_alu instid0(SALU_CYCLE_1)
	s_and_b32 vcc_lo, exec_lo, s9
	s_cbranch_vccz .LBB54_2371
; %bb.2370:
	s_wait_loadcnt 0x0
	global_load_u8 v0, v[4:5], off
	s_wait_loadcnt 0x0
	v_lshlrev_b32_e32 v0, 24, v0
	s_delay_alu instid0(VALU_DEP_1) | instskip(NEXT) | instid1(VALU_DEP_1)
	v_and_b32_e32 v1, 0x7f000000, v0
	v_clz_i32_u32_e32 v3, v1
	v_cmp_ne_u32_e32 vcc_lo, 0, v1
	v_add_nc_u32_e32 v8, 0x1000000, v1
	s_delay_alu instid0(VALU_DEP_3) | instskip(NEXT) | instid1(VALU_DEP_1)
	v_min_u32_e32 v3, 32, v3
	v_sub_nc_u32_e64 v3, v3, 4 clamp
	s_delay_alu instid0(VALU_DEP_1) | instskip(NEXT) | instid1(VALU_DEP_1)
	v_dual_lshlrev_b32 v7, v3, v1 :: v_dual_lshlrev_b32 v3, 23, v3
	v_lshrrev_b32_e32 v7, 4, v7
	s_delay_alu instid0(VALU_DEP_1) | instskip(NEXT) | instid1(VALU_DEP_1)
	v_dual_sub_nc_u32 v3, v7, v3 :: v_dual_ashrrev_i32 v7, 8, v8
	v_add_nc_u32_e32 v3, 0x3c000000, v3
	s_delay_alu instid0(VALU_DEP_1) | instskip(NEXT) | instid1(VALU_DEP_1)
	v_and_or_b32 v3, 0x7f800000, v7, v3
	v_cndmask_b32_e32 v1, 0, v3, vcc_lo
	s_delay_alu instid0(VALU_DEP_1) | instskip(NEXT) | instid1(VALU_DEP_1)
	v_and_or_b32 v0, 0x80000000, v0, v1
	v_cvt_i32_f32_e32 v0, v0
.LBB54_2371:
	s_mov_b32 s9, 0
.LBB54_2372:
	s_delay_alu instid0(SALU_CYCLE_1)
	s_and_not1_b32 vcc_lo, exec_lo, s9
	s_cbranch_vccnz .LBB54_2374
; %bb.2373:
	s_wait_loadcnt 0x0
	global_load_u8 v0, v[4:5], off
	s_wait_loadcnt 0x0
	v_lshlrev_b32_e32 v1, 25, v0
	v_lshlrev_b16 v0, 8, v0
	s_delay_alu instid0(VALU_DEP_1) | instskip(SKIP_1) | instid1(VALU_DEP_2)
	v_and_or_b32 v7, 0x7f00, v0, 0.5
	v_bfe_i32 v0, v0, 0, 16
	v_dual_add_f32 v7, -0.5, v7 :: v_dual_lshrrev_b32 v3, 4, v1
	v_cmp_gt_u32_e32 vcc_lo, 0x8000000, v1
	s_delay_alu instid0(VALU_DEP_2) | instskip(NEXT) | instid1(VALU_DEP_1)
	v_or_b32_e32 v3, 0x70000000, v3
	v_mul_f32_e32 v3, 0x7800000, v3
	s_delay_alu instid0(VALU_DEP_1) | instskip(NEXT) | instid1(VALU_DEP_1)
	v_cndmask_b32_e32 v1, v3, v7, vcc_lo
	v_and_or_b32 v0, 0x80000000, v0, v1
	s_delay_alu instid0(VALU_DEP_1)
	v_cvt_i32_f32_e32 v0, v0
.LBB54_2374:
	s_mov_b32 s9, 0
	s_mov_b32 s13, -1
.LBB54_2375:
	s_and_not1_b32 vcc_lo, exec_lo, s9
	s_mov_b32 s9, 0
	s_cbranch_vccnz .LBB54_2386
; %bb.2376:
	s_cmp_gt_i32 s6, 14
	s_cbranch_scc0 .LBB54_2379
; %bb.2377:
	s_cmp_eq_u32 s6, 15
	s_cbranch_scc0 .LBB54_2382
; %bb.2378:
	s_wait_loadcnt 0x0
	global_load_u16 v0, v[4:5], off
	s_mov_b32 s7, 0
	s_mov_b32 s13, -1
	s_wait_loadcnt 0x0
	v_lshlrev_b32_e32 v0, 16, v0
	s_delay_alu instid0(VALU_DEP_1)
	v_cvt_i32_f32_e32 v0, v0
	s_branch .LBB54_2384
.LBB54_2379:
	s_mov_b32 s9, -1
	s_branch .LBB54_2383
.LBB54_2380:
	s_and_not1_saveexec_b32 s9, s9
	s_cbranch_execz .LBB54_2361
.LBB54_2381:
	v_cmp_ne_u16_e32 vcc_lo, 0, v1
	s_and_not1_b32 s13, s13, exec_lo
	s_and_b32 s16, vcc_lo, exec_lo
	s_delay_alu instid0(SALU_CYCLE_1)
	s_or_b32 s13, s13, s16
	s_or_b32 exec_lo, exec_lo, s9
	v_mov_b32_e32 v0, 0
	s_and_saveexec_b32 s9, s13
	s_cbranch_execnz .LBB54_2362
	s_branch .LBB54_2363
.LBB54_2382:
	s_mov_b32 s7, -1
.LBB54_2383:
                                        ; implicit-def: $vgpr0
.LBB54_2384:
	s_and_b32 vcc_lo, exec_lo, s9
	s_mov_b32 s9, 0
	s_cbranch_vccz .LBB54_2386
; %bb.2385:
	s_cmp_lg_u32 s6, 11
	s_mov_b32 s9, -1
	s_cselect_b32 s7, -1, 0
.LBB54_2386:
	s_delay_alu instid0(SALU_CYCLE_1)
	s_and_b32 vcc_lo, exec_lo, s7
	s_cbranch_vccnz .LBB54_2451
; %bb.2387:
	s_and_not1_b32 vcc_lo, exec_lo, s9
	s_cbranch_vccnz .LBB54_2389
.LBB54_2388:
	s_wait_loadcnt 0x0
	global_load_u8 v0, v[4:5], off
	s_mov_b32 s13, -1
	s_wait_loadcnt 0x0
	v_cmp_ne_u16_e32 vcc_lo, 0, v0
	v_cndmask_b32_e64 v0, 0, 1, vcc_lo
.LBB54_2389:
	s_mov_b32 s6, 0
.LBB54_2390:
	s_delay_alu instid0(SALU_CYCLE_1)
	s_and_b32 vcc_lo, exec_lo, s6
	s_cbranch_vccz .LBB54_2439
; %bb.2391:
	s_and_b32 s0, 0xffff, s0
	s_delay_alu instid0(SALU_CYCLE_1)
	s_cmp_lt_i32 s0, 5
	s_cbranch_scc1 .LBB54_2396
; %bb.2392:
	s_cmp_lt_i32 s0, 8
	s_cbranch_scc1 .LBB54_2397
; %bb.2393:
	;; [unrolled: 3-line block ×3, first 2 shown]
	s_cmp_gt_i32 s0, 9
	s_cbranch_scc0 .LBB54_2399
; %bb.2395:
	s_wait_loadcnt 0x0
	global_load_b64 v[0:1], v[4:5], off
	s_mov_b32 s6, 0
	s_wait_loadcnt 0x0
	v_cvt_i32_f64_e32 v0, v[0:1]
	s_branch .LBB54_2400
.LBB54_2396:
	s_mov_b32 s6, -1
                                        ; implicit-def: $vgpr0
	s_branch .LBB54_2418
.LBB54_2397:
	s_mov_b32 s6, -1
                                        ; implicit-def: $vgpr0
	s_branch .LBB54_2406
.LBB54_2398:
	s_mov_b32 s6, -1
                                        ; implicit-def: $vgpr0
	s_branch .LBB54_2403
.LBB54_2399:
	s_mov_b32 s6, -1
                                        ; implicit-def: $vgpr0
.LBB54_2400:
	s_delay_alu instid0(SALU_CYCLE_1)
	s_and_not1_b32 vcc_lo, exec_lo, s6
	s_cbranch_vccnz .LBB54_2402
; %bb.2401:
	s_wait_loadcnt 0x0
	global_load_b32 v0, v[4:5], off
	s_wait_loadcnt 0x0
	v_cvt_i32_f32_e32 v0, v0
.LBB54_2402:
	s_mov_b32 s6, 0
.LBB54_2403:
	s_delay_alu instid0(SALU_CYCLE_1)
	s_and_not1_b32 vcc_lo, exec_lo, s6
	s_cbranch_vccnz .LBB54_2405
; %bb.2404:
	s_wait_loadcnt 0x0
	global_load_b32 v0, v[4:5], off
	s_wait_loadcnt 0x0
	v_cvt_i16_f16_e32 v0, v0
.LBB54_2405:
	s_mov_b32 s6, 0
.LBB54_2406:
	s_delay_alu instid0(SALU_CYCLE_1)
	s_and_not1_b32 vcc_lo, exec_lo, s6
	s_cbranch_vccnz .LBB54_2417
; %bb.2407:
	s_cmp_lt_i32 s0, 6
	s_cbranch_scc1 .LBB54_2410
; %bb.2408:
	s_cmp_gt_i32 s0, 6
	s_cbranch_scc0 .LBB54_2411
; %bb.2409:
	s_wait_loadcnt 0x0
	global_load_b64 v[0:1], v[4:5], off
	s_mov_b32 s6, 0
	s_wait_loadcnt 0x0
	v_cvt_i32_f64_e32 v0, v[0:1]
	s_branch .LBB54_2412
.LBB54_2410:
	s_mov_b32 s6, -1
                                        ; implicit-def: $vgpr0
	s_branch .LBB54_2415
.LBB54_2411:
	s_mov_b32 s6, -1
                                        ; implicit-def: $vgpr0
.LBB54_2412:
	s_delay_alu instid0(SALU_CYCLE_1)
	s_and_not1_b32 vcc_lo, exec_lo, s6
	s_cbranch_vccnz .LBB54_2414
; %bb.2413:
	s_wait_loadcnt 0x0
	global_load_b32 v0, v[4:5], off
	s_wait_loadcnt 0x0
	v_cvt_i32_f32_e32 v0, v0
.LBB54_2414:
	s_mov_b32 s6, 0
.LBB54_2415:
	s_delay_alu instid0(SALU_CYCLE_1)
	s_and_not1_b32 vcc_lo, exec_lo, s6
	s_cbranch_vccnz .LBB54_2417
; %bb.2416:
	s_wait_loadcnt 0x0
	global_load_u16 v0, v[4:5], off
	s_wait_loadcnt 0x0
	v_cvt_i16_f16_e32 v0, v0
.LBB54_2417:
	s_mov_b32 s6, 0
.LBB54_2418:
	s_delay_alu instid0(SALU_CYCLE_1)
	s_and_not1_b32 vcc_lo, exec_lo, s6
	s_cbranch_vccnz .LBB54_2438
; %bb.2419:
	s_cmp_lt_i32 s0, 2
	s_cbranch_scc1 .LBB54_2423
; %bb.2420:
	s_cmp_lt_i32 s0, 3
	s_cbranch_scc1 .LBB54_2424
; %bb.2421:
	s_cmp_gt_i32 s0, 3
	s_cbranch_scc0 .LBB54_2425
; %bb.2422:
	s_wait_loadcnt 0x0
	global_load_b64 v[0:1], v[4:5], off
	s_mov_b32 s6, 0
	s_branch .LBB54_2426
.LBB54_2423:
	s_mov_b32 s6, -1
                                        ; implicit-def: $vgpr0
	s_branch .LBB54_2432
.LBB54_2424:
	s_mov_b32 s6, -1
                                        ; implicit-def: $vgpr0
	s_branch .LBB54_2429
.LBB54_2425:
	s_mov_b32 s6, -1
                                        ; implicit-def: $vgpr0
.LBB54_2426:
	s_delay_alu instid0(SALU_CYCLE_1)
	s_and_not1_b32 vcc_lo, exec_lo, s6
	s_cbranch_vccnz .LBB54_2428
; %bb.2427:
	s_wait_loadcnt 0x0
	global_load_b32 v0, v[4:5], off
.LBB54_2428:
	s_mov_b32 s6, 0
.LBB54_2429:
	s_delay_alu instid0(SALU_CYCLE_1)
	s_and_not1_b32 vcc_lo, exec_lo, s6
	s_cbranch_vccnz .LBB54_2431
; %bb.2430:
	s_wait_loadcnt 0x0
	global_load_u16 v0, v[4:5], off
.LBB54_2431:
	s_mov_b32 s6, 0
.LBB54_2432:
	s_delay_alu instid0(SALU_CYCLE_1)
	s_and_not1_b32 vcc_lo, exec_lo, s6
	s_cbranch_vccnz .LBB54_2438
; %bb.2433:
	s_cmp_gt_i32 s0, 0
	s_mov_b32 s0, 0
	s_cbranch_scc0 .LBB54_2435
; %bb.2434:
	s_wait_loadcnt 0x0
	global_load_u8 v0, v[4:5], off
	s_branch .LBB54_2436
.LBB54_2435:
	s_mov_b32 s0, -1
                                        ; implicit-def: $vgpr0
.LBB54_2436:
	s_delay_alu instid0(SALU_CYCLE_1)
	s_and_not1_b32 vcc_lo, exec_lo, s0
	s_cbranch_vccnz .LBB54_2438
; %bb.2437:
	s_wait_loadcnt 0x0
	global_load_u8 v0, v[4:5], off
.LBB54_2438:
	s_mov_b32 s13, -1
.LBB54_2439:
	s_delay_alu instid0(SALU_CYCLE_1)
	s_and_not1_b32 vcc_lo, exec_lo, s13
	s_cbranch_vccnz .LBB54_2651
; %bb.2440:
	v_add_nc_u32_e32 v2, s10, v2
	s_cmp_lt_i32 s1, 11
	s_delay_alu instid0(VALU_DEP_1) | instskip(NEXT) | instid1(VALU_DEP_1)
	v_ashrrev_i32_e32 v3, 31, v2
	v_add_nc_u64_e32 v[2:3], s[2:3], v[2:3]
	s_cbranch_scc1 .LBB54_2447
; %bb.2441:
	s_and_b32 s0, 0xffff, s1
	s_mov_b32 s3, 0
	s_cmp_gt_i32 s0, 25
	s_cbranch_scc0 .LBB54_2448
; %bb.2442:
	s_cmp_gt_i32 s0, 28
	s_cbranch_scc0 .LBB54_2449
; %bb.2443:
	;; [unrolled: 3-line block ×4, first 2 shown]
	s_cmp_eq_u32 s0, 46
	s_mov_b32 s7, 0
	s_cbranch_scc0 .LBB54_2453
; %bb.2446:
	s_wait_loadcnt 0x0
	global_load_b32 v1, v[2:3], off
	s_mov_b32 s2, 0
	s_mov_b32 s6, -1
	s_wait_loadcnt 0x0
	v_lshlrev_b32_e32 v1, 16, v1
	s_wait_xcnt 0x1
	s_delay_alu instid0(VALU_DEP_1)
	v_cvt_i32_f32_e32 v4, v1
	s_branch .LBB54_2455
.LBB54_2447:
	s_mov_b32 s0, -1
	s_mov_b32 s6, 0
                                        ; implicit-def: $vgpr4
	s_branch .LBB54_2517
.LBB54_2448:
	s_mov_b32 s7, -1
	s_mov_b32 s6, 0
	s_mov_b32 s2, 0
                                        ; implicit-def: $vgpr4
	s_branch .LBB54_2482
.LBB54_2449:
	s_mov_b32 s7, -1
	s_mov_b32 s6, 0
	s_mov_b32 s2, 0
                                        ; implicit-def: $vgpr4
	s_branch .LBB54_2465
.LBB54_2450:
	s_mov_b32 s7, -1
	s_mov_b32 s6, 0
	s_mov_b32 s2, 0
                                        ; implicit-def: $vgpr4
	s_branch .LBB54_2460
.LBB54_2451:
	s_or_b32 s12, s12, exec_lo
	s_trap 2
	s_cbranch_execz .LBB54_2388
	s_branch .LBB54_2389
.LBB54_2452:
	s_mov_b32 s7, -1
	s_mov_b32 s6, 0
	s_mov_b32 s2, 0
	s_branch .LBB54_2454
.LBB54_2453:
	s_mov_b32 s2, -1
	s_mov_b32 s6, 0
.LBB54_2454:
                                        ; implicit-def: $vgpr4
.LBB54_2455:
	s_and_b32 vcc_lo, exec_lo, s7
	s_cbranch_vccz .LBB54_2459
; %bb.2456:
	s_cmp_eq_u32 s0, 44
	s_cbranch_scc0 .LBB54_2458
; %bb.2457:
	s_wait_loadcnt 0x0
	global_load_u8 v1, v[2:3], off
	s_mov_b32 s2, 0
	s_mov_b32 s6, -1
	s_wait_loadcnt 0x0
	s_wait_xcnt 0x1
	v_lshlrev_b32_e32 v4, 23, v1
	v_cmp_ne_u32_e32 vcc_lo, 0, v1
	s_delay_alu instid0(VALU_DEP_2) | instskip(NEXT) | instid1(VALU_DEP_1)
	v_cvt_i32_f32_e32 v4, v4
	v_cndmask_b32_e32 v4, 0, v4, vcc_lo
	s_branch .LBB54_2459
.LBB54_2458:
	s_mov_b32 s2, -1
                                        ; implicit-def: $vgpr4
.LBB54_2459:
	s_mov_b32 s7, 0
.LBB54_2460:
	s_delay_alu instid0(SALU_CYCLE_1)
	s_and_b32 vcc_lo, exec_lo, s7
	s_cbranch_vccz .LBB54_2464
; %bb.2461:
	s_cmp_eq_u32 s0, 29
	s_cbranch_scc0 .LBB54_2463
; %bb.2462:
	global_load_b64 v[4:5], v[2:3], off
	s_mov_b32 s2, 0
	s_mov_b32 s6, -1
	s_branch .LBB54_2464
.LBB54_2463:
	s_mov_b32 s2, -1
                                        ; implicit-def: $vgpr4
.LBB54_2464:
	s_mov_b32 s7, 0
.LBB54_2465:
	s_delay_alu instid0(SALU_CYCLE_1)
	s_and_b32 vcc_lo, exec_lo, s7
	s_cbranch_vccz .LBB54_2481
; %bb.2466:
	s_cmp_lt_i32 s0, 27
	s_cbranch_scc1 .LBB54_2469
; %bb.2467:
	s_cmp_gt_i32 s0, 27
	s_cbranch_scc0 .LBB54_2470
; %bb.2468:
	s_wait_loadcnt 0x0
	global_load_b32 v4, v[2:3], off
	s_mov_b32 s6, 0
	s_branch .LBB54_2471
.LBB54_2469:
	s_mov_b32 s6, -1
                                        ; implicit-def: $vgpr4
	s_branch .LBB54_2474
.LBB54_2470:
	s_mov_b32 s6, -1
                                        ; implicit-def: $vgpr4
.LBB54_2471:
	s_delay_alu instid0(SALU_CYCLE_1)
	s_and_not1_b32 vcc_lo, exec_lo, s6
	s_cbranch_vccnz .LBB54_2473
; %bb.2472:
	s_wait_loadcnt 0x0
	global_load_u16 v4, v[2:3], off
.LBB54_2473:
	s_mov_b32 s6, 0
.LBB54_2474:
	s_delay_alu instid0(SALU_CYCLE_1)
	s_and_not1_b32 vcc_lo, exec_lo, s6
	s_cbranch_vccnz .LBB54_2480
; %bb.2475:
	s_wait_loadcnt 0x0
	global_load_u8 v1, v[2:3], off
	s_mov_b32 s7, 0
	s_mov_b32 s6, exec_lo
	s_wait_loadcnt 0x0
	v_cmpx_lt_i16_e32 0x7f, v1
	s_xor_b32 s6, exec_lo, s6
	s_cbranch_execz .LBB54_2492
; %bb.2476:
	v_cmp_ne_u16_e32 vcc_lo, 0x80, v1
	s_and_b32 s7, vcc_lo, exec_lo
	s_and_not1_saveexec_b32 s6, s6
	s_cbranch_execnz .LBB54_2493
.LBB54_2477:
	s_or_b32 exec_lo, exec_lo, s6
	v_mov_b32_e32 v4, 0
	s_and_saveexec_b32 s6, s7
	s_cbranch_execz .LBB54_2479
.LBB54_2478:
	v_and_b32_e32 v4, 0xffff, v1
	s_delay_alu instid0(VALU_DEP_1) | instskip(SKIP_1) | instid1(VALU_DEP_2)
	v_and_b32_e32 v5, 7, v4
	v_bfe_u32 v9, v4, 3, 4
	v_clz_i32_u32_e32 v7, v5
	s_delay_alu instid0(VALU_DEP_2) | instskip(NEXT) | instid1(VALU_DEP_2)
	v_cmp_eq_u32_e32 vcc_lo, 0, v9
	v_min_u32_e32 v7, 32, v7
	s_delay_alu instid0(VALU_DEP_1) | instskip(NEXT) | instid1(VALU_DEP_1)
	v_subrev_nc_u32_e32 v8, 28, v7
	v_dual_lshlrev_b32 v4, v8, v4 :: v_dual_sub_nc_u32 v7, 29, v7
	s_delay_alu instid0(VALU_DEP_1) | instskip(NEXT) | instid1(VALU_DEP_2)
	v_dual_lshlrev_b32 v1, 24, v1 :: v_dual_bitop2_b32 v4, 7, v4 bitop3:0x40
	v_cndmask_b32_e32 v7, v9, v7, vcc_lo
	s_delay_alu instid0(VALU_DEP_2) | instskip(NEXT) | instid1(VALU_DEP_3)
	v_cndmask_b32_e32 v4, v5, v4, vcc_lo
	v_and_b32_e32 v1, 0x80000000, v1
	s_delay_alu instid0(VALU_DEP_3) | instskip(NEXT) | instid1(VALU_DEP_3)
	v_lshl_add_u32 v5, v7, 23, 0x3b800000
	v_lshlrev_b32_e32 v4, 20, v4
	s_delay_alu instid0(VALU_DEP_1) | instskip(NEXT) | instid1(VALU_DEP_1)
	v_or3_b32 v1, v1, v5, v4
	v_cvt_i32_f32_e32 v4, v1
.LBB54_2479:
	s_or_b32 exec_lo, exec_lo, s6
.LBB54_2480:
	s_mov_b32 s6, -1
.LBB54_2481:
	s_mov_b32 s7, 0
.LBB54_2482:
	s_delay_alu instid0(SALU_CYCLE_1)
	s_and_b32 vcc_lo, exec_lo, s7
	s_cbranch_vccz .LBB54_2513
; %bb.2483:
	s_cmp_gt_i32 s0, 22
	s_cbranch_scc0 .LBB54_2491
; %bb.2484:
	s_cmp_lt_i32 s0, 24
	s_cbranch_scc1 .LBB54_2494
; %bb.2485:
	s_cmp_gt_i32 s0, 24
	s_cbranch_scc0 .LBB54_2495
; %bb.2486:
	s_wait_loadcnt 0x0
	global_load_u8 v1, v[2:3], off
	s_mov_b32 s6, 0
	s_mov_b32 s3, exec_lo
	s_wait_loadcnt 0x0
	v_cmpx_lt_i16_e32 0x7f, v1
	s_xor_b32 s3, exec_lo, s3
	s_cbranch_execz .LBB54_2507
; %bb.2487:
	v_cmp_ne_u16_e32 vcc_lo, 0x80, v1
	s_and_b32 s6, vcc_lo, exec_lo
	s_and_not1_saveexec_b32 s3, s3
	s_cbranch_execnz .LBB54_2508
.LBB54_2488:
	s_or_b32 exec_lo, exec_lo, s3
	v_mov_b32_e32 v4, 0
	s_and_saveexec_b32 s3, s6
	s_cbranch_execz .LBB54_2490
.LBB54_2489:
	v_and_b32_e32 v4, 0xffff, v1
	s_delay_alu instid0(VALU_DEP_1) | instskip(SKIP_1) | instid1(VALU_DEP_2)
	v_and_b32_e32 v5, 3, v4
	v_bfe_u32 v9, v4, 2, 5
	v_clz_i32_u32_e32 v7, v5
	s_delay_alu instid0(VALU_DEP_2) | instskip(NEXT) | instid1(VALU_DEP_2)
	v_cmp_eq_u32_e32 vcc_lo, 0, v9
	v_min_u32_e32 v7, 32, v7
	s_delay_alu instid0(VALU_DEP_1) | instskip(NEXT) | instid1(VALU_DEP_1)
	v_subrev_nc_u32_e32 v8, 29, v7
	v_dual_lshlrev_b32 v4, v8, v4 :: v_dual_sub_nc_u32 v7, 30, v7
	s_delay_alu instid0(VALU_DEP_1) | instskip(NEXT) | instid1(VALU_DEP_2)
	v_dual_lshlrev_b32 v1, 24, v1 :: v_dual_bitop2_b32 v4, 3, v4 bitop3:0x40
	v_cndmask_b32_e32 v7, v9, v7, vcc_lo
	s_delay_alu instid0(VALU_DEP_2) | instskip(NEXT) | instid1(VALU_DEP_3)
	v_cndmask_b32_e32 v4, v5, v4, vcc_lo
	v_and_b32_e32 v1, 0x80000000, v1
	s_delay_alu instid0(VALU_DEP_3) | instskip(NEXT) | instid1(VALU_DEP_3)
	v_lshl_add_u32 v5, v7, 23, 0x37800000
	v_lshlrev_b32_e32 v4, 21, v4
	s_delay_alu instid0(VALU_DEP_1) | instskip(NEXT) | instid1(VALU_DEP_1)
	v_or3_b32 v1, v1, v5, v4
	v_cvt_i32_f32_e32 v4, v1
.LBB54_2490:
	s_or_b32 exec_lo, exec_lo, s3
	s_mov_b32 s3, 0
	s_branch .LBB54_2496
.LBB54_2491:
	s_mov_b32 s3, -1
                                        ; implicit-def: $vgpr4
	s_branch .LBB54_2502
.LBB54_2492:
	s_and_not1_saveexec_b32 s6, s6
	s_cbranch_execz .LBB54_2477
.LBB54_2493:
	v_cmp_ne_u16_e32 vcc_lo, 0, v1
	s_and_not1_b32 s7, s7, exec_lo
	s_and_b32 s9, vcc_lo, exec_lo
	s_delay_alu instid0(SALU_CYCLE_1)
	s_or_b32 s7, s7, s9
	s_or_b32 exec_lo, exec_lo, s6
	v_mov_b32_e32 v4, 0
	s_and_saveexec_b32 s6, s7
	s_cbranch_execnz .LBB54_2478
	s_branch .LBB54_2479
.LBB54_2494:
	s_mov_b32 s3, -1
                                        ; implicit-def: $vgpr4
	s_branch .LBB54_2499
.LBB54_2495:
	s_mov_b32 s3, -1
                                        ; implicit-def: $vgpr4
.LBB54_2496:
	s_delay_alu instid0(SALU_CYCLE_1)
	s_and_b32 vcc_lo, exec_lo, s3
	s_cbranch_vccz .LBB54_2498
; %bb.2497:
	s_wait_loadcnt 0x0
	global_load_u8 v1, v[2:3], off
	s_wait_loadcnt 0x0
	v_lshlrev_b32_e32 v1, 24, v1
	s_wait_xcnt 0x1
	s_delay_alu instid0(VALU_DEP_1) | instskip(NEXT) | instid1(VALU_DEP_1)
	v_and_b32_e32 v4, 0x7f000000, v1
	v_clz_i32_u32_e32 v5, v4
	v_add_nc_u32_e32 v8, 0x1000000, v4
	v_cmp_ne_u32_e32 vcc_lo, 0, v4
	s_delay_alu instid0(VALU_DEP_3) | instskip(NEXT) | instid1(VALU_DEP_1)
	v_min_u32_e32 v5, 32, v5
	v_sub_nc_u32_e64 v5, v5, 4 clamp
	s_delay_alu instid0(VALU_DEP_1) | instskip(NEXT) | instid1(VALU_DEP_1)
	v_dual_lshlrev_b32 v7, v5, v4 :: v_dual_lshlrev_b32 v5, 23, v5
	v_lshrrev_b32_e32 v7, 4, v7
	s_delay_alu instid0(VALU_DEP_1) | instskip(NEXT) | instid1(VALU_DEP_1)
	v_dual_sub_nc_u32 v5, v7, v5 :: v_dual_ashrrev_i32 v7, 8, v8
	v_add_nc_u32_e32 v5, 0x3c000000, v5
	s_delay_alu instid0(VALU_DEP_1) | instskip(NEXT) | instid1(VALU_DEP_1)
	v_and_or_b32 v5, 0x7f800000, v7, v5
	v_cndmask_b32_e32 v4, 0, v5, vcc_lo
	s_delay_alu instid0(VALU_DEP_1) | instskip(NEXT) | instid1(VALU_DEP_1)
	v_and_or_b32 v1, 0x80000000, v1, v4
	v_cvt_i32_f32_e32 v4, v1
.LBB54_2498:
	s_mov_b32 s3, 0
.LBB54_2499:
	s_delay_alu instid0(SALU_CYCLE_1)
	s_and_not1_b32 vcc_lo, exec_lo, s3
	s_cbranch_vccnz .LBB54_2501
; %bb.2500:
	s_wait_loadcnt 0x0
	global_load_u8 v1, v[2:3], off
	s_wait_loadcnt 0x0
	s_wait_xcnt 0x1
	v_lshlrev_b32_e32 v4, 25, v1
	v_lshlrev_b16 v1, 8, v1
	s_delay_alu instid0(VALU_DEP_1) | instskip(SKIP_1) | instid1(VALU_DEP_2)
	v_and_or_b32 v7, 0x7f00, v1, 0.5
	v_bfe_i32 v1, v1, 0, 16
	v_dual_add_f32 v7, -0.5, v7 :: v_dual_lshrrev_b32 v5, 4, v4
	v_cmp_gt_u32_e32 vcc_lo, 0x8000000, v4
	s_delay_alu instid0(VALU_DEP_2) | instskip(NEXT) | instid1(VALU_DEP_1)
	v_or_b32_e32 v5, 0x70000000, v5
	v_mul_f32_e32 v5, 0x7800000, v5
	s_delay_alu instid0(VALU_DEP_1) | instskip(NEXT) | instid1(VALU_DEP_1)
	v_cndmask_b32_e32 v4, v5, v7, vcc_lo
	v_and_or_b32 v1, 0x80000000, v1, v4
	s_delay_alu instid0(VALU_DEP_1)
	v_cvt_i32_f32_e32 v4, v1
.LBB54_2501:
	s_mov_b32 s3, 0
	s_mov_b32 s6, -1
.LBB54_2502:
	s_and_not1_b32 vcc_lo, exec_lo, s3
	s_mov_b32 s3, 0
	s_cbranch_vccnz .LBB54_2513
; %bb.2503:
	s_cmp_gt_i32 s0, 14
	s_cbranch_scc0 .LBB54_2506
; %bb.2504:
	s_cmp_eq_u32 s0, 15
	s_cbranch_scc0 .LBB54_2509
; %bb.2505:
	s_wait_loadcnt 0x0
	global_load_u16 v1, v[2:3], off
	s_mov_b32 s2, 0
	s_mov_b32 s6, -1
	s_wait_loadcnt 0x0
	v_lshlrev_b32_e32 v1, 16, v1
	s_wait_xcnt 0x1
	s_delay_alu instid0(VALU_DEP_1)
	v_cvt_i32_f32_e32 v4, v1
	s_branch .LBB54_2511
.LBB54_2506:
	s_mov_b32 s3, -1
	s_branch .LBB54_2510
.LBB54_2507:
	s_and_not1_saveexec_b32 s3, s3
	s_cbranch_execz .LBB54_2488
.LBB54_2508:
	v_cmp_ne_u16_e32 vcc_lo, 0, v1
	s_and_not1_b32 s6, s6, exec_lo
	s_and_b32 s7, vcc_lo, exec_lo
	s_delay_alu instid0(SALU_CYCLE_1)
	s_or_b32 s6, s6, s7
	s_or_b32 exec_lo, exec_lo, s3
	v_mov_b32_e32 v4, 0
	s_and_saveexec_b32 s3, s6
	s_cbranch_execnz .LBB54_2489
	s_branch .LBB54_2490
.LBB54_2509:
	s_mov_b32 s2, -1
.LBB54_2510:
                                        ; implicit-def: $vgpr4
.LBB54_2511:
	s_and_b32 vcc_lo, exec_lo, s3
	s_mov_b32 s3, 0
	s_cbranch_vccz .LBB54_2513
; %bb.2512:
	s_cmp_lg_u32 s0, 11
	s_mov_b32 s3, -1
	s_cselect_b32 s2, -1, 0
.LBB54_2513:
	s_delay_alu instid0(SALU_CYCLE_1)
	s_and_b32 vcc_lo, exec_lo, s2
	s_cbranch_vccnz .LBB54_3053
; %bb.2514:
	s_and_not1_b32 vcc_lo, exec_lo, s3
	s_cbranch_vccnz .LBB54_2516
.LBB54_2515:
	s_wait_loadcnt 0x0
	global_load_u8 v1, v[2:3], off
	s_mov_b32 s6, -1
	s_wait_loadcnt 0x0
	v_cmp_ne_u16_e32 vcc_lo, 0, v1
	s_wait_xcnt 0x1
	v_cndmask_b32_e64 v4, 0, 1, vcc_lo
.LBB54_2516:
	s_mov_b32 s0, 0
.LBB54_2517:
	s_delay_alu instid0(SALU_CYCLE_1)
	s_and_b32 vcc_lo, exec_lo, s0
	s_cbranch_vccz .LBB54_2566
; %bb.2518:
	s_and_b32 s0, 0xffff, s1
	s_delay_alu instid0(SALU_CYCLE_1)
	s_cmp_lt_i32 s0, 5
	s_cbranch_scc1 .LBB54_2523
; %bb.2519:
	s_cmp_lt_i32 s0, 8
	s_cbranch_scc1 .LBB54_2524
; %bb.2520:
	;; [unrolled: 3-line block ×3, first 2 shown]
	s_cmp_gt_i32 s0, 9
	s_cbranch_scc0 .LBB54_2526
; %bb.2522:
	s_wait_loadcnt 0x0
	global_load_b64 v[4:5], v[2:3], off
	s_mov_b32 s1, 0
	s_wait_loadcnt 0x0
	v_cvt_i32_f64_e32 v4, v[4:5]
	s_branch .LBB54_2527
.LBB54_2523:
	s_mov_b32 s1, -1
                                        ; implicit-def: $vgpr4
	s_branch .LBB54_2545
.LBB54_2524:
	s_mov_b32 s1, -1
                                        ; implicit-def: $vgpr4
	s_branch .LBB54_2533
.LBB54_2525:
	s_mov_b32 s1, -1
                                        ; implicit-def: $vgpr4
	s_branch .LBB54_2530
.LBB54_2526:
	s_mov_b32 s1, -1
                                        ; implicit-def: $vgpr4
.LBB54_2527:
	s_delay_alu instid0(SALU_CYCLE_1)
	s_and_not1_b32 vcc_lo, exec_lo, s1
	s_cbranch_vccnz .LBB54_2529
; %bb.2528:
	s_wait_loadcnt 0x0
	global_load_b32 v1, v[2:3], off
	s_wait_loadcnt 0x0
	s_wait_xcnt 0x1
	v_cvt_i32_f32_e32 v4, v1
.LBB54_2529:
	s_mov_b32 s1, 0
.LBB54_2530:
	s_delay_alu instid0(SALU_CYCLE_1)
	s_and_not1_b32 vcc_lo, exec_lo, s1
	s_cbranch_vccnz .LBB54_2532
; %bb.2531:
	s_wait_loadcnt 0x0
	global_load_b32 v1, v[2:3], off
	s_wait_loadcnt 0x0
	s_wait_xcnt 0x1
	v_cvt_i16_f16_e32 v4, v1
.LBB54_2532:
	s_mov_b32 s1, 0
.LBB54_2533:
	s_delay_alu instid0(SALU_CYCLE_1)
	s_and_not1_b32 vcc_lo, exec_lo, s1
	s_cbranch_vccnz .LBB54_2544
; %bb.2534:
	s_cmp_lt_i32 s0, 6
	s_cbranch_scc1 .LBB54_2537
; %bb.2535:
	s_cmp_gt_i32 s0, 6
	s_cbranch_scc0 .LBB54_2538
; %bb.2536:
	s_wait_loadcnt 0x0
	global_load_b64 v[4:5], v[2:3], off
	s_mov_b32 s1, 0
	s_wait_loadcnt 0x0
	v_cvt_i32_f64_e32 v4, v[4:5]
	s_branch .LBB54_2539
.LBB54_2537:
	s_mov_b32 s1, -1
                                        ; implicit-def: $vgpr4
	s_branch .LBB54_2542
.LBB54_2538:
	s_mov_b32 s1, -1
                                        ; implicit-def: $vgpr4
.LBB54_2539:
	s_delay_alu instid0(SALU_CYCLE_1)
	s_and_not1_b32 vcc_lo, exec_lo, s1
	s_cbranch_vccnz .LBB54_2541
; %bb.2540:
	s_wait_loadcnt 0x0
	global_load_b32 v1, v[2:3], off
	s_wait_loadcnt 0x0
	s_wait_xcnt 0x1
	v_cvt_i32_f32_e32 v4, v1
.LBB54_2541:
	s_mov_b32 s1, 0
.LBB54_2542:
	s_delay_alu instid0(SALU_CYCLE_1)
	s_and_not1_b32 vcc_lo, exec_lo, s1
	s_cbranch_vccnz .LBB54_2544
; %bb.2543:
	s_wait_loadcnt 0x0
	global_load_u16 v1, v[2:3], off
	s_wait_loadcnt 0x0
	s_wait_xcnt 0x1
	v_cvt_i16_f16_e32 v4, v1
.LBB54_2544:
	s_mov_b32 s1, 0
.LBB54_2545:
	s_delay_alu instid0(SALU_CYCLE_1)
	s_and_not1_b32 vcc_lo, exec_lo, s1
	s_cbranch_vccnz .LBB54_2565
; %bb.2546:
	s_cmp_lt_i32 s0, 2
	s_cbranch_scc1 .LBB54_2550
; %bb.2547:
	s_cmp_lt_i32 s0, 3
	s_cbranch_scc1 .LBB54_2551
; %bb.2548:
	s_cmp_gt_i32 s0, 3
	s_cbranch_scc0 .LBB54_2552
; %bb.2549:
	s_wait_loadcnt 0x0
	global_load_b64 v[4:5], v[2:3], off
	s_mov_b32 s1, 0
	s_branch .LBB54_2553
.LBB54_2550:
	s_mov_b32 s1, -1
                                        ; implicit-def: $vgpr4
	s_branch .LBB54_2559
.LBB54_2551:
	s_mov_b32 s1, -1
                                        ; implicit-def: $vgpr4
	s_branch .LBB54_2556
.LBB54_2552:
	s_mov_b32 s1, -1
                                        ; implicit-def: $vgpr4
.LBB54_2553:
	s_delay_alu instid0(SALU_CYCLE_1)
	s_and_not1_b32 vcc_lo, exec_lo, s1
	s_cbranch_vccnz .LBB54_2555
; %bb.2554:
	s_wait_loadcnt 0x0
	global_load_b32 v4, v[2:3], off
.LBB54_2555:
	s_mov_b32 s1, 0
.LBB54_2556:
	s_delay_alu instid0(SALU_CYCLE_1)
	s_and_not1_b32 vcc_lo, exec_lo, s1
	s_cbranch_vccnz .LBB54_2558
; %bb.2557:
	s_wait_loadcnt 0x0
	global_load_u16 v4, v[2:3], off
.LBB54_2558:
	s_mov_b32 s1, 0
.LBB54_2559:
	s_delay_alu instid0(SALU_CYCLE_1)
	s_and_not1_b32 vcc_lo, exec_lo, s1
	s_cbranch_vccnz .LBB54_2565
; %bb.2560:
	s_cmp_gt_i32 s0, 0
	s_mov_b32 s0, 0
	s_cbranch_scc0 .LBB54_2562
; %bb.2561:
	s_wait_loadcnt 0x0
	global_load_u8 v4, v[2:3], off
	s_branch .LBB54_2563
.LBB54_2562:
	s_mov_b32 s0, -1
                                        ; implicit-def: $vgpr4
.LBB54_2563:
	s_delay_alu instid0(SALU_CYCLE_1)
	s_and_not1_b32 vcc_lo, exec_lo, s0
	s_cbranch_vccnz .LBB54_2565
; %bb.2564:
	s_wait_loadcnt 0x0
	global_load_u8 v4, v[2:3], off
.LBB54_2565:
	s_mov_b32 s6, -1
.LBB54_2566:
	s_delay_alu instid0(SALU_CYCLE_1)
	s_and_not1_b32 vcc_lo, exec_lo, s6
	s_cbranch_vccnz .LBB54_2651
; %bb.2567:
	s_wait_loadcnt 0x0
	s_delay_alu instid0(VALU_DEP_1)
	v_bfe_i32 v1, v4, 0, 8
	s_wait_xcnt 0x0
	v_and_b32_e32 v2, 0xff, v0
	v_bfe_i32 v0, v0, 0, 8
	s_mov_b32 s1, 0
	v_sub_nc_u16 v3, 0, v1
	s_delay_alu instid0(VALU_DEP_3) | instskip(NEXT) | instid1(VALU_DEP_2)
	v_cmp_ne_u16_e32 vcc_lo, 0, v2
	v_max_i16 v2, v1, v3
	s_and_saveexec_b32 s0, vcc_lo
	s_cbranch_execz .LBB54_2571
; %bb.2568:
	v_sub_nc_u16 v3, 0, v0
	s_delay_alu instid0(VALU_DEP_1) | instskip(SKIP_1) | instid1(VALU_DEP_2)
	v_max_i16 v4, v0, v3
	v_and_b32_e32 v3, 0xff, v2
	v_and_b32_e32 v4, 0xffff, v4
.LBB54_2569:                            ; =>This Inner Loop Header: Depth=1
	s_delay_alu instid0(VALU_DEP_2) | instskip(NEXT) | instid1(VALU_DEP_2)
	v_bfe_i32 v7, v3, 0, 8
	v_mov_b32_e32 v2, v4
	s_delay_alu instid0(VALU_DEP_2) | instskip(NEXT) | instid1(VALU_DEP_2)
	v_cvt_f32_i32_e32 v9, v7
	v_bfe_i32 v4, v2, 0, 8
	s_delay_alu instid0(VALU_DEP_1) | instskip(SKIP_1) | instid1(VALU_DEP_2)
	v_cvt_f32_i32_e32 v5, v4
	v_xor_b32_e32 v4, v7, v4
	v_rcp_iflag_f32_e32 v8, v5
	v_nop
	s_delay_alu instid0(TRANS32_DEP_1) | instskip(NEXT) | instid1(VALU_DEP_1)
	v_mul_f32_e32 v7, v9, v8
	v_trunc_f32_e32 v7, v7
	s_delay_alu instid0(VALU_DEP_1) | instskip(NEXT) | instid1(VALU_DEP_1)
	v_dual_ashrrev_i32 v4, 30, v4 :: v_dual_fma_f32 v8, -v7, v5, v9
	v_or_b32_e32 v4, 1, v4
	v_cvt_i32_f32_e32 v7, v7
	s_delay_alu instid0(VALU_DEP_3) | instskip(NEXT) | instid1(VALU_DEP_3)
	v_cmp_ge_f32_e64 vcc_lo, |v8|, |v5|
	v_cndmask_b32_e32 v4, 0, v4, vcc_lo
	s_delay_alu instid0(VALU_DEP_1) | instskip(NEXT) | instid1(VALU_DEP_1)
	v_add_nc_u32_e32 v4, v7, v4
	v_mul_lo_u32 v4, v4, v2
	s_delay_alu instid0(VALU_DEP_1) | instskip(NEXT) | instid1(VALU_DEP_1)
	v_sub_nc_u32_e32 v3, v3, v4
	v_bfe_i32 v4, v3, 0, 8
	v_mov_b32_e32 v3, v2
	s_delay_alu instid0(VALU_DEP_2) | instskip(SKIP_2) | instid1(SALU_CYCLE_1)
	v_cmp_eq_u16_e32 vcc_lo, 0, v4
	v_and_b32_e32 v4, 0xffff, v4
	s_or_b32 s1, vcc_lo, s1
	s_and_not1_b32 exec_lo, exec_lo, s1
	s_cbranch_execnz .LBB54_2569
; %bb.2570:
	s_or_b32 exec_lo, exec_lo, s1
.LBB54_2571:
	s_delay_alu instid0(SALU_CYCLE_1) | instskip(NEXT) | instid1(VALU_DEP_1)
	s_or_b32 exec_lo, exec_lo, s0
	v_and_b32_e32 v3, 0xff, v2
	v_mov_b32_e32 v4, 0
	s_mov_b32 s0, exec_lo
	s_delay_alu instid0(VALU_DEP_2)
	v_cmpx_ne_u16_e32 0, v3
	s_cbranch_execz .LBB54_2573
; %bb.2572:
	v_bfe_i32 v2, v2, 0, 8
	v_cvt_f32_i32_e32 v5, v0
	s_delay_alu instid0(VALU_DEP_2) | instskip(SKIP_1) | instid1(VALU_DEP_2)
	v_cvt_f32_i32_e32 v3, v2
	v_xor_b32_e32 v0, v0, v2
	v_rcp_iflag_f32_e32 v4, v3
	v_nop
	s_delay_alu instid0(TRANS32_DEP_1) | instskip(NEXT) | instid1(VALU_DEP_1)
	v_mul_f32_e32 v4, v5, v4
	v_trunc_f32_e32 v2, v4
	s_delay_alu instid0(VALU_DEP_1) | instskip(NEXT) | instid1(VALU_DEP_1)
	v_dual_ashrrev_i32 v0, 30, v0 :: v_dual_fma_f32 v4, -v2, v3, v5
	v_or_b32_e32 v0, 1, v0
	v_cvt_i32_f32_e32 v2, v2
	s_delay_alu instid0(VALU_DEP_3) | instskip(NEXT) | instid1(VALU_DEP_3)
	v_cmp_ge_f32_e64 vcc_lo, |v4|, |v3|
	v_cndmask_b32_e32 v0, 0, v0, vcc_lo
	s_delay_alu instid0(VALU_DEP_1) | instskip(NEXT) | instid1(VALU_DEP_1)
	v_add_nc_u32_e32 v0, v2, v0
	v_bfe_i32 v0, v0, 0, 8
	s_delay_alu instid0(VALU_DEP_1) | instskip(NEXT) | instid1(VALU_DEP_1)
	v_mul_i32_i24_e32 v0, v0, v1
	v_sub_nc_u32_e32 v1, 0, v0
	s_delay_alu instid0(VALU_DEP_1)
	v_max_i32_e32 v4, v0, v1
.LBB54_2573:
	s_or_b32 exec_lo, exec_lo, s0
	v_mul_lo_u32 v0, s8, v10
	s_and_b32 s16, s11, 0xff
	s_delay_alu instid0(SALU_CYCLE_1) | instskip(NEXT) | instid1(VALU_DEP_1)
	s_cmp_lt_i32 s16, 11
	v_ashrrev_i32_e32 v1, 31, v0
	s_delay_alu instid0(VALU_DEP_1)
	v_add_nc_u64_e32 v[2:3], s[4:5], v[0:1]
	s_cbranch_scc1 .LBB54_2696
; %bb.2574:
	s_and_b32 s1, 0xffff, s16
	s_mov_b32 s6, -1
	s_mov_b32 s2, 0
	s_cmp_gt_i32 s1, 25
	s_mov_b32 s3, 0
	s_mov_b32 s0, 0
	s_cbranch_scc0 .LBB54_2607
; %bb.2575:
	s_cmp_gt_i32 s1, 28
	s_cbranch_scc0 .LBB54_2590
; %bb.2576:
	s_cmp_gt_i32 s1, 43
	s_cbranch_scc0 .LBB54_2586
; %bb.2577:
	s_cmp_gt_i32 s1, 45
	s_cbranch_scc0 .LBB54_2580
; %bb.2578:
	s_mov_b32 s0, -1
	s_mov_b32 s6, 0
	s_cmp_eq_u32 s1, 46
	s_cbranch_scc0 .LBB54_2580
; %bb.2579:
	v_bfe_i32 v1, v11, 0, 8
	s_mov_b32 s0, 0
	s_mov_b32 s3, -1
	s_delay_alu instid0(VALU_DEP_1) | instskip(NEXT) | instid1(VALU_DEP_1)
	v_bfe_i32 v1, v1, 0, 16
	v_cvt_f32_i32_e32 v1, v1
	s_delay_alu instid0(VALU_DEP_1) | instskip(NEXT) | instid1(VALU_DEP_1)
	v_bfe_u32 v5, v1, 16, 1
	v_add3_u32 v1, v1, v5, 0x7fff
	s_delay_alu instid0(VALU_DEP_1)
	v_lshrrev_b32_e32 v1, 16, v1
	global_store_b32 v[2:3], v1, off
.LBB54_2580:
	s_and_b32 vcc_lo, exec_lo, s6
	s_cbranch_vccz .LBB54_2585
; %bb.2581:
	s_cmp_eq_u32 s1, 44
	s_mov_b32 s0, -1
	s_cbranch_scc0 .LBB54_2585
; %bb.2582:
	s_wait_xcnt 0x0
	v_bfe_i32 v1, v11, 0, 8
	v_mov_b32_e32 v5, 0xff
	s_mov_b32 s3, exec_lo
	s_delay_alu instid0(VALU_DEP_2) | instskip(NEXT) | instid1(VALU_DEP_1)
	v_bfe_i32 v1, v1, 0, 16
	v_cvt_f32_i32_e32 v1, v1
	s_delay_alu instid0(VALU_DEP_1) | instskip(NEXT) | instid1(VALU_DEP_1)
	v_bfe_u32 v7, v1, 23, 8
	v_cmpx_ne_u32_e32 0xff, v7
	s_cbranch_execz .LBB54_2584
; %bb.2583:
	v_and_b32_e32 v5, 0x400000, v1
	v_and_or_b32 v7, 0x3fffff, v1, v7
	v_lshrrev_b32_e32 v1, 23, v1
	s_delay_alu instid0(VALU_DEP_3) | instskip(NEXT) | instid1(VALU_DEP_3)
	v_cmp_ne_u32_e32 vcc_lo, 0, v5
	v_cmp_ne_u32_e64 s0, 0, v7
	s_and_b32 s0, vcc_lo, s0
	s_delay_alu instid0(SALU_CYCLE_1) | instskip(NEXT) | instid1(VALU_DEP_1)
	v_cndmask_b32_e64 v5, 0, 1, s0
	v_add_nc_u32_e32 v5, v1, v5
.LBB54_2584:
	s_or_b32 exec_lo, exec_lo, s3
	s_mov_b32 s0, 0
	s_mov_b32 s3, -1
	global_store_b8 v[2:3], v5, off
.LBB54_2585:
	s_mov_b32 s6, 0
.LBB54_2586:
	s_delay_alu instid0(SALU_CYCLE_1)
	s_and_b32 vcc_lo, exec_lo, s6
	s_cbranch_vccz .LBB54_2589
; %bb.2587:
	s_cmp_eq_u32 s1, 29
	s_mov_b32 s0, -1
	s_cbranch_scc0 .LBB54_2589
; %bb.2588:
	v_bfe_i32 v8, v11, 0, 8
	s_mov_b32 s0, 0
	s_mov_b32 s3, -1
	s_delay_alu instid0(VALU_DEP_1)
	v_ashrrev_i32_e32 v9, 31, v8
	global_store_b64 v[2:3], v[8:9], off
.LBB54_2589:
	s_mov_b32 s6, 0
.LBB54_2590:
	s_delay_alu instid0(SALU_CYCLE_1)
	s_and_b32 vcc_lo, exec_lo, s6
	s_cbranch_vccz .LBB54_2606
; %bb.2591:
	s_cmp_lt_i32 s1, 27
	s_mov_b32 s3, -1
	s_cbranch_scc1 .LBB54_2597
; %bb.2592:
	s_cmp_gt_i32 s1, 27
	s_cbranch_scc0 .LBB54_2594
; %bb.2593:
	s_wait_xcnt 0x0
	v_bfe_i32 v1, v11, 0, 8
	s_mov_b32 s3, 0
	global_store_b32 v[2:3], v1, off
.LBB54_2594:
	s_and_not1_b32 vcc_lo, exec_lo, s3
	s_cbranch_vccnz .LBB54_2596
; %bb.2595:
	s_wait_xcnt 0x0
	v_bfe_i32 v1, v11, 0, 8
	global_store_b16 v[2:3], v1, off
.LBB54_2596:
	s_mov_b32 s3, 0
.LBB54_2597:
	s_delay_alu instid0(SALU_CYCLE_1)
	s_and_not1_b32 vcc_lo, exec_lo, s3
	s_cbranch_vccnz .LBB54_2605
; %bb.2598:
	s_wait_xcnt 0x0
	v_bfe_i32 v1, v11, 0, 8
	v_mov_b32_e32 v7, 0x80
	s_mov_b32 s3, exec_lo
	s_delay_alu instid0(VALU_DEP_2) | instskip(NEXT) | instid1(VALU_DEP_1)
	v_bfe_i32 v1, v1, 0, 16
	v_cvt_f32_i32_e32 v1, v1
	s_delay_alu instid0(VALU_DEP_1) | instskip(NEXT) | instid1(VALU_DEP_1)
	v_and_b32_e32 v5, 0x7fffffff, v1
	v_cmpx_gt_u32_e32 0x43800000, v5
	s_cbranch_execz .LBB54_2604
; %bb.2599:
	v_cmp_lt_u32_e32 vcc_lo, 0x3bffffff, v5
	s_mov_b32 s6, 0
                                        ; implicit-def: $vgpr5
	s_and_saveexec_b32 s7, vcc_lo
	s_delay_alu instid0(SALU_CYCLE_1)
	s_xor_b32 s7, exec_lo, s7
	s_cbranch_execz .LBB54_3054
; %bb.2600:
	v_bfe_u32 v5, v1, 20, 1
	s_mov_b32 s6, exec_lo
	s_delay_alu instid0(VALU_DEP_1) | instskip(NEXT) | instid1(VALU_DEP_1)
	v_add3_u32 v5, v1, v5, 0x487ffff
	v_lshrrev_b32_e32 v5, 20, v5
	s_and_not1_saveexec_b32 s7, s7
	s_cbranch_execnz .LBB54_3055
.LBB54_2601:
	s_or_b32 exec_lo, exec_lo, s7
	v_mov_b32_e32 v7, 0
	s_and_saveexec_b32 s7, s6
.LBB54_2602:
	v_lshrrev_b32_e32 v1, 24, v1
	s_delay_alu instid0(VALU_DEP_1)
	v_and_or_b32 v7, 0x80, v1, v5
.LBB54_2603:
	s_or_b32 exec_lo, exec_lo, s7
.LBB54_2604:
	s_delay_alu instid0(SALU_CYCLE_1)
	s_or_b32 exec_lo, exec_lo, s3
	global_store_b8 v[2:3], v7, off
.LBB54_2605:
	s_mov_b32 s3, -1
.LBB54_2606:
	s_mov_b32 s6, 0
.LBB54_2607:
	s_delay_alu instid0(SALU_CYCLE_1)
	s_and_b32 vcc_lo, exec_lo, s6
	s_cbranch_vccz .LBB54_2647
; %bb.2608:
	s_cmp_gt_i32 s1, 22
	s_mov_b32 s2, -1
	s_cbranch_scc0 .LBB54_2640
; %bb.2609:
	s_cmp_lt_i32 s1, 24
	s_cbranch_scc1 .LBB54_2629
; %bb.2610:
	s_cmp_gt_i32 s1, 24
	s_cbranch_scc0 .LBB54_2618
; %bb.2611:
	s_wait_xcnt 0x0
	v_bfe_i32 v1, v11, 0, 8
	v_mov_b32_e32 v7, 0x80
	s_mov_b32 s2, exec_lo
	s_delay_alu instid0(VALU_DEP_2) | instskip(NEXT) | instid1(VALU_DEP_1)
	v_bfe_i32 v1, v1, 0, 16
	v_cvt_f32_i32_e32 v1, v1
	s_delay_alu instid0(VALU_DEP_1) | instskip(NEXT) | instid1(VALU_DEP_1)
	v_and_b32_e32 v5, 0x7fffffff, v1
	v_cmpx_gt_u32_e32 0x47800000, v5
	s_cbranch_execz .LBB54_2617
; %bb.2612:
	v_cmp_lt_u32_e32 vcc_lo, 0x37ffffff, v5
	s_mov_b32 s3, 0
                                        ; implicit-def: $vgpr5
	s_and_saveexec_b32 s6, vcc_lo
	s_delay_alu instid0(SALU_CYCLE_1)
	s_xor_b32 s6, exec_lo, s6
	s_cbranch_execz .LBB54_3057
; %bb.2613:
	v_bfe_u32 v5, v1, 21, 1
	s_mov_b32 s3, exec_lo
	s_delay_alu instid0(VALU_DEP_1) | instskip(NEXT) | instid1(VALU_DEP_1)
	v_add3_u32 v5, v1, v5, 0x88fffff
	v_lshrrev_b32_e32 v5, 21, v5
	s_and_not1_saveexec_b32 s6, s6
	s_cbranch_execnz .LBB54_3058
.LBB54_2614:
	s_or_b32 exec_lo, exec_lo, s6
	v_mov_b32_e32 v7, 0
	s_and_saveexec_b32 s6, s3
.LBB54_2615:
	v_lshrrev_b32_e32 v1, 24, v1
	s_delay_alu instid0(VALU_DEP_1)
	v_and_or_b32 v7, 0x80, v1, v5
.LBB54_2616:
	s_or_b32 exec_lo, exec_lo, s6
.LBB54_2617:
	s_delay_alu instid0(SALU_CYCLE_1)
	s_or_b32 exec_lo, exec_lo, s2
	s_mov_b32 s2, 0
	global_store_b8 v[2:3], v7, off
.LBB54_2618:
	s_and_b32 vcc_lo, exec_lo, s2
	s_cbranch_vccz .LBB54_2628
; %bb.2619:
	s_wait_xcnt 0x0
	v_bfe_i32 v1, v11, 0, 8
	s_mov_b32 s2, exec_lo
                                        ; implicit-def: $vgpr5
	s_delay_alu instid0(VALU_DEP_1) | instskip(NEXT) | instid1(VALU_DEP_1)
	v_bfe_i32 v1, v1, 0, 16
	v_cvt_f32_i32_e32 v1, v1
	s_delay_alu instid0(VALU_DEP_1) | instskip(NEXT) | instid1(VALU_DEP_1)
	v_and_b32_e32 v7, 0x7fffffff, v1
	v_cmpx_gt_u32_e32 0x43f00000, v7
	s_xor_b32 s2, exec_lo, s2
	s_cbranch_execz .LBB54_2625
; %bb.2620:
	s_mov_b32 s3, exec_lo
                                        ; implicit-def: $vgpr5
	v_cmpx_lt_u32_e32 0x3c7fffff, v7
	s_xor_b32 s3, exec_lo, s3
; %bb.2621:
	v_bfe_u32 v5, v1, 20, 1
	s_delay_alu instid0(VALU_DEP_1) | instskip(NEXT) | instid1(VALU_DEP_1)
	v_add3_u32 v5, v1, v5, 0x407ffff
	v_and_b32_e32 v7, 0xff00000, v5
	v_lshrrev_b32_e32 v5, 20, v5
	s_delay_alu instid0(VALU_DEP_2) | instskip(NEXT) | instid1(VALU_DEP_2)
	v_cmp_ne_u32_e32 vcc_lo, 0x7f00000, v7
	v_cndmask_b32_e32 v5, 0x7e, v5, vcc_lo
; %bb.2622:
	s_and_not1_saveexec_b32 s3, s3
; %bb.2623:
	v_add_f32_e64 v5, 0x46800000, |v1|
; %bb.2624:
	s_or_b32 exec_lo, exec_lo, s3
                                        ; implicit-def: $vgpr7
.LBB54_2625:
	s_and_not1_saveexec_b32 s2, s2
; %bb.2626:
	v_mov_b32_e32 v5, 0x7f
	v_cmp_lt_u32_e32 vcc_lo, 0x7f800000, v7
	s_delay_alu instid0(VALU_DEP_2)
	v_cndmask_b32_e32 v5, 0x7e, v5, vcc_lo
; %bb.2627:
	s_or_b32 exec_lo, exec_lo, s2
	v_lshrrev_b32_e32 v1, 24, v1
	s_delay_alu instid0(VALU_DEP_1)
	v_and_or_b32 v1, 0x80, v1, v5
	global_store_b8 v[2:3], v1, off
.LBB54_2628:
	s_mov_b32 s2, 0
.LBB54_2629:
	s_delay_alu instid0(SALU_CYCLE_1)
	s_and_not1_b32 vcc_lo, exec_lo, s2
	s_cbranch_vccnz .LBB54_2639
; %bb.2630:
	s_wait_xcnt 0x0
	v_bfe_i32 v1, v11, 0, 8
	s_mov_b32 s2, exec_lo
                                        ; implicit-def: $vgpr5
	s_delay_alu instid0(VALU_DEP_1) | instskip(NEXT) | instid1(VALU_DEP_1)
	v_bfe_i32 v1, v1, 0, 16
	v_cvt_f32_i32_e32 v1, v1
	s_delay_alu instid0(VALU_DEP_1) | instskip(NEXT) | instid1(VALU_DEP_1)
	v_and_b32_e32 v7, 0x7fffffff, v1
	v_cmpx_gt_u32_e32 0x47800000, v7
	s_xor_b32 s2, exec_lo, s2
	s_cbranch_execz .LBB54_2636
; %bb.2631:
	s_mov_b32 s3, exec_lo
                                        ; implicit-def: $vgpr5
	v_cmpx_lt_u32_e32 0x387fffff, v7
	s_xor_b32 s3, exec_lo, s3
; %bb.2632:
	v_bfe_u32 v5, v1, 21, 1
	s_delay_alu instid0(VALU_DEP_1) | instskip(NEXT) | instid1(VALU_DEP_1)
	v_add3_u32 v5, v1, v5, 0x80fffff
	v_lshrrev_b32_e32 v5, 21, v5
; %bb.2633:
	s_and_not1_saveexec_b32 s3, s3
; %bb.2634:
	v_add_f32_e64 v5, 0x43000000, |v1|
; %bb.2635:
	s_or_b32 exec_lo, exec_lo, s3
                                        ; implicit-def: $vgpr7
.LBB54_2636:
	s_and_not1_saveexec_b32 s2, s2
; %bb.2637:
	v_mov_b32_e32 v5, 0x7f
	v_cmp_lt_u32_e32 vcc_lo, 0x7f800000, v7
	s_delay_alu instid0(VALU_DEP_2)
	v_cndmask_b32_e32 v5, 0x7c, v5, vcc_lo
; %bb.2638:
	s_or_b32 exec_lo, exec_lo, s2
	v_lshrrev_b32_e32 v1, 24, v1
	s_delay_alu instid0(VALU_DEP_1)
	v_and_or_b32 v1, 0x80, v1, v5
	global_store_b8 v[2:3], v1, off
.LBB54_2639:
	s_mov_b32 s2, 0
	s_mov_b32 s3, -1
.LBB54_2640:
	s_and_not1_b32 vcc_lo, exec_lo, s2
	s_mov_b32 s2, 0
	s_cbranch_vccnz .LBB54_2647
; %bb.2641:
	s_cmp_gt_i32 s1, 14
	s_mov_b32 s2, -1
	s_cbranch_scc0 .LBB54_2645
; %bb.2642:
	s_cmp_eq_u32 s1, 15
	s_mov_b32 s0, -1
	s_cbranch_scc0 .LBB54_2644
; %bb.2643:
	s_wait_xcnt 0x0
	v_bfe_i32 v1, v11, 0, 8
	s_mov_b32 s0, 0
	s_mov_b32 s3, -1
	s_delay_alu instid0(VALU_DEP_1) | instskip(NEXT) | instid1(VALU_DEP_1)
	v_bfe_i32 v1, v1, 0, 16
	v_cvt_f32_i32_e32 v1, v1
	s_delay_alu instid0(VALU_DEP_1) | instskip(NEXT) | instid1(VALU_DEP_1)
	v_bfe_u32 v5, v1, 16, 1
	v_add3_u32 v1, v1, v5, 0x7fff
	global_store_d16_hi_b16 v[2:3], v1, off
.LBB54_2644:
	s_mov_b32 s2, 0
.LBB54_2645:
	s_delay_alu instid0(SALU_CYCLE_1)
	s_and_b32 vcc_lo, exec_lo, s2
	s_mov_b32 s2, 0
	s_cbranch_vccz .LBB54_2647
; %bb.2646:
	s_cmp_lg_u32 s1, 11
	s_mov_b32 s2, -1
	s_cselect_b32 s0, -1, 0
.LBB54_2647:
	s_delay_alu instid0(SALU_CYCLE_1)
	s_and_b32 vcc_lo, exec_lo, s0
	s_cbranch_vccnz .LBB54_3056
; %bb.2648:
	s_and_not1_b32 vcc_lo, exec_lo, s2
	s_cbranch_vccnz .LBB54_2650
.LBB54_2649:
	s_wait_xcnt 0x0
	v_and_b32_e32 v1, 0xff, v11
	s_mov_b32 s3, -1
	s_delay_alu instid0(VALU_DEP_1)
	v_cmp_ne_u16_e32 vcc_lo, 0, v1
	v_cndmask_b32_e64 v1, 0, 1, vcc_lo
	global_store_b8 v[2:3], v1, off
.LBB54_2650:
	s_mov_b32 s0, 0
	s_branch .LBB54_2697
.LBB54_2651:
	s_mov_b32 s0, 0
	s_mov_b32 s2, 0
                                        ; implicit-def: $sgpr16
                                        ; implicit-def: $vgpr0_vgpr1
                                        ; implicit-def: $vgpr4
.LBB54_2652:
	s_and_not1_b32 s1, s15, exec_lo
	s_and_b32 s3, s12, exec_lo
	s_and_b32 s0, s0, exec_lo
	;; [unrolled: 1-line block ×3, first 2 shown]
	s_or_b32 s15, s1, s3
.LBB54_2653:
	s_wait_xcnt 0x0
	s_or_b32 exec_lo, exec_lo, s14
	s_and_saveexec_b32 s1, s15
	s_cbranch_execz .LBB54_2656
; %bb.2654:
	; divergent unreachable
	s_or_b32 exec_lo, exec_lo, s1
	s_and_saveexec_b32 s1, s12
	s_delay_alu instid0(SALU_CYCLE_1)
	s_xor_b32 s1, exec_lo, s1
	s_cbranch_execnz .LBB54_2657
.LBB54_2655:
	s_or_b32 exec_lo, exec_lo, s1
	s_and_saveexec_b32 s1, s0
	s_cbranch_execnz .LBB54_2658
	s_branch .LBB54_2695
.LBB54_2656:
	s_or_b32 exec_lo, exec_lo, s1
	s_and_saveexec_b32 s1, s12
	s_delay_alu instid0(SALU_CYCLE_1)
	s_xor_b32 s1, exec_lo, s1
	s_cbranch_execz .LBB54_2655
.LBB54_2657:
	s_wait_loadcnt 0x0
	s_delay_alu instid0(VALU_DEP_1) | instskip(NEXT) | instid1(VALU_DEP_1)
	v_and_b32_e32 v2, 0xff, v4
	v_cmp_ne_u16_e32 vcc_lo, 0, v2
	v_cndmask_b32_e64 v2, 0, 1, vcc_lo
	global_store_b8 v[0:1], v2, off
	s_wait_xcnt 0x0
	s_or_b32 exec_lo, exec_lo, s1
	s_and_saveexec_b32 s1, s0
	s_cbranch_execz .LBB54_2695
.LBB54_2658:
	s_sext_i32_i16 s1, s16
	s_mov_b32 s0, -1
	s_cmp_lt_i32 s1, 5
	s_cbranch_scc1 .LBB54_2679
; %bb.2659:
	s_cmp_lt_i32 s1, 8
	s_cbranch_scc1 .LBB54_2669
; %bb.2660:
	;; [unrolled: 3-line block ×3, first 2 shown]
	s_cmp_gt_i32 s1, 9
	s_cbranch_scc0 .LBB54_2663
; %bb.2662:
	s_wait_loadcnt 0x0
	v_bfe_i32 v2, v4, 0, 8
	v_mov_b32_e32 v8, 0
	s_mov_b32 s0, 0
	s_delay_alu instid0(VALU_DEP_2) | instskip(NEXT) | instid1(VALU_DEP_2)
	v_bfe_i32 v2, v2, 0, 16
	v_mov_b32_e32 v9, v8
	s_delay_alu instid0(VALU_DEP_2)
	v_cvt_f64_i32_e32 v[6:7], v2
	global_store_b128 v[0:1], v[6:9], off
.LBB54_2663:
	s_and_not1_b32 vcc_lo, exec_lo, s0
	s_cbranch_vccnz .LBB54_2665
; %bb.2664:
	s_wait_loadcnt 0x0
	v_bfe_i32 v2, v4, 0, 8
	v_mov_b32_e32 v3, 0
	s_delay_alu instid0(VALU_DEP_2) | instskip(NEXT) | instid1(VALU_DEP_1)
	v_bfe_i32 v2, v2, 0, 16
	v_cvt_f32_i32_e32 v2, v2
	global_store_b64 v[0:1], v[2:3], off
.LBB54_2665:
	s_mov_b32 s0, 0
.LBB54_2666:
	s_delay_alu instid0(SALU_CYCLE_1)
	s_and_not1_b32 vcc_lo, exec_lo, s0
	s_cbranch_vccnz .LBB54_2668
; %bb.2667:
	s_wait_loadcnt 0x0
	v_bfe_i32 v2, v4, 0, 8
	s_delay_alu instid0(VALU_DEP_1) | instskip(NEXT) | instid1(VALU_DEP_1)
	v_cvt_f16_i16_e32 v2, v2
	v_and_b32_e32 v2, 0xffff, v2
	global_store_b32 v[0:1], v2, off
.LBB54_2668:
	s_mov_b32 s0, 0
.LBB54_2669:
	s_delay_alu instid0(SALU_CYCLE_1)
	s_and_not1_b32 vcc_lo, exec_lo, s0
	s_cbranch_vccnz .LBB54_2678
; %bb.2670:
	s_sext_i32_i16 s1, s16
	s_mov_b32 s0, -1
	s_cmp_lt_i32 s1, 6
	s_cbranch_scc1 .LBB54_2676
; %bb.2671:
	s_cmp_gt_i32 s1, 6
	s_cbranch_scc0 .LBB54_2673
; %bb.2672:
	s_wait_loadcnt 0x0
	v_bfe_i32 v2, v4, 0, 8
	s_mov_b32 s0, 0
	s_delay_alu instid0(VALU_DEP_1) | instskip(NEXT) | instid1(VALU_DEP_1)
	v_bfe_i32 v2, v2, 0, 16
	v_cvt_f64_i32_e32 v[2:3], v2
	global_store_b64 v[0:1], v[2:3], off
.LBB54_2673:
	s_and_not1_b32 vcc_lo, exec_lo, s0
	s_cbranch_vccnz .LBB54_2675
; %bb.2674:
	s_wait_loadcnt 0x0
	v_bfe_i32 v2, v4, 0, 8
	s_delay_alu instid0(VALU_DEP_1) | instskip(NEXT) | instid1(VALU_DEP_1)
	v_bfe_i32 v2, v2, 0, 16
	v_cvt_f32_i32_e32 v2, v2
	global_store_b32 v[0:1], v2, off
.LBB54_2675:
	s_mov_b32 s0, 0
.LBB54_2676:
	s_delay_alu instid0(SALU_CYCLE_1)
	s_and_not1_b32 vcc_lo, exec_lo, s0
	s_cbranch_vccnz .LBB54_2678
; %bb.2677:
	s_wait_loadcnt 0x0
	v_bfe_i32 v2, v4, 0, 8
	s_delay_alu instid0(VALU_DEP_1)
	v_cvt_f16_i16_e32 v2, v2
	global_store_b16 v[0:1], v2, off
.LBB54_2678:
	s_mov_b32 s0, 0
.LBB54_2679:
	s_delay_alu instid0(SALU_CYCLE_1)
	s_and_not1_b32 vcc_lo, exec_lo, s0
	s_cbranch_vccnz .LBB54_2695
; %bb.2680:
	s_sext_i32_i16 s1, s16
	s_mov_b32 s0, -1
	s_cmp_lt_i32 s1, 2
	s_cbranch_scc1 .LBB54_2690
; %bb.2681:
	s_cmp_lt_i32 s1, 3
	s_cbranch_scc1 .LBB54_2687
; %bb.2682:
	s_cmp_gt_i32 s1, 3
	s_cbranch_scc0 .LBB54_2684
; %bb.2683:
	s_wait_loadcnt 0x0
	v_bfe_i32 v2, v4, 0, 8
	s_mov_b32 s0, 0
	s_delay_alu instid0(VALU_DEP_1)
	v_ashrrev_i32_e32 v3, 31, v2
	global_store_b64 v[0:1], v[2:3], off
.LBB54_2684:
	s_and_not1_b32 vcc_lo, exec_lo, s0
	s_cbranch_vccnz .LBB54_2686
; %bb.2685:
	s_wait_loadcnt 0x0
	v_bfe_i32 v2, v4, 0, 8
	global_store_b32 v[0:1], v2, off
.LBB54_2686:
	s_mov_b32 s0, 0
.LBB54_2687:
	s_delay_alu instid0(SALU_CYCLE_1)
	s_and_not1_b32 vcc_lo, exec_lo, s0
	s_cbranch_vccnz .LBB54_2689
; %bb.2688:
	s_wait_loadcnt 0x0
	v_bfe_i32 v2, v4, 0, 8
	global_store_b16 v[0:1], v2, off
.LBB54_2689:
	s_mov_b32 s0, 0
.LBB54_2690:
	s_delay_alu instid0(SALU_CYCLE_1)
	s_and_not1_b32 vcc_lo, exec_lo, s0
	s_cbranch_vccnz .LBB54_2695
; %bb.2691:
	s_sext_i32_i16 s0, s16
	s_delay_alu instid0(SALU_CYCLE_1)
	s_cmp_gt_i32 s0, 0
	s_mov_b32 s0, -1
	s_cbranch_scc0 .LBB54_2693
; %bb.2692:
	s_mov_b32 s0, 0
	s_wait_loadcnt 0x0
	global_store_b8 v[0:1], v4, off
.LBB54_2693:
	s_and_not1_b32 vcc_lo, exec_lo, s0
	s_cbranch_vccnz .LBB54_2695
; %bb.2694:
	s_wait_loadcnt 0x0
	global_store_b8 v[0:1], v4, off
	s_endpgm
.LBB54_2695:
	s_endpgm
.LBB54_2696:
	s_mov_b32 s0, -1
	s_mov_b32 s3, 0
.LBB54_2697:
	s_and_b32 vcc_lo, exec_lo, s0
	s_cbranch_vccz .LBB54_2736
; %bb.2698:
	s_and_b32 s0, 0xffff, s16
	s_mov_b32 s1, -1
	s_cmp_lt_i32 s0, 5
	s_cbranch_scc1 .LBB54_2719
; %bb.2699:
	s_cmp_lt_i32 s0, 8
	s_cbranch_scc1 .LBB54_2709
; %bb.2700:
	;; [unrolled: 3-line block ×3, first 2 shown]
	s_cmp_gt_i32 s0, 9
	s_cbranch_scc0 .LBB54_2703
; %bb.2702:
	s_wait_xcnt 0x0
	v_bfe_i32 v1, v11, 0, 8
	v_mov_b32_e32 v16, 0
	s_mov_b32 s1, 0
	s_delay_alu instid0(VALU_DEP_2) | instskip(NEXT) | instid1(VALU_DEP_2)
	v_bfe_i32 v1, v1, 0, 16
	v_mov_b32_e32 v17, v16
	s_delay_alu instid0(VALU_DEP_2)
	v_cvt_f64_i32_e32 v[14:15], v1
	global_store_b128 v[2:3], v[14:17], off
.LBB54_2703:
	s_and_not1_b32 vcc_lo, exec_lo, s1
	s_cbranch_vccnz .LBB54_2705
; %bb.2704:
	s_wait_xcnt 0x0
	v_bfe_i32 v1, v11, 0, 8
	v_mov_b32_e32 v9, 0
	s_delay_alu instid0(VALU_DEP_2) | instskip(NEXT) | instid1(VALU_DEP_1)
	v_bfe_i32 v1, v1, 0, 16
	v_cvt_f32_i32_e32 v8, v1
	global_store_b64 v[2:3], v[8:9], off
.LBB54_2705:
	s_mov_b32 s1, 0
.LBB54_2706:
	s_delay_alu instid0(SALU_CYCLE_1)
	s_and_not1_b32 vcc_lo, exec_lo, s1
	s_cbranch_vccnz .LBB54_2708
; %bb.2707:
	s_wait_xcnt 0x0
	v_bfe_i32 v1, v11, 0, 8
	s_delay_alu instid0(VALU_DEP_1) | instskip(NEXT) | instid1(VALU_DEP_1)
	v_cvt_f16_i16_e32 v1, v1
	v_and_b32_e32 v1, 0xffff, v1
	global_store_b32 v[2:3], v1, off
.LBB54_2708:
	s_mov_b32 s1, 0
.LBB54_2709:
	s_delay_alu instid0(SALU_CYCLE_1)
	s_and_not1_b32 vcc_lo, exec_lo, s1
	s_cbranch_vccnz .LBB54_2718
; %bb.2710:
	s_cmp_lt_i32 s0, 6
	s_mov_b32 s1, -1
	s_cbranch_scc1 .LBB54_2716
; %bb.2711:
	s_cmp_gt_i32 s0, 6
	s_cbranch_scc0 .LBB54_2713
; %bb.2712:
	s_wait_xcnt 0x0
	v_bfe_i32 v1, v11, 0, 8
	s_mov_b32 s1, 0
	s_delay_alu instid0(VALU_DEP_1) | instskip(NEXT) | instid1(VALU_DEP_1)
	v_bfe_i32 v1, v1, 0, 16
	v_cvt_f64_i32_e32 v[8:9], v1
	global_store_b64 v[2:3], v[8:9], off
.LBB54_2713:
	s_and_not1_b32 vcc_lo, exec_lo, s1
	s_cbranch_vccnz .LBB54_2715
; %bb.2714:
	s_wait_xcnt 0x0
	v_bfe_i32 v1, v11, 0, 8
	s_delay_alu instid0(VALU_DEP_1) | instskip(NEXT) | instid1(VALU_DEP_1)
	v_bfe_i32 v1, v1, 0, 16
	v_cvt_f32_i32_e32 v1, v1
	global_store_b32 v[2:3], v1, off
.LBB54_2715:
	s_mov_b32 s1, 0
.LBB54_2716:
	s_delay_alu instid0(SALU_CYCLE_1)
	s_and_not1_b32 vcc_lo, exec_lo, s1
	s_cbranch_vccnz .LBB54_2718
; %bb.2717:
	s_wait_xcnt 0x0
	v_bfe_i32 v1, v11, 0, 8
	s_delay_alu instid0(VALU_DEP_1)
	v_cvt_f16_i16_e32 v1, v1
	global_store_b16 v[2:3], v1, off
.LBB54_2718:
	s_mov_b32 s1, 0
.LBB54_2719:
	s_delay_alu instid0(SALU_CYCLE_1)
	s_and_not1_b32 vcc_lo, exec_lo, s1
	s_cbranch_vccnz .LBB54_2735
; %bb.2720:
	s_cmp_lt_i32 s0, 2
	s_mov_b32 s1, -1
	s_cbranch_scc1 .LBB54_2730
; %bb.2721:
	s_cmp_lt_i32 s0, 3
	s_cbranch_scc1 .LBB54_2727
; %bb.2722:
	s_cmp_gt_i32 s0, 3
	s_cbranch_scc0 .LBB54_2724
; %bb.2723:
	s_wait_xcnt 0x0
	v_bfe_i32 v8, v11, 0, 8
	s_mov_b32 s1, 0
	s_delay_alu instid0(VALU_DEP_1)
	v_ashrrev_i32_e32 v9, 31, v8
	global_store_b64 v[2:3], v[8:9], off
.LBB54_2724:
	s_and_not1_b32 vcc_lo, exec_lo, s1
	s_cbranch_vccnz .LBB54_2726
; %bb.2725:
	s_wait_xcnt 0x0
	v_bfe_i32 v1, v11, 0, 8
	global_store_b32 v[2:3], v1, off
.LBB54_2726:
	s_mov_b32 s1, 0
.LBB54_2727:
	s_delay_alu instid0(SALU_CYCLE_1)
	s_and_not1_b32 vcc_lo, exec_lo, s1
	s_cbranch_vccnz .LBB54_2729
; %bb.2728:
	s_wait_xcnt 0x0
	v_bfe_i32 v1, v11, 0, 8
	global_store_b16 v[2:3], v1, off
.LBB54_2729:
	s_mov_b32 s1, 0
.LBB54_2730:
	s_delay_alu instid0(SALU_CYCLE_1)
	s_and_not1_b32 vcc_lo, exec_lo, s1
	s_cbranch_vccnz .LBB54_2735
; %bb.2731:
	s_cmp_gt_i32 s0, 0
	s_mov_b32 s0, -1
	s_cbranch_scc0 .LBB54_2733
; %bb.2732:
	s_mov_b32 s0, 0
	global_store_b8 v[2:3], v11, off
.LBB54_2733:
	s_and_not1_b32 vcc_lo, exec_lo, s0
	s_cbranch_vccnz .LBB54_2735
; %bb.2734:
	global_store_b8 v[2:3], v11, off
.LBB54_2735:
	s_mov_b32 s3, -1
.LBB54_2736:
	s_delay_alu instid0(SALU_CYCLE_1)
	s_and_not1_b32 vcc_lo, exec_lo, s3
	s_cbranch_vccnz .LBB54_3051
; %bb.2737:
	s_lshl_b32 s1, s8, 7
	s_cmp_lt_i32 s16, 11
	v_add_nc_u32_e32 v0, s1, v0
	s_wait_xcnt 0x0
	s_delay_alu instid0(VALU_DEP_1) | instskip(NEXT) | instid1(VALU_DEP_1)
	v_ashrrev_i32_e32 v1, 31, v0
	v_add_nc_u64_e32 v[2:3], s[4:5], v[0:1]
	s_cbranch_scc1 .LBB54_2815
; %bb.2738:
	s_and_b32 s2, 0xffff, s16
	s_mov_b32 s7, -1
	s_mov_b32 s3, 0
	s_cmp_gt_i32 s2, 25
	s_mov_b32 s6, 0
	s_mov_b32 s0, 0
	s_cbranch_scc0 .LBB54_2771
; %bb.2739:
	s_cmp_gt_i32 s2, 28
	s_cbranch_scc0 .LBB54_2754
; %bb.2740:
	s_cmp_gt_i32 s2, 43
	;; [unrolled: 3-line block ×3, first 2 shown]
	s_cbranch_scc0 .LBB54_2744
; %bb.2742:
	s_mov_b32 s0, -1
	s_mov_b32 s7, 0
	s_cmp_eq_u32 s2, 46
	s_cbranch_scc0 .LBB54_2744
; %bb.2743:
	v_bfe_i32 v1, v12, 0, 8
	s_mov_b32 s0, 0
	s_mov_b32 s6, -1
	s_delay_alu instid0(VALU_DEP_1) | instskip(NEXT) | instid1(VALU_DEP_1)
	v_bfe_i32 v1, v1, 0, 16
	v_cvt_f32_i32_e32 v1, v1
	s_delay_alu instid0(VALU_DEP_1) | instskip(NEXT) | instid1(VALU_DEP_1)
	v_bfe_u32 v5, v1, 16, 1
	v_add3_u32 v1, v1, v5, 0x7fff
	s_delay_alu instid0(VALU_DEP_1)
	v_lshrrev_b32_e32 v1, 16, v1
	global_store_b32 v[2:3], v1, off
.LBB54_2744:
	s_and_b32 vcc_lo, exec_lo, s7
	s_cbranch_vccz .LBB54_2749
; %bb.2745:
	s_cmp_eq_u32 s2, 44
	s_mov_b32 s0, -1
	s_cbranch_scc0 .LBB54_2749
; %bb.2746:
	s_wait_xcnt 0x0
	v_bfe_i32 v1, v12, 0, 8
	v_mov_b32_e32 v5, 0xff
	s_mov_b32 s6, exec_lo
	s_delay_alu instid0(VALU_DEP_2) | instskip(NEXT) | instid1(VALU_DEP_1)
	v_bfe_i32 v1, v1, 0, 16
	v_cvt_f32_i32_e32 v1, v1
	s_delay_alu instid0(VALU_DEP_1) | instskip(NEXT) | instid1(VALU_DEP_1)
	v_bfe_u32 v7, v1, 23, 8
	v_cmpx_ne_u32_e32 0xff, v7
	s_cbranch_execz .LBB54_2748
; %bb.2747:
	v_and_b32_e32 v5, 0x400000, v1
	v_and_or_b32 v7, 0x3fffff, v1, v7
	v_lshrrev_b32_e32 v1, 23, v1
	s_delay_alu instid0(VALU_DEP_3) | instskip(NEXT) | instid1(VALU_DEP_3)
	v_cmp_ne_u32_e32 vcc_lo, 0, v5
	v_cmp_ne_u32_e64 s0, 0, v7
	s_and_b32 s0, vcc_lo, s0
	s_delay_alu instid0(SALU_CYCLE_1) | instskip(NEXT) | instid1(VALU_DEP_1)
	v_cndmask_b32_e64 v5, 0, 1, s0
	v_add_nc_u32_e32 v5, v1, v5
.LBB54_2748:
	s_or_b32 exec_lo, exec_lo, s6
	s_mov_b32 s0, 0
	s_mov_b32 s6, -1
	global_store_b8 v[2:3], v5, off
.LBB54_2749:
	s_mov_b32 s7, 0
.LBB54_2750:
	s_delay_alu instid0(SALU_CYCLE_1)
	s_and_b32 vcc_lo, exec_lo, s7
	s_cbranch_vccz .LBB54_2753
; %bb.2751:
	s_cmp_eq_u32 s2, 29
	s_mov_b32 s0, -1
	s_cbranch_scc0 .LBB54_2753
; %bb.2752:
	v_bfe_i32 v8, v12, 0, 8
	s_mov_b32 s0, 0
	s_mov_b32 s6, -1
	s_delay_alu instid0(VALU_DEP_1)
	v_ashrrev_i32_e32 v9, 31, v8
	global_store_b64 v[2:3], v[8:9], off
.LBB54_2753:
	s_mov_b32 s7, 0
.LBB54_2754:
	s_delay_alu instid0(SALU_CYCLE_1)
	s_and_b32 vcc_lo, exec_lo, s7
	s_cbranch_vccz .LBB54_2770
; %bb.2755:
	s_cmp_lt_i32 s2, 27
	s_mov_b32 s6, -1
	s_cbranch_scc1 .LBB54_2761
; %bb.2756:
	s_cmp_gt_i32 s2, 27
	s_cbranch_scc0 .LBB54_2758
; %bb.2757:
	s_wait_xcnt 0x0
	v_bfe_i32 v1, v12, 0, 8
	s_mov_b32 s6, 0
	global_store_b32 v[2:3], v1, off
.LBB54_2758:
	s_and_not1_b32 vcc_lo, exec_lo, s6
	s_cbranch_vccnz .LBB54_2760
; %bb.2759:
	s_wait_xcnt 0x0
	v_bfe_i32 v1, v12, 0, 8
	global_store_b16 v[2:3], v1, off
.LBB54_2760:
	s_mov_b32 s6, 0
.LBB54_2761:
	s_delay_alu instid0(SALU_CYCLE_1)
	s_and_not1_b32 vcc_lo, exec_lo, s6
	s_cbranch_vccnz .LBB54_2769
; %bb.2762:
	s_wait_xcnt 0x0
	v_bfe_i32 v1, v12, 0, 8
	v_mov_b32_e32 v7, 0x80
	s_mov_b32 s6, exec_lo
	s_delay_alu instid0(VALU_DEP_2) | instskip(NEXT) | instid1(VALU_DEP_1)
	v_bfe_i32 v1, v1, 0, 16
	v_cvt_f32_i32_e32 v1, v1
	s_delay_alu instid0(VALU_DEP_1) | instskip(NEXT) | instid1(VALU_DEP_1)
	v_and_b32_e32 v5, 0x7fffffff, v1
	v_cmpx_gt_u32_e32 0x43800000, v5
	s_cbranch_execz .LBB54_2768
; %bb.2763:
	v_cmp_lt_u32_e32 vcc_lo, 0x3bffffff, v5
	s_mov_b32 s7, 0
                                        ; implicit-def: $vgpr5
	s_and_saveexec_b32 s8, vcc_lo
	s_delay_alu instid0(SALU_CYCLE_1)
	s_xor_b32 s8, exec_lo, s8
	s_cbranch_execz .LBB54_3059
; %bb.2764:
	v_bfe_u32 v5, v1, 20, 1
	s_mov_b32 s7, exec_lo
	s_delay_alu instid0(VALU_DEP_1) | instskip(NEXT) | instid1(VALU_DEP_1)
	v_add3_u32 v5, v1, v5, 0x487ffff
	v_lshrrev_b32_e32 v5, 20, v5
	s_and_not1_saveexec_b32 s8, s8
	s_cbranch_execnz .LBB54_3060
.LBB54_2765:
	s_or_b32 exec_lo, exec_lo, s8
	v_mov_b32_e32 v7, 0
	s_and_saveexec_b32 s8, s7
.LBB54_2766:
	v_lshrrev_b32_e32 v1, 24, v1
	s_delay_alu instid0(VALU_DEP_1)
	v_and_or_b32 v7, 0x80, v1, v5
.LBB54_2767:
	s_or_b32 exec_lo, exec_lo, s8
.LBB54_2768:
	s_delay_alu instid0(SALU_CYCLE_1)
	s_or_b32 exec_lo, exec_lo, s6
	global_store_b8 v[2:3], v7, off
.LBB54_2769:
	s_mov_b32 s6, -1
.LBB54_2770:
	s_mov_b32 s7, 0
.LBB54_2771:
	s_delay_alu instid0(SALU_CYCLE_1)
	s_and_b32 vcc_lo, exec_lo, s7
	s_cbranch_vccz .LBB54_2811
; %bb.2772:
	s_cmp_gt_i32 s2, 22
	s_mov_b32 s3, -1
	s_cbranch_scc0 .LBB54_2804
; %bb.2773:
	s_cmp_lt_i32 s2, 24
	s_cbranch_scc1 .LBB54_2793
; %bb.2774:
	s_cmp_gt_i32 s2, 24
	s_cbranch_scc0 .LBB54_2782
; %bb.2775:
	s_wait_xcnt 0x0
	v_bfe_i32 v1, v12, 0, 8
	v_mov_b32_e32 v7, 0x80
	s_mov_b32 s3, exec_lo
	s_delay_alu instid0(VALU_DEP_2) | instskip(NEXT) | instid1(VALU_DEP_1)
	v_bfe_i32 v1, v1, 0, 16
	v_cvt_f32_i32_e32 v1, v1
	s_delay_alu instid0(VALU_DEP_1) | instskip(NEXT) | instid1(VALU_DEP_1)
	v_and_b32_e32 v5, 0x7fffffff, v1
	v_cmpx_gt_u32_e32 0x47800000, v5
	s_cbranch_execz .LBB54_2781
; %bb.2776:
	v_cmp_lt_u32_e32 vcc_lo, 0x37ffffff, v5
	s_mov_b32 s6, 0
                                        ; implicit-def: $vgpr5
	s_and_saveexec_b32 s7, vcc_lo
	s_delay_alu instid0(SALU_CYCLE_1)
	s_xor_b32 s7, exec_lo, s7
	s_cbranch_execz .LBB54_3062
; %bb.2777:
	v_bfe_u32 v5, v1, 21, 1
	s_mov_b32 s6, exec_lo
	s_delay_alu instid0(VALU_DEP_1) | instskip(NEXT) | instid1(VALU_DEP_1)
	v_add3_u32 v5, v1, v5, 0x88fffff
	v_lshrrev_b32_e32 v5, 21, v5
	s_and_not1_saveexec_b32 s7, s7
	s_cbranch_execnz .LBB54_3063
.LBB54_2778:
	s_or_b32 exec_lo, exec_lo, s7
	v_mov_b32_e32 v7, 0
	s_and_saveexec_b32 s7, s6
.LBB54_2779:
	v_lshrrev_b32_e32 v1, 24, v1
	s_delay_alu instid0(VALU_DEP_1)
	v_and_or_b32 v7, 0x80, v1, v5
.LBB54_2780:
	s_or_b32 exec_lo, exec_lo, s7
.LBB54_2781:
	s_delay_alu instid0(SALU_CYCLE_1)
	s_or_b32 exec_lo, exec_lo, s3
	s_mov_b32 s3, 0
	global_store_b8 v[2:3], v7, off
.LBB54_2782:
	s_and_b32 vcc_lo, exec_lo, s3
	s_cbranch_vccz .LBB54_2792
; %bb.2783:
	s_wait_xcnt 0x0
	v_bfe_i32 v1, v12, 0, 8
	s_mov_b32 s3, exec_lo
                                        ; implicit-def: $vgpr5
	s_delay_alu instid0(VALU_DEP_1) | instskip(NEXT) | instid1(VALU_DEP_1)
	v_bfe_i32 v1, v1, 0, 16
	v_cvt_f32_i32_e32 v1, v1
	s_delay_alu instid0(VALU_DEP_1) | instskip(NEXT) | instid1(VALU_DEP_1)
	v_and_b32_e32 v7, 0x7fffffff, v1
	v_cmpx_gt_u32_e32 0x43f00000, v7
	s_xor_b32 s3, exec_lo, s3
	s_cbranch_execz .LBB54_2789
; %bb.2784:
	s_mov_b32 s6, exec_lo
                                        ; implicit-def: $vgpr5
	v_cmpx_lt_u32_e32 0x3c7fffff, v7
	s_xor_b32 s6, exec_lo, s6
; %bb.2785:
	v_bfe_u32 v5, v1, 20, 1
	s_delay_alu instid0(VALU_DEP_1) | instskip(NEXT) | instid1(VALU_DEP_1)
	v_add3_u32 v5, v1, v5, 0x407ffff
	v_and_b32_e32 v7, 0xff00000, v5
	v_lshrrev_b32_e32 v5, 20, v5
	s_delay_alu instid0(VALU_DEP_2) | instskip(NEXT) | instid1(VALU_DEP_2)
	v_cmp_ne_u32_e32 vcc_lo, 0x7f00000, v7
	v_cndmask_b32_e32 v5, 0x7e, v5, vcc_lo
; %bb.2786:
	s_and_not1_saveexec_b32 s6, s6
; %bb.2787:
	v_add_f32_e64 v5, 0x46800000, |v1|
; %bb.2788:
	s_or_b32 exec_lo, exec_lo, s6
                                        ; implicit-def: $vgpr7
.LBB54_2789:
	s_and_not1_saveexec_b32 s3, s3
; %bb.2790:
	v_mov_b32_e32 v5, 0x7f
	v_cmp_lt_u32_e32 vcc_lo, 0x7f800000, v7
	s_delay_alu instid0(VALU_DEP_2)
	v_cndmask_b32_e32 v5, 0x7e, v5, vcc_lo
; %bb.2791:
	s_or_b32 exec_lo, exec_lo, s3
	v_lshrrev_b32_e32 v1, 24, v1
	s_delay_alu instid0(VALU_DEP_1)
	v_and_or_b32 v1, 0x80, v1, v5
	global_store_b8 v[2:3], v1, off
.LBB54_2792:
	s_mov_b32 s3, 0
.LBB54_2793:
	s_delay_alu instid0(SALU_CYCLE_1)
	s_and_not1_b32 vcc_lo, exec_lo, s3
	s_cbranch_vccnz .LBB54_2803
; %bb.2794:
	s_wait_xcnt 0x0
	v_bfe_i32 v1, v12, 0, 8
	s_mov_b32 s3, exec_lo
                                        ; implicit-def: $vgpr5
	s_delay_alu instid0(VALU_DEP_1) | instskip(NEXT) | instid1(VALU_DEP_1)
	v_bfe_i32 v1, v1, 0, 16
	v_cvt_f32_i32_e32 v1, v1
	s_delay_alu instid0(VALU_DEP_1) | instskip(NEXT) | instid1(VALU_DEP_1)
	v_and_b32_e32 v7, 0x7fffffff, v1
	v_cmpx_gt_u32_e32 0x47800000, v7
	s_xor_b32 s3, exec_lo, s3
	s_cbranch_execz .LBB54_2800
; %bb.2795:
	s_mov_b32 s6, exec_lo
                                        ; implicit-def: $vgpr5
	v_cmpx_lt_u32_e32 0x387fffff, v7
	s_xor_b32 s6, exec_lo, s6
; %bb.2796:
	v_bfe_u32 v5, v1, 21, 1
	s_delay_alu instid0(VALU_DEP_1) | instskip(NEXT) | instid1(VALU_DEP_1)
	v_add3_u32 v5, v1, v5, 0x80fffff
	v_lshrrev_b32_e32 v5, 21, v5
; %bb.2797:
	s_and_not1_saveexec_b32 s6, s6
; %bb.2798:
	v_add_f32_e64 v5, 0x43000000, |v1|
; %bb.2799:
	s_or_b32 exec_lo, exec_lo, s6
                                        ; implicit-def: $vgpr7
.LBB54_2800:
	s_and_not1_saveexec_b32 s3, s3
; %bb.2801:
	v_mov_b32_e32 v5, 0x7f
	v_cmp_lt_u32_e32 vcc_lo, 0x7f800000, v7
	s_delay_alu instid0(VALU_DEP_2)
	v_cndmask_b32_e32 v5, 0x7c, v5, vcc_lo
; %bb.2802:
	s_or_b32 exec_lo, exec_lo, s3
	v_lshrrev_b32_e32 v1, 24, v1
	s_delay_alu instid0(VALU_DEP_1)
	v_and_or_b32 v1, 0x80, v1, v5
	global_store_b8 v[2:3], v1, off
.LBB54_2803:
	s_mov_b32 s3, 0
	s_mov_b32 s6, -1
.LBB54_2804:
	s_and_not1_b32 vcc_lo, exec_lo, s3
	s_mov_b32 s3, 0
	s_cbranch_vccnz .LBB54_2811
; %bb.2805:
	s_cmp_gt_i32 s2, 14
	s_mov_b32 s3, -1
	s_cbranch_scc0 .LBB54_2809
; %bb.2806:
	s_cmp_eq_u32 s2, 15
	s_mov_b32 s0, -1
	s_cbranch_scc0 .LBB54_2808
; %bb.2807:
	s_wait_xcnt 0x0
	v_bfe_i32 v1, v12, 0, 8
	s_mov_b32 s0, 0
	s_mov_b32 s6, -1
	s_delay_alu instid0(VALU_DEP_1) | instskip(NEXT) | instid1(VALU_DEP_1)
	v_bfe_i32 v1, v1, 0, 16
	v_cvt_f32_i32_e32 v1, v1
	s_delay_alu instid0(VALU_DEP_1) | instskip(NEXT) | instid1(VALU_DEP_1)
	v_bfe_u32 v5, v1, 16, 1
	v_add3_u32 v1, v1, v5, 0x7fff
	global_store_d16_hi_b16 v[2:3], v1, off
.LBB54_2808:
	s_mov_b32 s3, 0
.LBB54_2809:
	s_delay_alu instid0(SALU_CYCLE_1)
	s_and_b32 vcc_lo, exec_lo, s3
	s_mov_b32 s3, 0
	s_cbranch_vccz .LBB54_2811
; %bb.2810:
	s_cmp_lg_u32 s2, 11
	s_mov_b32 s3, -1
	s_cselect_b32 s0, -1, 0
.LBB54_2811:
	s_delay_alu instid0(SALU_CYCLE_1)
	s_and_b32 vcc_lo, exec_lo, s0
	s_cbranch_vccnz .LBB54_3061
; %bb.2812:
	s_and_not1_b32 vcc_lo, exec_lo, s3
	s_cbranch_vccnz .LBB54_2814
.LBB54_2813:
	s_wait_xcnt 0x0
	v_and_b32_e32 v1, 0xff, v12
	s_mov_b32 s6, -1
	s_delay_alu instid0(VALU_DEP_1)
	v_cmp_ne_u16_e32 vcc_lo, 0, v1
	v_cndmask_b32_e64 v1, 0, 1, vcc_lo
	global_store_b8 v[2:3], v1, off
.LBB54_2814:
	s_mov_b32 s0, 0
	s_branch .LBB54_2816
.LBB54_2815:
	s_mov_b32 s0, -1
	s_mov_b32 s6, 0
.LBB54_2816:
	s_and_b32 vcc_lo, exec_lo, s0
	s_cbranch_vccz .LBB54_2855
; %bb.2817:
	s_and_b32 s0, 0xffff, s16
	s_mov_b32 s2, -1
	s_cmp_lt_i32 s0, 5
	s_cbranch_scc1 .LBB54_2838
; %bb.2818:
	s_cmp_lt_i32 s0, 8
	s_cbranch_scc1 .LBB54_2828
; %bb.2819:
	;; [unrolled: 3-line block ×3, first 2 shown]
	s_cmp_gt_i32 s0, 9
	s_cbranch_scc0 .LBB54_2822
; %bb.2821:
	s_wait_xcnt 0x0
	v_bfe_i32 v1, v12, 0, 8
	v_mov_b32_e32 v10, 0
	s_mov_b32 s2, 0
	s_delay_alu instid0(VALU_DEP_2) | instskip(NEXT) | instid1(VALU_DEP_2)
	v_bfe_i32 v1, v1, 0, 16
	v_mov_b32_e32 v11, v10
	s_delay_alu instid0(VALU_DEP_2)
	v_cvt_f64_i32_e32 v[8:9], v1
	global_store_b128 v[2:3], v[8:11], off
.LBB54_2822:
	s_and_not1_b32 vcc_lo, exec_lo, s2
	s_cbranch_vccnz .LBB54_2824
; %bb.2823:
	s_wait_xcnt 0x0
	v_bfe_i32 v1, v12, 0, 8
	v_mov_b32_e32 v9, 0
	s_delay_alu instid0(VALU_DEP_2) | instskip(NEXT) | instid1(VALU_DEP_1)
	v_bfe_i32 v1, v1, 0, 16
	v_cvt_f32_i32_e32 v8, v1
	global_store_b64 v[2:3], v[8:9], off
.LBB54_2824:
	s_mov_b32 s2, 0
.LBB54_2825:
	s_delay_alu instid0(SALU_CYCLE_1)
	s_and_not1_b32 vcc_lo, exec_lo, s2
	s_cbranch_vccnz .LBB54_2827
; %bb.2826:
	s_wait_xcnt 0x0
	v_bfe_i32 v1, v12, 0, 8
	s_delay_alu instid0(VALU_DEP_1) | instskip(NEXT) | instid1(VALU_DEP_1)
	v_cvt_f16_i16_e32 v1, v1
	v_and_b32_e32 v1, 0xffff, v1
	global_store_b32 v[2:3], v1, off
.LBB54_2827:
	s_mov_b32 s2, 0
.LBB54_2828:
	s_delay_alu instid0(SALU_CYCLE_1)
	s_and_not1_b32 vcc_lo, exec_lo, s2
	s_cbranch_vccnz .LBB54_2837
; %bb.2829:
	s_cmp_lt_i32 s0, 6
	s_mov_b32 s2, -1
	s_cbranch_scc1 .LBB54_2835
; %bb.2830:
	s_cmp_gt_i32 s0, 6
	s_cbranch_scc0 .LBB54_2832
; %bb.2831:
	s_wait_xcnt 0x0
	v_bfe_i32 v1, v12, 0, 8
	s_mov_b32 s2, 0
	s_delay_alu instid0(VALU_DEP_1) | instskip(NEXT) | instid1(VALU_DEP_1)
	v_bfe_i32 v1, v1, 0, 16
	v_cvt_f64_i32_e32 v[8:9], v1
	global_store_b64 v[2:3], v[8:9], off
.LBB54_2832:
	s_and_not1_b32 vcc_lo, exec_lo, s2
	s_cbranch_vccnz .LBB54_2834
; %bb.2833:
	s_wait_xcnt 0x0
	v_bfe_i32 v1, v12, 0, 8
	s_delay_alu instid0(VALU_DEP_1) | instskip(NEXT) | instid1(VALU_DEP_1)
	v_bfe_i32 v1, v1, 0, 16
	v_cvt_f32_i32_e32 v1, v1
	global_store_b32 v[2:3], v1, off
.LBB54_2834:
	s_mov_b32 s2, 0
.LBB54_2835:
	s_delay_alu instid0(SALU_CYCLE_1)
	s_and_not1_b32 vcc_lo, exec_lo, s2
	s_cbranch_vccnz .LBB54_2837
; %bb.2836:
	s_wait_xcnt 0x0
	v_bfe_i32 v1, v12, 0, 8
	s_delay_alu instid0(VALU_DEP_1)
	v_cvt_f16_i16_e32 v1, v1
	global_store_b16 v[2:3], v1, off
.LBB54_2837:
	s_mov_b32 s2, 0
.LBB54_2838:
	s_delay_alu instid0(SALU_CYCLE_1)
	s_and_not1_b32 vcc_lo, exec_lo, s2
	s_cbranch_vccnz .LBB54_2854
; %bb.2839:
	s_cmp_lt_i32 s0, 2
	s_mov_b32 s2, -1
	s_cbranch_scc1 .LBB54_2849
; %bb.2840:
	s_cmp_lt_i32 s0, 3
	s_cbranch_scc1 .LBB54_2846
; %bb.2841:
	s_cmp_gt_i32 s0, 3
	s_cbranch_scc0 .LBB54_2843
; %bb.2842:
	s_wait_xcnt 0x0
	v_bfe_i32 v8, v12, 0, 8
	s_mov_b32 s2, 0
	s_delay_alu instid0(VALU_DEP_1)
	v_ashrrev_i32_e32 v9, 31, v8
	global_store_b64 v[2:3], v[8:9], off
.LBB54_2843:
	s_and_not1_b32 vcc_lo, exec_lo, s2
	s_cbranch_vccnz .LBB54_2845
; %bb.2844:
	s_wait_xcnt 0x0
	v_bfe_i32 v1, v12, 0, 8
	global_store_b32 v[2:3], v1, off
.LBB54_2845:
	s_mov_b32 s2, 0
.LBB54_2846:
	s_delay_alu instid0(SALU_CYCLE_1)
	s_and_not1_b32 vcc_lo, exec_lo, s2
	s_cbranch_vccnz .LBB54_2848
; %bb.2847:
	s_wait_xcnt 0x0
	v_bfe_i32 v1, v12, 0, 8
	global_store_b16 v[2:3], v1, off
.LBB54_2848:
	s_mov_b32 s2, 0
.LBB54_2849:
	s_delay_alu instid0(SALU_CYCLE_1)
	s_and_not1_b32 vcc_lo, exec_lo, s2
	s_cbranch_vccnz .LBB54_2854
; %bb.2850:
	s_cmp_gt_i32 s0, 0
	s_mov_b32 s0, -1
	s_cbranch_scc0 .LBB54_2852
; %bb.2851:
	s_mov_b32 s0, 0
	global_store_b8 v[2:3], v12, off
.LBB54_2852:
	s_and_not1_b32 vcc_lo, exec_lo, s0
	s_cbranch_vccnz .LBB54_2854
; %bb.2853:
	global_store_b8 v[2:3], v12, off
.LBB54_2854:
	s_mov_b32 s6, -1
.LBB54_2855:
	s_delay_alu instid0(SALU_CYCLE_1)
	s_and_not1_b32 vcc_lo, exec_lo, s6
	s_cbranch_vccnz .LBB54_3051
; %bb.2856:
	v_add_nc_u32_e32 v0, s1, v0
	s_cmp_lt_i32 s16, 11
	s_wait_xcnt 0x0
	s_delay_alu instid0(VALU_DEP_1) | instskip(NEXT) | instid1(VALU_DEP_1)
	v_ashrrev_i32_e32 v1, 31, v0
	v_add_nc_u64_e32 v[2:3], s[4:5], v[0:1]
	s_cbranch_scc1 .LBB54_2934
; %bb.2857:
	s_and_b32 s2, 0xffff, s16
	s_mov_b32 s7, -1
	s_mov_b32 s3, 0
	s_cmp_gt_i32 s2, 25
	s_mov_b32 s6, 0
	s_mov_b32 s0, 0
	s_cbranch_scc0 .LBB54_2890
; %bb.2858:
	s_cmp_gt_i32 s2, 28
	s_cbranch_scc0 .LBB54_2873
; %bb.2859:
	s_cmp_gt_i32 s2, 43
	;; [unrolled: 3-line block ×3, first 2 shown]
	s_cbranch_scc0 .LBB54_2863
; %bb.2861:
	s_mov_b32 s0, -1
	s_mov_b32 s7, 0
	s_cmp_eq_u32 s2, 46
	s_cbranch_scc0 .LBB54_2863
; %bb.2862:
	v_bfe_i32 v1, v6, 0, 8
	s_mov_b32 s0, 0
	s_mov_b32 s6, -1
	s_delay_alu instid0(VALU_DEP_1) | instskip(NEXT) | instid1(VALU_DEP_1)
	v_bfe_i32 v1, v1, 0, 16
	v_cvt_f32_i32_e32 v1, v1
	s_delay_alu instid0(VALU_DEP_1) | instskip(NEXT) | instid1(VALU_DEP_1)
	v_bfe_u32 v5, v1, 16, 1
	v_add3_u32 v1, v1, v5, 0x7fff
	s_delay_alu instid0(VALU_DEP_1)
	v_lshrrev_b32_e32 v1, 16, v1
	global_store_b32 v[2:3], v1, off
.LBB54_2863:
	s_and_b32 vcc_lo, exec_lo, s7
	s_cbranch_vccz .LBB54_2868
; %bb.2864:
	s_cmp_eq_u32 s2, 44
	s_mov_b32 s0, -1
	s_cbranch_scc0 .LBB54_2868
; %bb.2865:
	s_wait_xcnt 0x0
	v_bfe_i32 v1, v6, 0, 8
	v_mov_b32_e32 v5, 0xff
	s_mov_b32 s6, exec_lo
	s_delay_alu instid0(VALU_DEP_2) | instskip(NEXT) | instid1(VALU_DEP_1)
	v_bfe_i32 v1, v1, 0, 16
	v_cvt_f32_i32_e32 v1, v1
	s_delay_alu instid0(VALU_DEP_1) | instskip(NEXT) | instid1(VALU_DEP_1)
	v_bfe_u32 v7, v1, 23, 8
	v_cmpx_ne_u32_e32 0xff, v7
	s_cbranch_execz .LBB54_2867
; %bb.2866:
	v_and_b32_e32 v5, 0x400000, v1
	v_and_or_b32 v7, 0x3fffff, v1, v7
	v_lshrrev_b32_e32 v1, 23, v1
	s_delay_alu instid0(VALU_DEP_3) | instskip(NEXT) | instid1(VALU_DEP_3)
	v_cmp_ne_u32_e32 vcc_lo, 0, v5
	v_cmp_ne_u32_e64 s0, 0, v7
	s_and_b32 s0, vcc_lo, s0
	s_delay_alu instid0(SALU_CYCLE_1) | instskip(NEXT) | instid1(VALU_DEP_1)
	v_cndmask_b32_e64 v5, 0, 1, s0
	v_add_nc_u32_e32 v5, v1, v5
.LBB54_2867:
	s_or_b32 exec_lo, exec_lo, s6
	s_mov_b32 s0, 0
	s_mov_b32 s6, -1
	global_store_b8 v[2:3], v5, off
.LBB54_2868:
	s_mov_b32 s7, 0
.LBB54_2869:
	s_delay_alu instid0(SALU_CYCLE_1)
	s_and_b32 vcc_lo, exec_lo, s7
	s_cbranch_vccz .LBB54_2872
; %bb.2870:
	s_cmp_eq_u32 s2, 29
	s_mov_b32 s0, -1
	s_cbranch_scc0 .LBB54_2872
; %bb.2871:
	v_bfe_i32 v8, v6, 0, 8
	s_mov_b32 s0, 0
	s_mov_b32 s6, -1
	s_delay_alu instid0(VALU_DEP_1)
	v_ashrrev_i32_e32 v9, 31, v8
	global_store_b64 v[2:3], v[8:9], off
.LBB54_2872:
	s_mov_b32 s7, 0
.LBB54_2873:
	s_delay_alu instid0(SALU_CYCLE_1)
	s_and_b32 vcc_lo, exec_lo, s7
	s_cbranch_vccz .LBB54_2889
; %bb.2874:
	s_cmp_lt_i32 s2, 27
	s_mov_b32 s6, -1
	s_cbranch_scc1 .LBB54_2880
; %bb.2875:
	s_cmp_gt_i32 s2, 27
	s_cbranch_scc0 .LBB54_2877
; %bb.2876:
	s_wait_xcnt 0x0
	v_bfe_i32 v1, v6, 0, 8
	s_mov_b32 s6, 0
	global_store_b32 v[2:3], v1, off
.LBB54_2877:
	s_and_not1_b32 vcc_lo, exec_lo, s6
	s_cbranch_vccnz .LBB54_2879
; %bb.2878:
	s_wait_xcnt 0x0
	v_bfe_i32 v1, v6, 0, 8
	global_store_b16 v[2:3], v1, off
.LBB54_2879:
	s_mov_b32 s6, 0
.LBB54_2880:
	s_delay_alu instid0(SALU_CYCLE_1)
	s_and_not1_b32 vcc_lo, exec_lo, s6
	s_cbranch_vccnz .LBB54_2888
; %bb.2881:
	s_wait_xcnt 0x0
	v_bfe_i32 v1, v6, 0, 8
	v_mov_b32_e32 v7, 0x80
	s_mov_b32 s6, exec_lo
	s_delay_alu instid0(VALU_DEP_2) | instskip(NEXT) | instid1(VALU_DEP_1)
	v_bfe_i32 v1, v1, 0, 16
	v_cvt_f32_i32_e32 v1, v1
	s_delay_alu instid0(VALU_DEP_1) | instskip(NEXT) | instid1(VALU_DEP_1)
	v_and_b32_e32 v5, 0x7fffffff, v1
	v_cmpx_gt_u32_e32 0x43800000, v5
	s_cbranch_execz .LBB54_2887
; %bb.2882:
	v_cmp_lt_u32_e32 vcc_lo, 0x3bffffff, v5
	s_mov_b32 s7, 0
                                        ; implicit-def: $vgpr5
	s_and_saveexec_b32 s8, vcc_lo
	s_delay_alu instid0(SALU_CYCLE_1)
	s_xor_b32 s8, exec_lo, s8
	s_cbranch_execz .LBB54_3064
; %bb.2883:
	v_bfe_u32 v5, v1, 20, 1
	s_mov_b32 s7, exec_lo
	s_delay_alu instid0(VALU_DEP_1) | instskip(NEXT) | instid1(VALU_DEP_1)
	v_add3_u32 v5, v1, v5, 0x487ffff
	v_lshrrev_b32_e32 v5, 20, v5
	s_and_not1_saveexec_b32 s8, s8
	s_cbranch_execnz .LBB54_3065
.LBB54_2884:
	s_or_b32 exec_lo, exec_lo, s8
	v_mov_b32_e32 v7, 0
	s_and_saveexec_b32 s8, s7
.LBB54_2885:
	v_lshrrev_b32_e32 v1, 24, v1
	s_delay_alu instid0(VALU_DEP_1)
	v_and_or_b32 v7, 0x80, v1, v5
.LBB54_2886:
	s_or_b32 exec_lo, exec_lo, s8
.LBB54_2887:
	s_delay_alu instid0(SALU_CYCLE_1)
	s_or_b32 exec_lo, exec_lo, s6
	global_store_b8 v[2:3], v7, off
.LBB54_2888:
	s_mov_b32 s6, -1
.LBB54_2889:
	s_mov_b32 s7, 0
.LBB54_2890:
	s_delay_alu instid0(SALU_CYCLE_1)
	s_and_b32 vcc_lo, exec_lo, s7
	s_cbranch_vccz .LBB54_2930
; %bb.2891:
	s_cmp_gt_i32 s2, 22
	s_mov_b32 s3, -1
	s_cbranch_scc0 .LBB54_2923
; %bb.2892:
	s_cmp_lt_i32 s2, 24
	s_cbranch_scc1 .LBB54_2912
; %bb.2893:
	s_cmp_gt_i32 s2, 24
	s_cbranch_scc0 .LBB54_2901
; %bb.2894:
	s_wait_xcnt 0x0
	v_bfe_i32 v1, v6, 0, 8
	v_mov_b32_e32 v7, 0x80
	s_mov_b32 s3, exec_lo
	s_delay_alu instid0(VALU_DEP_2) | instskip(NEXT) | instid1(VALU_DEP_1)
	v_bfe_i32 v1, v1, 0, 16
	v_cvt_f32_i32_e32 v1, v1
	s_delay_alu instid0(VALU_DEP_1) | instskip(NEXT) | instid1(VALU_DEP_1)
	v_and_b32_e32 v5, 0x7fffffff, v1
	v_cmpx_gt_u32_e32 0x47800000, v5
	s_cbranch_execz .LBB54_2900
; %bb.2895:
	v_cmp_lt_u32_e32 vcc_lo, 0x37ffffff, v5
	s_mov_b32 s6, 0
                                        ; implicit-def: $vgpr5
	s_and_saveexec_b32 s7, vcc_lo
	s_delay_alu instid0(SALU_CYCLE_1)
	s_xor_b32 s7, exec_lo, s7
	s_cbranch_execz .LBB54_3067
; %bb.2896:
	v_bfe_u32 v5, v1, 21, 1
	s_mov_b32 s6, exec_lo
	s_delay_alu instid0(VALU_DEP_1) | instskip(NEXT) | instid1(VALU_DEP_1)
	v_add3_u32 v5, v1, v5, 0x88fffff
	v_lshrrev_b32_e32 v5, 21, v5
	s_and_not1_saveexec_b32 s7, s7
	s_cbranch_execnz .LBB54_3068
.LBB54_2897:
	s_or_b32 exec_lo, exec_lo, s7
	v_mov_b32_e32 v7, 0
	s_and_saveexec_b32 s7, s6
.LBB54_2898:
	v_lshrrev_b32_e32 v1, 24, v1
	s_delay_alu instid0(VALU_DEP_1)
	v_and_or_b32 v7, 0x80, v1, v5
.LBB54_2899:
	s_or_b32 exec_lo, exec_lo, s7
.LBB54_2900:
	s_delay_alu instid0(SALU_CYCLE_1)
	s_or_b32 exec_lo, exec_lo, s3
	s_mov_b32 s3, 0
	global_store_b8 v[2:3], v7, off
.LBB54_2901:
	s_and_b32 vcc_lo, exec_lo, s3
	s_cbranch_vccz .LBB54_2911
; %bb.2902:
	s_wait_xcnt 0x0
	v_bfe_i32 v1, v6, 0, 8
	s_mov_b32 s3, exec_lo
                                        ; implicit-def: $vgpr5
	s_delay_alu instid0(VALU_DEP_1) | instskip(NEXT) | instid1(VALU_DEP_1)
	v_bfe_i32 v1, v1, 0, 16
	v_cvt_f32_i32_e32 v1, v1
	s_delay_alu instid0(VALU_DEP_1) | instskip(NEXT) | instid1(VALU_DEP_1)
	v_and_b32_e32 v7, 0x7fffffff, v1
	v_cmpx_gt_u32_e32 0x43f00000, v7
	s_xor_b32 s3, exec_lo, s3
	s_cbranch_execz .LBB54_2908
; %bb.2903:
	s_mov_b32 s6, exec_lo
                                        ; implicit-def: $vgpr5
	v_cmpx_lt_u32_e32 0x3c7fffff, v7
	s_xor_b32 s6, exec_lo, s6
; %bb.2904:
	v_bfe_u32 v5, v1, 20, 1
	s_delay_alu instid0(VALU_DEP_1) | instskip(NEXT) | instid1(VALU_DEP_1)
	v_add3_u32 v5, v1, v5, 0x407ffff
	v_and_b32_e32 v7, 0xff00000, v5
	v_lshrrev_b32_e32 v5, 20, v5
	s_delay_alu instid0(VALU_DEP_2) | instskip(NEXT) | instid1(VALU_DEP_2)
	v_cmp_ne_u32_e32 vcc_lo, 0x7f00000, v7
	v_cndmask_b32_e32 v5, 0x7e, v5, vcc_lo
; %bb.2905:
	s_and_not1_saveexec_b32 s6, s6
; %bb.2906:
	v_add_f32_e64 v5, 0x46800000, |v1|
; %bb.2907:
	s_or_b32 exec_lo, exec_lo, s6
                                        ; implicit-def: $vgpr7
.LBB54_2908:
	s_and_not1_saveexec_b32 s3, s3
; %bb.2909:
	v_mov_b32_e32 v5, 0x7f
	v_cmp_lt_u32_e32 vcc_lo, 0x7f800000, v7
	s_delay_alu instid0(VALU_DEP_2)
	v_cndmask_b32_e32 v5, 0x7e, v5, vcc_lo
; %bb.2910:
	s_or_b32 exec_lo, exec_lo, s3
	v_lshrrev_b32_e32 v1, 24, v1
	s_delay_alu instid0(VALU_DEP_1)
	v_and_or_b32 v1, 0x80, v1, v5
	global_store_b8 v[2:3], v1, off
.LBB54_2911:
	s_mov_b32 s3, 0
.LBB54_2912:
	s_delay_alu instid0(SALU_CYCLE_1)
	s_and_not1_b32 vcc_lo, exec_lo, s3
	s_cbranch_vccnz .LBB54_2922
; %bb.2913:
	s_wait_xcnt 0x0
	v_bfe_i32 v1, v6, 0, 8
	s_mov_b32 s3, exec_lo
                                        ; implicit-def: $vgpr5
	s_delay_alu instid0(VALU_DEP_1) | instskip(NEXT) | instid1(VALU_DEP_1)
	v_bfe_i32 v1, v1, 0, 16
	v_cvt_f32_i32_e32 v1, v1
	s_delay_alu instid0(VALU_DEP_1) | instskip(NEXT) | instid1(VALU_DEP_1)
	v_and_b32_e32 v7, 0x7fffffff, v1
	v_cmpx_gt_u32_e32 0x47800000, v7
	s_xor_b32 s3, exec_lo, s3
	s_cbranch_execz .LBB54_2919
; %bb.2914:
	s_mov_b32 s6, exec_lo
                                        ; implicit-def: $vgpr5
	v_cmpx_lt_u32_e32 0x387fffff, v7
	s_xor_b32 s6, exec_lo, s6
; %bb.2915:
	v_bfe_u32 v5, v1, 21, 1
	s_delay_alu instid0(VALU_DEP_1) | instskip(NEXT) | instid1(VALU_DEP_1)
	v_add3_u32 v5, v1, v5, 0x80fffff
	v_lshrrev_b32_e32 v5, 21, v5
; %bb.2916:
	s_and_not1_saveexec_b32 s6, s6
; %bb.2917:
	v_add_f32_e64 v5, 0x43000000, |v1|
; %bb.2918:
	s_or_b32 exec_lo, exec_lo, s6
                                        ; implicit-def: $vgpr7
.LBB54_2919:
	s_and_not1_saveexec_b32 s3, s3
; %bb.2920:
	v_mov_b32_e32 v5, 0x7f
	v_cmp_lt_u32_e32 vcc_lo, 0x7f800000, v7
	s_delay_alu instid0(VALU_DEP_2)
	v_cndmask_b32_e32 v5, 0x7c, v5, vcc_lo
; %bb.2921:
	s_or_b32 exec_lo, exec_lo, s3
	v_lshrrev_b32_e32 v1, 24, v1
	s_delay_alu instid0(VALU_DEP_1)
	v_and_or_b32 v1, 0x80, v1, v5
	global_store_b8 v[2:3], v1, off
.LBB54_2922:
	s_mov_b32 s3, 0
	s_mov_b32 s6, -1
.LBB54_2923:
	s_and_not1_b32 vcc_lo, exec_lo, s3
	s_mov_b32 s3, 0
	s_cbranch_vccnz .LBB54_2930
; %bb.2924:
	s_cmp_gt_i32 s2, 14
	s_mov_b32 s3, -1
	s_cbranch_scc0 .LBB54_2928
; %bb.2925:
	s_cmp_eq_u32 s2, 15
	s_mov_b32 s0, -1
	s_cbranch_scc0 .LBB54_2927
; %bb.2926:
	s_wait_xcnt 0x0
	v_bfe_i32 v1, v6, 0, 8
	s_mov_b32 s0, 0
	s_mov_b32 s6, -1
	s_delay_alu instid0(VALU_DEP_1) | instskip(NEXT) | instid1(VALU_DEP_1)
	v_bfe_i32 v1, v1, 0, 16
	v_cvt_f32_i32_e32 v1, v1
	s_delay_alu instid0(VALU_DEP_1) | instskip(NEXT) | instid1(VALU_DEP_1)
	v_bfe_u32 v5, v1, 16, 1
	v_add3_u32 v1, v1, v5, 0x7fff
	global_store_d16_hi_b16 v[2:3], v1, off
.LBB54_2927:
	s_mov_b32 s3, 0
.LBB54_2928:
	s_delay_alu instid0(SALU_CYCLE_1)
	s_and_b32 vcc_lo, exec_lo, s3
	s_mov_b32 s3, 0
	s_cbranch_vccz .LBB54_2930
; %bb.2929:
	s_cmp_lg_u32 s2, 11
	s_mov_b32 s3, -1
	s_cselect_b32 s0, -1, 0
.LBB54_2930:
	s_delay_alu instid0(SALU_CYCLE_1)
	s_and_b32 vcc_lo, exec_lo, s0
	s_cbranch_vccnz .LBB54_3066
; %bb.2931:
	s_and_not1_b32 vcc_lo, exec_lo, s3
	s_cbranch_vccnz .LBB54_2933
.LBB54_2932:
	s_wait_xcnt 0x0
	v_and_b32_e32 v1, 0xff, v6
	s_mov_b32 s6, -1
	s_delay_alu instid0(VALU_DEP_1)
	v_cmp_ne_u16_e32 vcc_lo, 0, v1
	v_cndmask_b32_e64 v1, 0, 1, vcc_lo
	global_store_b8 v[2:3], v1, off
.LBB54_2933:
	s_mov_b32 s0, 0
	s_branch .LBB54_2935
.LBB54_2934:
	s_mov_b32 s0, -1
	s_mov_b32 s6, 0
.LBB54_2935:
	s_and_b32 vcc_lo, exec_lo, s0
	s_cbranch_vccz .LBB54_2974
; %bb.2936:
	s_and_b32 s0, 0xffff, s16
	s_mov_b32 s2, -1
	s_cmp_lt_i32 s0, 5
	s_cbranch_scc1 .LBB54_2957
; %bb.2937:
	s_cmp_lt_i32 s0, 8
	s_cbranch_scc1 .LBB54_2947
; %bb.2938:
	;; [unrolled: 3-line block ×3, first 2 shown]
	s_cmp_gt_i32 s0, 9
	s_cbranch_scc0 .LBB54_2941
; %bb.2940:
	s_wait_xcnt 0x0
	v_bfe_i32 v1, v6, 0, 8
	v_mov_b32_e32 v10, 0
	s_mov_b32 s2, 0
	s_delay_alu instid0(VALU_DEP_2) | instskip(NEXT) | instid1(VALU_DEP_2)
	v_bfe_i32 v1, v1, 0, 16
	v_mov_b32_e32 v11, v10
	s_delay_alu instid0(VALU_DEP_2)
	v_cvt_f64_i32_e32 v[8:9], v1
	global_store_b128 v[2:3], v[8:11], off
.LBB54_2941:
	s_and_not1_b32 vcc_lo, exec_lo, s2
	s_cbranch_vccnz .LBB54_2943
; %bb.2942:
	s_wait_xcnt 0x0
	v_bfe_i32 v1, v6, 0, 8
	v_mov_b32_e32 v9, 0
	s_delay_alu instid0(VALU_DEP_2) | instskip(NEXT) | instid1(VALU_DEP_1)
	v_bfe_i32 v1, v1, 0, 16
	v_cvt_f32_i32_e32 v8, v1
	global_store_b64 v[2:3], v[8:9], off
.LBB54_2943:
	s_mov_b32 s2, 0
.LBB54_2944:
	s_delay_alu instid0(SALU_CYCLE_1)
	s_and_not1_b32 vcc_lo, exec_lo, s2
	s_cbranch_vccnz .LBB54_2946
; %bb.2945:
	s_wait_xcnt 0x0
	v_bfe_i32 v1, v6, 0, 8
	s_delay_alu instid0(VALU_DEP_1) | instskip(NEXT) | instid1(VALU_DEP_1)
	v_cvt_f16_i16_e32 v1, v1
	v_and_b32_e32 v1, 0xffff, v1
	global_store_b32 v[2:3], v1, off
.LBB54_2946:
	s_mov_b32 s2, 0
.LBB54_2947:
	s_delay_alu instid0(SALU_CYCLE_1)
	s_and_not1_b32 vcc_lo, exec_lo, s2
	s_cbranch_vccnz .LBB54_2956
; %bb.2948:
	s_cmp_lt_i32 s0, 6
	s_mov_b32 s2, -1
	s_cbranch_scc1 .LBB54_2954
; %bb.2949:
	s_cmp_gt_i32 s0, 6
	s_cbranch_scc0 .LBB54_2951
; %bb.2950:
	s_wait_xcnt 0x0
	v_bfe_i32 v1, v6, 0, 8
	s_mov_b32 s2, 0
	s_delay_alu instid0(VALU_DEP_1) | instskip(NEXT) | instid1(VALU_DEP_1)
	v_bfe_i32 v1, v1, 0, 16
	v_cvt_f64_i32_e32 v[8:9], v1
	global_store_b64 v[2:3], v[8:9], off
.LBB54_2951:
	s_and_not1_b32 vcc_lo, exec_lo, s2
	s_cbranch_vccnz .LBB54_2953
; %bb.2952:
	s_wait_xcnt 0x0
	v_bfe_i32 v1, v6, 0, 8
	s_delay_alu instid0(VALU_DEP_1) | instskip(NEXT) | instid1(VALU_DEP_1)
	v_bfe_i32 v1, v1, 0, 16
	v_cvt_f32_i32_e32 v1, v1
	global_store_b32 v[2:3], v1, off
.LBB54_2953:
	s_mov_b32 s2, 0
.LBB54_2954:
	s_delay_alu instid0(SALU_CYCLE_1)
	s_and_not1_b32 vcc_lo, exec_lo, s2
	s_cbranch_vccnz .LBB54_2956
; %bb.2955:
	s_wait_xcnt 0x0
	v_bfe_i32 v1, v6, 0, 8
	s_delay_alu instid0(VALU_DEP_1)
	v_cvt_f16_i16_e32 v1, v1
	global_store_b16 v[2:3], v1, off
.LBB54_2956:
	s_mov_b32 s2, 0
.LBB54_2957:
	s_delay_alu instid0(SALU_CYCLE_1)
	s_and_not1_b32 vcc_lo, exec_lo, s2
	s_cbranch_vccnz .LBB54_2973
; %bb.2958:
	s_cmp_lt_i32 s0, 2
	s_mov_b32 s2, -1
	s_cbranch_scc1 .LBB54_2968
; %bb.2959:
	s_cmp_lt_i32 s0, 3
	s_cbranch_scc1 .LBB54_2965
; %bb.2960:
	s_cmp_gt_i32 s0, 3
	s_cbranch_scc0 .LBB54_2962
; %bb.2961:
	s_wait_xcnt 0x0
	v_bfe_i32 v8, v6, 0, 8
	s_mov_b32 s2, 0
	s_delay_alu instid0(VALU_DEP_1)
	v_ashrrev_i32_e32 v9, 31, v8
	global_store_b64 v[2:3], v[8:9], off
.LBB54_2962:
	s_and_not1_b32 vcc_lo, exec_lo, s2
	s_cbranch_vccnz .LBB54_2964
; %bb.2963:
	s_wait_xcnt 0x0
	v_bfe_i32 v1, v6, 0, 8
	global_store_b32 v[2:3], v1, off
.LBB54_2964:
	s_mov_b32 s2, 0
.LBB54_2965:
	s_delay_alu instid0(SALU_CYCLE_1)
	s_and_not1_b32 vcc_lo, exec_lo, s2
	s_cbranch_vccnz .LBB54_2967
; %bb.2966:
	s_wait_xcnt 0x0
	v_bfe_i32 v1, v6, 0, 8
	global_store_b16 v[2:3], v1, off
.LBB54_2967:
	s_mov_b32 s2, 0
.LBB54_2968:
	s_delay_alu instid0(SALU_CYCLE_1)
	s_and_not1_b32 vcc_lo, exec_lo, s2
	s_cbranch_vccnz .LBB54_2973
; %bb.2969:
	s_cmp_gt_i32 s0, 0
	s_mov_b32 s0, -1
	s_cbranch_scc0 .LBB54_2971
; %bb.2970:
	s_mov_b32 s0, 0
	global_store_b8 v[2:3], v6, off
.LBB54_2971:
	s_and_not1_b32 vcc_lo, exec_lo, s0
	s_cbranch_vccnz .LBB54_2973
; %bb.2972:
	global_store_b8 v[2:3], v6, off
.LBB54_2973:
	s_mov_b32 s6, -1
.LBB54_2974:
	s_delay_alu instid0(SALU_CYCLE_1)
	s_and_not1_b32 vcc_lo, exec_lo, s6
	s_cbranch_vccnz .LBB54_3051
; %bb.2975:
	v_add_nc_u32_e32 v0, s1, v0
	s_cmp_lt_i32 s16, 11
	s_wait_xcnt 0x0
	s_delay_alu instid0(VALU_DEP_1) | instskip(NEXT) | instid1(VALU_DEP_1)
	v_ashrrev_i32_e32 v1, 31, v0
	v_add_nc_u64_e32 v[0:1], s[4:5], v[0:1]
	s_cbranch_scc1 .LBB54_3052
; %bb.2976:
	s_and_b32 s1, 0xffff, s16
	s_mov_b32 s3, -1
	s_mov_b32 s2, 0
	s_cmp_gt_i32 s1, 25
	s_mov_b32 s0, 0
	s_cbranch_scc0 .LBB54_3009
; %bb.2977:
	s_cmp_gt_i32 s1, 28
	s_cbranch_scc0 .LBB54_2993
; %bb.2978:
	s_cmp_gt_i32 s1, 43
	s_cbranch_scc0 .LBB54_2989
; %bb.2979:
	s_cmp_gt_i32 s1, 45
	s_cbranch_scc0 .LBB54_2983
; %bb.2980:
	s_cmp_eq_u32 s1, 46
	s_mov_b32 s0, -1
	s_cbranch_scc0 .LBB54_2982
; %bb.2981:
	v_bfe_i32 v2, v4, 0, 8
	s_mov_b32 s0, 0
	s_delay_alu instid0(VALU_DEP_1) | instskip(NEXT) | instid1(VALU_DEP_1)
	v_bfe_i32 v2, v2, 0, 16
	v_cvt_f32_i32_e32 v2, v2
	s_delay_alu instid0(VALU_DEP_1) | instskip(NEXT) | instid1(VALU_DEP_1)
	v_bfe_u32 v3, v2, 16, 1
	v_add3_u32 v2, v2, v3, 0x7fff
	s_delay_alu instid0(VALU_DEP_1)
	v_lshrrev_b32_e32 v2, 16, v2
	global_store_b32 v[0:1], v2, off
.LBB54_2982:
	s_mov_b32 s3, 0
.LBB54_2983:
	s_delay_alu instid0(SALU_CYCLE_1)
	s_and_b32 vcc_lo, exec_lo, s3
	s_cbranch_vccz .LBB54_2988
; %bb.2984:
	s_cmp_eq_u32 s1, 44
	s_mov_b32 s0, -1
	s_cbranch_scc0 .LBB54_2988
; %bb.2985:
	s_wait_xcnt 0x0
	v_bfe_i32 v2, v4, 0, 8
	v_mov_b32_e32 v3, 0xff
	s_mov_b32 s3, exec_lo
	s_delay_alu instid0(VALU_DEP_2) | instskip(NEXT) | instid1(VALU_DEP_1)
	v_bfe_i32 v2, v2, 0, 16
	v_cvt_f32_i32_e32 v2, v2
	s_delay_alu instid0(VALU_DEP_1) | instskip(NEXT) | instid1(VALU_DEP_1)
	v_bfe_u32 v5, v2, 23, 8
	v_cmpx_ne_u32_e32 0xff, v5
	s_cbranch_execz .LBB54_2987
; %bb.2986:
	v_and_b32_e32 v3, 0x400000, v2
	v_and_or_b32 v5, 0x3fffff, v2, v5
	v_lshrrev_b32_e32 v2, 23, v2
	s_delay_alu instid0(VALU_DEP_3) | instskip(NEXT) | instid1(VALU_DEP_3)
	v_cmp_ne_u32_e32 vcc_lo, 0, v3
	v_cmp_ne_u32_e64 s0, 0, v5
	s_and_b32 s0, vcc_lo, s0
	s_delay_alu instid0(SALU_CYCLE_1) | instskip(NEXT) | instid1(VALU_DEP_1)
	v_cndmask_b32_e64 v3, 0, 1, s0
	v_add_nc_u32_e32 v3, v2, v3
.LBB54_2987:
	s_or_b32 exec_lo, exec_lo, s3
	s_mov_b32 s0, 0
	global_store_b8 v[0:1], v3, off
.LBB54_2988:
	s_mov_b32 s3, 0
.LBB54_2989:
	s_delay_alu instid0(SALU_CYCLE_1)
	s_and_b32 vcc_lo, exec_lo, s3
	s_cbranch_vccz .LBB54_2992
; %bb.2990:
	s_cmp_eq_u32 s1, 29
	s_mov_b32 s0, -1
	s_cbranch_scc0 .LBB54_2992
; %bb.2991:
	s_wait_xcnt 0x0
	v_bfe_i32 v2, v4, 0, 8
	s_mov_b32 s0, 0
	s_delay_alu instid0(VALU_DEP_1)
	v_ashrrev_i32_e32 v3, 31, v2
	global_store_b64 v[0:1], v[2:3], off
.LBB54_2992:
	s_mov_b32 s3, 0
.LBB54_2993:
	s_delay_alu instid0(SALU_CYCLE_1)
	s_and_b32 vcc_lo, exec_lo, s3
	s_cbranch_vccz .LBB54_3008
; %bb.2994:
	s_cmp_lt_i32 s1, 27
	s_mov_b32 s3, -1
	s_cbranch_scc1 .LBB54_3000
; %bb.2995:
	s_cmp_gt_i32 s1, 27
	s_cbranch_scc0 .LBB54_2997
; %bb.2996:
	s_wait_xcnt 0x0
	v_bfe_i32 v2, v4, 0, 8
	s_mov_b32 s3, 0
	global_store_b32 v[0:1], v2, off
.LBB54_2997:
	s_and_not1_b32 vcc_lo, exec_lo, s3
	s_cbranch_vccnz .LBB54_2999
; %bb.2998:
	s_wait_xcnt 0x0
	v_bfe_i32 v2, v4, 0, 8
	global_store_b16 v[0:1], v2, off
.LBB54_2999:
	s_mov_b32 s3, 0
.LBB54_3000:
	s_delay_alu instid0(SALU_CYCLE_1)
	s_and_not1_b32 vcc_lo, exec_lo, s3
	s_cbranch_vccnz .LBB54_3008
; %bb.3001:
	s_wait_xcnt 0x0
	v_bfe_i32 v2, v4, 0, 8
	v_mov_b32_e32 v5, 0x80
	s_mov_b32 s3, exec_lo
	s_delay_alu instid0(VALU_DEP_2) | instskip(NEXT) | instid1(VALU_DEP_1)
	v_bfe_i32 v2, v2, 0, 16
	v_cvt_f32_i32_e32 v2, v2
	s_delay_alu instid0(VALU_DEP_1) | instskip(NEXT) | instid1(VALU_DEP_1)
	v_and_b32_e32 v3, 0x7fffffff, v2
	v_cmpx_gt_u32_e32 0x43800000, v3
	s_cbranch_execz .LBB54_3007
; %bb.3002:
	v_cmp_lt_u32_e32 vcc_lo, 0x3bffffff, v3
	s_mov_b32 s4, 0
                                        ; implicit-def: $vgpr3
	s_and_saveexec_b32 s5, vcc_lo
	s_delay_alu instid0(SALU_CYCLE_1)
	s_xor_b32 s5, exec_lo, s5
	s_cbranch_execz .LBB54_3069
; %bb.3003:
	v_bfe_u32 v3, v2, 20, 1
	s_mov_b32 s4, exec_lo
	s_delay_alu instid0(VALU_DEP_1) | instskip(NEXT) | instid1(VALU_DEP_1)
	v_add3_u32 v3, v2, v3, 0x487ffff
	v_lshrrev_b32_e32 v3, 20, v3
	s_and_not1_saveexec_b32 s5, s5
	s_cbranch_execnz .LBB54_3070
.LBB54_3004:
	s_or_b32 exec_lo, exec_lo, s5
	v_mov_b32_e32 v5, 0
	s_and_saveexec_b32 s5, s4
.LBB54_3005:
	v_lshrrev_b32_e32 v2, 24, v2
	s_delay_alu instid0(VALU_DEP_1)
	v_and_or_b32 v5, 0x80, v2, v3
.LBB54_3006:
	s_or_b32 exec_lo, exec_lo, s5
.LBB54_3007:
	s_delay_alu instid0(SALU_CYCLE_1)
	s_or_b32 exec_lo, exec_lo, s3
	global_store_b8 v[0:1], v5, off
.LBB54_3008:
	s_mov_b32 s3, 0
.LBB54_3009:
	s_delay_alu instid0(SALU_CYCLE_1)
	s_and_b32 vcc_lo, exec_lo, s3
	s_cbranch_vccz .LBB54_3049
; %bb.3010:
	s_cmp_gt_i32 s1, 22
	s_mov_b32 s2, -1
	s_cbranch_scc0 .LBB54_3042
; %bb.3011:
	s_cmp_lt_i32 s1, 24
	s_cbranch_scc1 .LBB54_3031
; %bb.3012:
	s_cmp_gt_i32 s1, 24
	s_cbranch_scc0 .LBB54_3020
; %bb.3013:
	s_wait_xcnt 0x0
	v_bfe_i32 v2, v4, 0, 8
	v_mov_b32_e32 v5, 0x80
	s_mov_b32 s2, exec_lo
	s_delay_alu instid0(VALU_DEP_2) | instskip(NEXT) | instid1(VALU_DEP_1)
	v_bfe_i32 v2, v2, 0, 16
	v_cvt_f32_i32_e32 v2, v2
	s_delay_alu instid0(VALU_DEP_1) | instskip(NEXT) | instid1(VALU_DEP_1)
	v_and_b32_e32 v3, 0x7fffffff, v2
	v_cmpx_gt_u32_e32 0x47800000, v3
	s_cbranch_execz .LBB54_3019
; %bb.3014:
	v_cmp_lt_u32_e32 vcc_lo, 0x37ffffff, v3
	s_mov_b32 s3, 0
                                        ; implicit-def: $vgpr3
	s_and_saveexec_b32 s4, vcc_lo
	s_delay_alu instid0(SALU_CYCLE_1)
	s_xor_b32 s4, exec_lo, s4
	s_cbranch_execz .LBB54_3072
; %bb.3015:
	v_bfe_u32 v3, v2, 21, 1
	s_mov_b32 s3, exec_lo
	s_delay_alu instid0(VALU_DEP_1) | instskip(NEXT) | instid1(VALU_DEP_1)
	v_add3_u32 v3, v2, v3, 0x88fffff
	v_lshrrev_b32_e32 v3, 21, v3
	s_and_not1_saveexec_b32 s4, s4
	s_cbranch_execnz .LBB54_3073
.LBB54_3016:
	s_or_b32 exec_lo, exec_lo, s4
	v_mov_b32_e32 v5, 0
	s_and_saveexec_b32 s4, s3
.LBB54_3017:
	v_lshrrev_b32_e32 v2, 24, v2
	s_delay_alu instid0(VALU_DEP_1)
	v_and_or_b32 v5, 0x80, v2, v3
.LBB54_3018:
	s_or_b32 exec_lo, exec_lo, s4
.LBB54_3019:
	s_delay_alu instid0(SALU_CYCLE_1)
	s_or_b32 exec_lo, exec_lo, s2
	s_mov_b32 s2, 0
	global_store_b8 v[0:1], v5, off
.LBB54_3020:
	s_and_b32 vcc_lo, exec_lo, s2
	s_cbranch_vccz .LBB54_3030
; %bb.3021:
	s_wait_xcnt 0x0
	v_bfe_i32 v2, v4, 0, 8
	s_mov_b32 s2, exec_lo
                                        ; implicit-def: $vgpr3
	s_delay_alu instid0(VALU_DEP_1) | instskip(NEXT) | instid1(VALU_DEP_1)
	v_bfe_i32 v2, v2, 0, 16
	v_cvt_f32_i32_e32 v2, v2
	s_delay_alu instid0(VALU_DEP_1) | instskip(NEXT) | instid1(VALU_DEP_1)
	v_and_b32_e32 v5, 0x7fffffff, v2
	v_cmpx_gt_u32_e32 0x43f00000, v5
	s_xor_b32 s2, exec_lo, s2
	s_cbranch_execz .LBB54_3027
; %bb.3022:
	s_mov_b32 s3, exec_lo
                                        ; implicit-def: $vgpr3
	v_cmpx_lt_u32_e32 0x3c7fffff, v5
	s_xor_b32 s3, exec_lo, s3
; %bb.3023:
	v_bfe_u32 v3, v2, 20, 1
	s_delay_alu instid0(VALU_DEP_1) | instskip(NEXT) | instid1(VALU_DEP_1)
	v_add3_u32 v3, v2, v3, 0x407ffff
	v_and_b32_e32 v5, 0xff00000, v3
	v_lshrrev_b32_e32 v3, 20, v3
	s_delay_alu instid0(VALU_DEP_2) | instskip(NEXT) | instid1(VALU_DEP_2)
	v_cmp_ne_u32_e32 vcc_lo, 0x7f00000, v5
	v_cndmask_b32_e32 v3, 0x7e, v3, vcc_lo
; %bb.3024:
	s_and_not1_saveexec_b32 s3, s3
; %bb.3025:
	v_add_f32_e64 v3, 0x46800000, |v2|
; %bb.3026:
	s_or_b32 exec_lo, exec_lo, s3
                                        ; implicit-def: $vgpr5
.LBB54_3027:
	s_and_not1_saveexec_b32 s2, s2
; %bb.3028:
	v_mov_b32_e32 v3, 0x7f
	v_cmp_lt_u32_e32 vcc_lo, 0x7f800000, v5
	s_delay_alu instid0(VALU_DEP_2)
	v_cndmask_b32_e32 v3, 0x7e, v3, vcc_lo
; %bb.3029:
	s_or_b32 exec_lo, exec_lo, s2
	v_lshrrev_b32_e32 v2, 24, v2
	s_delay_alu instid0(VALU_DEP_1)
	v_and_or_b32 v2, 0x80, v2, v3
	global_store_b8 v[0:1], v2, off
.LBB54_3030:
	s_mov_b32 s2, 0
.LBB54_3031:
	s_delay_alu instid0(SALU_CYCLE_1)
	s_and_not1_b32 vcc_lo, exec_lo, s2
	s_cbranch_vccnz .LBB54_3041
; %bb.3032:
	s_wait_xcnt 0x0
	v_bfe_i32 v2, v4, 0, 8
	s_mov_b32 s2, exec_lo
                                        ; implicit-def: $vgpr3
	s_delay_alu instid0(VALU_DEP_1) | instskip(NEXT) | instid1(VALU_DEP_1)
	v_bfe_i32 v2, v2, 0, 16
	v_cvt_f32_i32_e32 v2, v2
	s_delay_alu instid0(VALU_DEP_1) | instskip(NEXT) | instid1(VALU_DEP_1)
	v_and_b32_e32 v5, 0x7fffffff, v2
	v_cmpx_gt_u32_e32 0x47800000, v5
	s_xor_b32 s2, exec_lo, s2
	s_cbranch_execz .LBB54_3038
; %bb.3033:
	s_mov_b32 s3, exec_lo
                                        ; implicit-def: $vgpr3
	v_cmpx_lt_u32_e32 0x387fffff, v5
	s_xor_b32 s3, exec_lo, s3
; %bb.3034:
	v_bfe_u32 v3, v2, 21, 1
	s_delay_alu instid0(VALU_DEP_1) | instskip(NEXT) | instid1(VALU_DEP_1)
	v_add3_u32 v3, v2, v3, 0x80fffff
	v_lshrrev_b32_e32 v3, 21, v3
; %bb.3035:
	s_and_not1_saveexec_b32 s3, s3
; %bb.3036:
	v_add_f32_e64 v3, 0x43000000, |v2|
; %bb.3037:
	s_or_b32 exec_lo, exec_lo, s3
                                        ; implicit-def: $vgpr5
.LBB54_3038:
	s_and_not1_saveexec_b32 s2, s2
; %bb.3039:
	v_mov_b32_e32 v3, 0x7f
	v_cmp_lt_u32_e32 vcc_lo, 0x7f800000, v5
	s_delay_alu instid0(VALU_DEP_2)
	v_cndmask_b32_e32 v3, 0x7c, v3, vcc_lo
; %bb.3040:
	s_or_b32 exec_lo, exec_lo, s2
	v_lshrrev_b32_e32 v2, 24, v2
	s_delay_alu instid0(VALU_DEP_1)
	v_and_or_b32 v2, 0x80, v2, v3
	global_store_b8 v[0:1], v2, off
.LBB54_3041:
	s_mov_b32 s2, 0
.LBB54_3042:
	s_delay_alu instid0(SALU_CYCLE_1)
	s_and_not1_b32 vcc_lo, exec_lo, s2
	s_mov_b32 s2, 0
	s_cbranch_vccnz .LBB54_3049
; %bb.3043:
	s_cmp_gt_i32 s1, 14
	s_mov_b32 s2, -1
	s_cbranch_scc0 .LBB54_3047
; %bb.3044:
	s_cmp_eq_u32 s1, 15
	s_mov_b32 s0, -1
	s_cbranch_scc0 .LBB54_3046
; %bb.3045:
	s_wait_xcnt 0x0
	v_bfe_i32 v2, v4, 0, 8
	s_mov_b32 s0, 0
	s_delay_alu instid0(VALU_DEP_1) | instskip(NEXT) | instid1(VALU_DEP_1)
	v_bfe_i32 v2, v2, 0, 16
	v_cvt_f32_i32_e32 v2, v2
	s_delay_alu instid0(VALU_DEP_1) | instskip(NEXT) | instid1(VALU_DEP_1)
	v_bfe_u32 v3, v2, 16, 1
	v_add3_u32 v2, v2, v3, 0x7fff
	global_store_d16_hi_b16 v[0:1], v2, off
.LBB54_3046:
	s_mov_b32 s2, 0
.LBB54_3047:
	s_delay_alu instid0(SALU_CYCLE_1)
	s_and_b32 vcc_lo, exec_lo, s2
	s_mov_b32 s2, 0
	s_cbranch_vccz .LBB54_3049
; %bb.3048:
	s_cmp_lg_u32 s1, 11
	s_mov_b32 s2, -1
	s_cselect_b32 s0, -1, 0
.LBB54_3049:
	s_delay_alu instid0(SALU_CYCLE_1)
	s_and_b32 vcc_lo, exec_lo, s0
	s_cbranch_vccnz .LBB54_3071
.LBB54_3050:
	s_mov_b32 s0, 0
	s_branch .LBB54_2652
.LBB54_3051:
	s_mov_b32 s0, 0
	s_mov_b32 s2, 0
                                        ; implicit-def: $sgpr16
                                        ; implicit-def: $vgpr0_vgpr1
	s_branch .LBB54_2652
.LBB54_3052:
	s_mov_b32 s2, 0
	s_mov_b32 s0, -1
	s_branch .LBB54_2652
.LBB54_3053:
	s_or_b32 s12, s12, exec_lo
	s_trap 2
	s_cbranch_execz .LBB54_2515
	s_branch .LBB54_2516
.LBB54_3054:
	s_and_not1_saveexec_b32 s7, s7
	s_cbranch_execz .LBB54_2601
.LBB54_3055:
	v_add_f32_e64 v5, 0x46000000, |v1|
	s_and_not1_b32 s6, s6, exec_lo
	s_delay_alu instid0(VALU_DEP_1) | instskip(NEXT) | instid1(VALU_DEP_1)
	v_and_b32_e32 v5, 0xff, v5
	v_cmp_ne_u32_e32 vcc_lo, 0, v5
	s_and_b32 s9, vcc_lo, exec_lo
	s_delay_alu instid0(SALU_CYCLE_1)
	s_or_b32 s6, s6, s9
	s_or_b32 exec_lo, exec_lo, s7
	v_mov_b32_e32 v7, 0
	s_and_saveexec_b32 s7, s6
	s_cbranch_execnz .LBB54_2602
	s_branch .LBB54_2603
.LBB54_3056:
	s_or_b32 s12, s12, exec_lo
	s_trap 2
	s_cbranch_execz .LBB54_2649
	s_branch .LBB54_2650
.LBB54_3057:
	s_and_not1_saveexec_b32 s6, s6
	s_cbranch_execz .LBB54_2614
.LBB54_3058:
	v_add_f32_e64 v5, 0x42800000, |v1|
	s_and_not1_b32 s3, s3, exec_lo
	s_delay_alu instid0(VALU_DEP_1) | instskip(NEXT) | instid1(VALU_DEP_1)
	v_and_b32_e32 v5, 0xff, v5
	v_cmp_ne_u32_e32 vcc_lo, 0, v5
	s_and_b32 s7, vcc_lo, exec_lo
	s_delay_alu instid0(SALU_CYCLE_1)
	s_or_b32 s3, s3, s7
	s_or_b32 exec_lo, exec_lo, s6
	v_mov_b32_e32 v7, 0
	s_and_saveexec_b32 s6, s3
	s_cbranch_execnz .LBB54_2615
	s_branch .LBB54_2616
.LBB54_3059:
	s_and_not1_saveexec_b32 s8, s8
	s_cbranch_execz .LBB54_2765
.LBB54_3060:
	v_add_f32_e64 v5, 0x46000000, |v1|
	s_and_not1_b32 s7, s7, exec_lo
	s_delay_alu instid0(VALU_DEP_1) | instskip(NEXT) | instid1(VALU_DEP_1)
	v_and_b32_e32 v5, 0xff, v5
	v_cmp_ne_u32_e32 vcc_lo, 0, v5
	s_and_b32 s9, vcc_lo, exec_lo
	s_delay_alu instid0(SALU_CYCLE_1)
	s_or_b32 s7, s7, s9
	s_or_b32 exec_lo, exec_lo, s8
	v_mov_b32_e32 v7, 0
	s_and_saveexec_b32 s8, s7
	s_cbranch_execnz .LBB54_2766
	s_branch .LBB54_2767
.LBB54_3061:
	s_or_b32 s12, s12, exec_lo
	s_trap 2
	s_cbranch_execz .LBB54_2813
	s_branch .LBB54_2814
.LBB54_3062:
	s_and_not1_saveexec_b32 s7, s7
	s_cbranch_execz .LBB54_2778
.LBB54_3063:
	v_add_f32_e64 v5, 0x42800000, |v1|
	s_and_not1_b32 s6, s6, exec_lo
	s_delay_alu instid0(VALU_DEP_1) | instskip(NEXT) | instid1(VALU_DEP_1)
	v_and_b32_e32 v5, 0xff, v5
	v_cmp_ne_u32_e32 vcc_lo, 0, v5
	s_and_b32 s8, vcc_lo, exec_lo
	s_delay_alu instid0(SALU_CYCLE_1)
	s_or_b32 s6, s6, s8
	s_or_b32 exec_lo, exec_lo, s7
	v_mov_b32_e32 v7, 0
	s_and_saveexec_b32 s7, s6
	s_cbranch_execnz .LBB54_2779
	s_branch .LBB54_2780
.LBB54_3064:
	s_and_not1_saveexec_b32 s8, s8
	s_cbranch_execz .LBB54_2884
.LBB54_3065:
	v_add_f32_e64 v5, 0x46000000, |v1|
	s_and_not1_b32 s7, s7, exec_lo
	s_delay_alu instid0(VALU_DEP_1) | instskip(NEXT) | instid1(VALU_DEP_1)
	v_and_b32_e32 v5, 0xff, v5
	v_cmp_ne_u32_e32 vcc_lo, 0, v5
	s_and_b32 s9, vcc_lo, exec_lo
	s_delay_alu instid0(SALU_CYCLE_1)
	s_or_b32 s7, s7, s9
	s_or_b32 exec_lo, exec_lo, s8
	v_mov_b32_e32 v7, 0
	s_and_saveexec_b32 s8, s7
	s_cbranch_execnz .LBB54_2885
	s_branch .LBB54_2886
.LBB54_3066:
	s_or_b32 s12, s12, exec_lo
	s_trap 2
	s_cbranch_execz .LBB54_2932
	s_branch .LBB54_2933
.LBB54_3067:
	s_and_not1_saveexec_b32 s7, s7
	s_cbranch_execz .LBB54_2897
.LBB54_3068:
	v_add_f32_e64 v5, 0x42800000, |v1|
	s_and_not1_b32 s6, s6, exec_lo
	s_delay_alu instid0(VALU_DEP_1) | instskip(NEXT) | instid1(VALU_DEP_1)
	v_and_b32_e32 v5, 0xff, v5
	v_cmp_ne_u32_e32 vcc_lo, 0, v5
	s_and_b32 s8, vcc_lo, exec_lo
	s_delay_alu instid0(SALU_CYCLE_1)
	s_or_b32 s6, s6, s8
	s_or_b32 exec_lo, exec_lo, s7
	v_mov_b32_e32 v7, 0
	s_and_saveexec_b32 s7, s6
	s_cbranch_execnz .LBB54_2898
	s_branch .LBB54_2899
.LBB54_3069:
	s_and_not1_saveexec_b32 s5, s5
	s_cbranch_execz .LBB54_3004
.LBB54_3070:
	v_add_f32_e64 v3, 0x46000000, |v2|
	s_and_not1_b32 s4, s4, exec_lo
	s_delay_alu instid0(VALU_DEP_1) | instskip(NEXT) | instid1(VALU_DEP_1)
	v_and_b32_e32 v3, 0xff, v3
	v_cmp_ne_u32_e32 vcc_lo, 0, v3
	s_and_b32 s6, vcc_lo, exec_lo
	s_delay_alu instid0(SALU_CYCLE_1)
	s_or_b32 s4, s4, s6
	s_or_b32 exec_lo, exec_lo, s5
	v_mov_b32_e32 v5, 0
	s_and_saveexec_b32 s5, s4
	s_cbranch_execnz .LBB54_3005
	s_branch .LBB54_3006
.LBB54_3071:
	s_mov_b32 s2, 0
	s_or_b32 s12, s12, exec_lo
	s_trap 2
	s_branch .LBB54_3050
.LBB54_3072:
	s_and_not1_saveexec_b32 s4, s4
	s_cbranch_execz .LBB54_3016
.LBB54_3073:
	v_add_f32_e64 v3, 0x42800000, |v2|
	s_and_not1_b32 s3, s3, exec_lo
	s_delay_alu instid0(VALU_DEP_1) | instskip(NEXT) | instid1(VALU_DEP_1)
	v_and_b32_e32 v3, 0xff, v3
	v_cmp_ne_u32_e32 vcc_lo, 0, v3
	s_and_b32 s5, vcc_lo, exec_lo
	s_delay_alu instid0(SALU_CYCLE_1)
	s_or_b32 s3, s3, s5
	s_or_b32 exec_lo, exec_lo, s4
	v_mov_b32_e32 v5, 0
	s_and_saveexec_b32 s4, s3
	s_cbranch_execnz .LBB54_3017
	s_branch .LBB54_3018
	.section	.rodata,"a",@progbits
	.p2align	6, 0x0
	.amdhsa_kernel _ZN2at6native32elementwise_kernel_manual_unrollILi128ELi4EZNS0_15gpu_kernel_implIZZZNS0_15lcm_kernel_cudaERNS_18TensorIteratorBaseEENKUlvE_clEvENKUlvE0_clEvEUlaaE_EEvS4_RKT_EUlibE_EEviT1_
		.amdhsa_group_segment_fixed_size 0
		.amdhsa_private_segment_fixed_size 0
		.amdhsa_kernarg_size 48
		.amdhsa_user_sgpr_count 2
		.amdhsa_user_sgpr_dispatch_ptr 0
		.amdhsa_user_sgpr_queue_ptr 0
		.amdhsa_user_sgpr_kernarg_segment_ptr 1
		.amdhsa_user_sgpr_dispatch_id 0
		.amdhsa_user_sgpr_kernarg_preload_length 0
		.amdhsa_user_sgpr_kernarg_preload_offset 0
		.amdhsa_user_sgpr_private_segment_size 0
		.amdhsa_wavefront_size32 1
		.amdhsa_uses_dynamic_stack 0
		.amdhsa_enable_private_segment 0
		.amdhsa_system_sgpr_workgroup_id_x 1
		.amdhsa_system_sgpr_workgroup_id_y 0
		.amdhsa_system_sgpr_workgroup_id_z 0
		.amdhsa_system_sgpr_workgroup_info 0
		.amdhsa_system_vgpr_workitem_id 0
		.amdhsa_next_free_vgpr 18
		.amdhsa_next_free_sgpr 35
		.amdhsa_named_barrier_count 0
		.amdhsa_reserve_vcc 1
		.amdhsa_float_round_mode_32 0
		.amdhsa_float_round_mode_16_64 0
		.amdhsa_float_denorm_mode_32 3
		.amdhsa_float_denorm_mode_16_64 3
		.amdhsa_fp16_overflow 0
		.amdhsa_memory_ordered 1
		.amdhsa_forward_progress 1
		.amdhsa_inst_pref_size 255
		.amdhsa_round_robin_scheduling 0
		.amdhsa_exception_fp_ieee_invalid_op 0
		.amdhsa_exception_fp_denorm_src 0
		.amdhsa_exception_fp_ieee_div_zero 0
		.amdhsa_exception_fp_ieee_overflow 0
		.amdhsa_exception_fp_ieee_underflow 0
		.amdhsa_exception_fp_ieee_inexact 0
		.amdhsa_exception_int_div_zero 0
	.end_amdhsa_kernel
	.section	.text._ZN2at6native32elementwise_kernel_manual_unrollILi128ELi4EZNS0_15gpu_kernel_implIZZZNS0_15lcm_kernel_cudaERNS_18TensorIteratorBaseEENKUlvE_clEvENKUlvE0_clEvEUlaaE_EEvS4_RKT_EUlibE_EEviT1_,"axG",@progbits,_ZN2at6native32elementwise_kernel_manual_unrollILi128ELi4EZNS0_15gpu_kernel_implIZZZNS0_15lcm_kernel_cudaERNS_18TensorIteratorBaseEENKUlvE_clEvENKUlvE0_clEvEUlaaE_EEvS4_RKT_EUlibE_EEviT1_,comdat
.Lfunc_end54:
	.size	_ZN2at6native32elementwise_kernel_manual_unrollILi128ELi4EZNS0_15gpu_kernel_implIZZZNS0_15lcm_kernel_cudaERNS_18TensorIteratorBaseEENKUlvE_clEvENKUlvE0_clEvEUlaaE_EEvS4_RKT_EUlibE_EEviT1_, .Lfunc_end54-_ZN2at6native32elementwise_kernel_manual_unrollILi128ELi4EZNS0_15gpu_kernel_implIZZZNS0_15lcm_kernel_cudaERNS_18TensorIteratorBaseEENKUlvE_clEvENKUlvE0_clEvEUlaaE_EEvS4_RKT_EUlibE_EEviT1_
                                        ; -- End function
	.set _ZN2at6native32elementwise_kernel_manual_unrollILi128ELi4EZNS0_15gpu_kernel_implIZZZNS0_15lcm_kernel_cudaERNS_18TensorIteratorBaseEENKUlvE_clEvENKUlvE0_clEvEUlaaE_EEvS4_RKT_EUlibE_EEviT1_.num_vgpr, 18
	.set _ZN2at6native32elementwise_kernel_manual_unrollILi128ELi4EZNS0_15gpu_kernel_implIZZZNS0_15lcm_kernel_cudaERNS_18TensorIteratorBaseEENKUlvE_clEvENKUlvE0_clEvEUlaaE_EEvS4_RKT_EUlibE_EEviT1_.num_agpr, 0
	.set _ZN2at6native32elementwise_kernel_manual_unrollILi128ELi4EZNS0_15gpu_kernel_implIZZZNS0_15lcm_kernel_cudaERNS_18TensorIteratorBaseEENKUlvE_clEvENKUlvE0_clEvEUlaaE_EEvS4_RKT_EUlibE_EEviT1_.numbered_sgpr, 35
	.set _ZN2at6native32elementwise_kernel_manual_unrollILi128ELi4EZNS0_15gpu_kernel_implIZZZNS0_15lcm_kernel_cudaERNS_18TensorIteratorBaseEENKUlvE_clEvENKUlvE0_clEvEUlaaE_EEvS4_RKT_EUlibE_EEviT1_.num_named_barrier, 0
	.set _ZN2at6native32elementwise_kernel_manual_unrollILi128ELi4EZNS0_15gpu_kernel_implIZZZNS0_15lcm_kernel_cudaERNS_18TensorIteratorBaseEENKUlvE_clEvENKUlvE0_clEvEUlaaE_EEvS4_RKT_EUlibE_EEviT1_.private_seg_size, 0
	.set _ZN2at6native32elementwise_kernel_manual_unrollILi128ELi4EZNS0_15gpu_kernel_implIZZZNS0_15lcm_kernel_cudaERNS_18TensorIteratorBaseEENKUlvE_clEvENKUlvE0_clEvEUlaaE_EEvS4_RKT_EUlibE_EEviT1_.uses_vcc, 1
	.set _ZN2at6native32elementwise_kernel_manual_unrollILi128ELi4EZNS0_15gpu_kernel_implIZZZNS0_15lcm_kernel_cudaERNS_18TensorIteratorBaseEENKUlvE_clEvENKUlvE0_clEvEUlaaE_EEvS4_RKT_EUlibE_EEviT1_.uses_flat_scratch, 0
	.set _ZN2at6native32elementwise_kernel_manual_unrollILi128ELi4EZNS0_15gpu_kernel_implIZZZNS0_15lcm_kernel_cudaERNS_18TensorIteratorBaseEENKUlvE_clEvENKUlvE0_clEvEUlaaE_EEvS4_RKT_EUlibE_EEviT1_.has_dyn_sized_stack, 0
	.set _ZN2at6native32elementwise_kernel_manual_unrollILi128ELi4EZNS0_15gpu_kernel_implIZZZNS0_15lcm_kernel_cudaERNS_18TensorIteratorBaseEENKUlvE_clEvENKUlvE0_clEvEUlaaE_EEvS4_RKT_EUlibE_EEviT1_.has_recursion, 0
	.set _ZN2at6native32elementwise_kernel_manual_unrollILi128ELi4EZNS0_15gpu_kernel_implIZZZNS0_15lcm_kernel_cudaERNS_18TensorIteratorBaseEENKUlvE_clEvENKUlvE0_clEvEUlaaE_EEvS4_RKT_EUlibE_EEviT1_.has_indirect_call, 0
	.section	.AMDGPU.csdata,"",@progbits
; Kernel info:
; codeLenInByte = 57480
; TotalNumSgprs: 37
; NumVgprs: 18
; ScratchSize: 0
; MemoryBound: 1
; FloatMode: 240
; IeeeMode: 1
; LDSByteSize: 0 bytes/workgroup (compile time only)
; SGPRBlocks: 0
; VGPRBlocks: 1
; NumSGPRsForWavesPerEU: 37
; NumVGPRsForWavesPerEU: 18
; NamedBarCnt: 0
; Occupancy: 16
; WaveLimiterHint : 0
; COMPUTE_PGM_RSRC2:SCRATCH_EN: 0
; COMPUTE_PGM_RSRC2:USER_SGPR: 2
; COMPUTE_PGM_RSRC2:TRAP_HANDLER: 0
; COMPUTE_PGM_RSRC2:TGID_X_EN: 1
; COMPUTE_PGM_RSRC2:TGID_Y_EN: 0
; COMPUTE_PGM_RSRC2:TGID_Z_EN: 0
; COMPUTE_PGM_RSRC2:TIDIG_COMP_CNT: 0
	.section	.text._ZN2at6native32elementwise_kernel_manual_unrollILi128ELi4EZNS0_15gpu_kernel_implIZZZNS0_15lcm_kernel_cudaERNS_18TensorIteratorBaseEENKUlvE_clEvENKUlvE0_clEvEUlaaE_EEvS4_RKT_EUlibE0_EEviT1_,"axG",@progbits,_ZN2at6native32elementwise_kernel_manual_unrollILi128ELi4EZNS0_15gpu_kernel_implIZZZNS0_15lcm_kernel_cudaERNS_18TensorIteratorBaseEENKUlvE_clEvENKUlvE0_clEvEUlaaE_EEvS4_RKT_EUlibE0_EEviT1_,comdat
	.globl	_ZN2at6native32elementwise_kernel_manual_unrollILi128ELi4EZNS0_15gpu_kernel_implIZZZNS0_15lcm_kernel_cudaERNS_18TensorIteratorBaseEENKUlvE_clEvENKUlvE0_clEvEUlaaE_EEvS4_RKT_EUlibE0_EEviT1_ ; -- Begin function _ZN2at6native32elementwise_kernel_manual_unrollILi128ELi4EZNS0_15gpu_kernel_implIZZZNS0_15lcm_kernel_cudaERNS_18TensorIteratorBaseEENKUlvE_clEvENKUlvE0_clEvEUlaaE_EEvS4_RKT_EUlibE0_EEviT1_
	.p2align	8
	.type	_ZN2at6native32elementwise_kernel_manual_unrollILi128ELi4EZNS0_15gpu_kernel_implIZZZNS0_15lcm_kernel_cudaERNS_18TensorIteratorBaseEENKUlvE_clEvENKUlvE0_clEvEUlaaE_EEvS4_RKT_EUlibE0_EEviT1_,@function
_ZN2at6native32elementwise_kernel_manual_unrollILi128ELi4EZNS0_15gpu_kernel_implIZZZNS0_15lcm_kernel_cudaERNS_18TensorIteratorBaseEENKUlvE_clEvENKUlvE0_clEvEUlaaE_EEvS4_RKT_EUlibE0_EEviT1_: ; @_ZN2at6native32elementwise_kernel_manual_unrollILi128ELi4EZNS0_15gpu_kernel_implIZZZNS0_15lcm_kernel_cudaERNS_18TensorIteratorBaseEENKUlvE_clEvENKUlvE0_clEvEUlaaE_EEvS4_RKT_EUlibE0_EEviT1_
; %bb.0:
	s_clause 0x1
	s_load_b32 s26, s[0:1], 0x8
	s_load_b32 s36, s[0:1], 0x0
	s_bfe_u32 s2, ttmp6, 0x4000c
	s_and_b32 s3, ttmp6, 15
	s_add_co_i32 s2, s2, 1
	s_getreg_b32 s4, hwreg(HW_REG_IB_STS2, 6, 4)
	s_mul_i32 s2, ttmp9, s2
	s_mov_b32 s28, 0
	s_add_co_i32 s3, s3, s2
	s_cmp_eq_u32 s4, 0
	s_mov_b32 s25, -1
	s_cselect_b32 s2, ttmp9, s3
	s_mov_b32 s8, 0
	v_lshl_or_b32 v0, s2, 9, v0
	s_add_nc_u64 s[2:3], s[0:1], 8
	s_wait_xcnt 0x0
	s_mov_b32 s0, exec_lo
	s_delay_alu instid0(VALU_DEP_1) | instskip(SKIP_2) | instid1(SALU_CYCLE_1)
	v_or_b32_e32 v1, 0x180, v0
	s_wait_kmcnt 0x0
	s_add_co_i32 s27, s26, -1
	s_cmp_gt_u32 s27, 1
	s_cselect_b32 s29, -1, 0
	v_cmpx_le_i32_e64 s36, v1
	s_xor_b32 s30, exec_lo, s0
	s_cbranch_execz .LBB55_1585
; %bb.1:
	v_mov_b32_e32 v1, 0
	s_cmp_lg_u32 s26, 0
	s_mov_b32 s19, 0
	s_cselect_b32 s37, -1, 0
	s_min_u32 s35, s27, 15
	s_clause 0x1
	global_load_u16 v2, v1, s[2:3] offset:417
	global_load_i8 v3, v1, s[2:3] offset:419
	s_clause 0x5
	s_load_b128 s[8:11], s[2:3], 0x4
	s_load_b64 s[0:1], s[2:3], 0x14
	s_load_b128 s[12:15], s[2:3], 0xc4
	s_load_b64 s[20:21], s[2:3], 0xd4
	s_load_b64 s[16:17], s[2:3], 0x198
	s_load_b128 s[4:7], s[2:3], 0x188
	s_cmp_gt_u32 s26, 1
	s_mov_b32 s23, s19
	s_mov_b32 s40, s19
	;; [unrolled: 1-line block ×3, first 2 shown]
	s_cselect_b32 s34, -1, 0
	s_mov_b32 s38, s19
	s_mov_b32 s41, exec_lo
	s_wait_kmcnt 0x0
	s_mov_b32 s18, s9
	s_mov_b32 s22, s0
	s_wait_loadcnt 0x1
	v_readfirstlane_b32 s31, v2
	s_wait_loadcnt 0x0
	v_readfirstlane_b32 s9, v3
	s_lshr_b32 s33, s31, 8
	v_cmpx_gt_i32_e64 s36, v0
	s_cbranch_execz .LBB55_391
; %bb.2:
	s_and_not1_b32 vcc_lo, exec_lo, s29
	s_cbranch_vccnz .LBB55_8
; %bb.3:
	s_and_not1_b32 vcc_lo, exec_lo, s37
	s_cbranch_vccnz .LBB55_9
; %bb.4:
	v_dual_mov_b32 v2, 0 :: v_dual_mov_b32 v1, v0
	v_dual_mov_b32 v4, 0 :: v_dual_mov_b32 v6, 0
	s_add_co_i32 s0, s35, 1
	s_mov_b64 s[24:25], 0xffffffffffffffe8
	s_and_b32 s0, s0, 30
	s_add_nc_u64 s[24:25], s[2:3], s[24:25]
.LBB55_5:                               ; =>This Inner Loop Header: Depth=1
	s_clause 0x3
	s_load_b128 s[44:47], s[24:25], 0x1c
	s_load_b64 s[38:39], s[24:25], 0x2c
	s_load_b128 s[48:51], s[24:25], 0xdc
	s_load_b64 s[42:43], s[24:25], 0xec
	s_add_co_i32 s0, s0, -2
	s_wait_xcnt 0x0
	s_add_nc_u64 s[24:25], s[24:25], 24
	s_cmp_lg_u32 s0, 0
	s_wait_kmcnt 0x0
	v_mul_hi_u32 v3, s45, v1
	s_delay_alu instid0(VALU_DEP_1) | instskip(NEXT) | instid1(VALU_DEP_1)
	v_add_nc_u32_e32 v3, v1, v3
	v_lshrrev_b32_e32 v3, s46, v3
	s_delay_alu instid0(VALU_DEP_1) | instskip(SKIP_1) | instid1(VALU_DEP_1)
	v_mul_hi_u32 v5, s38, v3
	v_mul_lo_u32 v7, v3, s44
	v_dual_add_nc_u32 v5, v3, v5 :: v_dual_sub_nc_u32 v7, v1, v7
	s_delay_alu instid0(VALU_DEP_1) | instskip(NEXT) | instid1(VALU_DEP_2)
	v_lshrrev_b32_e32 v1, s39, v5
	v_mad_u32 v2, v7, s48, v2
	v_mad_u32 v6, v7, s50, v6
	;; [unrolled: 1-line block ×3, first 2 shown]
	s_delay_alu instid0(VALU_DEP_4) | instskip(NEXT) | instid1(VALU_DEP_1)
	v_mul_lo_u32 v5, v1, s47
	v_sub_nc_u32_e32 v3, v3, v5
	s_delay_alu instid0(VALU_DEP_1)
	v_mad_u32 v2, v3, s51, v2
	v_mad_u32 v6, v3, s43, v6
	;; [unrolled: 1-line block ×3, first 2 shown]
	s_cbranch_scc1 .LBB55_5
; %bb.6:
	s_bitcmp1_b32 s35, 0
	s_cselect_b32 s0, -1, 0
	s_delay_alu instid0(SALU_CYCLE_1)
	s_and_b32 vcc_lo, exec_lo, s0
	s_cbranch_vccnz .LBB55_10
; %bb.7:
	s_clause 0x1
	s_load_b96 s[44:46], s[24:25], 0x1c
	s_load_b96 s[48:50], s[24:25], 0xdc
	s_wait_kmcnt 0x0
	v_mul_hi_u32 v3, s45, v1
	s_delay_alu instid0(VALU_DEP_1) | instskip(NEXT) | instid1(VALU_DEP_1)
	v_add_nc_u32_e32 v3, v1, v3
	v_lshrrev_b32_e32 v3, s46, v3
	s_delay_alu instid0(VALU_DEP_1) | instskip(NEXT) | instid1(VALU_DEP_1)
	v_mul_lo_u32 v3, v3, s44
	v_sub_nc_u32_e32 v1, v1, v3
	s_delay_alu instid0(VALU_DEP_1)
	v_mad_u32 v2, v1, s48, v2
	v_mad_u32 v4, v1, s49, v4
	;; [unrolled: 1-line block ×3, first 2 shown]
	s_cbranch_execz .LBB55_11
	s_branch .LBB55_13
.LBB55_8:
                                        ; implicit-def: $vgpr6
                                        ; implicit-def: $vgpr4
                                        ; implicit-def: $vgpr2
	s_branch .LBB55_11
.LBB55_9:
	v_dual_mov_b32 v6, 0 :: v_dual_mov_b32 v4, 0
	v_mov_b32_e32 v2, 0
.LBB55_10:
	s_cbranch_execnz .LBB55_13
.LBB55_11:
	v_mov_b32_e32 v1, 0
	s_and_not1_b32 vcc_lo, exec_lo, s34
	s_delay_alu instid0(VALU_DEP_1) | instskip(NEXT) | instid1(VALU_DEP_1)
	v_mul_u64_e32 v[2:3], s[18:19], v[0:1]
	v_add_nc_u32_e32 v2, v0, v3
	s_delay_alu instid0(VALU_DEP_1) | instskip(NEXT) | instid1(VALU_DEP_1)
	v_lshrrev_b32_e32 v8, s10, v2
	v_mul_lo_u32 v2, v8, s8
	s_delay_alu instid0(VALU_DEP_1) | instskip(NEXT) | instid1(VALU_DEP_1)
	v_sub_nc_u32_e32 v3, v0, v2
	v_mul_lo_u32 v2, v3, s12
	v_mul_lo_u32 v6, v3, s14
	;; [unrolled: 1-line block ×3, first 2 shown]
	s_cbranch_vccnz .LBB55_13
; %bb.12:
	v_mov_b32_e32 v9, v1
	s_delay_alu instid0(VALU_DEP_1) | instskip(NEXT) | instid1(VALU_DEP_1)
	v_mul_u64_e32 v[10:11], s[22:23], v[8:9]
	v_add_nc_u32_e32 v1, v8, v11
	s_delay_alu instid0(VALU_DEP_1) | instskip(NEXT) | instid1(VALU_DEP_1)
	v_lshrrev_b32_e32 v1, s1, v1
	v_mul_lo_u32 v1, v1, s11
	s_delay_alu instid0(VALU_DEP_1) | instskip(NEXT) | instid1(VALU_DEP_1)
	v_sub_nc_u32_e32 v1, v8, v1
	v_mad_u32 v2, v1, s15, v2
	v_mad_u32 v4, v1, s20, v4
	v_mad_u32 v6, v1, s21, v6
.LBB55_13:
	v_mov_b32_e32 v5, 0
	s_and_b32 s0, s33, 0xff
	s_delay_alu instid0(SALU_CYCLE_1) | instskip(NEXT) | instid1(VALU_DEP_1)
	s_cmp_lt_i32 s0, 11
	v_add_nc_u64_e32 v[8:9], s[6:7], v[4:5]
	s_cbranch_scc1 .LBB55_20
; %bb.14:
	s_and_b32 s25, 0xffff, s0
	s_delay_alu instid0(SALU_CYCLE_1)
	s_cmp_gt_i32 s25, 25
	s_cbranch_scc0 .LBB55_29
; %bb.15:
	s_cmp_gt_i32 s25, 28
	s_cbranch_scc0 .LBB55_45
; %bb.16:
	;; [unrolled: 3-line block ×4, first 2 shown]
	s_cmp_eq_u32 s25, 46
	s_mov_b32 s39, 0
	s_cbranch_scc0 .LBB55_54
; %bb.19:
	global_load_b32 v1, v[8:9], off
	s_mov_b32 s38, -1
	s_mov_b32 s24, 0
	s_wait_loadcnt 0x0
	v_lshlrev_b32_e32 v1, 16, v1
	s_delay_alu instid0(VALU_DEP_1)
	v_cvt_i32_f32_e32 v4, v1
	s_branch .LBB55_56
.LBB55_20:
	s_mov_b32 s24, 0
	s_mov_b32 s38, 0
                                        ; implicit-def: $vgpr4
	s_cbranch_execnz .LBB55_118
.LBB55_21:
	s_and_not1_b32 vcc_lo, exec_lo, s38
	s_cbranch_vccnz .LBB55_165
.LBB55_22:
	v_mov_b32_e32 v7, 0
	s_and_b32 s0, s9, 0xff
	s_delay_alu instid0(SALU_CYCLE_1) | instskip(NEXT) | instid1(VALU_DEP_1)
	s_cmp_lt_i32 s0, 11
	v_add_nc_u64_e32 v[6:7], s[16:17], v[6:7]
	s_cbranch_scc1 .LBB55_30
; %bb.23:
	s_and_b32 s38, 0xffff, s0
	s_delay_alu instid0(SALU_CYCLE_1)
	s_cmp_gt_i32 s38, 25
	s_cbranch_scc0 .LBB55_46
; %bb.24:
	s_cmp_gt_i32 s38, 28
	s_cbranch_scc0 .LBB55_49
; %bb.25:
	;; [unrolled: 3-line block ×4, first 2 shown]
	s_cmp_eq_u32 s38, 46
	s_mov_b32 s40, 0
	s_cbranch_scc0 .LBB55_166
; %bb.28:
	global_load_b32 v1, v[6:7], off
	s_mov_b32 s39, -1
	s_mov_b32 s25, 0
	s_wait_loadcnt 0x0
	v_lshlrev_b32_e32 v1, 16, v1
	s_delay_alu instid0(VALU_DEP_1)
	v_cvt_i32_f32_e32 v8, v1
	s_branch .LBB55_168
.LBB55_29:
	s_mov_b32 s24, 0
	s_mov_b32 s38, 0
                                        ; implicit-def: $vgpr4
	s_cbranch_execnz .LBB55_85
	s_branch .LBB55_117
.LBB55_30:
	s_mov_b32 s25, 0
	s_mov_b32 s39, 0
                                        ; implicit-def: $vgpr8
	s_cbranch_execnz .LBB55_340
.LBB55_31:
	s_and_not1_b32 vcc_lo, exec_lo, s39
	s_cbranch_vccnz .LBB55_388
.LBB55_32:
	s_wait_loadcnt 0x0
	s_delay_alu instid0(VALU_DEP_1) | instskip(NEXT) | instid1(VALU_DEP_4)
	v_bfe_i32 v3, v8, 0, 8
	v_and_b32_e32 v1, 0xff, v4
	v_bfe_i32 v4, v4, 0, 8
	s_mov_b32 s38, 0
	s_mov_b32 s0, exec_lo
	v_sub_nc_u16 v5, 0, v3
	s_delay_alu instid0(VALU_DEP_1)
	v_max_i16 v5, v3, v5
	v_cmpx_ne_u16_e32 0, v1
	s_cbranch_execz .LBB55_36
; %bb.33:
	v_sub_nc_u16 v1, 0, v4
	s_delay_alu instid0(VALU_DEP_1) | instskip(SKIP_1) | instid1(VALU_DEP_2)
	v_max_i16 v6, v4, v1
	v_and_b32_e32 v1, 0xff, v5
	v_and_b32_e32 v6, 0xffff, v6
.LBB55_34:                              ; =>This Inner Loop Header: Depth=1
	s_delay_alu instid0(VALU_DEP_2) | instskip(NEXT) | instid1(VALU_DEP_2)
	v_bfe_i32 v8, v1, 0, 8
	v_mov_b32_e32 v5, v6
	s_delay_alu instid0(VALU_DEP_2) | instskip(NEXT) | instid1(VALU_DEP_2)
	v_cvt_f32_i32_e32 v10, v8
	v_bfe_i32 v6, v5, 0, 8
	s_delay_alu instid0(VALU_DEP_1) | instskip(SKIP_1) | instid1(VALU_DEP_2)
	v_cvt_f32_i32_e32 v7, v6
	v_xor_b32_e32 v6, v8, v6
	v_rcp_iflag_f32_e32 v9, v7
	v_nop
	s_delay_alu instid0(TRANS32_DEP_1) | instskip(NEXT) | instid1(VALU_DEP_1)
	v_dual_ashrrev_i32 v6, 30, v6 :: v_dual_mul_f32 v8, v10, v9
	v_trunc_f32_e32 v8, v8
	s_delay_alu instid0(VALU_DEP_1) | instskip(SKIP_1) | instid1(VALU_DEP_2)
	v_dual_fma_f32 v9, -v8, v7, v10 :: v_dual_bitop2_b32 v6, 1, v6 bitop3:0x54
	v_cvt_i32_f32_e32 v8, v8
	v_cmp_ge_f32_e64 vcc_lo, |v9|, |v7|
	s_delay_alu instid0(VALU_DEP_3) | instskip(NEXT) | instid1(VALU_DEP_1)
	v_cndmask_b32_e32 v6, 0, v6, vcc_lo
	v_add_nc_u32_e32 v6, v8, v6
	s_delay_alu instid0(VALU_DEP_1) | instskip(NEXT) | instid1(VALU_DEP_1)
	v_mul_lo_u32 v6, v6, v5
	v_sub_nc_u32_e32 v1, v1, v6
	s_delay_alu instid0(VALU_DEP_1) | instskip(SKIP_1) | instid1(VALU_DEP_2)
	v_bfe_i32 v6, v1, 0, 8
	v_mov_b32_e32 v1, v5
	v_cmp_eq_u16_e32 vcc_lo, 0, v6
	v_and_b32_e32 v6, 0xffff, v6
	s_or_b32 s38, vcc_lo, s38
	s_delay_alu instid0(SALU_CYCLE_1)
	s_and_not1_b32 exec_lo, exec_lo, s38
	s_cbranch_execnz .LBB55_34
; %bb.35:
	s_or_b32 exec_lo, exec_lo, s38
.LBB55_36:
	s_delay_alu instid0(SALU_CYCLE_1) | instskip(NEXT) | instid1(VALU_DEP_2)
	s_or_b32 exec_lo, exec_lo, s0
	v_and_b32_e32 v6, 0xff, v5
	v_mov_b32_e32 v1, 0
	s_mov_b32 s0, exec_lo
	s_delay_alu instid0(VALU_DEP_2)
	v_cmpx_ne_u16_e32 0, v6
	s_cbranch_execz .LBB55_38
; %bb.37:
	v_bfe_i32 v1, v5, 0, 8
	v_cvt_f32_i32_e32 v7, v4
	s_delay_alu instid0(VALU_DEP_2) | instskip(SKIP_1) | instid1(VALU_DEP_2)
	v_cvt_f32_i32_e32 v5, v1
	v_xor_b32_e32 v1, v4, v1
	v_rcp_iflag_f32_e32 v6, v5
	s_delay_alu instid0(VALU_DEP_1)
	v_ashrrev_i32_e32 v1, 30, v1
	s_delay_alu instid0(TRANS32_DEP_1) | instid1(VALU_DEP_1)
	v_dual_mul_f32 v6, v7, v6 :: v_dual_bitop2_b32 v1, 1, v1 bitop3:0x54
	s_delay_alu instid0(VALU_DEP_1) | instskip(NEXT) | instid1(VALU_DEP_1)
	v_trunc_f32_e32 v4, v6
	v_fma_f32 v6, -v4, v5, v7
	v_cvt_i32_f32_e32 v4, v4
	s_delay_alu instid0(VALU_DEP_2) | instskip(SKIP_1) | instid1(VALU_DEP_1)
	v_cmp_ge_f32_e64 vcc_lo, |v6|, |v5|
	v_cndmask_b32_e32 v1, 0, v1, vcc_lo
	v_add_nc_u32_e32 v1, v4, v1
	s_delay_alu instid0(VALU_DEP_1) | instskip(NEXT) | instid1(VALU_DEP_1)
	v_bfe_i32 v1, v1, 0, 8
	v_mul_i32_i24_e32 v1, v1, v3
	s_delay_alu instid0(VALU_DEP_1) | instskip(NEXT) | instid1(VALU_DEP_1)
	v_sub_nc_u32_e32 v3, 0, v1
	v_max_i32_e32 v1, v1, v3
.LBB55_38:
	s_or_b32 exec_lo, exec_lo, s0
	v_mov_b32_e32 v3, 0
	s_and_b32 s38, s31, 0xff
	s_delay_alu instid0(SALU_CYCLE_1) | instskip(NEXT) | instid1(VALU_DEP_1)
	s_cmp_lt_i32 s38, 11
	v_add_nc_u64_e32 v[2:3], s[4:5], v[2:3]
	s_cbranch_scc1 .LBB55_47
; %bb.39:
	s_and_b32 s39, 0xffff, s38
	s_delay_alu instid0(SALU_CYCLE_1)
	s_cmp_gt_i32 s39, 25
	s_cbranch_scc0 .LBB55_50
; %bb.40:
	s_cmp_gt_i32 s39, 28
	s_cbranch_scc0 .LBB55_53
; %bb.41:
	;; [unrolled: 3-line block ×4, first 2 shown]
	s_mov_b32 s42, 0
	s_mov_b32 s0, -1
	s_cmp_eq_u32 s39, 46
	s_mov_b32 s40, 0
	s_cbranch_scc0 .LBB55_172
; %bb.44:
	v_bfe_i32 v4, v1, 0, 8
	s_mov_b32 s40, -1
	s_mov_b32 s0, 0
	s_delay_alu instid0(VALU_DEP_1) | instskip(NEXT) | instid1(VALU_DEP_1)
	v_bfe_i32 v4, v4, 0, 16
	v_cvt_f32_i32_e32 v4, v4
	s_delay_alu instid0(VALU_DEP_1) | instskip(NEXT) | instid1(VALU_DEP_1)
	v_bfe_u32 v5, v4, 16, 1
	v_add3_u32 v4, v4, v5, 0x7fff
	s_delay_alu instid0(VALU_DEP_1)
	v_lshrrev_b32_e32 v4, 16, v4
	global_store_b32 v[2:3], v4, off
	s_branch .LBB55_172
.LBB55_45:
	s_mov_b32 s39, -1
	s_mov_b32 s24, 0
	s_mov_b32 s38, 0
                                        ; implicit-def: $vgpr4
	s_branch .LBB55_68
.LBB55_46:
	s_mov_b32 s40, -1
	s_mov_b32 s25, 0
	s_mov_b32 s39, 0
                                        ; implicit-def: $vgpr8
	s_branch .LBB55_306
.LBB55_47:
	s_mov_b32 s39, -1
	s_mov_b32 s0, 0
	s_mov_b32 s40, 0
	s_branch .LBB55_241
.LBB55_48:
	s_mov_b32 s39, -1
	s_mov_b32 s24, 0
	s_mov_b32 s38, 0
                                        ; implicit-def: $vgpr4
	s_branch .LBB55_63
.LBB55_49:
	s_mov_b32 s40, -1
	s_mov_b32 s25, 0
	s_mov_b32 s39, 0
                                        ; implicit-def: $vgpr8
	s_branch .LBB55_289
.LBB55_50:
	s_mov_b32 s42, -1
	s_mov_b32 s0, 0
	s_mov_b32 s40, 0
	s_branch .LBB55_199
.LBB55_51:
	s_mov_b32 s39, -1
	s_mov_b32 s24, 0
	s_branch .LBB55_55
.LBB55_52:
	s_mov_b32 s40, -1
	s_mov_b32 s25, 0
	s_mov_b32 s39, 0
                                        ; implicit-def: $vgpr8
	s_branch .LBB55_284
.LBB55_53:
	s_mov_b32 s42, -1
	s_mov_b32 s0, 0
	s_mov_b32 s40, 0
	s_branch .LBB55_182
.LBB55_54:
	s_mov_b32 s24, -1
.LBB55_55:
	s_mov_b32 s38, 0
                                        ; implicit-def: $vgpr4
.LBB55_56:
	s_and_b32 vcc_lo, exec_lo, s39
	s_cbranch_vccz .LBB55_62
; %bb.57:
	s_cmp_eq_u32 s25, 44
	s_cbranch_scc0 .LBB55_61
; %bb.58:
	global_load_u8 v1, v[8:9], off
	s_mov_b32 s24, 0
	s_mov_b32 s38, -1
	s_wait_loadcnt 0x0
	v_lshlrev_b32_e32 v3, 23, v1
	v_cmp_ne_u32_e32 vcc_lo, 0, v1
	s_delay_alu instid0(VALU_DEP_2) | instskip(NEXT) | instid1(VALU_DEP_1)
	v_cvt_i32_f32_e32 v3, v3
	v_cndmask_b32_e32 v4, 0, v3, vcc_lo
	s_branch .LBB55_62
.LBB55_59:
	s_mov_b32 s40, -1
	s_mov_b32 s25, 0
	s_branch .LBB55_167
.LBB55_60:
	s_mov_b32 s42, -1
	s_mov_b32 s0, 0
	s_mov_b32 s40, 0
	s_branch .LBB55_178
.LBB55_61:
	s_mov_b32 s24, -1
                                        ; implicit-def: $vgpr4
.LBB55_62:
	s_mov_b32 s39, 0
.LBB55_63:
	s_delay_alu instid0(SALU_CYCLE_1)
	s_and_b32 vcc_lo, exec_lo, s39
	s_cbranch_vccz .LBB55_67
; %bb.64:
	s_cmp_eq_u32 s25, 29
	s_cbranch_scc0 .LBB55_66
; %bb.65:
	global_load_b64 v[4:5], v[8:9], off
	s_mov_b32 s38, -1
	s_mov_b32 s24, 0
	s_branch .LBB55_67
.LBB55_66:
	s_mov_b32 s24, -1
                                        ; implicit-def: $vgpr4
.LBB55_67:
	s_mov_b32 s39, 0
.LBB55_68:
	s_delay_alu instid0(SALU_CYCLE_1)
	s_and_b32 vcc_lo, exec_lo, s39
	s_cbranch_vccz .LBB55_84
; %bb.69:
	s_cmp_lt_i32 s25, 27
	s_cbranch_scc1 .LBB55_72
; %bb.70:
	s_cmp_gt_i32 s25, 27
	s_cbranch_scc0 .LBB55_73
; %bb.71:
	s_wait_loadcnt 0x0
	global_load_b32 v4, v[8:9], off
	s_mov_b32 s38, 0
	s_branch .LBB55_74
.LBB55_72:
	s_mov_b32 s38, -1
                                        ; implicit-def: $vgpr4
	s_branch .LBB55_77
.LBB55_73:
	s_mov_b32 s38, -1
                                        ; implicit-def: $vgpr4
.LBB55_74:
	s_delay_alu instid0(SALU_CYCLE_1)
	s_and_not1_b32 vcc_lo, exec_lo, s38
	s_cbranch_vccnz .LBB55_76
; %bb.75:
	s_wait_loadcnt 0x0
	global_load_u16 v4, v[8:9], off
.LBB55_76:
	s_mov_b32 s38, 0
.LBB55_77:
	s_delay_alu instid0(SALU_CYCLE_1)
	s_and_not1_b32 vcc_lo, exec_lo, s38
	s_cbranch_vccnz .LBB55_83
; %bb.78:
	global_load_u8 v1, v[8:9], off
	s_mov_b32 s39, 0
	s_mov_b32 s38, exec_lo
	s_wait_loadcnt 0x0
	v_cmpx_lt_i16_e32 0x7f, v1
	s_xor_b32 s38, exec_lo, s38
	s_cbranch_execz .LBB55_94
; %bb.79:
	v_cmp_ne_u16_e32 vcc_lo, 0x80, v1
	s_and_b32 s39, vcc_lo, exec_lo
	s_and_not1_saveexec_b32 s38, s38
	s_cbranch_execnz .LBB55_95
.LBB55_80:
	s_or_b32 exec_lo, exec_lo, s38
	v_mov_b32_e32 v4, 0
	s_and_saveexec_b32 s38, s39
	s_cbranch_execz .LBB55_82
.LBB55_81:
	v_and_b32_e32 v3, 0xffff, v1
	s_delay_alu instid0(VALU_DEP_1) | instskip(SKIP_1) | instid1(VALU_DEP_2)
	v_and_b32_e32 v4, 7, v3
	v_bfe_u32 v10, v3, 3, 4
	v_clz_i32_u32_e32 v5, v4
	s_delay_alu instid0(VALU_DEP_2) | instskip(NEXT) | instid1(VALU_DEP_2)
	v_cmp_eq_u32_e32 vcc_lo, 0, v10
	v_min_u32_e32 v5, 32, v5
	s_delay_alu instid0(VALU_DEP_1) | instskip(NEXT) | instid1(VALU_DEP_1)
	v_subrev_nc_u32_e32 v7, 28, v5
	v_dual_lshlrev_b32 v3, v7, v3 :: v_dual_sub_nc_u32 v5, 29, v5
	s_delay_alu instid0(VALU_DEP_1) | instskip(NEXT) | instid1(VALU_DEP_1)
	v_dual_lshlrev_b32 v1, 24, v1 :: v_dual_bitop2_b32 v3, 7, v3 bitop3:0x40
	v_dual_cndmask_b32 v3, v4, v3, vcc_lo :: v_dual_cndmask_b32 v5, v10, v5, vcc_lo
	s_delay_alu instid0(VALU_DEP_2) | instskip(NEXT) | instid1(VALU_DEP_2)
	v_and_b32_e32 v1, 0x80000000, v1
	v_lshlrev_b32_e32 v3, 20, v3
	s_delay_alu instid0(VALU_DEP_3) | instskip(NEXT) | instid1(VALU_DEP_1)
	v_lshl_add_u32 v4, v5, 23, 0x3b800000
	v_or3_b32 v1, v1, v4, v3
	s_delay_alu instid0(VALU_DEP_1)
	v_cvt_i32_f32_e32 v4, v1
.LBB55_82:
	s_or_b32 exec_lo, exec_lo, s38
.LBB55_83:
	s_mov_b32 s38, -1
.LBB55_84:
	s_branch .LBB55_117
.LBB55_85:
	s_cmp_gt_i32 s25, 22
	s_cbranch_scc0 .LBB55_93
; %bb.86:
	s_cmp_lt_i32 s25, 24
	s_cbranch_scc1 .LBB55_96
; %bb.87:
	s_cmp_gt_i32 s25, 24
	s_cbranch_scc0 .LBB55_97
; %bb.88:
	global_load_u8 v1, v[8:9], off
	s_mov_b32 s39, 0
	s_mov_b32 s38, exec_lo
	s_wait_loadcnt 0x0
	v_cmpx_lt_i16_e32 0x7f, v1
	s_xor_b32 s38, exec_lo, s38
	s_cbranch_execz .LBB55_109
; %bb.89:
	v_cmp_ne_u16_e32 vcc_lo, 0x80, v1
	s_and_b32 s39, vcc_lo, exec_lo
	s_and_not1_saveexec_b32 s38, s38
	s_cbranch_execnz .LBB55_110
.LBB55_90:
	s_or_b32 exec_lo, exec_lo, s38
	v_mov_b32_e32 v4, 0
	s_and_saveexec_b32 s38, s39
	s_cbranch_execz .LBB55_92
.LBB55_91:
	v_and_b32_e32 v3, 0xffff, v1
	s_delay_alu instid0(VALU_DEP_1) | instskip(SKIP_1) | instid1(VALU_DEP_2)
	v_and_b32_e32 v4, 3, v3
	v_bfe_u32 v10, v3, 2, 5
	v_clz_i32_u32_e32 v5, v4
	s_delay_alu instid0(VALU_DEP_2) | instskip(NEXT) | instid1(VALU_DEP_2)
	v_cmp_eq_u32_e32 vcc_lo, 0, v10
	v_min_u32_e32 v5, 32, v5
	s_delay_alu instid0(VALU_DEP_1) | instskip(NEXT) | instid1(VALU_DEP_1)
	v_subrev_nc_u32_e32 v7, 29, v5
	v_dual_lshlrev_b32 v3, v7, v3 :: v_dual_sub_nc_u32 v5, 30, v5
	s_delay_alu instid0(VALU_DEP_1) | instskip(NEXT) | instid1(VALU_DEP_1)
	v_dual_lshlrev_b32 v1, 24, v1 :: v_dual_bitop2_b32 v3, 3, v3 bitop3:0x40
	v_dual_cndmask_b32 v3, v4, v3, vcc_lo :: v_dual_cndmask_b32 v5, v10, v5, vcc_lo
	s_delay_alu instid0(VALU_DEP_2) | instskip(NEXT) | instid1(VALU_DEP_2)
	v_and_b32_e32 v1, 0x80000000, v1
	v_lshlrev_b32_e32 v3, 21, v3
	s_delay_alu instid0(VALU_DEP_3) | instskip(NEXT) | instid1(VALU_DEP_1)
	v_lshl_add_u32 v4, v5, 23, 0x37800000
	v_or3_b32 v1, v1, v4, v3
	s_delay_alu instid0(VALU_DEP_1)
	v_cvt_i32_f32_e32 v4, v1
.LBB55_92:
	s_or_b32 exec_lo, exec_lo, s38
	s_mov_b32 s38, 0
	s_branch .LBB55_98
.LBB55_93:
	s_mov_b32 s39, -1
                                        ; implicit-def: $vgpr4
	s_branch .LBB55_104
.LBB55_94:
	s_and_not1_saveexec_b32 s38, s38
	s_cbranch_execz .LBB55_80
.LBB55_95:
	v_cmp_ne_u16_e32 vcc_lo, 0, v1
	s_and_not1_b32 s39, s39, exec_lo
	s_and_b32 s40, vcc_lo, exec_lo
	s_delay_alu instid0(SALU_CYCLE_1)
	s_or_b32 s39, s39, s40
	s_or_b32 exec_lo, exec_lo, s38
	v_mov_b32_e32 v4, 0
	s_and_saveexec_b32 s38, s39
	s_cbranch_execnz .LBB55_81
	s_branch .LBB55_82
.LBB55_96:
	s_mov_b32 s38, -1
                                        ; implicit-def: $vgpr4
	s_branch .LBB55_101
.LBB55_97:
	s_mov_b32 s38, -1
                                        ; implicit-def: $vgpr4
.LBB55_98:
	s_delay_alu instid0(SALU_CYCLE_1)
	s_and_b32 vcc_lo, exec_lo, s38
	s_cbranch_vccz .LBB55_100
; %bb.99:
	global_load_u8 v1, v[8:9], off
	s_wait_loadcnt 0x0
	v_lshlrev_b32_e32 v1, 24, v1
	s_delay_alu instid0(VALU_DEP_1) | instskip(NEXT) | instid1(VALU_DEP_1)
	v_and_b32_e32 v3, 0x7f000000, v1
	v_clz_i32_u32_e32 v4, v3
	v_add_nc_u32_e32 v7, 0x1000000, v3
	v_cmp_ne_u32_e32 vcc_lo, 0, v3
	s_delay_alu instid0(VALU_DEP_3) | instskip(NEXT) | instid1(VALU_DEP_1)
	v_min_u32_e32 v4, 32, v4
	v_sub_nc_u32_e64 v4, v4, 4 clamp
	s_delay_alu instid0(VALU_DEP_1) | instskip(NEXT) | instid1(VALU_DEP_1)
	v_dual_lshlrev_b32 v5, v4, v3 :: v_dual_lshlrev_b32 v4, 23, v4
	v_lshrrev_b32_e32 v5, 4, v5
	s_delay_alu instid0(VALU_DEP_1) | instskip(NEXT) | instid1(VALU_DEP_1)
	v_dual_sub_nc_u32 v4, v5, v4 :: v_dual_ashrrev_i32 v5, 8, v7
	v_add_nc_u32_e32 v4, 0x3c000000, v4
	s_delay_alu instid0(VALU_DEP_1) | instskip(NEXT) | instid1(VALU_DEP_1)
	v_and_or_b32 v4, 0x7f800000, v5, v4
	v_cndmask_b32_e32 v3, 0, v4, vcc_lo
	s_delay_alu instid0(VALU_DEP_1) | instskip(NEXT) | instid1(VALU_DEP_1)
	v_and_or_b32 v1, 0x80000000, v1, v3
	v_cvt_i32_f32_e32 v4, v1
.LBB55_100:
	s_mov_b32 s38, 0
.LBB55_101:
	s_delay_alu instid0(SALU_CYCLE_1)
	s_and_not1_b32 vcc_lo, exec_lo, s38
	s_cbranch_vccnz .LBB55_103
; %bb.102:
	global_load_u8 v1, v[8:9], off
	s_wait_loadcnt 0x0
	v_lshlrev_b32_e32 v3, 25, v1
	v_lshlrev_b16 v1, 8, v1
	s_delay_alu instid0(VALU_DEP_1) | instskip(NEXT) | instid1(VALU_DEP_3)
	v_and_or_b32 v5, 0x7f00, v1, 0.5
	v_lshrrev_b32_e32 v4, 4, v3
	v_bfe_i32 v1, v1, 0, 16
	s_delay_alu instid0(VALU_DEP_3) | instskip(NEXT) | instid1(VALU_DEP_3)
	v_add_f32_e32 v5, -0.5, v5
	v_or_b32_e32 v4, 0x70000000, v4
	s_delay_alu instid0(VALU_DEP_1) | instskip(SKIP_1) | instid1(VALU_DEP_2)
	v_mul_f32_e32 v4, 0x7800000, v4
	v_cmp_gt_u32_e32 vcc_lo, 0x8000000, v3
	v_cndmask_b32_e32 v3, v4, v5, vcc_lo
	s_delay_alu instid0(VALU_DEP_1) | instskip(NEXT) | instid1(VALU_DEP_1)
	v_and_or_b32 v1, 0x80000000, v1, v3
	v_cvt_i32_f32_e32 v4, v1
.LBB55_103:
	s_mov_b32 s39, 0
	s_mov_b32 s38, -1
.LBB55_104:
	s_and_not1_b32 vcc_lo, exec_lo, s39
	s_cbranch_vccnz .LBB55_117
; %bb.105:
	s_cmp_gt_i32 s25, 14
	s_cbranch_scc0 .LBB55_108
; %bb.106:
	s_cmp_eq_u32 s25, 15
	s_cbranch_scc0 .LBB55_111
; %bb.107:
	global_load_u16 v1, v[8:9], off
	s_mov_b32 s38, -1
	s_mov_b32 s24, 0
	s_wait_loadcnt 0x0
	v_lshlrev_b32_e32 v1, 16, v1
	s_delay_alu instid0(VALU_DEP_1)
	v_cvt_i32_f32_e32 v4, v1
	s_branch .LBB55_112
.LBB55_108:
	s_mov_b32 s39, -1
                                        ; implicit-def: $vgpr4
	s_branch .LBB55_113
.LBB55_109:
	s_and_not1_saveexec_b32 s38, s38
	s_cbranch_execz .LBB55_90
.LBB55_110:
	v_cmp_ne_u16_e32 vcc_lo, 0, v1
	s_and_not1_b32 s39, s39, exec_lo
	s_and_b32 s40, vcc_lo, exec_lo
	s_delay_alu instid0(SALU_CYCLE_1)
	s_or_b32 s39, s39, s40
	s_or_b32 exec_lo, exec_lo, s38
	v_mov_b32_e32 v4, 0
	s_and_saveexec_b32 s38, s39
	s_cbranch_execnz .LBB55_91
	s_branch .LBB55_92
.LBB55_111:
	s_mov_b32 s24, -1
                                        ; implicit-def: $vgpr4
.LBB55_112:
	s_mov_b32 s39, 0
.LBB55_113:
	s_delay_alu instid0(SALU_CYCLE_1)
	s_and_b32 vcc_lo, exec_lo, s39
	s_cbranch_vccz .LBB55_117
; %bb.114:
	s_cmp_eq_u32 s25, 11
	s_cbranch_scc0 .LBB55_116
; %bb.115:
	global_load_u8 v1, v[8:9], off
	s_mov_b32 s24, 0
	s_mov_b32 s38, -1
	s_wait_loadcnt 0x0
	v_cmp_ne_u16_e32 vcc_lo, 0, v1
	v_cndmask_b32_e64 v4, 0, 1, vcc_lo
	s_branch .LBB55_117
.LBB55_116:
	s_mov_b32 s24, -1
                                        ; implicit-def: $vgpr4
.LBB55_117:
	s_branch .LBB55_21
.LBB55_118:
	s_and_b32 s0, 0xffff, s0
	s_delay_alu instid0(SALU_CYCLE_1)
	s_cmp_lt_i32 s0, 5
	s_cbranch_scc1 .LBB55_123
; %bb.119:
	s_cmp_lt_i32 s0, 8
	s_cbranch_scc1 .LBB55_124
; %bb.120:
	;; [unrolled: 3-line block ×3, first 2 shown]
	s_cmp_gt_i32 s0, 9
	s_cbranch_scc0 .LBB55_126
; %bb.122:
	s_wait_loadcnt 0x0
	global_load_b64 v[4:5], v[8:9], off
	s_mov_b32 s25, 0
	s_wait_loadcnt 0x0
	v_cvt_i32_f64_e32 v4, v[4:5]
	s_branch .LBB55_127
.LBB55_123:
                                        ; implicit-def: $vgpr4
	s_branch .LBB55_145
.LBB55_124:
	s_mov_b32 s25, -1
                                        ; implicit-def: $vgpr4
	s_branch .LBB55_133
.LBB55_125:
	s_mov_b32 s25, -1
                                        ; implicit-def: $vgpr4
	s_branch .LBB55_130
.LBB55_126:
	s_mov_b32 s25, -1
                                        ; implicit-def: $vgpr4
.LBB55_127:
	s_delay_alu instid0(SALU_CYCLE_1)
	s_and_not1_b32 vcc_lo, exec_lo, s25
	s_cbranch_vccnz .LBB55_129
; %bb.128:
	global_load_b32 v1, v[8:9], off
	s_wait_loadcnt 0x0
	v_cvt_i32_f32_e32 v4, v1
.LBB55_129:
	s_mov_b32 s25, 0
.LBB55_130:
	s_delay_alu instid0(SALU_CYCLE_1)
	s_and_not1_b32 vcc_lo, exec_lo, s25
	s_cbranch_vccnz .LBB55_132
; %bb.131:
	global_load_b32 v1, v[8:9], off
	s_wait_loadcnt 0x0
	v_cvt_i16_f16_e32 v4, v1
.LBB55_132:
	s_mov_b32 s25, 0
.LBB55_133:
	s_delay_alu instid0(SALU_CYCLE_1)
	s_and_not1_b32 vcc_lo, exec_lo, s25
	s_cbranch_vccnz .LBB55_144
; %bb.134:
	s_cmp_lt_i32 s0, 6
	s_cbranch_scc1 .LBB55_137
; %bb.135:
	s_cmp_gt_i32 s0, 6
	s_cbranch_scc0 .LBB55_138
; %bb.136:
	s_wait_loadcnt 0x0
	global_load_b64 v[4:5], v[8:9], off
	s_mov_b32 s25, 0
	s_wait_loadcnt 0x0
	v_cvt_i32_f64_e32 v4, v[4:5]
	s_branch .LBB55_139
.LBB55_137:
	s_mov_b32 s25, -1
                                        ; implicit-def: $vgpr4
	s_branch .LBB55_142
.LBB55_138:
	s_mov_b32 s25, -1
                                        ; implicit-def: $vgpr4
.LBB55_139:
	s_delay_alu instid0(SALU_CYCLE_1)
	s_and_not1_b32 vcc_lo, exec_lo, s25
	s_cbranch_vccnz .LBB55_141
; %bb.140:
	global_load_b32 v1, v[8:9], off
	s_wait_loadcnt 0x0
	v_cvt_i32_f32_e32 v4, v1
.LBB55_141:
	s_mov_b32 s25, 0
.LBB55_142:
	s_delay_alu instid0(SALU_CYCLE_1)
	s_and_not1_b32 vcc_lo, exec_lo, s25
	s_cbranch_vccnz .LBB55_144
; %bb.143:
	global_load_u16 v1, v[8:9], off
	s_wait_loadcnt 0x0
	v_cvt_i16_f16_e32 v4, v1
.LBB55_144:
	s_cbranch_execnz .LBB55_164
.LBB55_145:
	s_cmp_lt_i32 s0, 2
	s_cbranch_scc1 .LBB55_149
; %bb.146:
	s_cmp_lt_i32 s0, 3
	s_cbranch_scc1 .LBB55_150
; %bb.147:
	s_cmp_gt_i32 s0, 3
	s_cbranch_scc0 .LBB55_151
; %bb.148:
	s_wait_loadcnt 0x0
	global_load_b64 v[4:5], v[8:9], off
	s_mov_b32 s25, 0
	s_branch .LBB55_152
.LBB55_149:
	s_mov_b32 s25, -1
                                        ; implicit-def: $vgpr4
	s_branch .LBB55_158
.LBB55_150:
	s_mov_b32 s25, -1
                                        ; implicit-def: $vgpr4
	s_branch .LBB55_155
.LBB55_151:
	s_mov_b32 s25, -1
                                        ; implicit-def: $vgpr4
.LBB55_152:
	s_delay_alu instid0(SALU_CYCLE_1)
	s_and_not1_b32 vcc_lo, exec_lo, s25
	s_cbranch_vccnz .LBB55_154
; %bb.153:
	s_wait_loadcnt 0x0
	global_load_b32 v4, v[8:9], off
.LBB55_154:
	s_mov_b32 s25, 0
.LBB55_155:
	s_delay_alu instid0(SALU_CYCLE_1)
	s_and_not1_b32 vcc_lo, exec_lo, s25
	s_cbranch_vccnz .LBB55_157
; %bb.156:
	s_wait_loadcnt 0x0
	global_load_u16 v4, v[8:9], off
.LBB55_157:
	s_mov_b32 s25, 0
.LBB55_158:
	s_delay_alu instid0(SALU_CYCLE_1)
	s_and_not1_b32 vcc_lo, exec_lo, s25
	s_cbranch_vccnz .LBB55_164
; %bb.159:
	s_cmp_gt_i32 s0, 0
	s_mov_b32 s0, 0
	s_cbranch_scc0 .LBB55_161
; %bb.160:
	s_wait_loadcnt 0x0
	global_load_u8 v4, v[8:9], off
	s_branch .LBB55_162
.LBB55_161:
	s_mov_b32 s0, -1
                                        ; implicit-def: $vgpr4
.LBB55_162:
	s_delay_alu instid0(SALU_CYCLE_1)
	s_and_not1_b32 vcc_lo, exec_lo, s0
	s_cbranch_vccnz .LBB55_164
; %bb.163:
	s_wait_loadcnt 0x0
	global_load_u8 v4, v[8:9], off
.LBB55_164:
	s_branch .LBB55_22
.LBB55_165:
	s_mov_b32 s0, 0
	s_mov_b32 s25, 0
	s_branch .LBB55_389
.LBB55_166:
	s_mov_b32 s25, -1
.LBB55_167:
	s_mov_b32 s39, 0
                                        ; implicit-def: $vgpr8
.LBB55_168:
	s_and_b32 vcc_lo, exec_lo, s40
	s_cbranch_vccz .LBB55_283
; %bb.169:
	s_cmp_eq_u32 s38, 44
	s_cbranch_scc0 .LBB55_282
; %bb.170:
	global_load_u8 v1, v[6:7], off
	s_mov_b32 s25, 0
	s_mov_b32 s39, -1
	s_wait_loadcnt 0x0
	v_lshlrev_b32_e32 v3, 23, v1
	v_cmp_ne_u32_e32 vcc_lo, 0, v1
	s_delay_alu instid0(VALU_DEP_2) | instskip(NEXT) | instid1(VALU_DEP_1)
	v_cvt_i32_f32_e32 v3, v3
	v_cndmask_b32_e32 v8, 0, v3, vcc_lo
	s_branch .LBB55_283
.LBB55_171:
	s_mov_b32 s42, -1
	s_mov_b32 s0, 0
	s_mov_b32 s40, 0
.LBB55_172:
	s_and_b32 vcc_lo, exec_lo, s42
	s_cbranch_vccz .LBB55_177
; %bb.173:
	s_cmp_eq_u32 s39, 44
	s_mov_b32 s0, -1
	s_cbranch_scc0 .LBB55_177
; %bb.174:
	s_wait_xcnt 0x0
	v_bfe_i32 v4, v1, 0, 8
	v_mov_b32_e32 v5, 0xff
	s_mov_b32 s40, exec_lo
	s_delay_alu instid0(VALU_DEP_2) | instskip(NEXT) | instid1(VALU_DEP_1)
	v_bfe_i32 v4, v4, 0, 16
	v_cvt_f32_i32_e32 v4, v4
	s_delay_alu instid0(VALU_DEP_1) | instskip(NEXT) | instid1(VALU_DEP_1)
	v_bfe_u32 v6, v4, 23, 8
	v_cmpx_ne_u32_e32 0xff, v6
	s_cbranch_execz .LBB55_176
; %bb.175:
	v_and_b32_e32 v5, 0x400000, v4
	v_and_or_b32 v6, 0x3fffff, v4, v6
	v_lshrrev_b32_e32 v4, 23, v4
	s_delay_alu instid0(VALU_DEP_3) | instskip(NEXT) | instid1(VALU_DEP_3)
	v_cmp_ne_u32_e32 vcc_lo, 0, v5
	v_cmp_ne_u32_e64 s0, 0, v6
	s_and_b32 s0, vcc_lo, s0
	s_delay_alu instid0(SALU_CYCLE_1) | instskip(NEXT) | instid1(VALU_DEP_1)
	v_cndmask_b32_e64 v5, 0, 1, s0
	v_add_nc_u32_e32 v5, v4, v5
.LBB55_176:
	s_or_b32 exec_lo, exec_lo, s40
	s_mov_b32 s40, -1
	s_mov_b32 s0, 0
	global_store_b8 v[2:3], v5, off
.LBB55_177:
	s_mov_b32 s42, 0
.LBB55_178:
	s_delay_alu instid0(SALU_CYCLE_1)
	s_and_b32 vcc_lo, exec_lo, s42
	s_cbranch_vccz .LBB55_181
; %bb.179:
	s_cmp_eq_u32 s39, 29
	s_mov_b32 s0, -1
	s_cbranch_scc0 .LBB55_181
; %bb.180:
	s_wait_xcnt 0x0
	v_bfe_i32 v4, v1, 0, 8
	s_mov_b32 s40, -1
	s_mov_b32 s0, 0
	s_mov_b32 s42, 0
	s_delay_alu instid0(VALU_DEP_1)
	v_ashrrev_i32_e32 v5, 31, v4
	global_store_b64 v[2:3], v[4:5], off
	s_branch .LBB55_182
.LBB55_181:
	s_mov_b32 s42, 0
.LBB55_182:
	s_delay_alu instid0(SALU_CYCLE_1)
	s_and_b32 vcc_lo, exec_lo, s42
	s_cbranch_vccz .LBB55_198
; %bb.183:
	s_cmp_lt_i32 s39, 27
	s_mov_b32 s40, -1
	s_cbranch_scc1 .LBB55_189
; %bb.184:
	s_cmp_gt_i32 s39, 27
	s_cbranch_scc0 .LBB55_186
; %bb.185:
	s_wait_xcnt 0x0
	v_bfe_i32 v4, v1, 0, 8
	s_mov_b32 s40, 0
	global_store_b32 v[2:3], v4, off
.LBB55_186:
	s_and_not1_b32 vcc_lo, exec_lo, s40
	s_cbranch_vccnz .LBB55_188
; %bb.187:
	s_wait_xcnt 0x0
	v_bfe_i32 v4, v1, 0, 8
	global_store_b16 v[2:3], v4, off
.LBB55_188:
	s_mov_b32 s40, 0
.LBB55_189:
	s_delay_alu instid0(SALU_CYCLE_1)
	s_and_not1_b32 vcc_lo, exec_lo, s40
	s_cbranch_vccnz .LBB55_197
; %bb.190:
	s_wait_xcnt 0x0
	v_bfe_i32 v4, v1, 0, 8
	v_mov_b32_e32 v6, 0x80
	s_mov_b32 s40, exec_lo
	s_delay_alu instid0(VALU_DEP_2) | instskip(NEXT) | instid1(VALU_DEP_1)
	v_bfe_i32 v4, v4, 0, 16
	v_cvt_f32_i32_e32 v4, v4
	s_delay_alu instid0(VALU_DEP_1) | instskip(NEXT) | instid1(VALU_DEP_1)
	v_and_b32_e32 v5, 0x7fffffff, v4
	v_cmpx_gt_u32_e32 0x43800000, v5
	s_cbranch_execz .LBB55_196
; %bb.191:
	v_cmp_lt_u32_e32 vcc_lo, 0x3bffffff, v5
	s_mov_b32 s42, 0
                                        ; implicit-def: $vgpr5
	s_and_saveexec_b32 s43, vcc_lo
	s_delay_alu instid0(SALU_CYCLE_1)
	s_xor_b32 s43, exec_lo, s43
	s_cbranch_execz .LBB55_431
; %bb.192:
	v_bfe_u32 v5, v4, 20, 1
	s_mov_b32 s42, exec_lo
	s_delay_alu instid0(VALU_DEP_1) | instskip(NEXT) | instid1(VALU_DEP_1)
	v_add3_u32 v5, v4, v5, 0x487ffff
	v_lshrrev_b32_e32 v5, 20, v5
	s_and_not1_saveexec_b32 s43, s43
	s_cbranch_execnz .LBB55_432
.LBB55_193:
	s_or_b32 exec_lo, exec_lo, s43
	v_mov_b32_e32 v6, 0
	s_and_saveexec_b32 s43, s42
.LBB55_194:
	v_lshrrev_b32_e32 v4, 24, v4
	s_delay_alu instid0(VALU_DEP_1)
	v_and_or_b32 v6, 0x80, v4, v5
.LBB55_195:
	s_or_b32 exec_lo, exec_lo, s43
.LBB55_196:
	s_delay_alu instid0(SALU_CYCLE_1)
	s_or_b32 exec_lo, exec_lo, s40
	global_store_b8 v[2:3], v6, off
.LBB55_197:
	s_mov_b32 s40, -1
.LBB55_198:
	s_mov_b32 s42, 0
.LBB55_199:
	s_delay_alu instid0(SALU_CYCLE_1)
	s_and_b32 vcc_lo, exec_lo, s42
	s_cbranch_vccz .LBB55_240
; %bb.200:
	s_cmp_gt_i32 s39, 22
	s_mov_b32 s42, -1
	s_cbranch_scc0 .LBB55_232
; %bb.201:
	s_cmp_lt_i32 s39, 24
	s_mov_b32 s40, -1
	s_cbranch_scc1 .LBB55_221
; %bb.202:
	s_cmp_gt_i32 s39, 24
	s_cbranch_scc0 .LBB55_210
; %bb.203:
	s_wait_xcnt 0x0
	v_bfe_i32 v4, v1, 0, 8
	v_mov_b32_e32 v6, 0x80
	s_mov_b32 s40, exec_lo
	s_delay_alu instid0(VALU_DEP_2) | instskip(NEXT) | instid1(VALU_DEP_1)
	v_bfe_i32 v4, v4, 0, 16
	v_cvt_f32_i32_e32 v4, v4
	s_delay_alu instid0(VALU_DEP_1) | instskip(NEXT) | instid1(VALU_DEP_1)
	v_and_b32_e32 v5, 0x7fffffff, v4
	v_cmpx_gt_u32_e32 0x47800000, v5
	s_cbranch_execz .LBB55_209
; %bb.204:
	v_cmp_lt_u32_e32 vcc_lo, 0x37ffffff, v5
	s_mov_b32 s42, 0
                                        ; implicit-def: $vgpr5
	s_and_saveexec_b32 s43, vcc_lo
	s_delay_alu instid0(SALU_CYCLE_1)
	s_xor_b32 s43, exec_lo, s43
	s_cbranch_execz .LBB55_546
; %bb.205:
	v_bfe_u32 v5, v4, 21, 1
	s_mov_b32 s42, exec_lo
	s_delay_alu instid0(VALU_DEP_1) | instskip(NEXT) | instid1(VALU_DEP_1)
	v_add3_u32 v5, v4, v5, 0x88fffff
	v_lshrrev_b32_e32 v5, 21, v5
	s_and_not1_saveexec_b32 s43, s43
	s_cbranch_execnz .LBB55_547
.LBB55_206:
	s_or_b32 exec_lo, exec_lo, s43
	v_mov_b32_e32 v6, 0
	s_and_saveexec_b32 s43, s42
.LBB55_207:
	v_lshrrev_b32_e32 v4, 24, v4
	s_delay_alu instid0(VALU_DEP_1)
	v_and_or_b32 v6, 0x80, v4, v5
.LBB55_208:
	s_or_b32 exec_lo, exec_lo, s43
.LBB55_209:
	s_delay_alu instid0(SALU_CYCLE_1)
	s_or_b32 exec_lo, exec_lo, s40
	s_mov_b32 s40, 0
	global_store_b8 v[2:3], v6, off
.LBB55_210:
	s_and_b32 vcc_lo, exec_lo, s40
	s_cbranch_vccz .LBB55_220
; %bb.211:
	s_wait_xcnt 0x0
	v_bfe_i32 v4, v1, 0, 8
	s_mov_b32 s40, exec_lo
                                        ; implicit-def: $vgpr5
	s_delay_alu instid0(VALU_DEP_1) | instskip(NEXT) | instid1(VALU_DEP_1)
	v_bfe_i32 v4, v4, 0, 16
	v_cvt_f32_i32_e32 v4, v4
	s_delay_alu instid0(VALU_DEP_1) | instskip(NEXT) | instid1(VALU_DEP_1)
	v_and_b32_e32 v6, 0x7fffffff, v4
	v_cmpx_gt_u32_e32 0x43f00000, v6
	s_xor_b32 s40, exec_lo, s40
	s_cbranch_execz .LBB55_217
; %bb.212:
	s_mov_b32 s42, exec_lo
                                        ; implicit-def: $vgpr5
	v_cmpx_lt_u32_e32 0x3c7fffff, v6
	s_xor_b32 s42, exec_lo, s42
; %bb.213:
	v_bfe_u32 v5, v4, 20, 1
	s_delay_alu instid0(VALU_DEP_1) | instskip(NEXT) | instid1(VALU_DEP_1)
	v_add3_u32 v5, v4, v5, 0x407ffff
	v_and_b32_e32 v6, 0xff00000, v5
	v_lshrrev_b32_e32 v5, 20, v5
	s_delay_alu instid0(VALU_DEP_2) | instskip(NEXT) | instid1(VALU_DEP_2)
	v_cmp_ne_u32_e32 vcc_lo, 0x7f00000, v6
	v_cndmask_b32_e32 v5, 0x7e, v5, vcc_lo
; %bb.214:
	s_and_not1_saveexec_b32 s42, s42
; %bb.215:
	v_add_f32_e64 v5, 0x46800000, |v4|
; %bb.216:
	s_or_b32 exec_lo, exec_lo, s42
                                        ; implicit-def: $vgpr6
.LBB55_217:
	s_and_not1_saveexec_b32 s40, s40
; %bb.218:
	v_mov_b32_e32 v5, 0x7f
	v_cmp_lt_u32_e32 vcc_lo, 0x7f800000, v6
	s_delay_alu instid0(VALU_DEP_2)
	v_cndmask_b32_e32 v5, 0x7e, v5, vcc_lo
; %bb.219:
	s_or_b32 exec_lo, exec_lo, s40
	v_lshrrev_b32_e32 v4, 24, v4
	s_delay_alu instid0(VALU_DEP_1)
	v_and_or_b32 v4, 0x80, v4, v5
	global_store_b8 v[2:3], v4, off
.LBB55_220:
	s_mov_b32 s40, 0
.LBB55_221:
	s_delay_alu instid0(SALU_CYCLE_1)
	s_and_not1_b32 vcc_lo, exec_lo, s40
	s_cbranch_vccnz .LBB55_231
; %bb.222:
	s_wait_xcnt 0x0
	v_bfe_i32 v4, v1, 0, 8
	s_mov_b32 s40, exec_lo
                                        ; implicit-def: $vgpr5
	s_delay_alu instid0(VALU_DEP_1) | instskip(NEXT) | instid1(VALU_DEP_1)
	v_bfe_i32 v4, v4, 0, 16
	v_cvt_f32_i32_e32 v4, v4
	s_delay_alu instid0(VALU_DEP_1) | instskip(NEXT) | instid1(VALU_DEP_1)
	v_and_b32_e32 v6, 0x7fffffff, v4
	v_cmpx_gt_u32_e32 0x47800000, v6
	s_xor_b32 s40, exec_lo, s40
	s_cbranch_execz .LBB55_228
; %bb.223:
	s_mov_b32 s42, exec_lo
                                        ; implicit-def: $vgpr5
	v_cmpx_lt_u32_e32 0x387fffff, v6
	s_xor_b32 s42, exec_lo, s42
; %bb.224:
	v_bfe_u32 v5, v4, 21, 1
	s_delay_alu instid0(VALU_DEP_1) | instskip(NEXT) | instid1(VALU_DEP_1)
	v_add3_u32 v5, v4, v5, 0x80fffff
	v_lshrrev_b32_e32 v5, 21, v5
; %bb.225:
	s_and_not1_saveexec_b32 s42, s42
; %bb.226:
	v_add_f32_e64 v5, 0x43000000, |v4|
; %bb.227:
	s_or_b32 exec_lo, exec_lo, s42
                                        ; implicit-def: $vgpr6
.LBB55_228:
	s_and_not1_saveexec_b32 s40, s40
; %bb.229:
	v_mov_b32_e32 v5, 0x7f
	v_cmp_lt_u32_e32 vcc_lo, 0x7f800000, v6
	s_delay_alu instid0(VALU_DEP_2)
	v_cndmask_b32_e32 v5, 0x7c, v5, vcc_lo
; %bb.230:
	s_or_b32 exec_lo, exec_lo, s40
	v_lshrrev_b32_e32 v4, 24, v4
	s_delay_alu instid0(VALU_DEP_1)
	v_and_or_b32 v4, 0x80, v4, v5
	global_store_b8 v[2:3], v4, off
.LBB55_231:
	s_mov_b32 s42, 0
	s_mov_b32 s40, -1
.LBB55_232:
	s_and_not1_b32 vcc_lo, exec_lo, s42
	s_cbranch_vccnz .LBB55_240
; %bb.233:
	s_cmp_gt_i32 s39, 14
	s_mov_b32 s42, -1
	s_cbranch_scc0 .LBB55_237
; %bb.234:
	s_cmp_eq_u32 s39, 15
	s_mov_b32 s0, -1
	s_cbranch_scc0 .LBB55_236
; %bb.235:
	s_wait_xcnt 0x0
	v_bfe_i32 v4, v1, 0, 8
	s_mov_b32 s40, -1
	s_mov_b32 s0, 0
	s_delay_alu instid0(VALU_DEP_1) | instskip(NEXT) | instid1(VALU_DEP_1)
	v_bfe_i32 v4, v4, 0, 16
	v_cvt_f32_i32_e32 v4, v4
	s_delay_alu instid0(VALU_DEP_1) | instskip(NEXT) | instid1(VALU_DEP_1)
	v_bfe_u32 v5, v4, 16, 1
	v_add3_u32 v4, v4, v5, 0x7fff
	global_store_d16_hi_b16 v[2:3], v4, off
.LBB55_236:
	s_mov_b32 s42, 0
.LBB55_237:
	s_delay_alu instid0(SALU_CYCLE_1)
	s_and_b32 vcc_lo, exec_lo, s42
	s_cbranch_vccz .LBB55_240
; %bb.238:
	s_cmp_eq_u32 s39, 11
	s_mov_b32 s0, -1
	s_cbranch_scc0 .LBB55_240
; %bb.239:
	s_wait_xcnt 0x0
	v_and_b32_e32 v4, 0xff, v1
	s_mov_b32 s0, 0
	s_mov_b32 s40, -1
	s_delay_alu instid0(VALU_DEP_1)
	v_cmp_ne_u16_e32 vcc_lo, 0, v4
	v_cndmask_b32_e64 v4, 0, 1, vcc_lo
	global_store_b8 v[2:3], v4, off
.LBB55_240:
	s_mov_b32 s39, 0
.LBB55_241:
	s_delay_alu instid0(SALU_CYCLE_1)
	s_and_b32 vcc_lo, exec_lo, s39
	s_cbranch_vccz .LBB55_280
; %bb.242:
	s_and_b32 s38, 0xffff, s38
	s_mov_b32 s39, -1
	s_cmp_lt_i32 s38, 5
	s_cbranch_scc1 .LBB55_263
; %bb.243:
	s_cmp_lt_i32 s38, 8
	s_cbranch_scc1 .LBB55_253
; %bb.244:
	s_cmp_lt_i32 s38, 9
	s_cbranch_scc1 .LBB55_250
; %bb.245:
	s_cmp_gt_i32 s38, 9
	s_cbranch_scc0 .LBB55_247
; %bb.246:
	s_wait_xcnt 0x0
	v_bfe_i32 v4, v1, 0, 8
	v_mov_b32_e32 v6, 0
	s_mov_b32 s39, 0
	s_delay_alu instid0(VALU_DEP_2) | instskip(NEXT) | instid1(VALU_DEP_2)
	v_bfe_i32 v4, v4, 0, 16
	v_mov_b32_e32 v7, v6
	s_delay_alu instid0(VALU_DEP_2)
	v_cvt_f64_i32_e32 v[4:5], v4
	global_store_b128 v[2:3], v[4:7], off
.LBB55_247:
	s_and_not1_b32 vcc_lo, exec_lo, s39
	s_cbranch_vccnz .LBB55_249
; %bb.248:
	s_wait_xcnt 0x0
	v_bfe_i32 v4, v1, 0, 8
	v_mov_b32_e32 v5, 0
	s_delay_alu instid0(VALU_DEP_2) | instskip(NEXT) | instid1(VALU_DEP_1)
	v_bfe_i32 v4, v4, 0, 16
	v_cvt_f32_i32_e32 v4, v4
	global_store_b64 v[2:3], v[4:5], off
.LBB55_249:
	s_mov_b32 s39, 0
.LBB55_250:
	s_delay_alu instid0(SALU_CYCLE_1)
	s_and_not1_b32 vcc_lo, exec_lo, s39
	s_cbranch_vccnz .LBB55_252
; %bb.251:
	s_wait_xcnt 0x0
	v_bfe_i32 v4, v1, 0, 8
	s_delay_alu instid0(VALU_DEP_1) | instskip(NEXT) | instid1(VALU_DEP_1)
	v_cvt_f16_i16_e32 v4, v4
	v_and_b32_e32 v4, 0xffff, v4
	global_store_b32 v[2:3], v4, off
.LBB55_252:
	s_mov_b32 s39, 0
.LBB55_253:
	s_delay_alu instid0(SALU_CYCLE_1)
	s_and_not1_b32 vcc_lo, exec_lo, s39
	s_cbranch_vccnz .LBB55_262
; %bb.254:
	s_cmp_lt_i32 s38, 6
	s_mov_b32 s39, -1
	s_cbranch_scc1 .LBB55_260
; %bb.255:
	s_cmp_gt_i32 s38, 6
	s_cbranch_scc0 .LBB55_257
; %bb.256:
	s_wait_xcnt 0x0
	v_bfe_i32 v4, v1, 0, 8
	s_mov_b32 s39, 0
	s_delay_alu instid0(VALU_DEP_1) | instskip(NEXT) | instid1(VALU_DEP_1)
	v_bfe_i32 v4, v4, 0, 16
	v_cvt_f64_i32_e32 v[4:5], v4
	global_store_b64 v[2:3], v[4:5], off
.LBB55_257:
	s_and_not1_b32 vcc_lo, exec_lo, s39
	s_cbranch_vccnz .LBB55_259
; %bb.258:
	s_wait_xcnt 0x0
	v_bfe_i32 v4, v1, 0, 8
	s_delay_alu instid0(VALU_DEP_1) | instskip(NEXT) | instid1(VALU_DEP_1)
	v_bfe_i32 v4, v4, 0, 16
	v_cvt_f32_i32_e32 v4, v4
	global_store_b32 v[2:3], v4, off
.LBB55_259:
	s_mov_b32 s39, 0
.LBB55_260:
	s_delay_alu instid0(SALU_CYCLE_1)
	s_and_not1_b32 vcc_lo, exec_lo, s39
	s_cbranch_vccnz .LBB55_262
; %bb.261:
	s_wait_xcnt 0x0
	v_bfe_i32 v4, v1, 0, 8
	s_delay_alu instid0(VALU_DEP_1)
	v_cvt_f16_i16_e32 v4, v4
	global_store_b16 v[2:3], v4, off
.LBB55_262:
	s_mov_b32 s39, 0
.LBB55_263:
	s_delay_alu instid0(SALU_CYCLE_1)
	s_and_not1_b32 vcc_lo, exec_lo, s39
	s_cbranch_vccnz .LBB55_279
; %bb.264:
	s_cmp_lt_i32 s38, 2
	s_mov_b32 s39, -1
	s_cbranch_scc1 .LBB55_274
; %bb.265:
	s_cmp_lt_i32 s38, 3
	s_cbranch_scc1 .LBB55_271
; %bb.266:
	s_cmp_gt_i32 s38, 3
	s_cbranch_scc0 .LBB55_268
; %bb.267:
	s_wait_xcnt 0x0
	v_bfe_i32 v4, v1, 0, 8
	s_mov_b32 s39, 0
	s_delay_alu instid0(VALU_DEP_1)
	v_ashrrev_i32_e32 v5, 31, v4
	global_store_b64 v[2:3], v[4:5], off
.LBB55_268:
	s_and_not1_b32 vcc_lo, exec_lo, s39
	s_cbranch_vccnz .LBB55_270
; %bb.269:
	s_wait_xcnt 0x0
	v_bfe_i32 v4, v1, 0, 8
	global_store_b32 v[2:3], v4, off
.LBB55_270:
	s_mov_b32 s39, 0
.LBB55_271:
	s_delay_alu instid0(SALU_CYCLE_1)
	s_and_not1_b32 vcc_lo, exec_lo, s39
	s_cbranch_vccnz .LBB55_273
; %bb.272:
	s_wait_xcnt 0x0
	v_bfe_i32 v4, v1, 0, 8
	global_store_b16 v[2:3], v4, off
.LBB55_273:
	s_mov_b32 s39, 0
.LBB55_274:
	s_delay_alu instid0(SALU_CYCLE_1)
	s_and_not1_b32 vcc_lo, exec_lo, s39
	s_cbranch_vccnz .LBB55_279
; %bb.275:
	s_cmp_gt_i32 s38, 0
	s_mov_b32 s38, -1
	s_cbranch_scc0 .LBB55_277
; %bb.276:
	s_mov_b32 s38, 0
	global_store_b8 v[2:3], v1, off
.LBB55_277:
	s_and_not1_b32 vcc_lo, exec_lo, s38
	s_cbranch_vccnz .LBB55_279
; %bb.278:
	global_store_b8 v[2:3], v1, off
.LBB55_279:
	s_mov_b32 s40, -1
.LBB55_280:
	s_delay_alu instid0(SALU_CYCLE_1)
	s_and_not1_b32 vcc_lo, exec_lo, s40
	s_cbranch_vccnz .LBB55_389
; %bb.281:
	v_add_nc_u32_e32 v0, 0x80, v0
	s_mov_b32 s42, -1
	s_branch .LBB55_390
.LBB55_282:
	s_mov_b32 s25, -1
                                        ; implicit-def: $vgpr8
.LBB55_283:
	s_mov_b32 s40, 0
.LBB55_284:
	s_delay_alu instid0(SALU_CYCLE_1)
	s_and_b32 vcc_lo, exec_lo, s40
	s_cbranch_vccz .LBB55_288
; %bb.285:
	s_cmp_eq_u32 s38, 29
	s_cbranch_scc0 .LBB55_287
; %bb.286:
	global_load_b64 v[8:9], v[6:7], off
	s_mov_b32 s39, -1
	s_mov_b32 s25, 0
	s_branch .LBB55_288
.LBB55_287:
	s_mov_b32 s25, -1
                                        ; implicit-def: $vgpr8
.LBB55_288:
	s_mov_b32 s40, 0
.LBB55_289:
	s_delay_alu instid0(SALU_CYCLE_1)
	s_and_b32 vcc_lo, exec_lo, s40
	s_cbranch_vccz .LBB55_305
; %bb.290:
	s_cmp_lt_i32 s38, 27
	s_cbranch_scc1 .LBB55_293
; %bb.291:
	s_cmp_gt_i32 s38, 27
	s_cbranch_scc0 .LBB55_294
; %bb.292:
	s_wait_loadcnt 0x0
	global_load_b32 v8, v[6:7], off
	s_mov_b32 s39, 0
	s_branch .LBB55_295
.LBB55_293:
	s_mov_b32 s39, -1
                                        ; implicit-def: $vgpr8
	s_branch .LBB55_298
.LBB55_294:
	s_mov_b32 s39, -1
                                        ; implicit-def: $vgpr8
.LBB55_295:
	s_delay_alu instid0(SALU_CYCLE_1)
	s_and_not1_b32 vcc_lo, exec_lo, s39
	s_cbranch_vccnz .LBB55_297
; %bb.296:
	s_wait_loadcnt 0x0
	global_load_u16 v8, v[6:7], off
.LBB55_297:
	s_mov_b32 s39, 0
.LBB55_298:
	s_delay_alu instid0(SALU_CYCLE_1)
	s_and_not1_b32 vcc_lo, exec_lo, s39
	s_cbranch_vccnz .LBB55_304
; %bb.299:
	global_load_u8 v1, v[6:7], off
	s_mov_b32 s40, 0
	s_mov_b32 s39, exec_lo
	s_wait_loadcnt 0x0
	v_cmpx_lt_i16_e32 0x7f, v1
	s_xor_b32 s39, exec_lo, s39
	s_cbranch_execz .LBB55_316
; %bb.300:
	v_cmp_ne_u16_e32 vcc_lo, 0x80, v1
	s_and_b32 s40, vcc_lo, exec_lo
	s_and_not1_saveexec_b32 s39, s39
	s_cbranch_execnz .LBB55_317
.LBB55_301:
	s_or_b32 exec_lo, exec_lo, s39
	v_mov_b32_e32 v8, 0
	s_and_saveexec_b32 s39, s40
	s_cbranch_execz .LBB55_303
.LBB55_302:
	v_and_b32_e32 v3, 0xffff, v1
	s_delay_alu instid0(VALU_DEP_1) | instskip(SKIP_1) | instid1(VALU_DEP_2)
	v_and_b32_e32 v5, 7, v3
	v_bfe_u32 v10, v3, 3, 4
	v_clz_i32_u32_e32 v8, v5
	s_delay_alu instid0(VALU_DEP_2) | instskip(NEXT) | instid1(VALU_DEP_2)
	v_cmp_eq_u32_e32 vcc_lo, 0, v10
	v_min_u32_e32 v8, 32, v8
	s_delay_alu instid0(VALU_DEP_1) | instskip(NEXT) | instid1(VALU_DEP_1)
	v_subrev_nc_u32_e32 v9, 28, v8
	v_dual_lshlrev_b32 v3, v9, v3 :: v_dual_sub_nc_u32 v8, 29, v8
	s_delay_alu instid0(VALU_DEP_1) | instskip(NEXT) | instid1(VALU_DEP_1)
	v_dual_lshlrev_b32 v1, 24, v1 :: v_dual_bitop2_b32 v3, 7, v3 bitop3:0x40
	v_dual_cndmask_b32 v8, v10, v8 :: v_dual_cndmask_b32 v3, v5, v3
	s_delay_alu instid0(VALU_DEP_2) | instskip(NEXT) | instid1(VALU_DEP_2)
	v_and_b32_e32 v1, 0x80000000, v1
	v_lshl_add_u32 v5, v8, 23, 0x3b800000
	s_delay_alu instid0(VALU_DEP_3) | instskip(NEXT) | instid1(VALU_DEP_1)
	v_lshlrev_b32_e32 v3, 20, v3
	v_or3_b32 v1, v1, v5, v3
	s_delay_alu instid0(VALU_DEP_1)
	v_cvt_i32_f32_e32 v8, v1
.LBB55_303:
	s_or_b32 exec_lo, exec_lo, s39
.LBB55_304:
	s_mov_b32 s39, -1
.LBB55_305:
	s_mov_b32 s40, 0
.LBB55_306:
	s_delay_alu instid0(SALU_CYCLE_1)
	s_and_b32 vcc_lo, exec_lo, s40
	s_cbranch_vccz .LBB55_339
; %bb.307:
	s_cmp_gt_i32 s38, 22
	s_cbranch_scc0 .LBB55_315
; %bb.308:
	s_cmp_lt_i32 s38, 24
	s_cbranch_scc1 .LBB55_318
; %bb.309:
	s_cmp_gt_i32 s38, 24
	s_cbranch_scc0 .LBB55_319
; %bb.310:
	global_load_u8 v1, v[6:7], off
	s_mov_b32 s40, 0
	s_mov_b32 s39, exec_lo
	s_wait_loadcnt 0x0
	v_cmpx_lt_i16_e32 0x7f, v1
	s_xor_b32 s39, exec_lo, s39
	s_cbranch_execz .LBB55_331
; %bb.311:
	v_cmp_ne_u16_e32 vcc_lo, 0x80, v1
	s_and_b32 s40, vcc_lo, exec_lo
	s_and_not1_saveexec_b32 s39, s39
	s_cbranch_execnz .LBB55_332
.LBB55_312:
	s_or_b32 exec_lo, exec_lo, s39
	v_mov_b32_e32 v8, 0
	s_and_saveexec_b32 s39, s40
	s_cbranch_execz .LBB55_314
.LBB55_313:
	v_and_b32_e32 v3, 0xffff, v1
	s_delay_alu instid0(VALU_DEP_1) | instskip(SKIP_1) | instid1(VALU_DEP_2)
	v_and_b32_e32 v5, 3, v3
	v_bfe_u32 v10, v3, 2, 5
	v_clz_i32_u32_e32 v8, v5
	s_delay_alu instid0(VALU_DEP_2) | instskip(NEXT) | instid1(VALU_DEP_2)
	v_cmp_eq_u32_e32 vcc_lo, 0, v10
	v_min_u32_e32 v8, 32, v8
	s_delay_alu instid0(VALU_DEP_1) | instskip(NEXT) | instid1(VALU_DEP_1)
	v_subrev_nc_u32_e32 v9, 29, v8
	v_dual_lshlrev_b32 v3, v9, v3 :: v_dual_sub_nc_u32 v8, 30, v8
	s_delay_alu instid0(VALU_DEP_1) | instskip(NEXT) | instid1(VALU_DEP_1)
	v_dual_lshlrev_b32 v1, 24, v1 :: v_dual_bitop2_b32 v3, 3, v3 bitop3:0x40
	v_dual_cndmask_b32 v8, v10, v8 :: v_dual_cndmask_b32 v3, v5, v3
	s_delay_alu instid0(VALU_DEP_2) | instskip(NEXT) | instid1(VALU_DEP_2)
	v_and_b32_e32 v1, 0x80000000, v1
	v_lshl_add_u32 v5, v8, 23, 0x37800000
	s_delay_alu instid0(VALU_DEP_3) | instskip(NEXT) | instid1(VALU_DEP_1)
	v_lshlrev_b32_e32 v3, 21, v3
	v_or3_b32 v1, v1, v5, v3
	s_delay_alu instid0(VALU_DEP_1)
	v_cvt_i32_f32_e32 v8, v1
.LBB55_314:
	s_or_b32 exec_lo, exec_lo, s39
	s_mov_b32 s39, 0
	s_branch .LBB55_320
.LBB55_315:
	s_mov_b32 s40, -1
                                        ; implicit-def: $vgpr8
	s_branch .LBB55_326
.LBB55_316:
	s_and_not1_saveexec_b32 s39, s39
	s_cbranch_execz .LBB55_301
.LBB55_317:
	v_cmp_ne_u16_e32 vcc_lo, 0, v1
	s_and_not1_b32 s40, s40, exec_lo
	s_and_b32 s42, vcc_lo, exec_lo
	s_delay_alu instid0(SALU_CYCLE_1)
	s_or_b32 s40, s40, s42
	s_or_b32 exec_lo, exec_lo, s39
	v_mov_b32_e32 v8, 0
	s_and_saveexec_b32 s39, s40
	s_cbranch_execnz .LBB55_302
	s_branch .LBB55_303
.LBB55_318:
	s_mov_b32 s39, -1
                                        ; implicit-def: $vgpr8
	s_branch .LBB55_323
.LBB55_319:
	s_mov_b32 s39, -1
                                        ; implicit-def: $vgpr8
.LBB55_320:
	s_delay_alu instid0(SALU_CYCLE_1)
	s_and_b32 vcc_lo, exec_lo, s39
	s_cbranch_vccz .LBB55_322
; %bb.321:
	global_load_u8 v1, v[6:7], off
	s_wait_loadcnt 0x0
	v_lshlrev_b32_e32 v1, 24, v1
	s_delay_alu instid0(VALU_DEP_1) | instskip(NEXT) | instid1(VALU_DEP_1)
	v_and_b32_e32 v3, 0x7f000000, v1
	v_clz_i32_u32_e32 v5, v3
	v_add_nc_u32_e32 v9, 0x1000000, v3
	v_cmp_ne_u32_e32 vcc_lo, 0, v3
	s_delay_alu instid0(VALU_DEP_3) | instskip(NEXT) | instid1(VALU_DEP_1)
	v_min_u32_e32 v5, 32, v5
	v_sub_nc_u32_e64 v5, v5, 4 clamp
	s_delay_alu instid0(VALU_DEP_1) | instskip(NEXT) | instid1(VALU_DEP_1)
	v_dual_lshlrev_b32 v8, v5, v3 :: v_dual_lshlrev_b32 v5, 23, v5
	v_lshrrev_b32_e32 v8, 4, v8
	s_delay_alu instid0(VALU_DEP_1) | instskip(SKIP_1) | instid1(VALU_DEP_2)
	v_sub_nc_u32_e32 v5, v8, v5
	v_ashrrev_i32_e32 v8, 8, v9
	v_add_nc_u32_e32 v5, 0x3c000000, v5
	s_delay_alu instid0(VALU_DEP_1) | instskip(NEXT) | instid1(VALU_DEP_1)
	v_and_or_b32 v5, 0x7f800000, v8, v5
	v_cndmask_b32_e32 v3, 0, v5, vcc_lo
	s_delay_alu instid0(VALU_DEP_1) | instskip(NEXT) | instid1(VALU_DEP_1)
	v_and_or_b32 v1, 0x80000000, v1, v3
	v_cvt_i32_f32_e32 v8, v1
.LBB55_322:
	s_mov_b32 s39, 0
.LBB55_323:
	s_delay_alu instid0(SALU_CYCLE_1)
	s_and_not1_b32 vcc_lo, exec_lo, s39
	s_cbranch_vccnz .LBB55_325
; %bb.324:
	global_load_u8 v1, v[6:7], off
	s_wait_loadcnt 0x0
	v_lshlrev_b32_e32 v3, 25, v1
	v_lshlrev_b16 v1, 8, v1
	s_delay_alu instid0(VALU_DEP_1) | instskip(SKIP_1) | instid1(VALU_DEP_2)
	v_and_or_b32 v8, 0x7f00, v1, 0.5
	v_bfe_i32 v1, v1, 0, 16
	v_dual_add_f32 v8, -0.5, v8 :: v_dual_lshrrev_b32 v5, 4, v3
	v_cmp_gt_u32_e32 vcc_lo, 0x8000000, v3
	s_delay_alu instid0(VALU_DEP_2) | instskip(NEXT) | instid1(VALU_DEP_1)
	v_or_b32_e32 v5, 0x70000000, v5
	v_mul_f32_e32 v5, 0x7800000, v5
	s_delay_alu instid0(VALU_DEP_1) | instskip(NEXT) | instid1(VALU_DEP_1)
	v_cndmask_b32_e32 v3, v5, v8, vcc_lo
	v_and_or_b32 v1, 0x80000000, v1, v3
	s_delay_alu instid0(VALU_DEP_1)
	v_cvt_i32_f32_e32 v8, v1
.LBB55_325:
	s_mov_b32 s40, 0
	s_mov_b32 s39, -1
.LBB55_326:
	s_and_not1_b32 vcc_lo, exec_lo, s40
	s_cbranch_vccnz .LBB55_339
; %bb.327:
	s_cmp_gt_i32 s38, 14
	s_cbranch_scc0 .LBB55_330
; %bb.328:
	s_cmp_eq_u32 s38, 15
	s_cbranch_scc0 .LBB55_333
; %bb.329:
	global_load_u16 v1, v[6:7], off
	s_mov_b32 s39, -1
	s_mov_b32 s25, 0
	s_wait_loadcnt 0x0
	v_lshlrev_b32_e32 v1, 16, v1
	s_delay_alu instid0(VALU_DEP_1)
	v_cvt_i32_f32_e32 v8, v1
	s_branch .LBB55_334
.LBB55_330:
	s_mov_b32 s40, -1
                                        ; implicit-def: $vgpr8
	s_branch .LBB55_335
.LBB55_331:
	s_and_not1_saveexec_b32 s39, s39
	s_cbranch_execz .LBB55_312
.LBB55_332:
	v_cmp_ne_u16_e32 vcc_lo, 0, v1
	s_and_not1_b32 s40, s40, exec_lo
	s_and_b32 s42, vcc_lo, exec_lo
	s_delay_alu instid0(SALU_CYCLE_1)
	s_or_b32 s40, s40, s42
	s_or_b32 exec_lo, exec_lo, s39
	v_mov_b32_e32 v8, 0
	s_and_saveexec_b32 s39, s40
	s_cbranch_execnz .LBB55_313
	s_branch .LBB55_314
.LBB55_333:
	s_mov_b32 s25, -1
                                        ; implicit-def: $vgpr8
.LBB55_334:
	s_mov_b32 s40, 0
.LBB55_335:
	s_delay_alu instid0(SALU_CYCLE_1)
	s_and_b32 vcc_lo, exec_lo, s40
	s_cbranch_vccz .LBB55_339
; %bb.336:
	s_cmp_eq_u32 s38, 11
	s_cbranch_scc0 .LBB55_338
; %bb.337:
	global_load_u8 v1, v[6:7], off
	s_mov_b32 s25, 0
	s_mov_b32 s39, -1
	s_wait_loadcnt 0x0
	v_cmp_ne_u16_e32 vcc_lo, 0, v1
	v_cndmask_b32_e64 v8, 0, 1, vcc_lo
	s_branch .LBB55_339
.LBB55_338:
	s_mov_b32 s25, -1
                                        ; implicit-def: $vgpr8
.LBB55_339:
	s_branch .LBB55_31
.LBB55_340:
	s_and_b32 s0, 0xffff, s0
	s_delay_alu instid0(SALU_CYCLE_1)
	s_cmp_lt_i32 s0, 5
	s_cbranch_scc1 .LBB55_345
; %bb.341:
	s_cmp_lt_i32 s0, 8
	s_cbranch_scc1 .LBB55_346
; %bb.342:
	;; [unrolled: 3-line block ×3, first 2 shown]
	s_cmp_gt_i32 s0, 9
	s_cbranch_scc0 .LBB55_348
; %bb.344:
	s_wait_loadcnt 0x0
	global_load_b64 v[8:9], v[6:7], off
	s_mov_b32 s38, 0
	s_wait_loadcnt 0x0
	v_cvt_i32_f64_e32 v8, v[8:9]
	s_branch .LBB55_349
.LBB55_345:
	s_mov_b32 s38, -1
                                        ; implicit-def: $vgpr8
	s_branch .LBB55_367
.LBB55_346:
	s_mov_b32 s38, -1
                                        ; implicit-def: $vgpr8
	s_branch .LBB55_355
.LBB55_347:
	s_mov_b32 s38, -1
                                        ; implicit-def: $vgpr8
	s_branch .LBB55_352
.LBB55_348:
	s_mov_b32 s38, -1
                                        ; implicit-def: $vgpr8
.LBB55_349:
	s_delay_alu instid0(SALU_CYCLE_1)
	s_and_not1_b32 vcc_lo, exec_lo, s38
	s_cbranch_vccnz .LBB55_351
; %bb.350:
	global_load_b32 v1, v[6:7], off
	s_wait_loadcnt 0x0
	v_cvt_i32_f32_e32 v8, v1
.LBB55_351:
	s_mov_b32 s38, 0
.LBB55_352:
	s_delay_alu instid0(SALU_CYCLE_1)
	s_and_not1_b32 vcc_lo, exec_lo, s38
	s_cbranch_vccnz .LBB55_354
; %bb.353:
	global_load_b32 v1, v[6:7], off
	s_wait_loadcnt 0x0
	v_cvt_i16_f16_e32 v8, v1
.LBB55_354:
	s_mov_b32 s38, 0
.LBB55_355:
	s_delay_alu instid0(SALU_CYCLE_1)
	s_and_not1_b32 vcc_lo, exec_lo, s38
	s_cbranch_vccnz .LBB55_366
; %bb.356:
	s_cmp_lt_i32 s0, 6
	s_cbranch_scc1 .LBB55_359
; %bb.357:
	s_cmp_gt_i32 s0, 6
	s_cbranch_scc0 .LBB55_360
; %bb.358:
	s_wait_loadcnt 0x0
	global_load_b64 v[8:9], v[6:7], off
	s_mov_b32 s38, 0
	s_wait_loadcnt 0x0
	v_cvt_i32_f64_e32 v8, v[8:9]
	s_branch .LBB55_361
.LBB55_359:
	s_mov_b32 s38, -1
                                        ; implicit-def: $vgpr8
	s_branch .LBB55_364
.LBB55_360:
	s_mov_b32 s38, -1
                                        ; implicit-def: $vgpr8
.LBB55_361:
	s_delay_alu instid0(SALU_CYCLE_1)
	s_and_not1_b32 vcc_lo, exec_lo, s38
	s_cbranch_vccnz .LBB55_363
; %bb.362:
	global_load_b32 v1, v[6:7], off
	s_wait_loadcnt 0x0
	v_cvt_i32_f32_e32 v8, v1
.LBB55_363:
	s_mov_b32 s38, 0
.LBB55_364:
	s_delay_alu instid0(SALU_CYCLE_1)
	s_and_not1_b32 vcc_lo, exec_lo, s38
	s_cbranch_vccnz .LBB55_366
; %bb.365:
	global_load_u16 v1, v[6:7], off
	s_wait_loadcnt 0x0
	v_cvt_i16_f16_e32 v8, v1
.LBB55_366:
	s_mov_b32 s38, 0
.LBB55_367:
	s_delay_alu instid0(SALU_CYCLE_1)
	s_and_not1_b32 vcc_lo, exec_lo, s38
	s_cbranch_vccnz .LBB55_387
; %bb.368:
	s_cmp_lt_i32 s0, 2
	s_cbranch_scc1 .LBB55_372
; %bb.369:
	s_cmp_lt_i32 s0, 3
	s_cbranch_scc1 .LBB55_373
; %bb.370:
	s_cmp_gt_i32 s0, 3
	s_cbranch_scc0 .LBB55_374
; %bb.371:
	s_wait_loadcnt 0x0
	global_load_b64 v[8:9], v[6:7], off
	s_mov_b32 s38, 0
	s_branch .LBB55_375
.LBB55_372:
	s_mov_b32 s38, -1
                                        ; implicit-def: $vgpr8
	s_branch .LBB55_381
.LBB55_373:
	s_mov_b32 s38, -1
                                        ; implicit-def: $vgpr8
	s_branch .LBB55_378
.LBB55_374:
	s_mov_b32 s38, -1
                                        ; implicit-def: $vgpr8
.LBB55_375:
	s_delay_alu instid0(SALU_CYCLE_1)
	s_and_not1_b32 vcc_lo, exec_lo, s38
	s_cbranch_vccnz .LBB55_377
; %bb.376:
	s_wait_loadcnt 0x0
	global_load_b32 v8, v[6:7], off
.LBB55_377:
	s_mov_b32 s38, 0
.LBB55_378:
	s_delay_alu instid0(SALU_CYCLE_1)
	s_and_not1_b32 vcc_lo, exec_lo, s38
	s_cbranch_vccnz .LBB55_380
; %bb.379:
	s_wait_loadcnt 0x0
	global_load_u16 v8, v[6:7], off
.LBB55_380:
	s_mov_b32 s38, 0
.LBB55_381:
	s_delay_alu instid0(SALU_CYCLE_1)
	s_and_not1_b32 vcc_lo, exec_lo, s38
	s_cbranch_vccnz .LBB55_387
; %bb.382:
	s_cmp_gt_i32 s0, 0
	s_mov_b32 s0, 0
	s_cbranch_scc0 .LBB55_384
; %bb.383:
	s_wait_loadcnt 0x0
	global_load_u8 v8, v[6:7], off
	s_branch .LBB55_385
.LBB55_384:
	s_mov_b32 s0, -1
                                        ; implicit-def: $vgpr8
.LBB55_385:
	s_delay_alu instid0(SALU_CYCLE_1)
	s_and_not1_b32 vcc_lo, exec_lo, s0
	s_cbranch_vccnz .LBB55_387
; %bb.386:
	s_wait_loadcnt 0x0
	global_load_u8 v8, v[6:7], off
.LBB55_387:
	s_branch .LBB55_32
.LBB55_388:
	s_mov_b32 s0, 0
.LBB55_389:
	s_mov_b32 s42, 0
                                        ; implicit-def: $vgpr0
.LBB55_390:
	s_and_b32 s38, s0, exec_lo
	s_and_b32 s39, s25, exec_lo
	;; [unrolled: 1-line block ×3, first 2 shown]
	s_or_not1_b32 s25, s42, exec_lo
.LBB55_391:
	s_wait_xcnt 0x0
	s_or_b32 exec_lo, exec_lo, s41
	s_mov_b32 s43, 0
	s_mov_b32 s24, 0
                                        ; implicit-def: $sgpr0
                                        ; implicit-def: $vgpr8_vgpr9
                                        ; implicit-def: $vgpr6
                                        ; implicit-def: $vgpr2
                                        ; implicit-def: $vgpr4
	s_and_saveexec_b32 s41, s25
	s_cbranch_execz .LBB55_399
; %bb.392:
	s_mov_b32 s47, -1
	s_mov_b32 s42, s40
	s_mov_b32 s44, s39
	;; [unrolled: 1-line block ×3, first 2 shown]
	s_mov_b32 s45, exec_lo
	v_cmpx_gt_i32_e64 s36, v0
	s_cbranch_execz .LBB55_793
; %bb.393:
	s_and_not1_b32 vcc_lo, exec_lo, s29
	s_cbranch_vccnz .LBB55_402
; %bb.394:
	s_and_not1_b32 vcc_lo, exec_lo, s37
	s_cbranch_vccnz .LBB55_403
; %bb.395:
	v_dual_mov_b32 v2, 0 :: v_dual_mov_b32 v1, v0
	s_wait_loadcnt 0x0
	v_dual_mov_b32 v4, 0 :: v_dual_mov_b32 v6, 0
	s_add_co_i32 s0, s35, 1
	s_mov_b64 s[24:25], 0xffffffffffffffe8
	s_and_b32 s0, s0, 30
	s_add_nc_u64 s[24:25], s[2:3], s[24:25]
.LBB55_396:                             ; =>This Inner Loop Header: Depth=1
	s_clause 0x3
	s_load_b128 s[48:51], s[24:25], 0x1c
	s_load_b64 s[42:43], s[24:25], 0x2c
	s_load_b128 s[52:55], s[24:25], 0xdc
	s_load_b64 s[46:47], s[24:25], 0xec
	s_add_co_i32 s0, s0, -2
	s_wait_xcnt 0x0
	s_add_nc_u64 s[24:25], s[24:25], 24
	s_cmp_eq_u32 s0, 0
	s_wait_kmcnt 0x0
	v_mul_hi_u32 v3, s49, v1
	s_delay_alu instid0(VALU_DEP_1) | instskip(NEXT) | instid1(VALU_DEP_1)
	v_add_nc_u32_e32 v3, v1, v3
	v_lshrrev_b32_e32 v3, s50, v3
	s_delay_alu instid0(VALU_DEP_1) | instskip(SKIP_1) | instid1(VALU_DEP_1)
	v_mul_hi_u32 v5, s42, v3
	v_mul_lo_u32 v7, v3, s48
	v_dual_add_nc_u32 v5, v3, v5 :: v_dual_sub_nc_u32 v7, v1, v7
	s_delay_alu instid0(VALU_DEP_1) | instskip(NEXT) | instid1(VALU_DEP_2)
	v_lshrrev_b32_e32 v1, s43, v5
	v_mad_u32 v2, v7, s52, v2
	v_mad_u32 v6, v7, s54, v6
	;; [unrolled: 1-line block ×3, first 2 shown]
	s_delay_alu instid0(VALU_DEP_4) | instskip(NEXT) | instid1(VALU_DEP_1)
	v_mul_lo_u32 v5, v1, s51
	v_sub_nc_u32_e32 v3, v3, v5
	s_delay_alu instid0(VALU_DEP_1)
	v_mad_u32 v2, v3, s55, v2
	v_mad_u32 v6, v3, s47, v6
	;; [unrolled: 1-line block ×3, first 2 shown]
	s_cbranch_scc0 .LBB55_396
; %bb.397:
	s_bitcmp1_b32 s35, 0
	s_cselect_b32 s0, -1, 0
	s_delay_alu instid0(SALU_CYCLE_1)
	s_and_b32 vcc_lo, exec_lo, s0
	s_cbranch_vccnz .LBB55_404
; %bb.398:
	s_clause 0x1
	s_load_b96 s[48:50], s[24:25], 0x1c
	s_load_b96 s[52:54], s[24:25], 0xdc
	s_wait_kmcnt 0x0
	v_mul_hi_u32 v3, s49, v1
	s_delay_alu instid0(VALU_DEP_1) | instskip(NEXT) | instid1(VALU_DEP_1)
	v_add_nc_u32_e32 v3, v1, v3
	v_lshrrev_b32_e32 v3, s50, v3
	s_delay_alu instid0(VALU_DEP_1) | instskip(NEXT) | instid1(VALU_DEP_1)
	v_mul_lo_u32 v3, v3, s48
	v_sub_nc_u32_e32 v1, v1, v3
	s_delay_alu instid0(VALU_DEP_1)
	v_mad_u32 v2, v1, s52, v2
	v_mad_u32 v4, v1, s53, v4
	v_mad_u32 v6, v1, s54, v6
	s_branch .LBB55_404
.LBB55_399:
	s_or_b32 exec_lo, exec_lo, s41
	s_mov_b32 s1, 0
	s_and_saveexec_b32 s6, s40
	s_cbranch_execnz .LBB55_1287
.LBB55_400:
	s_or_b32 exec_lo, exec_lo, s6
	s_and_saveexec_b32 s6, s19
	s_delay_alu instid0(SALU_CYCLE_1)
	s_xor_b32 s6, exec_lo, s6
	s_cbranch_execz .LBB55_1288
.LBB55_401:
	s_wait_loadcnt 0x0
	global_load_u8 v0, v[8:9], off
	s_or_b32 s24, s24, exec_lo
	s_wait_loadcnt 0x0
	v_cmp_ne_u16_e32 vcc_lo, 0, v0
	v_cndmask_b32_e64 v4, 0, 1, vcc_lo
	s_wait_xcnt 0x0
	s_or_b32 exec_lo, exec_lo, s6
	s_and_saveexec_b32 s6, s43
	s_cbranch_execz .LBB55_1334
	s_branch .LBB55_1289
.LBB55_402:
                                        ; implicit-def: $vgpr6
                                        ; implicit-def: $vgpr4
                                        ; implicit-def: $vgpr2
	s_branch .LBB55_405
.LBB55_403:
	s_wait_loadcnt 0x0
	v_dual_mov_b32 v6, 0 :: v_dual_mov_b32 v4, 0
	v_mov_b32_e32 v2, 0
.LBB55_404:
	s_cbranch_execnz .LBB55_407
.LBB55_405:
	v_mov_b32_e32 v1, 0
	s_and_not1_b32 vcc_lo, exec_lo, s34
	s_delay_alu instid0(VALU_DEP_1) | instskip(NEXT) | instid1(VALU_DEP_1)
	v_mul_u64_e32 v[2:3], s[18:19], v[0:1]
	v_add_nc_u32_e32 v2, v0, v3
	s_wait_loadcnt 0x0
	s_delay_alu instid0(VALU_DEP_1) | instskip(NEXT) | instid1(VALU_DEP_1)
	v_lshrrev_b32_e32 v8, s10, v2
	v_mul_lo_u32 v2, v8, s8
	s_delay_alu instid0(VALU_DEP_1) | instskip(NEXT) | instid1(VALU_DEP_1)
	v_sub_nc_u32_e32 v3, v0, v2
	v_mul_lo_u32 v2, v3, s12
	v_mul_lo_u32 v6, v3, s14
	;; [unrolled: 1-line block ×3, first 2 shown]
	s_cbranch_vccnz .LBB55_407
; %bb.406:
	v_mov_b32_e32 v9, v1
	s_delay_alu instid0(VALU_DEP_1) | instskip(NEXT) | instid1(VALU_DEP_1)
	v_mul_u64_e32 v[10:11], s[22:23], v[8:9]
	v_add_nc_u32_e32 v1, v8, v11
	s_delay_alu instid0(VALU_DEP_1) | instskip(NEXT) | instid1(VALU_DEP_1)
	v_lshrrev_b32_e32 v1, s1, v1
	v_mul_lo_u32 v1, v1, s11
	s_delay_alu instid0(VALU_DEP_1) | instskip(NEXT) | instid1(VALU_DEP_1)
	v_sub_nc_u32_e32 v1, v8, v1
	v_mad_u32 v2, v1, s15, v2
	v_mad_u32 v4, v1, s20, v4
	;; [unrolled: 1-line block ×3, first 2 shown]
.LBB55_407:
	s_wait_loadcnt 0x0
	v_mov_b32_e32 v5, 0
	s_and_b32 s0, s33, 0xff
	s_delay_alu instid0(SALU_CYCLE_1) | instskip(NEXT) | instid1(VALU_DEP_1)
	s_cmp_lt_i32 s0, 11
	v_add_nc_u64_e32 v[8:9], s[6:7], v[4:5]
	s_cbranch_scc1 .LBB55_414
; %bb.408:
	s_and_b32 s25, 0xffff, s0
	s_delay_alu instid0(SALU_CYCLE_1)
	s_cmp_gt_i32 s25, 25
	s_cbranch_scc0 .LBB55_423
; %bb.409:
	s_cmp_gt_i32 s25, 28
	s_cbranch_scc0 .LBB55_425
; %bb.410:
	;; [unrolled: 3-line block ×4, first 2 shown]
	s_cmp_eq_u32 s25, 46
	s_mov_b32 s43, 0
	s_cbranch_scc0 .LBB55_433
; %bb.413:
	global_load_b32 v1, v[8:9], off
	s_mov_b32 s42, -1
	s_mov_b32 s24, 0
	s_wait_loadcnt 0x0
	v_lshlrev_b32_e32 v1, 16, v1
	s_delay_alu instid0(VALU_DEP_1)
	v_cvt_i32_f32_e32 v4, v1
	s_branch .LBB55_435
.LBB55_414:
	s_mov_b32 s42, 0
	s_mov_b32 s24, s40
                                        ; implicit-def: $vgpr4
	s_cbranch_execnz .LBB55_497
.LBB55_415:
	s_and_not1_b32 vcc_lo, exec_lo, s42
	s_cbranch_vccnz .LBB55_545
.LBB55_416:
	v_mov_b32_e32 v7, 0
	s_and_b32 s0, s9, 0xff
	s_delay_alu instid0(SALU_CYCLE_1) | instskip(NEXT) | instid1(VALU_DEP_1)
	s_cmp_lt_i32 s0, 11
	v_add_nc_u64_e32 v[6:7], s[16:17], v[6:7]
	s_cbranch_scc1 .LBB55_424
; %bb.417:
	s_and_b32 s42, 0xffff, s0
	s_delay_alu instid0(SALU_CYCLE_1)
	s_cmp_gt_i32 s42, 25
	s_cbranch_scc0 .LBB55_426
; %bb.418:
	s_cmp_gt_i32 s42, 28
	s_cbranch_scc0 .LBB55_428
; %bb.419:
	;; [unrolled: 3-line block ×4, first 2 shown]
	s_cmp_eq_u32 s42, 46
	s_mov_b32 s44, 0
	s_cbranch_scc0 .LBB55_548
; %bb.422:
	global_load_b32 v1, v[6:7], off
	s_mov_b32 s43, -1
	s_mov_b32 s25, 0
	s_wait_loadcnt 0x0
	v_lshlrev_b32_e32 v1, 16, v1
	s_wait_xcnt 0x1
	s_delay_alu instid0(VALU_DEP_1)
	v_cvt_i32_f32_e32 v8, v1
	s_branch .LBB55_550
.LBB55_423:
	s_mov_b32 s43, -1
	s_mov_b32 s42, 0
	s_mov_b32 s24, s40
                                        ; implicit-def: $vgpr4
	s_branch .LBB55_463
.LBB55_424:
	s_mov_b32 s42, -1
	s_mov_b32 s43, 0
	s_mov_b32 s25, s39
                                        ; implicit-def: $vgpr8
	s_branch .LBB55_611
.LBB55_425:
	s_mov_b32 s43, -1
	s_mov_b32 s42, 0
	s_mov_b32 s24, s40
                                        ; implicit-def: $vgpr4
	s_branch .LBB55_446
.LBB55_426:
	s_mov_b32 s44, -1
	s_mov_b32 s43, 0
	s_mov_b32 s25, s39
                                        ; implicit-def: $vgpr8
	s_branch .LBB55_577
.LBB55_427:
	s_mov_b32 s43, -1
	s_mov_b32 s42, 0
	s_mov_b32 s24, s40
                                        ; implicit-def: $vgpr4
	s_branch .LBB55_441
.LBB55_428:
	s_mov_b32 s44, -1
	s_mov_b32 s43, 0
	s_mov_b32 s25, s39
                                        ; implicit-def: $vgpr8
	s_branch .LBB55_560
.LBB55_429:
	s_mov_b32 s43, -1
	s_mov_b32 s42, 0
	s_mov_b32 s24, s40
	s_branch .LBB55_434
.LBB55_430:
	s_mov_b32 s44, -1
	s_mov_b32 s43, 0
	s_mov_b32 s25, s39
                                        ; implicit-def: $vgpr8
	s_branch .LBB55_555
.LBB55_431:
	s_and_not1_saveexec_b32 s43, s43
	s_cbranch_execz .LBB55_193
.LBB55_432:
	v_add_f32_e64 v5, 0x46000000, |v4|
	s_and_not1_b32 s42, s42, exec_lo
	s_delay_alu instid0(VALU_DEP_1) | instskip(NEXT) | instid1(VALU_DEP_1)
	v_and_b32_e32 v5, 0xff, v5
	v_cmp_ne_u32_e32 vcc_lo, 0, v5
	s_and_b32 s44, vcc_lo, exec_lo
	s_delay_alu instid0(SALU_CYCLE_1)
	s_or_b32 s42, s42, s44
	s_or_b32 exec_lo, exec_lo, s43
	v_mov_b32_e32 v6, 0
	s_and_saveexec_b32 s43, s42
	s_cbranch_execnz .LBB55_194
	s_branch .LBB55_195
.LBB55_433:
	s_mov_b32 s24, -1
	s_mov_b32 s42, 0
.LBB55_434:
                                        ; implicit-def: $vgpr4
.LBB55_435:
	s_and_b32 vcc_lo, exec_lo, s43
	s_cbranch_vccz .LBB55_440
; %bb.436:
	s_cmp_eq_u32 s25, 44
	s_cbranch_scc0 .LBB55_439
; %bb.437:
	global_load_u8 v1, v[8:9], off
	s_mov_b32 s24, 0
	s_mov_b32 s42, -1
	s_wait_loadcnt 0x0
	v_lshlrev_b32_e32 v3, 23, v1
	v_cmp_ne_u32_e32 vcc_lo, 0, v1
	s_delay_alu instid0(VALU_DEP_2) | instskip(NEXT) | instid1(VALU_DEP_1)
	v_cvt_i32_f32_e32 v3, v3
	v_cndmask_b32_e32 v4, 0, v3, vcc_lo
	s_branch .LBB55_440
.LBB55_438:
	s_mov_b32 s44, -1
	s_mov_b32 s43, 0
	s_mov_b32 s25, s39
	s_branch .LBB55_549
.LBB55_439:
	s_mov_b32 s24, -1
                                        ; implicit-def: $vgpr4
.LBB55_440:
	s_mov_b32 s43, 0
.LBB55_441:
	s_delay_alu instid0(SALU_CYCLE_1)
	s_and_b32 vcc_lo, exec_lo, s43
	s_cbranch_vccz .LBB55_445
; %bb.442:
	s_cmp_eq_u32 s25, 29
	s_cbranch_scc0 .LBB55_444
; %bb.443:
	global_load_b64 v[4:5], v[8:9], off
	s_mov_b32 s42, -1
	s_mov_b32 s24, 0
	s_branch .LBB55_445
.LBB55_444:
	s_mov_b32 s24, -1
                                        ; implicit-def: $vgpr4
.LBB55_445:
	s_mov_b32 s43, 0
.LBB55_446:
	s_delay_alu instid0(SALU_CYCLE_1)
	s_and_b32 vcc_lo, exec_lo, s43
	s_cbranch_vccz .LBB55_462
; %bb.447:
	s_cmp_lt_i32 s25, 27
	s_cbranch_scc1 .LBB55_450
; %bb.448:
	s_cmp_gt_i32 s25, 27
	s_cbranch_scc0 .LBB55_451
; %bb.449:
	s_wait_loadcnt 0x0
	global_load_b32 v4, v[8:9], off
	s_mov_b32 s42, 0
	s_branch .LBB55_452
.LBB55_450:
	s_mov_b32 s42, -1
                                        ; implicit-def: $vgpr4
	s_branch .LBB55_455
.LBB55_451:
	s_mov_b32 s42, -1
                                        ; implicit-def: $vgpr4
.LBB55_452:
	s_delay_alu instid0(SALU_CYCLE_1)
	s_and_not1_b32 vcc_lo, exec_lo, s42
	s_cbranch_vccnz .LBB55_454
; %bb.453:
	s_wait_loadcnt 0x0
	global_load_u16 v4, v[8:9], off
.LBB55_454:
	s_mov_b32 s42, 0
.LBB55_455:
	s_delay_alu instid0(SALU_CYCLE_1)
	s_and_not1_b32 vcc_lo, exec_lo, s42
	s_cbranch_vccnz .LBB55_461
; %bb.456:
	global_load_u8 v1, v[8:9], off
	s_mov_b32 s43, 0
	s_mov_b32 s42, exec_lo
	s_wait_loadcnt 0x0
	v_cmpx_lt_i16_e32 0x7f, v1
	s_xor_b32 s42, exec_lo, s42
	s_cbranch_execz .LBB55_473
; %bb.457:
	v_cmp_ne_u16_e32 vcc_lo, 0x80, v1
	s_and_b32 s43, vcc_lo, exec_lo
	s_and_not1_saveexec_b32 s42, s42
	s_cbranch_execnz .LBB55_474
.LBB55_458:
	s_or_b32 exec_lo, exec_lo, s42
	v_mov_b32_e32 v4, 0
	s_and_saveexec_b32 s42, s43
	s_cbranch_execz .LBB55_460
.LBB55_459:
	v_and_b32_e32 v3, 0xffff, v1
	s_delay_alu instid0(VALU_DEP_1) | instskip(SKIP_1) | instid1(VALU_DEP_2)
	v_and_b32_e32 v4, 7, v3
	v_bfe_u32 v10, v3, 3, 4
	v_clz_i32_u32_e32 v5, v4
	s_delay_alu instid0(VALU_DEP_2) | instskip(NEXT) | instid1(VALU_DEP_2)
	v_cmp_eq_u32_e32 vcc_lo, 0, v10
	v_min_u32_e32 v5, 32, v5
	s_delay_alu instid0(VALU_DEP_1) | instskip(NEXT) | instid1(VALU_DEP_1)
	v_subrev_nc_u32_e32 v7, 28, v5
	v_dual_lshlrev_b32 v3, v7, v3 :: v_dual_sub_nc_u32 v5, 29, v5
	s_delay_alu instid0(VALU_DEP_1) | instskip(NEXT) | instid1(VALU_DEP_1)
	v_dual_lshlrev_b32 v1, 24, v1 :: v_dual_bitop2_b32 v3, 7, v3 bitop3:0x40
	v_dual_cndmask_b32 v3, v4, v3, vcc_lo :: v_dual_cndmask_b32 v5, v10, v5, vcc_lo
	s_delay_alu instid0(VALU_DEP_2) | instskip(NEXT) | instid1(VALU_DEP_2)
	v_and_b32_e32 v1, 0x80000000, v1
	v_lshlrev_b32_e32 v3, 20, v3
	s_delay_alu instid0(VALU_DEP_3) | instskip(NEXT) | instid1(VALU_DEP_1)
	v_lshl_add_u32 v4, v5, 23, 0x3b800000
	v_or3_b32 v1, v1, v4, v3
	s_delay_alu instid0(VALU_DEP_1)
	v_cvt_i32_f32_e32 v4, v1
.LBB55_460:
	s_or_b32 exec_lo, exec_lo, s42
.LBB55_461:
	s_mov_b32 s42, -1
.LBB55_462:
	s_mov_b32 s43, 0
.LBB55_463:
	s_delay_alu instid0(SALU_CYCLE_1)
	s_and_b32 vcc_lo, exec_lo, s43
	s_cbranch_vccz .LBB55_496
; %bb.464:
	s_cmp_gt_i32 s25, 22
	s_cbranch_scc0 .LBB55_472
; %bb.465:
	s_cmp_lt_i32 s25, 24
	s_cbranch_scc1 .LBB55_475
; %bb.466:
	s_cmp_gt_i32 s25, 24
	s_cbranch_scc0 .LBB55_476
; %bb.467:
	global_load_u8 v1, v[8:9], off
	s_mov_b32 s43, 0
	s_mov_b32 s42, exec_lo
	s_wait_loadcnt 0x0
	v_cmpx_lt_i16_e32 0x7f, v1
	s_xor_b32 s42, exec_lo, s42
	s_cbranch_execz .LBB55_488
; %bb.468:
	v_cmp_ne_u16_e32 vcc_lo, 0x80, v1
	s_and_b32 s43, vcc_lo, exec_lo
	s_and_not1_saveexec_b32 s42, s42
	s_cbranch_execnz .LBB55_489
.LBB55_469:
	s_or_b32 exec_lo, exec_lo, s42
	v_mov_b32_e32 v4, 0
	s_and_saveexec_b32 s42, s43
	s_cbranch_execz .LBB55_471
.LBB55_470:
	v_and_b32_e32 v3, 0xffff, v1
	s_delay_alu instid0(VALU_DEP_1) | instskip(SKIP_1) | instid1(VALU_DEP_2)
	v_and_b32_e32 v4, 3, v3
	v_bfe_u32 v10, v3, 2, 5
	v_clz_i32_u32_e32 v5, v4
	s_delay_alu instid0(VALU_DEP_2) | instskip(NEXT) | instid1(VALU_DEP_2)
	v_cmp_eq_u32_e32 vcc_lo, 0, v10
	v_min_u32_e32 v5, 32, v5
	s_delay_alu instid0(VALU_DEP_1) | instskip(NEXT) | instid1(VALU_DEP_1)
	v_subrev_nc_u32_e32 v7, 29, v5
	v_dual_lshlrev_b32 v3, v7, v3 :: v_dual_sub_nc_u32 v5, 30, v5
	s_delay_alu instid0(VALU_DEP_1) | instskip(NEXT) | instid1(VALU_DEP_1)
	v_dual_lshlrev_b32 v1, 24, v1 :: v_dual_bitop2_b32 v3, 3, v3 bitop3:0x40
	v_dual_cndmask_b32 v3, v4, v3, vcc_lo :: v_dual_cndmask_b32 v5, v10, v5, vcc_lo
	s_delay_alu instid0(VALU_DEP_2) | instskip(NEXT) | instid1(VALU_DEP_2)
	v_and_b32_e32 v1, 0x80000000, v1
	v_lshlrev_b32_e32 v3, 21, v3
	s_delay_alu instid0(VALU_DEP_3) | instskip(NEXT) | instid1(VALU_DEP_1)
	v_lshl_add_u32 v4, v5, 23, 0x37800000
	v_or3_b32 v1, v1, v4, v3
	s_delay_alu instid0(VALU_DEP_1)
	v_cvt_i32_f32_e32 v4, v1
.LBB55_471:
	s_or_b32 exec_lo, exec_lo, s42
	s_mov_b32 s42, 0
	s_branch .LBB55_477
.LBB55_472:
	s_mov_b32 s43, -1
                                        ; implicit-def: $vgpr4
	s_branch .LBB55_483
.LBB55_473:
	s_and_not1_saveexec_b32 s42, s42
	s_cbranch_execz .LBB55_458
.LBB55_474:
	v_cmp_ne_u16_e32 vcc_lo, 0, v1
	s_and_not1_b32 s43, s43, exec_lo
	s_and_b32 s44, vcc_lo, exec_lo
	s_delay_alu instid0(SALU_CYCLE_1)
	s_or_b32 s43, s43, s44
	s_or_b32 exec_lo, exec_lo, s42
	v_mov_b32_e32 v4, 0
	s_and_saveexec_b32 s42, s43
	s_cbranch_execnz .LBB55_459
	s_branch .LBB55_460
.LBB55_475:
	s_mov_b32 s42, -1
                                        ; implicit-def: $vgpr4
	s_branch .LBB55_480
.LBB55_476:
	s_mov_b32 s42, -1
                                        ; implicit-def: $vgpr4
.LBB55_477:
	s_delay_alu instid0(SALU_CYCLE_1)
	s_and_b32 vcc_lo, exec_lo, s42
	s_cbranch_vccz .LBB55_479
; %bb.478:
	global_load_u8 v1, v[8:9], off
	s_wait_loadcnt 0x0
	v_lshlrev_b32_e32 v1, 24, v1
	s_delay_alu instid0(VALU_DEP_1) | instskip(NEXT) | instid1(VALU_DEP_1)
	v_and_b32_e32 v3, 0x7f000000, v1
	v_clz_i32_u32_e32 v4, v3
	v_add_nc_u32_e32 v7, 0x1000000, v3
	v_cmp_ne_u32_e32 vcc_lo, 0, v3
	s_delay_alu instid0(VALU_DEP_3) | instskip(NEXT) | instid1(VALU_DEP_1)
	v_min_u32_e32 v4, 32, v4
	v_sub_nc_u32_e64 v4, v4, 4 clamp
	s_delay_alu instid0(VALU_DEP_1) | instskip(NEXT) | instid1(VALU_DEP_1)
	v_dual_lshlrev_b32 v5, v4, v3 :: v_dual_lshlrev_b32 v4, 23, v4
	v_lshrrev_b32_e32 v5, 4, v5
	s_delay_alu instid0(VALU_DEP_1) | instskip(NEXT) | instid1(VALU_DEP_1)
	v_dual_sub_nc_u32 v4, v5, v4 :: v_dual_ashrrev_i32 v5, 8, v7
	v_add_nc_u32_e32 v4, 0x3c000000, v4
	s_delay_alu instid0(VALU_DEP_1) | instskip(NEXT) | instid1(VALU_DEP_1)
	v_and_or_b32 v4, 0x7f800000, v5, v4
	v_cndmask_b32_e32 v3, 0, v4, vcc_lo
	s_delay_alu instid0(VALU_DEP_1) | instskip(NEXT) | instid1(VALU_DEP_1)
	v_and_or_b32 v1, 0x80000000, v1, v3
	v_cvt_i32_f32_e32 v4, v1
.LBB55_479:
	s_mov_b32 s42, 0
.LBB55_480:
	s_delay_alu instid0(SALU_CYCLE_1)
	s_and_not1_b32 vcc_lo, exec_lo, s42
	s_cbranch_vccnz .LBB55_482
; %bb.481:
	global_load_u8 v1, v[8:9], off
	s_wait_loadcnt 0x0
	v_lshlrev_b32_e32 v3, 25, v1
	v_lshlrev_b16 v1, 8, v1
	s_delay_alu instid0(VALU_DEP_1) | instskip(NEXT) | instid1(VALU_DEP_3)
	v_and_or_b32 v5, 0x7f00, v1, 0.5
	v_lshrrev_b32_e32 v4, 4, v3
	v_bfe_i32 v1, v1, 0, 16
	s_delay_alu instid0(VALU_DEP_3) | instskip(NEXT) | instid1(VALU_DEP_3)
	v_add_f32_e32 v5, -0.5, v5
	v_or_b32_e32 v4, 0x70000000, v4
	s_delay_alu instid0(VALU_DEP_1) | instskip(SKIP_1) | instid1(VALU_DEP_2)
	v_mul_f32_e32 v4, 0x7800000, v4
	v_cmp_gt_u32_e32 vcc_lo, 0x8000000, v3
	v_cndmask_b32_e32 v3, v4, v5, vcc_lo
	s_delay_alu instid0(VALU_DEP_1) | instskip(NEXT) | instid1(VALU_DEP_1)
	v_and_or_b32 v1, 0x80000000, v1, v3
	v_cvt_i32_f32_e32 v4, v1
.LBB55_482:
	s_mov_b32 s43, 0
	s_mov_b32 s42, -1
.LBB55_483:
	s_and_not1_b32 vcc_lo, exec_lo, s43
	s_cbranch_vccnz .LBB55_496
; %bb.484:
	s_cmp_gt_i32 s25, 14
	s_cbranch_scc0 .LBB55_487
; %bb.485:
	s_cmp_eq_u32 s25, 15
	s_cbranch_scc0 .LBB55_490
; %bb.486:
	global_load_u16 v1, v[8:9], off
	s_mov_b32 s42, -1
	s_mov_b32 s24, 0
	s_wait_loadcnt 0x0
	v_lshlrev_b32_e32 v1, 16, v1
	s_delay_alu instid0(VALU_DEP_1)
	v_cvt_i32_f32_e32 v4, v1
	s_branch .LBB55_491
.LBB55_487:
	s_mov_b32 s43, -1
                                        ; implicit-def: $vgpr4
	s_branch .LBB55_492
.LBB55_488:
	s_and_not1_saveexec_b32 s42, s42
	s_cbranch_execz .LBB55_469
.LBB55_489:
	v_cmp_ne_u16_e32 vcc_lo, 0, v1
	s_and_not1_b32 s43, s43, exec_lo
	s_and_b32 s44, vcc_lo, exec_lo
	s_delay_alu instid0(SALU_CYCLE_1)
	s_or_b32 s43, s43, s44
	s_or_b32 exec_lo, exec_lo, s42
	v_mov_b32_e32 v4, 0
	s_and_saveexec_b32 s42, s43
	s_cbranch_execnz .LBB55_470
	s_branch .LBB55_471
.LBB55_490:
	s_mov_b32 s24, -1
                                        ; implicit-def: $vgpr4
.LBB55_491:
	s_mov_b32 s43, 0
.LBB55_492:
	s_delay_alu instid0(SALU_CYCLE_1)
	s_and_b32 vcc_lo, exec_lo, s43
	s_cbranch_vccz .LBB55_496
; %bb.493:
	s_cmp_eq_u32 s25, 11
	s_cbranch_scc0 .LBB55_495
; %bb.494:
	global_load_u8 v1, v[8:9], off
	s_mov_b32 s24, 0
	s_mov_b32 s42, -1
	s_wait_loadcnt 0x0
	v_cmp_ne_u16_e32 vcc_lo, 0, v1
	v_cndmask_b32_e64 v4, 0, 1, vcc_lo
	s_branch .LBB55_496
.LBB55_495:
	s_mov_b32 s24, -1
                                        ; implicit-def: $vgpr4
.LBB55_496:
	s_branch .LBB55_415
.LBB55_497:
	s_and_b32 s0, 0xffff, s0
	s_delay_alu instid0(SALU_CYCLE_1)
	s_cmp_lt_i32 s0, 5
	s_cbranch_scc1 .LBB55_502
; %bb.498:
	s_cmp_lt_i32 s0, 8
	s_cbranch_scc1 .LBB55_503
; %bb.499:
	s_cmp_lt_i32 s0, 9
	s_cbranch_scc1 .LBB55_504
; %bb.500:
	s_cmp_gt_i32 s0, 9
	s_cbranch_scc0 .LBB55_505
; %bb.501:
	s_wait_loadcnt 0x0
	global_load_b64 v[4:5], v[8:9], off
	s_mov_b32 s25, 0
	s_wait_loadcnt 0x0
	v_cvt_i32_f64_e32 v4, v[4:5]
	s_branch .LBB55_506
.LBB55_502:
	s_mov_b32 s25, -1
                                        ; implicit-def: $vgpr4
	s_branch .LBB55_524
.LBB55_503:
	s_mov_b32 s25, -1
                                        ; implicit-def: $vgpr4
	s_branch .LBB55_512
.LBB55_504:
	s_mov_b32 s25, -1
                                        ; implicit-def: $vgpr4
	s_branch .LBB55_509
.LBB55_505:
	s_mov_b32 s25, -1
                                        ; implicit-def: $vgpr4
.LBB55_506:
	s_delay_alu instid0(SALU_CYCLE_1)
	s_and_not1_b32 vcc_lo, exec_lo, s25
	s_cbranch_vccnz .LBB55_508
; %bb.507:
	global_load_b32 v1, v[8:9], off
	s_wait_loadcnt 0x0
	v_cvt_i32_f32_e32 v4, v1
.LBB55_508:
	s_mov_b32 s25, 0
.LBB55_509:
	s_delay_alu instid0(SALU_CYCLE_1)
	s_and_not1_b32 vcc_lo, exec_lo, s25
	s_cbranch_vccnz .LBB55_511
; %bb.510:
	global_load_b32 v1, v[8:9], off
	s_wait_loadcnt 0x0
	v_cvt_i16_f16_e32 v4, v1
.LBB55_511:
	s_mov_b32 s25, 0
.LBB55_512:
	s_delay_alu instid0(SALU_CYCLE_1)
	s_and_not1_b32 vcc_lo, exec_lo, s25
	s_cbranch_vccnz .LBB55_523
; %bb.513:
	s_cmp_lt_i32 s0, 6
	s_cbranch_scc1 .LBB55_516
; %bb.514:
	s_cmp_gt_i32 s0, 6
	s_cbranch_scc0 .LBB55_517
; %bb.515:
	s_wait_loadcnt 0x0
	global_load_b64 v[4:5], v[8:9], off
	s_mov_b32 s25, 0
	s_wait_loadcnt 0x0
	v_cvt_i32_f64_e32 v4, v[4:5]
	s_branch .LBB55_518
.LBB55_516:
	s_mov_b32 s25, -1
                                        ; implicit-def: $vgpr4
	s_branch .LBB55_521
.LBB55_517:
	s_mov_b32 s25, -1
                                        ; implicit-def: $vgpr4
.LBB55_518:
	s_delay_alu instid0(SALU_CYCLE_1)
	s_and_not1_b32 vcc_lo, exec_lo, s25
	s_cbranch_vccnz .LBB55_520
; %bb.519:
	global_load_b32 v1, v[8:9], off
	s_wait_loadcnt 0x0
	v_cvt_i32_f32_e32 v4, v1
.LBB55_520:
	s_mov_b32 s25, 0
.LBB55_521:
	s_delay_alu instid0(SALU_CYCLE_1)
	s_and_not1_b32 vcc_lo, exec_lo, s25
	s_cbranch_vccnz .LBB55_523
; %bb.522:
	global_load_u16 v1, v[8:9], off
	s_wait_loadcnt 0x0
	v_cvt_i16_f16_e32 v4, v1
.LBB55_523:
	s_mov_b32 s25, 0
.LBB55_524:
	s_delay_alu instid0(SALU_CYCLE_1)
	s_and_not1_b32 vcc_lo, exec_lo, s25
	s_cbranch_vccnz .LBB55_544
; %bb.525:
	s_cmp_lt_i32 s0, 2
	s_cbranch_scc1 .LBB55_529
; %bb.526:
	s_cmp_lt_i32 s0, 3
	s_cbranch_scc1 .LBB55_530
; %bb.527:
	s_cmp_gt_i32 s0, 3
	s_cbranch_scc0 .LBB55_531
; %bb.528:
	s_wait_loadcnt 0x0
	global_load_b64 v[4:5], v[8:9], off
	s_mov_b32 s25, 0
	s_branch .LBB55_532
.LBB55_529:
	s_mov_b32 s25, -1
                                        ; implicit-def: $vgpr4
	s_branch .LBB55_538
.LBB55_530:
	s_mov_b32 s25, -1
                                        ; implicit-def: $vgpr4
	s_branch .LBB55_535
.LBB55_531:
	s_mov_b32 s25, -1
                                        ; implicit-def: $vgpr4
.LBB55_532:
	s_delay_alu instid0(SALU_CYCLE_1)
	s_and_not1_b32 vcc_lo, exec_lo, s25
	s_cbranch_vccnz .LBB55_534
; %bb.533:
	s_wait_loadcnt 0x0
	global_load_b32 v4, v[8:9], off
.LBB55_534:
	s_mov_b32 s25, 0
.LBB55_535:
	s_delay_alu instid0(SALU_CYCLE_1)
	s_and_not1_b32 vcc_lo, exec_lo, s25
	s_cbranch_vccnz .LBB55_537
; %bb.536:
	s_wait_loadcnt 0x0
	global_load_u16 v4, v[8:9], off
.LBB55_537:
	s_mov_b32 s25, 0
.LBB55_538:
	s_delay_alu instid0(SALU_CYCLE_1)
	s_and_not1_b32 vcc_lo, exec_lo, s25
	s_cbranch_vccnz .LBB55_544
; %bb.539:
	s_cmp_gt_i32 s0, 0
	s_mov_b32 s0, 0
	s_cbranch_scc0 .LBB55_541
; %bb.540:
	s_wait_loadcnt 0x0
	global_load_u8 v4, v[8:9], off
	s_branch .LBB55_542
.LBB55_541:
	s_mov_b32 s0, -1
                                        ; implicit-def: $vgpr4
.LBB55_542:
	s_delay_alu instid0(SALU_CYCLE_1)
	s_and_not1_b32 vcc_lo, exec_lo, s0
	s_cbranch_vccnz .LBB55_544
; %bb.543:
	s_wait_loadcnt 0x0
	global_load_u8 v4, v[8:9], off
.LBB55_544:
	s_branch .LBB55_416
.LBB55_545:
	s_mov_b32 s46, 0
	s_mov_b32 s0, s38
	;; [unrolled: 1-line block ×3, first 2 shown]
	s_branch .LBB55_791
.LBB55_546:
	s_and_not1_saveexec_b32 s43, s43
	s_cbranch_execz .LBB55_206
.LBB55_547:
	v_add_f32_e64 v5, 0x42800000, |v4|
	s_and_not1_b32 s42, s42, exec_lo
	s_delay_alu instid0(VALU_DEP_1) | instskip(NEXT) | instid1(VALU_DEP_1)
	v_and_b32_e32 v5, 0xff, v5
	v_cmp_ne_u32_e32 vcc_lo, 0, v5
	s_and_b32 s44, vcc_lo, exec_lo
	s_delay_alu instid0(SALU_CYCLE_1)
	s_or_b32 s42, s42, s44
	s_or_b32 exec_lo, exec_lo, s43
	v_mov_b32_e32 v6, 0
	s_and_saveexec_b32 s43, s42
	s_cbranch_execnz .LBB55_207
	s_branch .LBB55_208
.LBB55_548:
	s_mov_b32 s25, -1
	s_mov_b32 s43, 0
.LBB55_549:
                                        ; implicit-def: $vgpr8
.LBB55_550:
	s_and_b32 vcc_lo, exec_lo, s44
	s_cbranch_vccz .LBB55_554
; %bb.551:
	s_cmp_eq_u32 s42, 44
	s_cbranch_scc0 .LBB55_553
; %bb.552:
	global_load_u8 v1, v[6:7], off
	s_mov_b32 s25, 0
	s_mov_b32 s43, -1
	s_wait_loadcnt 0x0
	v_lshlrev_b32_e32 v3, 23, v1
	v_cmp_ne_u32_e32 vcc_lo, 0, v1
	s_delay_alu instid0(VALU_DEP_2) | instskip(SKIP_1) | instid1(VALU_DEP_1)
	v_cvt_i32_f32_e32 v3, v3
	s_wait_xcnt 0x1
	v_cndmask_b32_e32 v8, 0, v3, vcc_lo
	s_branch .LBB55_554
.LBB55_553:
	s_mov_b32 s25, -1
                                        ; implicit-def: $vgpr8
.LBB55_554:
	s_mov_b32 s44, 0
.LBB55_555:
	s_delay_alu instid0(SALU_CYCLE_1)
	s_and_b32 vcc_lo, exec_lo, s44
	s_cbranch_vccz .LBB55_559
; %bb.556:
	s_cmp_eq_u32 s42, 29
	s_cbranch_scc0 .LBB55_558
; %bb.557:
	global_load_b64 v[8:9], v[6:7], off
	s_mov_b32 s43, -1
	s_mov_b32 s25, 0
	s_branch .LBB55_559
.LBB55_558:
	s_mov_b32 s25, -1
                                        ; implicit-def: $vgpr8
.LBB55_559:
	s_mov_b32 s44, 0
.LBB55_560:
	s_delay_alu instid0(SALU_CYCLE_1)
	s_and_b32 vcc_lo, exec_lo, s44
	s_cbranch_vccz .LBB55_576
; %bb.561:
	s_cmp_lt_i32 s42, 27
	s_cbranch_scc1 .LBB55_564
; %bb.562:
	s_cmp_gt_i32 s42, 27
	s_cbranch_scc0 .LBB55_565
; %bb.563:
	s_wait_loadcnt 0x0
	global_load_b32 v8, v[6:7], off
	s_mov_b32 s43, 0
	s_branch .LBB55_566
.LBB55_564:
	s_mov_b32 s43, -1
                                        ; implicit-def: $vgpr8
	s_branch .LBB55_569
.LBB55_565:
	s_mov_b32 s43, -1
                                        ; implicit-def: $vgpr8
.LBB55_566:
	s_delay_alu instid0(SALU_CYCLE_1)
	s_and_not1_b32 vcc_lo, exec_lo, s43
	s_cbranch_vccnz .LBB55_568
; %bb.567:
	s_wait_loadcnt 0x0
	global_load_u16 v8, v[6:7], off
.LBB55_568:
	s_mov_b32 s43, 0
.LBB55_569:
	s_delay_alu instid0(SALU_CYCLE_1)
	s_and_not1_b32 vcc_lo, exec_lo, s43
	s_cbranch_vccnz .LBB55_575
; %bb.570:
	global_load_u8 v1, v[6:7], off
	s_mov_b32 s44, 0
	s_mov_b32 s43, exec_lo
	s_wait_loadcnt 0x0
	v_cmpx_lt_i16_e32 0x7f, v1
	s_xor_b32 s43, exec_lo, s43
	s_cbranch_execz .LBB55_587
; %bb.571:
	v_cmp_ne_u16_e32 vcc_lo, 0x80, v1
	s_and_b32 s44, vcc_lo, exec_lo
	s_and_not1_saveexec_b32 s43, s43
	s_cbranch_execnz .LBB55_588
.LBB55_572:
	s_or_b32 exec_lo, exec_lo, s43
	v_mov_b32_e32 v8, 0
	s_and_saveexec_b32 s43, s44
	s_cbranch_execz .LBB55_574
.LBB55_573:
	v_and_b32_e32 v3, 0xffff, v1
	s_delay_alu instid0(VALU_DEP_1) | instskip(SKIP_1) | instid1(VALU_DEP_2)
	v_and_b32_e32 v5, 7, v3
	v_bfe_u32 v10, v3, 3, 4
	v_clz_i32_u32_e32 v8, v5
	s_delay_alu instid0(VALU_DEP_2) | instskip(NEXT) | instid1(VALU_DEP_2)
	v_cmp_eq_u32_e32 vcc_lo, 0, v10
	v_min_u32_e32 v8, 32, v8
	s_delay_alu instid0(VALU_DEP_1) | instskip(NEXT) | instid1(VALU_DEP_1)
	v_subrev_nc_u32_e32 v9, 28, v8
	v_dual_lshlrev_b32 v3, v9, v3 :: v_dual_sub_nc_u32 v8, 29, v8
	s_delay_alu instid0(VALU_DEP_1) | instskip(NEXT) | instid1(VALU_DEP_1)
	v_dual_lshlrev_b32 v1, 24, v1 :: v_dual_bitop2_b32 v3, 7, v3 bitop3:0x40
	v_dual_cndmask_b32 v8, v10, v8 :: v_dual_cndmask_b32 v3, v5, v3
	s_delay_alu instid0(VALU_DEP_2) | instskip(NEXT) | instid1(VALU_DEP_2)
	v_and_b32_e32 v1, 0x80000000, v1
	v_lshl_add_u32 v5, v8, 23, 0x3b800000
	s_delay_alu instid0(VALU_DEP_3) | instskip(NEXT) | instid1(VALU_DEP_1)
	v_lshlrev_b32_e32 v3, 20, v3
	v_or3_b32 v1, v1, v5, v3
	s_delay_alu instid0(VALU_DEP_1)
	v_cvt_i32_f32_e32 v8, v1
.LBB55_574:
	s_or_b32 exec_lo, exec_lo, s43
.LBB55_575:
	s_mov_b32 s43, -1
.LBB55_576:
	s_mov_b32 s44, 0
.LBB55_577:
	s_delay_alu instid0(SALU_CYCLE_1)
	s_and_b32 vcc_lo, exec_lo, s44
	s_cbranch_vccz .LBB55_610
; %bb.578:
	s_cmp_gt_i32 s42, 22
	s_cbranch_scc0 .LBB55_586
; %bb.579:
	s_cmp_lt_i32 s42, 24
	s_cbranch_scc1 .LBB55_589
; %bb.580:
	s_cmp_gt_i32 s42, 24
	s_cbranch_scc0 .LBB55_590
; %bb.581:
	global_load_u8 v1, v[6:7], off
	s_mov_b32 s44, 0
	s_mov_b32 s43, exec_lo
	s_wait_loadcnt 0x0
	v_cmpx_lt_i16_e32 0x7f, v1
	s_xor_b32 s43, exec_lo, s43
	s_cbranch_execz .LBB55_602
; %bb.582:
	v_cmp_ne_u16_e32 vcc_lo, 0x80, v1
	s_and_b32 s44, vcc_lo, exec_lo
	s_and_not1_saveexec_b32 s43, s43
	s_cbranch_execnz .LBB55_603
.LBB55_583:
	s_or_b32 exec_lo, exec_lo, s43
	v_mov_b32_e32 v8, 0
	s_and_saveexec_b32 s43, s44
	s_cbranch_execz .LBB55_585
.LBB55_584:
	v_and_b32_e32 v3, 0xffff, v1
	s_delay_alu instid0(VALU_DEP_1) | instskip(SKIP_1) | instid1(VALU_DEP_2)
	v_and_b32_e32 v5, 3, v3
	v_bfe_u32 v10, v3, 2, 5
	v_clz_i32_u32_e32 v8, v5
	s_delay_alu instid0(VALU_DEP_2) | instskip(NEXT) | instid1(VALU_DEP_2)
	v_cmp_eq_u32_e32 vcc_lo, 0, v10
	v_min_u32_e32 v8, 32, v8
	s_delay_alu instid0(VALU_DEP_1) | instskip(NEXT) | instid1(VALU_DEP_1)
	v_subrev_nc_u32_e32 v9, 29, v8
	v_dual_lshlrev_b32 v3, v9, v3 :: v_dual_sub_nc_u32 v8, 30, v8
	s_delay_alu instid0(VALU_DEP_1) | instskip(NEXT) | instid1(VALU_DEP_1)
	v_dual_lshlrev_b32 v1, 24, v1 :: v_dual_bitop2_b32 v3, 3, v3 bitop3:0x40
	v_dual_cndmask_b32 v8, v10, v8 :: v_dual_cndmask_b32 v3, v5, v3
	s_delay_alu instid0(VALU_DEP_2) | instskip(NEXT) | instid1(VALU_DEP_2)
	v_and_b32_e32 v1, 0x80000000, v1
	v_lshl_add_u32 v5, v8, 23, 0x37800000
	s_delay_alu instid0(VALU_DEP_3) | instskip(NEXT) | instid1(VALU_DEP_1)
	v_lshlrev_b32_e32 v3, 21, v3
	v_or3_b32 v1, v1, v5, v3
	s_delay_alu instid0(VALU_DEP_1)
	v_cvt_i32_f32_e32 v8, v1
.LBB55_585:
	s_or_b32 exec_lo, exec_lo, s43
	s_mov_b32 s43, 0
	s_branch .LBB55_591
.LBB55_586:
	s_mov_b32 s44, -1
                                        ; implicit-def: $vgpr8
	s_branch .LBB55_597
.LBB55_587:
	s_and_not1_saveexec_b32 s43, s43
	s_cbranch_execz .LBB55_572
.LBB55_588:
	v_cmp_ne_u16_e32 vcc_lo, 0, v1
	s_and_not1_b32 s44, s44, exec_lo
	s_and_b32 s46, vcc_lo, exec_lo
	s_delay_alu instid0(SALU_CYCLE_1)
	s_or_b32 s44, s44, s46
	s_or_b32 exec_lo, exec_lo, s43
	v_mov_b32_e32 v8, 0
	s_and_saveexec_b32 s43, s44
	s_cbranch_execnz .LBB55_573
	s_branch .LBB55_574
.LBB55_589:
	s_mov_b32 s43, -1
                                        ; implicit-def: $vgpr8
	s_branch .LBB55_594
.LBB55_590:
	s_mov_b32 s43, -1
                                        ; implicit-def: $vgpr8
.LBB55_591:
	s_delay_alu instid0(SALU_CYCLE_1)
	s_and_b32 vcc_lo, exec_lo, s43
	s_cbranch_vccz .LBB55_593
; %bb.592:
	global_load_u8 v1, v[6:7], off
	s_wait_loadcnt 0x0
	v_lshlrev_b32_e32 v1, 24, v1
	s_delay_alu instid0(VALU_DEP_1) | instskip(NEXT) | instid1(VALU_DEP_1)
	v_and_b32_e32 v3, 0x7f000000, v1
	v_clz_i32_u32_e32 v5, v3
	s_wait_xcnt 0x1
	v_add_nc_u32_e32 v9, 0x1000000, v3
	v_cmp_ne_u32_e32 vcc_lo, 0, v3
	s_delay_alu instid0(VALU_DEP_3) | instskip(NEXT) | instid1(VALU_DEP_1)
	v_min_u32_e32 v5, 32, v5
	v_sub_nc_u32_e64 v5, v5, 4 clamp
	s_delay_alu instid0(VALU_DEP_1) | instskip(NEXT) | instid1(VALU_DEP_1)
	v_dual_lshlrev_b32 v8, v5, v3 :: v_dual_lshlrev_b32 v5, 23, v5
	v_lshrrev_b32_e32 v8, 4, v8
	s_delay_alu instid0(VALU_DEP_1) | instskip(SKIP_1) | instid1(VALU_DEP_2)
	v_sub_nc_u32_e32 v5, v8, v5
	v_ashrrev_i32_e32 v8, 8, v9
	v_add_nc_u32_e32 v5, 0x3c000000, v5
	s_delay_alu instid0(VALU_DEP_1) | instskip(NEXT) | instid1(VALU_DEP_1)
	v_and_or_b32 v5, 0x7f800000, v8, v5
	v_cndmask_b32_e32 v3, 0, v5, vcc_lo
	s_delay_alu instid0(VALU_DEP_1) | instskip(NEXT) | instid1(VALU_DEP_1)
	v_and_or_b32 v1, 0x80000000, v1, v3
	v_cvt_i32_f32_e32 v8, v1
.LBB55_593:
	s_mov_b32 s43, 0
.LBB55_594:
	s_delay_alu instid0(SALU_CYCLE_1)
	s_and_not1_b32 vcc_lo, exec_lo, s43
	s_cbranch_vccnz .LBB55_596
; %bb.595:
	global_load_u8 v1, v[6:7], off
	s_wait_loadcnt 0x0
	v_lshlrev_b32_e32 v3, 25, v1
	v_lshlrev_b16 v1, 8, v1
	s_wait_xcnt 0x1
	s_delay_alu instid0(VALU_DEP_1) | instskip(SKIP_1) | instid1(VALU_DEP_2)
	v_and_or_b32 v8, 0x7f00, v1, 0.5
	v_bfe_i32 v1, v1, 0, 16
	v_dual_add_f32 v8, -0.5, v8 :: v_dual_lshrrev_b32 v5, 4, v3
	v_cmp_gt_u32_e32 vcc_lo, 0x8000000, v3
	s_delay_alu instid0(VALU_DEP_2) | instskip(NEXT) | instid1(VALU_DEP_1)
	v_or_b32_e32 v5, 0x70000000, v5
	v_mul_f32_e32 v5, 0x7800000, v5
	s_delay_alu instid0(VALU_DEP_1) | instskip(NEXT) | instid1(VALU_DEP_1)
	v_cndmask_b32_e32 v3, v5, v8, vcc_lo
	v_and_or_b32 v1, 0x80000000, v1, v3
	s_delay_alu instid0(VALU_DEP_1)
	v_cvt_i32_f32_e32 v8, v1
.LBB55_596:
	s_mov_b32 s44, 0
	s_mov_b32 s43, -1
.LBB55_597:
	s_and_not1_b32 vcc_lo, exec_lo, s44
	s_cbranch_vccnz .LBB55_610
; %bb.598:
	s_cmp_gt_i32 s42, 14
	s_cbranch_scc0 .LBB55_601
; %bb.599:
	s_cmp_eq_u32 s42, 15
	s_cbranch_scc0 .LBB55_604
; %bb.600:
	global_load_u16 v1, v[6:7], off
	s_mov_b32 s43, -1
	s_mov_b32 s25, 0
	s_wait_loadcnt 0x0
	v_lshlrev_b32_e32 v1, 16, v1
	s_wait_xcnt 0x1
	s_delay_alu instid0(VALU_DEP_1)
	v_cvt_i32_f32_e32 v8, v1
	s_branch .LBB55_605
.LBB55_601:
	s_mov_b32 s44, -1
                                        ; implicit-def: $vgpr8
	s_branch .LBB55_606
.LBB55_602:
	s_and_not1_saveexec_b32 s43, s43
	s_cbranch_execz .LBB55_583
.LBB55_603:
	v_cmp_ne_u16_e32 vcc_lo, 0, v1
	s_and_not1_b32 s44, s44, exec_lo
	s_and_b32 s46, vcc_lo, exec_lo
	s_delay_alu instid0(SALU_CYCLE_1)
	s_or_b32 s44, s44, s46
	s_or_b32 exec_lo, exec_lo, s43
	v_mov_b32_e32 v8, 0
	s_and_saveexec_b32 s43, s44
	s_cbranch_execnz .LBB55_584
	s_branch .LBB55_585
.LBB55_604:
	s_mov_b32 s25, -1
                                        ; implicit-def: $vgpr8
.LBB55_605:
	s_mov_b32 s44, 0
.LBB55_606:
	s_delay_alu instid0(SALU_CYCLE_1)
	s_and_b32 vcc_lo, exec_lo, s44
	s_cbranch_vccz .LBB55_610
; %bb.607:
	s_cmp_eq_u32 s42, 11
	s_cbranch_scc0 .LBB55_609
; %bb.608:
	global_load_u8 v1, v[6:7], off
	s_mov_b32 s25, 0
	s_mov_b32 s43, -1
	s_wait_loadcnt 0x0
	v_cmp_ne_u16_e32 vcc_lo, 0, v1
	s_wait_xcnt 0x1
	v_cndmask_b32_e64 v8, 0, 1, vcc_lo
	s_branch .LBB55_610
.LBB55_609:
	s_mov_b32 s25, -1
                                        ; implicit-def: $vgpr8
.LBB55_610:
	s_mov_b32 s42, 0
.LBB55_611:
	s_delay_alu instid0(SALU_CYCLE_1)
	s_and_b32 vcc_lo, exec_lo, s42
	s_cbranch_vccz .LBB55_660
; %bb.612:
	s_and_b32 s0, 0xffff, s0
	s_delay_alu instid0(SALU_CYCLE_1)
	s_cmp_lt_i32 s0, 5
	s_cbranch_scc1 .LBB55_617
; %bb.613:
	s_cmp_lt_i32 s0, 8
	s_cbranch_scc1 .LBB55_618
; %bb.614:
	;; [unrolled: 3-line block ×3, first 2 shown]
	s_cmp_gt_i32 s0, 9
	s_cbranch_scc0 .LBB55_620
; %bb.616:
	s_wait_loadcnt 0x0
	global_load_b64 v[8:9], v[6:7], off
	s_mov_b32 s42, 0
	s_wait_loadcnt 0x0
	v_cvt_i32_f64_e32 v8, v[8:9]
	s_branch .LBB55_621
.LBB55_617:
	s_mov_b32 s42, -1
                                        ; implicit-def: $vgpr8
	s_branch .LBB55_639
.LBB55_618:
	s_mov_b32 s42, -1
                                        ; implicit-def: $vgpr8
	s_branch .LBB55_627
.LBB55_619:
	s_mov_b32 s42, -1
                                        ; implicit-def: $vgpr8
	s_branch .LBB55_624
.LBB55_620:
	s_mov_b32 s42, -1
                                        ; implicit-def: $vgpr8
.LBB55_621:
	s_delay_alu instid0(SALU_CYCLE_1)
	s_and_not1_b32 vcc_lo, exec_lo, s42
	s_cbranch_vccnz .LBB55_623
; %bb.622:
	global_load_b32 v1, v[6:7], off
	s_wait_loadcnt 0x0
	s_wait_xcnt 0x1
	v_cvt_i32_f32_e32 v8, v1
.LBB55_623:
	s_mov_b32 s42, 0
.LBB55_624:
	s_delay_alu instid0(SALU_CYCLE_1)
	s_and_not1_b32 vcc_lo, exec_lo, s42
	s_cbranch_vccnz .LBB55_626
; %bb.625:
	global_load_b32 v1, v[6:7], off
	s_wait_loadcnt 0x0
	s_wait_xcnt 0x1
	v_cvt_i16_f16_e32 v8, v1
.LBB55_626:
	s_mov_b32 s42, 0
.LBB55_627:
	s_delay_alu instid0(SALU_CYCLE_1)
	s_and_not1_b32 vcc_lo, exec_lo, s42
	s_cbranch_vccnz .LBB55_638
; %bb.628:
	s_cmp_lt_i32 s0, 6
	s_cbranch_scc1 .LBB55_631
; %bb.629:
	s_cmp_gt_i32 s0, 6
	s_cbranch_scc0 .LBB55_632
; %bb.630:
	s_wait_loadcnt 0x0
	global_load_b64 v[8:9], v[6:7], off
	s_mov_b32 s42, 0
	s_wait_loadcnt 0x0
	v_cvt_i32_f64_e32 v8, v[8:9]
	s_branch .LBB55_633
.LBB55_631:
	s_mov_b32 s42, -1
                                        ; implicit-def: $vgpr8
	s_branch .LBB55_636
.LBB55_632:
	s_mov_b32 s42, -1
                                        ; implicit-def: $vgpr8
.LBB55_633:
	s_delay_alu instid0(SALU_CYCLE_1)
	s_and_not1_b32 vcc_lo, exec_lo, s42
	s_cbranch_vccnz .LBB55_635
; %bb.634:
	global_load_b32 v1, v[6:7], off
	s_wait_loadcnt 0x0
	s_wait_xcnt 0x1
	v_cvt_i32_f32_e32 v8, v1
.LBB55_635:
	s_mov_b32 s42, 0
.LBB55_636:
	s_delay_alu instid0(SALU_CYCLE_1)
	s_and_not1_b32 vcc_lo, exec_lo, s42
	s_cbranch_vccnz .LBB55_638
; %bb.637:
	global_load_u16 v1, v[6:7], off
	s_wait_loadcnt 0x0
	s_wait_xcnt 0x1
	v_cvt_i16_f16_e32 v8, v1
.LBB55_638:
	s_mov_b32 s42, 0
.LBB55_639:
	s_delay_alu instid0(SALU_CYCLE_1)
	s_and_not1_b32 vcc_lo, exec_lo, s42
	s_cbranch_vccnz .LBB55_659
; %bb.640:
	s_cmp_lt_i32 s0, 2
	s_cbranch_scc1 .LBB55_644
; %bb.641:
	s_cmp_lt_i32 s0, 3
	s_cbranch_scc1 .LBB55_645
; %bb.642:
	s_cmp_gt_i32 s0, 3
	s_cbranch_scc0 .LBB55_646
; %bb.643:
	s_wait_loadcnt 0x0
	global_load_b64 v[8:9], v[6:7], off
	s_mov_b32 s42, 0
	s_branch .LBB55_647
.LBB55_644:
	s_mov_b32 s42, -1
                                        ; implicit-def: $vgpr8
	s_branch .LBB55_653
.LBB55_645:
	s_mov_b32 s42, -1
                                        ; implicit-def: $vgpr8
	s_branch .LBB55_650
.LBB55_646:
	s_mov_b32 s42, -1
                                        ; implicit-def: $vgpr8
.LBB55_647:
	s_delay_alu instid0(SALU_CYCLE_1)
	s_and_not1_b32 vcc_lo, exec_lo, s42
	s_cbranch_vccnz .LBB55_649
; %bb.648:
	s_wait_loadcnt 0x0
	global_load_b32 v8, v[6:7], off
.LBB55_649:
	s_mov_b32 s42, 0
.LBB55_650:
	s_delay_alu instid0(SALU_CYCLE_1)
	s_and_not1_b32 vcc_lo, exec_lo, s42
	s_cbranch_vccnz .LBB55_652
; %bb.651:
	s_wait_loadcnt 0x0
	global_load_u16 v8, v[6:7], off
.LBB55_652:
	s_mov_b32 s42, 0
.LBB55_653:
	s_delay_alu instid0(SALU_CYCLE_1)
	s_and_not1_b32 vcc_lo, exec_lo, s42
	s_cbranch_vccnz .LBB55_659
; %bb.654:
	s_cmp_gt_i32 s0, 0
	s_mov_b32 s0, 0
	s_cbranch_scc0 .LBB55_656
; %bb.655:
	s_wait_loadcnt 0x0
	global_load_u8 v8, v[6:7], off
	s_branch .LBB55_657
.LBB55_656:
	s_mov_b32 s0, -1
                                        ; implicit-def: $vgpr8
.LBB55_657:
	s_delay_alu instid0(SALU_CYCLE_1)
	s_and_not1_b32 vcc_lo, exec_lo, s0
	s_cbranch_vccnz .LBB55_659
; %bb.658:
	s_wait_loadcnt 0x0
	global_load_u8 v8, v[6:7], off
.LBB55_659:
	s_mov_b32 s43, -1
.LBB55_660:
	s_delay_alu instid0(SALU_CYCLE_1)
	s_and_not1_b32 vcc_lo, exec_lo, s43
	s_cbranch_vccnz .LBB55_674
; %bb.661:
	s_wait_loadcnt 0x0
	s_delay_alu instid0(VALU_DEP_1) | instskip(NEXT) | instid1(VALU_DEP_4)
	v_bfe_i32 v3, v8, 0, 8
	v_and_b32_e32 v1, 0xff, v4
	v_bfe_i32 v4, v4, 0, 8
	s_mov_b32 s42, 0
	s_mov_b32 s0, exec_lo
	v_sub_nc_u16 v5, 0, v3
	s_delay_alu instid0(VALU_DEP_1)
	v_max_i16 v5, v3, v5
	s_wait_xcnt 0x0
	v_cmpx_ne_u16_e32 0, v1
	s_cbranch_execz .LBB55_665
; %bb.662:
	v_sub_nc_u16 v1, 0, v4
	s_delay_alu instid0(VALU_DEP_1) | instskip(SKIP_1) | instid1(VALU_DEP_2)
	v_max_i16 v6, v4, v1
	v_and_b32_e32 v1, 0xff, v5
	v_and_b32_e32 v6, 0xffff, v6
.LBB55_663:                             ; =>This Inner Loop Header: Depth=1
	s_delay_alu instid0(VALU_DEP_2) | instskip(NEXT) | instid1(VALU_DEP_2)
	v_bfe_i32 v8, v1, 0, 8
	v_mov_b32_e32 v5, v6
	s_delay_alu instid0(VALU_DEP_2) | instskip(NEXT) | instid1(VALU_DEP_2)
	v_cvt_f32_i32_e32 v10, v8
	v_bfe_i32 v6, v5, 0, 8
	s_delay_alu instid0(VALU_DEP_1) | instskip(SKIP_1) | instid1(VALU_DEP_2)
	v_cvt_f32_i32_e32 v7, v6
	v_xor_b32_e32 v6, v8, v6
	v_rcp_iflag_f32_e32 v9, v7
	v_nop
	s_delay_alu instid0(TRANS32_DEP_1) | instskip(NEXT) | instid1(VALU_DEP_1)
	v_dual_ashrrev_i32 v6, 30, v6 :: v_dual_mul_f32 v8, v10, v9
	v_trunc_f32_e32 v8, v8
	s_delay_alu instid0(VALU_DEP_1) | instskip(SKIP_1) | instid1(VALU_DEP_2)
	v_dual_fma_f32 v9, -v8, v7, v10 :: v_dual_bitop2_b32 v6, 1, v6 bitop3:0x54
	v_cvt_i32_f32_e32 v8, v8
	v_cmp_ge_f32_e64 vcc_lo, |v9|, |v7|
	s_delay_alu instid0(VALU_DEP_3) | instskip(NEXT) | instid1(VALU_DEP_1)
	v_cndmask_b32_e32 v6, 0, v6, vcc_lo
	v_add_nc_u32_e32 v6, v8, v6
	s_delay_alu instid0(VALU_DEP_1) | instskip(NEXT) | instid1(VALU_DEP_1)
	v_mul_lo_u32 v6, v6, v5
	v_sub_nc_u32_e32 v1, v1, v6
	s_delay_alu instid0(VALU_DEP_1) | instskip(SKIP_1) | instid1(VALU_DEP_2)
	v_bfe_i32 v6, v1, 0, 8
	v_mov_b32_e32 v1, v5
	v_cmp_eq_u16_e32 vcc_lo, 0, v6
	v_and_b32_e32 v6, 0xffff, v6
	s_or_b32 s42, vcc_lo, s42
	s_delay_alu instid0(SALU_CYCLE_1)
	s_and_not1_b32 exec_lo, exec_lo, s42
	s_cbranch_execnz .LBB55_663
; %bb.664:
	s_or_b32 exec_lo, exec_lo, s42
.LBB55_665:
	s_delay_alu instid0(SALU_CYCLE_1) | instskip(SKIP_3) | instid1(VALU_DEP_2)
	s_or_b32 exec_lo, exec_lo, s0
	v_and_b32_e32 v6, 0xff, v5
	v_mov_b32_e32 v1, 0
	s_mov_b32 s0, exec_lo
	v_cmpx_ne_u16_e32 0, v6
	s_cbranch_execz .LBB55_667
; %bb.666:
	v_bfe_i32 v1, v5, 0, 8
	v_cvt_f32_i32_e32 v7, v4
	s_delay_alu instid0(VALU_DEP_2) | instskip(SKIP_1) | instid1(VALU_DEP_2)
	v_cvt_f32_i32_e32 v5, v1
	v_xor_b32_e32 v1, v4, v1
	v_rcp_iflag_f32_e32 v6, v5
	s_delay_alu instid0(VALU_DEP_1)
	v_ashrrev_i32_e32 v1, 30, v1
	s_delay_alu instid0(TRANS32_DEP_1) | instid1(VALU_DEP_1)
	v_dual_mul_f32 v6, v7, v6 :: v_dual_bitop2_b32 v1, 1, v1 bitop3:0x54
	s_delay_alu instid0(VALU_DEP_1) | instskip(NEXT) | instid1(VALU_DEP_1)
	v_trunc_f32_e32 v4, v6
	v_fma_f32 v6, -v4, v5, v7
	v_cvt_i32_f32_e32 v4, v4
	s_delay_alu instid0(VALU_DEP_2) | instskip(SKIP_1) | instid1(VALU_DEP_1)
	v_cmp_ge_f32_e64 vcc_lo, |v6|, |v5|
	v_cndmask_b32_e32 v1, 0, v1, vcc_lo
	v_add_nc_u32_e32 v1, v4, v1
	s_delay_alu instid0(VALU_DEP_1) | instskip(NEXT) | instid1(VALU_DEP_1)
	v_bfe_i32 v1, v1, 0, 8
	v_mul_i32_i24_e32 v1, v1, v3
	s_delay_alu instid0(VALU_DEP_1) | instskip(NEXT) | instid1(VALU_DEP_1)
	v_sub_nc_u32_e32 v3, 0, v1
	v_max_i32_e32 v1, v1, v3
.LBB55_667:
	s_or_b32 exec_lo, exec_lo, s0
	v_mov_b32_e32 v3, 0
	s_and_b32 s42, s31, 0xff
	s_delay_alu instid0(SALU_CYCLE_1) | instskip(NEXT) | instid1(VALU_DEP_1)
	s_cmp_lt_i32 s42, 11
	v_add_nc_u64_e32 v[2:3], s[4:5], v[2:3]
	s_cbranch_scc1 .LBB55_675
; %bb.668:
	s_and_b32 s43, 0xffff, s42
	s_delay_alu instid0(SALU_CYCLE_1)
	s_cmp_gt_i32 s43, 25
	s_cbranch_scc0 .LBB55_676
; %bb.669:
	s_cmp_gt_i32 s43, 28
	s_cbranch_scc0 .LBB55_677
; %bb.670:
	;; [unrolled: 3-line block ×4, first 2 shown]
	s_mov_b32 s46, 0
	s_mov_b32 s0, -1
	s_cmp_eq_u32 s43, 46
	s_mov_b32 s44, 0
	s_cbranch_scc0 .LBB55_680
; %bb.673:
	v_bfe_i32 v4, v1, 0, 8
	s_mov_b32 s44, -1
	s_mov_b32 s0, 0
	s_delay_alu instid0(VALU_DEP_1) | instskip(NEXT) | instid1(VALU_DEP_1)
	v_bfe_i32 v4, v4, 0, 16
	v_cvt_f32_i32_e32 v4, v4
	s_delay_alu instid0(VALU_DEP_1) | instskip(NEXT) | instid1(VALU_DEP_1)
	v_bfe_u32 v5, v4, 16, 1
	v_add3_u32 v4, v4, v5, 0x7fff
	s_delay_alu instid0(VALU_DEP_1)
	v_lshrrev_b32_e32 v4, 16, v4
	global_store_b32 v[2:3], v4, off
	s_branch .LBB55_680
.LBB55_674:
	s_mov_b32 s46, 0
	s_mov_b32 s0, s38
	s_branch .LBB55_791
.LBB55_675:
	s_mov_b32 s43, -1
	s_mov_b32 s44, 0
	s_mov_b32 s0, s38
	s_branch .LBB55_749
.LBB55_676:
	s_mov_b32 s46, -1
	s_mov_b32 s44, 0
	s_mov_b32 s0, s38
	s_branch .LBB55_707
.LBB55_677:
	s_mov_b32 s46, -1
	s_mov_b32 s44, 0
	s_mov_b32 s0, s38
	s_branch .LBB55_690
.LBB55_678:
	s_mov_b32 s46, -1
	s_mov_b32 s44, 0
	s_mov_b32 s0, s38
	s_branch .LBB55_686
.LBB55_679:
	s_mov_b32 s46, -1
	s_mov_b32 s44, 0
	s_mov_b32 s0, s38
.LBB55_680:
	s_and_b32 vcc_lo, exec_lo, s46
	s_cbranch_vccz .LBB55_685
; %bb.681:
	s_cmp_eq_u32 s43, 44
	s_mov_b32 s0, -1
	s_cbranch_scc0 .LBB55_685
; %bb.682:
	s_wait_xcnt 0x0
	v_bfe_i32 v4, v1, 0, 8
	v_mov_b32_e32 v5, 0xff
	s_mov_b32 s44, exec_lo
	s_delay_alu instid0(VALU_DEP_2) | instskip(NEXT) | instid1(VALU_DEP_1)
	v_bfe_i32 v4, v4, 0, 16
	v_cvt_f32_i32_e32 v4, v4
	s_delay_alu instid0(VALU_DEP_1) | instskip(NEXT) | instid1(VALU_DEP_1)
	v_bfe_u32 v6, v4, 23, 8
	v_cmpx_ne_u32_e32 0xff, v6
	s_cbranch_execz .LBB55_684
; %bb.683:
	v_and_b32_e32 v5, 0x400000, v4
	v_and_or_b32 v6, 0x3fffff, v4, v6
	v_lshrrev_b32_e32 v4, 23, v4
	s_delay_alu instid0(VALU_DEP_3) | instskip(NEXT) | instid1(VALU_DEP_3)
	v_cmp_ne_u32_e32 vcc_lo, 0, v5
	v_cmp_ne_u32_e64 s0, 0, v6
	s_and_b32 s0, vcc_lo, s0
	s_delay_alu instid0(SALU_CYCLE_1) | instskip(NEXT) | instid1(VALU_DEP_1)
	v_cndmask_b32_e64 v5, 0, 1, s0
	v_add_nc_u32_e32 v5, v4, v5
.LBB55_684:
	s_or_b32 exec_lo, exec_lo, s44
	s_mov_b32 s44, -1
	s_mov_b32 s0, 0
	global_store_b8 v[2:3], v5, off
.LBB55_685:
	s_mov_b32 s46, 0
.LBB55_686:
	s_delay_alu instid0(SALU_CYCLE_1)
	s_and_b32 vcc_lo, exec_lo, s46
	s_cbranch_vccz .LBB55_689
; %bb.687:
	s_cmp_eq_u32 s43, 29
	s_mov_b32 s0, -1
	s_cbranch_scc0 .LBB55_689
; %bb.688:
	s_wait_xcnt 0x0
	v_bfe_i32 v4, v1, 0, 8
	s_mov_b32 s44, -1
	s_mov_b32 s0, 0
	s_mov_b32 s46, 0
	s_delay_alu instid0(VALU_DEP_1)
	v_ashrrev_i32_e32 v5, 31, v4
	global_store_b64 v[2:3], v[4:5], off
	s_branch .LBB55_690
.LBB55_689:
	s_mov_b32 s46, 0
.LBB55_690:
	s_delay_alu instid0(SALU_CYCLE_1)
	s_and_b32 vcc_lo, exec_lo, s46
	s_cbranch_vccz .LBB55_706
; %bb.691:
	s_cmp_lt_i32 s43, 27
	s_mov_b32 s44, -1
	s_cbranch_scc1 .LBB55_697
; %bb.692:
	s_cmp_gt_i32 s43, 27
	s_cbranch_scc0 .LBB55_694
; %bb.693:
	s_wait_xcnt 0x0
	v_bfe_i32 v4, v1, 0, 8
	s_mov_b32 s44, 0
	global_store_b32 v[2:3], v4, off
.LBB55_694:
	s_and_not1_b32 vcc_lo, exec_lo, s44
	s_cbranch_vccnz .LBB55_696
; %bb.695:
	s_wait_xcnt 0x0
	v_bfe_i32 v4, v1, 0, 8
	global_store_b16 v[2:3], v4, off
.LBB55_696:
	s_mov_b32 s44, 0
.LBB55_697:
	s_delay_alu instid0(SALU_CYCLE_1)
	s_and_not1_b32 vcc_lo, exec_lo, s44
	s_cbranch_vccnz .LBB55_705
; %bb.698:
	s_wait_xcnt 0x0
	v_bfe_i32 v4, v1, 0, 8
	v_mov_b32_e32 v6, 0x80
	s_mov_b32 s44, exec_lo
	s_delay_alu instid0(VALU_DEP_2) | instskip(NEXT) | instid1(VALU_DEP_1)
	v_bfe_i32 v4, v4, 0, 16
	v_cvt_f32_i32_e32 v4, v4
	s_delay_alu instid0(VALU_DEP_1) | instskip(NEXT) | instid1(VALU_DEP_1)
	v_and_b32_e32 v5, 0x7fffffff, v4
	v_cmpx_gt_u32_e32 0x43800000, v5
	s_cbranch_execz .LBB55_704
; %bb.699:
	v_cmp_lt_u32_e32 vcc_lo, 0x3bffffff, v5
	s_mov_b32 s46, 0
                                        ; implicit-def: $vgpr5
	s_and_saveexec_b32 s47, vcc_lo
	s_delay_alu instid0(SALU_CYCLE_1)
	s_xor_b32 s47, exec_lo, s47
	s_cbranch_execz .LBB55_819
; %bb.700:
	v_bfe_u32 v5, v4, 20, 1
	s_mov_b32 s46, exec_lo
	s_delay_alu instid0(VALU_DEP_1) | instskip(NEXT) | instid1(VALU_DEP_1)
	v_add3_u32 v5, v4, v5, 0x487ffff
	v_lshrrev_b32_e32 v5, 20, v5
	s_and_not1_saveexec_b32 s47, s47
	s_cbranch_execnz .LBB55_820
.LBB55_701:
	s_or_b32 exec_lo, exec_lo, s47
	v_mov_b32_e32 v6, 0
	s_and_saveexec_b32 s47, s46
.LBB55_702:
	v_lshrrev_b32_e32 v4, 24, v4
	s_delay_alu instid0(VALU_DEP_1)
	v_and_or_b32 v6, 0x80, v4, v5
.LBB55_703:
	s_or_b32 exec_lo, exec_lo, s47
.LBB55_704:
	s_delay_alu instid0(SALU_CYCLE_1)
	s_or_b32 exec_lo, exec_lo, s44
	global_store_b8 v[2:3], v6, off
.LBB55_705:
	s_mov_b32 s44, -1
.LBB55_706:
	s_mov_b32 s46, 0
.LBB55_707:
	s_delay_alu instid0(SALU_CYCLE_1)
	s_and_b32 vcc_lo, exec_lo, s46
	s_cbranch_vccz .LBB55_748
; %bb.708:
	s_cmp_gt_i32 s43, 22
	s_mov_b32 s46, -1
	s_cbranch_scc0 .LBB55_740
; %bb.709:
	s_cmp_lt_i32 s43, 24
	s_mov_b32 s44, -1
	s_cbranch_scc1 .LBB55_729
; %bb.710:
	s_cmp_gt_i32 s43, 24
	s_cbranch_scc0 .LBB55_718
; %bb.711:
	s_wait_xcnt 0x0
	v_bfe_i32 v4, v1, 0, 8
	v_mov_b32_e32 v6, 0x80
	s_mov_b32 s44, exec_lo
	s_delay_alu instid0(VALU_DEP_2) | instskip(NEXT) | instid1(VALU_DEP_1)
	v_bfe_i32 v4, v4, 0, 16
	v_cvt_f32_i32_e32 v4, v4
	s_delay_alu instid0(VALU_DEP_1) | instskip(NEXT) | instid1(VALU_DEP_1)
	v_and_b32_e32 v5, 0x7fffffff, v4
	v_cmpx_gt_u32_e32 0x47800000, v5
	s_cbranch_execz .LBB55_717
; %bb.712:
	v_cmp_lt_u32_e32 vcc_lo, 0x37ffffff, v5
	s_mov_b32 s46, 0
                                        ; implicit-def: $vgpr5
	s_and_saveexec_b32 s47, vcc_lo
	s_delay_alu instid0(SALU_CYCLE_1)
	s_xor_b32 s47, exec_lo, s47
	s_cbranch_execz .LBB55_947
; %bb.713:
	v_bfe_u32 v5, v4, 21, 1
	s_mov_b32 s46, exec_lo
	s_delay_alu instid0(VALU_DEP_1) | instskip(NEXT) | instid1(VALU_DEP_1)
	v_add3_u32 v5, v4, v5, 0x88fffff
	v_lshrrev_b32_e32 v5, 21, v5
	s_and_not1_saveexec_b32 s47, s47
	s_cbranch_execnz .LBB55_948
.LBB55_714:
	s_or_b32 exec_lo, exec_lo, s47
	v_mov_b32_e32 v6, 0
	s_and_saveexec_b32 s47, s46
.LBB55_715:
	v_lshrrev_b32_e32 v4, 24, v4
	s_delay_alu instid0(VALU_DEP_1)
	v_and_or_b32 v6, 0x80, v4, v5
.LBB55_716:
	s_or_b32 exec_lo, exec_lo, s47
.LBB55_717:
	s_delay_alu instid0(SALU_CYCLE_1)
	s_or_b32 exec_lo, exec_lo, s44
	s_mov_b32 s44, 0
	global_store_b8 v[2:3], v6, off
.LBB55_718:
	s_and_b32 vcc_lo, exec_lo, s44
	s_cbranch_vccz .LBB55_728
; %bb.719:
	s_wait_xcnt 0x0
	v_bfe_i32 v4, v1, 0, 8
	s_mov_b32 s44, exec_lo
                                        ; implicit-def: $vgpr5
	s_delay_alu instid0(VALU_DEP_1) | instskip(NEXT) | instid1(VALU_DEP_1)
	v_bfe_i32 v4, v4, 0, 16
	v_cvt_f32_i32_e32 v4, v4
	s_delay_alu instid0(VALU_DEP_1) | instskip(NEXT) | instid1(VALU_DEP_1)
	v_and_b32_e32 v6, 0x7fffffff, v4
	v_cmpx_gt_u32_e32 0x43f00000, v6
	s_xor_b32 s44, exec_lo, s44
	s_cbranch_execz .LBB55_725
; %bb.720:
	s_mov_b32 s46, exec_lo
                                        ; implicit-def: $vgpr5
	v_cmpx_lt_u32_e32 0x3c7fffff, v6
	s_xor_b32 s46, exec_lo, s46
; %bb.721:
	v_bfe_u32 v5, v4, 20, 1
	s_delay_alu instid0(VALU_DEP_1) | instskip(NEXT) | instid1(VALU_DEP_1)
	v_add3_u32 v5, v4, v5, 0x407ffff
	v_and_b32_e32 v6, 0xff00000, v5
	v_lshrrev_b32_e32 v5, 20, v5
	s_delay_alu instid0(VALU_DEP_2) | instskip(NEXT) | instid1(VALU_DEP_2)
	v_cmp_ne_u32_e32 vcc_lo, 0x7f00000, v6
	v_cndmask_b32_e32 v5, 0x7e, v5, vcc_lo
; %bb.722:
	s_and_not1_saveexec_b32 s46, s46
; %bb.723:
	v_add_f32_e64 v5, 0x46800000, |v4|
; %bb.724:
	s_or_b32 exec_lo, exec_lo, s46
                                        ; implicit-def: $vgpr6
.LBB55_725:
	s_and_not1_saveexec_b32 s44, s44
; %bb.726:
	v_mov_b32_e32 v5, 0x7f
	v_cmp_lt_u32_e32 vcc_lo, 0x7f800000, v6
	s_delay_alu instid0(VALU_DEP_2)
	v_cndmask_b32_e32 v5, 0x7e, v5, vcc_lo
; %bb.727:
	s_or_b32 exec_lo, exec_lo, s44
	v_lshrrev_b32_e32 v4, 24, v4
	s_delay_alu instid0(VALU_DEP_1)
	v_and_or_b32 v4, 0x80, v4, v5
	global_store_b8 v[2:3], v4, off
.LBB55_728:
	s_mov_b32 s44, 0
.LBB55_729:
	s_delay_alu instid0(SALU_CYCLE_1)
	s_and_not1_b32 vcc_lo, exec_lo, s44
	s_cbranch_vccnz .LBB55_739
; %bb.730:
	s_wait_xcnt 0x0
	v_bfe_i32 v4, v1, 0, 8
	s_mov_b32 s44, exec_lo
                                        ; implicit-def: $vgpr5
	s_delay_alu instid0(VALU_DEP_1) | instskip(NEXT) | instid1(VALU_DEP_1)
	v_bfe_i32 v4, v4, 0, 16
	v_cvt_f32_i32_e32 v4, v4
	s_delay_alu instid0(VALU_DEP_1) | instskip(NEXT) | instid1(VALU_DEP_1)
	v_and_b32_e32 v6, 0x7fffffff, v4
	v_cmpx_gt_u32_e32 0x47800000, v6
	s_xor_b32 s44, exec_lo, s44
	s_cbranch_execz .LBB55_736
; %bb.731:
	s_mov_b32 s46, exec_lo
                                        ; implicit-def: $vgpr5
	v_cmpx_lt_u32_e32 0x387fffff, v6
	s_xor_b32 s46, exec_lo, s46
; %bb.732:
	v_bfe_u32 v5, v4, 21, 1
	s_delay_alu instid0(VALU_DEP_1) | instskip(NEXT) | instid1(VALU_DEP_1)
	v_add3_u32 v5, v4, v5, 0x80fffff
	v_lshrrev_b32_e32 v5, 21, v5
; %bb.733:
	s_and_not1_saveexec_b32 s46, s46
; %bb.734:
	v_add_f32_e64 v5, 0x43000000, |v4|
; %bb.735:
	s_or_b32 exec_lo, exec_lo, s46
                                        ; implicit-def: $vgpr6
.LBB55_736:
	s_and_not1_saveexec_b32 s44, s44
; %bb.737:
	v_mov_b32_e32 v5, 0x7f
	v_cmp_lt_u32_e32 vcc_lo, 0x7f800000, v6
	s_delay_alu instid0(VALU_DEP_2)
	v_cndmask_b32_e32 v5, 0x7c, v5, vcc_lo
; %bb.738:
	s_or_b32 exec_lo, exec_lo, s44
	v_lshrrev_b32_e32 v4, 24, v4
	s_delay_alu instid0(VALU_DEP_1)
	v_and_or_b32 v4, 0x80, v4, v5
	global_store_b8 v[2:3], v4, off
.LBB55_739:
	s_mov_b32 s46, 0
	s_mov_b32 s44, -1
.LBB55_740:
	s_and_not1_b32 vcc_lo, exec_lo, s46
	s_cbranch_vccnz .LBB55_748
; %bb.741:
	s_cmp_gt_i32 s43, 14
	s_mov_b32 s46, -1
	s_cbranch_scc0 .LBB55_745
; %bb.742:
	s_cmp_eq_u32 s43, 15
	s_mov_b32 s0, -1
	s_cbranch_scc0 .LBB55_744
; %bb.743:
	s_wait_xcnt 0x0
	v_bfe_i32 v4, v1, 0, 8
	s_mov_b32 s44, -1
	s_mov_b32 s0, 0
	s_delay_alu instid0(VALU_DEP_1) | instskip(NEXT) | instid1(VALU_DEP_1)
	v_bfe_i32 v4, v4, 0, 16
	v_cvt_f32_i32_e32 v4, v4
	s_delay_alu instid0(VALU_DEP_1) | instskip(NEXT) | instid1(VALU_DEP_1)
	v_bfe_u32 v5, v4, 16, 1
	v_add3_u32 v4, v4, v5, 0x7fff
	global_store_d16_hi_b16 v[2:3], v4, off
.LBB55_744:
	s_mov_b32 s46, 0
.LBB55_745:
	s_delay_alu instid0(SALU_CYCLE_1)
	s_and_b32 vcc_lo, exec_lo, s46
	s_cbranch_vccz .LBB55_748
; %bb.746:
	s_cmp_eq_u32 s43, 11
	s_mov_b32 s0, -1
	s_cbranch_scc0 .LBB55_748
; %bb.747:
	s_wait_xcnt 0x0
	v_and_b32_e32 v4, 0xff, v1
	s_mov_b32 s0, 0
	s_mov_b32 s44, -1
	s_delay_alu instid0(VALU_DEP_1)
	v_cmp_ne_u16_e32 vcc_lo, 0, v4
	v_cndmask_b32_e64 v4, 0, 1, vcc_lo
	global_store_b8 v[2:3], v4, off
.LBB55_748:
	s_mov_b32 s43, 0
.LBB55_749:
	s_delay_alu instid0(SALU_CYCLE_1)
	s_and_b32 vcc_lo, exec_lo, s43
	s_cbranch_vccz .LBB55_788
; %bb.750:
	s_and_b32 s42, 0xffff, s42
	s_mov_b32 s43, -1
	s_cmp_lt_i32 s42, 5
	s_cbranch_scc1 .LBB55_771
; %bb.751:
	s_cmp_lt_i32 s42, 8
	s_cbranch_scc1 .LBB55_761
; %bb.752:
	;; [unrolled: 3-line block ×3, first 2 shown]
	s_cmp_gt_i32 s42, 9
	s_cbranch_scc0 .LBB55_755
; %bb.754:
	s_wait_xcnt 0x0
	v_bfe_i32 v4, v1, 0, 8
	v_mov_b32_e32 v6, 0
	s_mov_b32 s43, 0
	s_delay_alu instid0(VALU_DEP_2) | instskip(NEXT) | instid1(VALU_DEP_2)
	v_bfe_i32 v4, v4, 0, 16
	v_mov_b32_e32 v7, v6
	s_delay_alu instid0(VALU_DEP_2)
	v_cvt_f64_i32_e32 v[4:5], v4
	global_store_b128 v[2:3], v[4:7], off
.LBB55_755:
	s_and_not1_b32 vcc_lo, exec_lo, s43
	s_cbranch_vccnz .LBB55_757
; %bb.756:
	s_wait_xcnt 0x0
	v_bfe_i32 v4, v1, 0, 8
	v_mov_b32_e32 v5, 0
	s_delay_alu instid0(VALU_DEP_2) | instskip(NEXT) | instid1(VALU_DEP_1)
	v_bfe_i32 v4, v4, 0, 16
	v_cvt_f32_i32_e32 v4, v4
	global_store_b64 v[2:3], v[4:5], off
.LBB55_757:
	s_mov_b32 s43, 0
.LBB55_758:
	s_delay_alu instid0(SALU_CYCLE_1)
	s_and_not1_b32 vcc_lo, exec_lo, s43
	s_cbranch_vccnz .LBB55_760
; %bb.759:
	s_wait_xcnt 0x0
	v_bfe_i32 v4, v1, 0, 8
	s_delay_alu instid0(VALU_DEP_1) | instskip(NEXT) | instid1(VALU_DEP_1)
	v_cvt_f16_i16_e32 v4, v4
	v_and_b32_e32 v4, 0xffff, v4
	global_store_b32 v[2:3], v4, off
.LBB55_760:
	s_mov_b32 s43, 0
.LBB55_761:
	s_delay_alu instid0(SALU_CYCLE_1)
	s_and_not1_b32 vcc_lo, exec_lo, s43
	s_cbranch_vccnz .LBB55_770
; %bb.762:
	s_cmp_lt_i32 s42, 6
	s_mov_b32 s43, -1
	s_cbranch_scc1 .LBB55_768
; %bb.763:
	s_cmp_gt_i32 s42, 6
	s_cbranch_scc0 .LBB55_765
; %bb.764:
	s_wait_xcnt 0x0
	v_bfe_i32 v4, v1, 0, 8
	s_mov_b32 s43, 0
	s_delay_alu instid0(VALU_DEP_1) | instskip(NEXT) | instid1(VALU_DEP_1)
	v_bfe_i32 v4, v4, 0, 16
	v_cvt_f64_i32_e32 v[4:5], v4
	global_store_b64 v[2:3], v[4:5], off
.LBB55_765:
	s_and_not1_b32 vcc_lo, exec_lo, s43
	s_cbranch_vccnz .LBB55_767
; %bb.766:
	s_wait_xcnt 0x0
	v_bfe_i32 v4, v1, 0, 8
	s_delay_alu instid0(VALU_DEP_1) | instskip(NEXT) | instid1(VALU_DEP_1)
	v_bfe_i32 v4, v4, 0, 16
	v_cvt_f32_i32_e32 v4, v4
	global_store_b32 v[2:3], v4, off
.LBB55_767:
	s_mov_b32 s43, 0
.LBB55_768:
	s_delay_alu instid0(SALU_CYCLE_1)
	s_and_not1_b32 vcc_lo, exec_lo, s43
	s_cbranch_vccnz .LBB55_770
; %bb.769:
	s_wait_xcnt 0x0
	v_bfe_i32 v4, v1, 0, 8
	s_delay_alu instid0(VALU_DEP_1)
	v_cvt_f16_i16_e32 v4, v4
	global_store_b16 v[2:3], v4, off
.LBB55_770:
	s_mov_b32 s43, 0
.LBB55_771:
	s_delay_alu instid0(SALU_CYCLE_1)
	s_and_not1_b32 vcc_lo, exec_lo, s43
	s_cbranch_vccnz .LBB55_787
; %bb.772:
	s_cmp_lt_i32 s42, 2
	s_mov_b32 s43, -1
	s_cbranch_scc1 .LBB55_782
; %bb.773:
	s_cmp_lt_i32 s42, 3
	s_cbranch_scc1 .LBB55_779
; %bb.774:
	s_cmp_gt_i32 s42, 3
	s_cbranch_scc0 .LBB55_776
; %bb.775:
	s_wait_xcnt 0x0
	v_bfe_i32 v4, v1, 0, 8
	s_mov_b32 s43, 0
	s_delay_alu instid0(VALU_DEP_1)
	v_ashrrev_i32_e32 v5, 31, v4
	global_store_b64 v[2:3], v[4:5], off
.LBB55_776:
	s_and_not1_b32 vcc_lo, exec_lo, s43
	s_cbranch_vccnz .LBB55_778
; %bb.777:
	s_wait_xcnt 0x0
	v_bfe_i32 v4, v1, 0, 8
	global_store_b32 v[2:3], v4, off
.LBB55_778:
	s_mov_b32 s43, 0
.LBB55_779:
	s_delay_alu instid0(SALU_CYCLE_1)
	s_and_not1_b32 vcc_lo, exec_lo, s43
	s_cbranch_vccnz .LBB55_781
; %bb.780:
	s_wait_xcnt 0x0
	v_bfe_i32 v4, v1, 0, 8
	global_store_b16 v[2:3], v4, off
.LBB55_781:
	s_mov_b32 s43, 0
.LBB55_782:
	s_delay_alu instid0(SALU_CYCLE_1)
	s_and_not1_b32 vcc_lo, exec_lo, s43
	s_cbranch_vccnz .LBB55_787
; %bb.783:
	s_cmp_gt_i32 s42, 0
	s_mov_b32 s42, -1
	s_cbranch_scc0 .LBB55_785
; %bb.784:
	s_mov_b32 s42, 0
	global_store_b8 v[2:3], v1, off
.LBB55_785:
	s_and_not1_b32 vcc_lo, exec_lo, s42
	s_cbranch_vccnz .LBB55_787
; %bb.786:
	global_store_b8 v[2:3], v1, off
.LBB55_787:
	s_mov_b32 s44, -1
.LBB55_788:
	s_delay_alu instid0(SALU_CYCLE_1)
	s_and_not1_b32 vcc_lo, exec_lo, s44
	s_cbranch_vccnz .LBB55_790
; %bb.789:
	v_add_nc_u32_e32 v0, 0x80, v0
	s_mov_b32 s46, -1
	s_branch .LBB55_792
.LBB55_790:
	s_mov_b32 s46, 0
.LBB55_791:
                                        ; implicit-def: $vgpr0
.LBB55_792:
	s_and_not1_b32 s42, s38, exec_lo
	s_and_b32 s0, s0, exec_lo
	s_and_b32 s25, s25, exec_lo
	s_or_b32 s43, s42, s0
	s_and_not1_b32 s0, s39, exec_lo
	s_and_not1_b32 s42, s40, exec_lo
	s_and_b32 s24, s24, exec_lo
	s_or_b32 s44, s0, s25
	s_or_b32 s42, s42, s24
	s_or_not1_b32 s47, s46, exec_lo
.LBB55_793:
	s_wait_xcnt 0x0
	s_or_b32 exec_lo, exec_lo, s45
	s_mov_b32 s25, 0
	s_mov_b32 s46, 0
	;; [unrolled: 1-line block ×3, first 2 shown]
                                        ; implicit-def: $sgpr0
                                        ; implicit-def: $vgpr8_vgpr9
                                        ; implicit-def: $vgpr6
                                        ; implicit-def: $vgpr2
                                        ; implicit-def: $vgpr4
	s_and_saveexec_b32 s45, s47
	s_cbranch_execz .LBB55_1286
; %bb.794:
	s_mov_b32 s51, -1
	s_mov_b32 s47, s42
	s_mov_b32 s49, s44
	;; [unrolled: 1-line block ×3, first 2 shown]
	s_mov_b32 s46, exec_lo
	v_cmpx_gt_i32_e64 s36, v0
	s_cbranch_execz .LBB55_1194
; %bb.795:
	s_and_not1_b32 vcc_lo, exec_lo, s29
	s_cbranch_vccnz .LBB55_801
; %bb.796:
	s_and_not1_b32 vcc_lo, exec_lo, s37
	s_cbranch_vccnz .LBB55_802
; %bb.797:
	v_dual_mov_b32 v2, 0 :: v_dual_mov_b32 v1, v0
	s_wait_loadcnt 0x0
	v_dual_mov_b32 v4, 0 :: v_dual_mov_b32 v6, 0
	s_add_co_i32 s0, s35, 1
	s_mov_b64 s[24:25], 0xffffffffffffffe8
	s_and_b32 s0, s0, 30
	s_add_nc_u64 s[24:25], s[2:3], s[24:25]
.LBB55_798:                             ; =>This Inner Loop Header: Depth=1
	s_clause 0x1
	s_load_b128 s[48:51], s[24:25], 0x1c
	s_load_b64 s[56:57], s[24:25], 0x2c
	s_add_co_i32 s0, s0, -2
	s_delay_alu instid0(SALU_CYCLE_1) | instskip(SKIP_2) | instid1(VALU_DEP_1)
	s_cmp_eq_u32 s0, 0
	s_wait_kmcnt 0x0
	v_mul_hi_u32 v3, s49, v1
	v_add_nc_u32_e32 v3, v1, v3
	s_delay_alu instid0(VALU_DEP_1) | instskip(NEXT) | instid1(VALU_DEP_1)
	v_lshrrev_b32_e32 v3, s50, v3
	v_mul_hi_u32 v5, s56, v3
	v_mul_lo_u32 v7, v3, s48
	s_clause 0x1
	s_load_b128 s[52:55], s[24:25], 0xdc
	s_load_b64 s[48:49], s[24:25], 0xec
	s_wait_xcnt 0x0
	s_add_nc_u64 s[24:25], s[24:25], 24
	s_delay_alu instid0(VALU_DEP_1) | instskip(NEXT) | instid1(VALU_DEP_1)
	v_dual_add_nc_u32 v5, v3, v5 :: v_dual_sub_nc_u32 v7, v1, v7
	v_lshrrev_b32_e32 v1, s57, v5
	s_wait_kmcnt 0x0
	s_delay_alu instid0(VALU_DEP_2) | instskip(NEXT) | instid1(VALU_DEP_2)
	v_mad_u32 v2, v7, s52, v2
	v_mul_lo_u32 v5, v1, s51
	v_mad_u32 v6, v7, s54, v6
	v_mad_u32 v4, v7, s53, v4
	s_delay_alu instid0(VALU_DEP_3) | instskip(NEXT) | instid1(VALU_DEP_1)
	v_sub_nc_u32_e32 v3, v3, v5
	v_mad_u32 v2, v3, s55, v2
	s_delay_alu instid0(VALU_DEP_4) | instskip(NEXT) | instid1(VALU_DEP_4)
	v_mad_u32 v6, v3, s49, v6
	v_mad_u32 v4, v3, s48, v4
	s_cbranch_scc0 .LBB55_798
; %bb.799:
	s_bitcmp1_b32 s35, 0
	s_cselect_b32 s0, -1, 0
	s_delay_alu instid0(SALU_CYCLE_1)
	s_and_b32 vcc_lo, exec_lo, s0
	s_cbranch_vccnz .LBB55_803
; %bb.800:
	s_clause 0x1
	s_load_b96 s[48:50], s[24:25], 0x1c
	s_load_b96 s[52:54], s[24:25], 0xdc
	s_wait_kmcnt 0x0
	v_mul_hi_u32 v3, s49, v1
	s_delay_alu instid0(VALU_DEP_1) | instskip(NEXT) | instid1(VALU_DEP_1)
	v_add_nc_u32_e32 v3, v1, v3
	v_lshrrev_b32_e32 v3, s50, v3
	s_delay_alu instid0(VALU_DEP_1) | instskip(NEXT) | instid1(VALU_DEP_1)
	v_mul_lo_u32 v3, v3, s48
	v_sub_nc_u32_e32 v1, v1, v3
	s_delay_alu instid0(VALU_DEP_1)
	v_mad_u32 v2, v1, s52, v2
	v_mad_u32 v4, v1, s53, v4
	;; [unrolled: 1-line block ×3, first 2 shown]
	s_branch .LBB55_803
.LBB55_801:
	s_mov_b32 s0, -1
                                        ; implicit-def: $vgpr6
                                        ; implicit-def: $vgpr4
                                        ; implicit-def: $vgpr2
	s_branch .LBB55_804
.LBB55_802:
	s_wait_loadcnt 0x0
	v_dual_mov_b32 v6, 0 :: v_dual_mov_b32 v4, 0
	v_mov_b32_e32 v2, 0
.LBB55_803:
	s_mov_b32 s0, 0
.LBB55_804:
	s_delay_alu instid0(SALU_CYCLE_1)
	s_and_not1_b32 vcc_lo, exec_lo, s0
	s_cbranch_vccnz .LBB55_807
; %bb.805:
	v_mov_b32_e32 v1, 0
	s_and_not1_b32 vcc_lo, exec_lo, s34
	s_delay_alu instid0(VALU_DEP_1) | instskip(NEXT) | instid1(VALU_DEP_1)
	v_mul_u64_e32 v[2:3], s[18:19], v[0:1]
	v_add_nc_u32_e32 v2, v0, v3
	s_wait_loadcnt 0x0
	s_delay_alu instid0(VALU_DEP_1) | instskip(NEXT) | instid1(VALU_DEP_1)
	v_lshrrev_b32_e32 v8, s10, v2
	v_mul_lo_u32 v2, v8, s8
	s_delay_alu instid0(VALU_DEP_1) | instskip(NEXT) | instid1(VALU_DEP_1)
	v_sub_nc_u32_e32 v3, v0, v2
	v_mul_lo_u32 v2, v3, s12
	v_mul_lo_u32 v6, v3, s14
	;; [unrolled: 1-line block ×3, first 2 shown]
	s_cbranch_vccnz .LBB55_807
; %bb.806:
	v_mov_b32_e32 v9, v1
	s_delay_alu instid0(VALU_DEP_1) | instskip(NEXT) | instid1(VALU_DEP_1)
	v_mul_u64_e32 v[10:11], s[22:23], v[8:9]
	v_add_nc_u32_e32 v1, v8, v11
	s_delay_alu instid0(VALU_DEP_1) | instskip(NEXT) | instid1(VALU_DEP_1)
	v_lshrrev_b32_e32 v1, s1, v1
	v_mul_lo_u32 v1, v1, s11
	s_delay_alu instid0(VALU_DEP_1) | instskip(NEXT) | instid1(VALU_DEP_1)
	v_sub_nc_u32_e32 v1, v8, v1
	v_mad_u32 v2, v1, s15, v2
	v_mad_u32 v4, v1, s20, v4
	;; [unrolled: 1-line block ×3, first 2 shown]
.LBB55_807:
	s_wait_loadcnt 0x0
	v_mov_b32_e32 v5, 0
	s_and_b32 s0, s33, 0xff
	s_delay_alu instid0(SALU_CYCLE_1) | instskip(NEXT) | instid1(VALU_DEP_1)
	s_cmp_lt_i32 s0, 11
	v_add_nc_u64_e32 v[8:9], s[6:7], v[4:5]
	s_cbranch_scc1 .LBB55_814
; %bb.808:
	s_and_b32 s25, 0xffff, s0
	s_delay_alu instid0(SALU_CYCLE_1)
	s_cmp_gt_i32 s25, 25
	s_cbranch_scc0 .LBB55_815
; %bb.809:
	s_cmp_gt_i32 s25, 28
	s_cbranch_scc0 .LBB55_816
; %bb.810:
	;; [unrolled: 3-line block ×4, first 2 shown]
	s_cmp_eq_u32 s25, 46
	s_mov_b32 s48, 0
	s_cbranch_scc0 .LBB55_821
; %bb.813:
	global_load_b32 v1, v[8:9], off
	s_mov_b32 s47, -1
	s_mov_b32 s24, 0
	s_wait_loadcnt 0x0
	v_lshlrev_b32_e32 v1, 16, v1
	s_delay_alu instid0(VALU_DEP_1)
	v_cvt_i32_f32_e32 v4, v1
	s_branch .LBB55_823
.LBB55_814:
	s_mov_b32 s25, -1
	s_mov_b32 s47, 0
	s_mov_b32 s24, s42
                                        ; implicit-def: $vgpr4
	s_branch .LBB55_884
.LBB55_815:
	s_mov_b32 s48, -1
	s_mov_b32 s47, 0
	s_mov_b32 s24, s42
                                        ; implicit-def: $vgpr4
	s_branch .LBB55_850
.LBB55_816:
	s_mov_b32 s48, -1
	s_mov_b32 s47, 0
	s_mov_b32 s24, s42
                                        ; implicit-def: $vgpr4
	s_branch .LBB55_833
.LBB55_817:
	s_mov_b32 s48, -1
	s_mov_b32 s47, 0
	s_mov_b32 s24, s42
                                        ; implicit-def: $vgpr4
	s_branch .LBB55_828
.LBB55_818:
	s_mov_b32 s48, -1
	s_mov_b32 s47, 0
	s_mov_b32 s24, s42
	s_branch .LBB55_822
.LBB55_819:
	s_and_not1_saveexec_b32 s47, s47
	s_cbranch_execz .LBB55_701
.LBB55_820:
	v_add_f32_e64 v5, 0x46000000, |v4|
	s_and_not1_b32 s46, s46, exec_lo
	s_delay_alu instid0(VALU_DEP_1) | instskip(NEXT) | instid1(VALU_DEP_1)
	v_and_b32_e32 v5, 0xff, v5
	v_cmp_ne_u32_e32 vcc_lo, 0, v5
	s_and_b32 s48, vcc_lo, exec_lo
	s_delay_alu instid0(SALU_CYCLE_1)
	s_or_b32 s46, s46, s48
	s_or_b32 exec_lo, exec_lo, s47
	v_mov_b32_e32 v6, 0
	s_and_saveexec_b32 s47, s46
	s_cbranch_execnz .LBB55_702
	s_branch .LBB55_703
.LBB55_821:
	s_mov_b32 s24, -1
	s_mov_b32 s47, 0
.LBB55_822:
                                        ; implicit-def: $vgpr4
.LBB55_823:
	s_and_b32 vcc_lo, exec_lo, s48
	s_cbranch_vccz .LBB55_827
; %bb.824:
	s_cmp_eq_u32 s25, 44
	s_cbranch_scc0 .LBB55_826
; %bb.825:
	global_load_u8 v1, v[8:9], off
	s_mov_b32 s24, 0
	s_mov_b32 s47, -1
	s_wait_loadcnt 0x0
	v_lshlrev_b32_e32 v3, 23, v1
	v_cmp_ne_u32_e32 vcc_lo, 0, v1
	s_delay_alu instid0(VALU_DEP_2) | instskip(NEXT) | instid1(VALU_DEP_1)
	v_cvt_i32_f32_e32 v3, v3
	v_cndmask_b32_e32 v4, 0, v3, vcc_lo
	s_branch .LBB55_827
.LBB55_826:
	s_mov_b32 s24, -1
                                        ; implicit-def: $vgpr4
.LBB55_827:
	s_mov_b32 s48, 0
.LBB55_828:
	s_delay_alu instid0(SALU_CYCLE_1)
	s_and_b32 vcc_lo, exec_lo, s48
	s_cbranch_vccz .LBB55_832
; %bb.829:
	s_cmp_eq_u32 s25, 29
	s_cbranch_scc0 .LBB55_831
; %bb.830:
	global_load_b64 v[4:5], v[8:9], off
	s_mov_b32 s47, -1
	s_mov_b32 s24, 0
	s_branch .LBB55_832
.LBB55_831:
	s_mov_b32 s24, -1
                                        ; implicit-def: $vgpr4
.LBB55_832:
	s_mov_b32 s48, 0
.LBB55_833:
	s_delay_alu instid0(SALU_CYCLE_1)
	s_and_b32 vcc_lo, exec_lo, s48
	s_cbranch_vccz .LBB55_849
; %bb.834:
	s_cmp_lt_i32 s25, 27
	s_cbranch_scc1 .LBB55_837
; %bb.835:
	s_cmp_gt_i32 s25, 27
	s_cbranch_scc0 .LBB55_838
; %bb.836:
	s_wait_loadcnt 0x0
	global_load_b32 v4, v[8:9], off
	s_mov_b32 s47, 0
	s_branch .LBB55_839
.LBB55_837:
	s_mov_b32 s47, -1
                                        ; implicit-def: $vgpr4
	s_branch .LBB55_842
.LBB55_838:
	s_mov_b32 s47, -1
                                        ; implicit-def: $vgpr4
.LBB55_839:
	s_delay_alu instid0(SALU_CYCLE_1)
	s_and_not1_b32 vcc_lo, exec_lo, s47
	s_cbranch_vccnz .LBB55_841
; %bb.840:
	s_wait_loadcnt 0x0
	global_load_u16 v4, v[8:9], off
.LBB55_841:
	s_mov_b32 s47, 0
.LBB55_842:
	s_delay_alu instid0(SALU_CYCLE_1)
	s_and_not1_b32 vcc_lo, exec_lo, s47
	s_cbranch_vccnz .LBB55_848
; %bb.843:
	global_load_u8 v1, v[8:9], off
	s_mov_b32 s48, 0
	s_mov_b32 s47, exec_lo
	s_wait_loadcnt 0x0
	v_cmpx_lt_i16_e32 0x7f, v1
	s_xor_b32 s47, exec_lo, s47
	s_cbranch_execz .LBB55_860
; %bb.844:
	v_cmp_ne_u16_e32 vcc_lo, 0x80, v1
	s_and_b32 s48, vcc_lo, exec_lo
	s_and_not1_saveexec_b32 s47, s47
	s_cbranch_execnz .LBB55_861
.LBB55_845:
	s_or_b32 exec_lo, exec_lo, s47
	v_mov_b32_e32 v4, 0
	s_and_saveexec_b32 s47, s48
	s_cbranch_execz .LBB55_847
.LBB55_846:
	v_and_b32_e32 v3, 0xffff, v1
	s_delay_alu instid0(VALU_DEP_1) | instskip(SKIP_1) | instid1(VALU_DEP_2)
	v_and_b32_e32 v4, 7, v3
	v_bfe_u32 v10, v3, 3, 4
	v_clz_i32_u32_e32 v5, v4
	s_delay_alu instid0(VALU_DEP_2) | instskip(NEXT) | instid1(VALU_DEP_2)
	v_cmp_eq_u32_e32 vcc_lo, 0, v10
	v_min_u32_e32 v5, 32, v5
	s_delay_alu instid0(VALU_DEP_1) | instskip(NEXT) | instid1(VALU_DEP_1)
	v_subrev_nc_u32_e32 v7, 28, v5
	v_dual_lshlrev_b32 v3, v7, v3 :: v_dual_sub_nc_u32 v5, 29, v5
	s_delay_alu instid0(VALU_DEP_1) | instskip(NEXT) | instid1(VALU_DEP_1)
	v_dual_lshlrev_b32 v1, 24, v1 :: v_dual_bitop2_b32 v3, 7, v3 bitop3:0x40
	v_dual_cndmask_b32 v3, v4, v3, vcc_lo :: v_dual_cndmask_b32 v5, v10, v5, vcc_lo
	s_delay_alu instid0(VALU_DEP_2) | instskip(NEXT) | instid1(VALU_DEP_2)
	v_and_b32_e32 v1, 0x80000000, v1
	v_lshlrev_b32_e32 v3, 20, v3
	s_delay_alu instid0(VALU_DEP_3) | instskip(NEXT) | instid1(VALU_DEP_1)
	v_lshl_add_u32 v4, v5, 23, 0x3b800000
	v_or3_b32 v1, v1, v4, v3
	s_delay_alu instid0(VALU_DEP_1)
	v_cvt_i32_f32_e32 v4, v1
.LBB55_847:
	s_or_b32 exec_lo, exec_lo, s47
.LBB55_848:
	s_mov_b32 s47, -1
.LBB55_849:
	s_mov_b32 s48, 0
.LBB55_850:
	s_delay_alu instid0(SALU_CYCLE_1)
	s_and_b32 vcc_lo, exec_lo, s48
	s_cbranch_vccz .LBB55_883
; %bb.851:
	s_cmp_gt_i32 s25, 22
	s_cbranch_scc0 .LBB55_859
; %bb.852:
	s_cmp_lt_i32 s25, 24
	s_cbranch_scc1 .LBB55_862
; %bb.853:
	s_cmp_gt_i32 s25, 24
	s_cbranch_scc0 .LBB55_863
; %bb.854:
	global_load_u8 v1, v[8:9], off
	s_mov_b32 s48, 0
	s_mov_b32 s47, exec_lo
	s_wait_loadcnt 0x0
	v_cmpx_lt_i16_e32 0x7f, v1
	s_xor_b32 s47, exec_lo, s47
	s_cbranch_execz .LBB55_875
; %bb.855:
	v_cmp_ne_u16_e32 vcc_lo, 0x80, v1
	s_and_b32 s48, vcc_lo, exec_lo
	s_and_not1_saveexec_b32 s47, s47
	s_cbranch_execnz .LBB55_876
.LBB55_856:
	s_or_b32 exec_lo, exec_lo, s47
	v_mov_b32_e32 v4, 0
	s_and_saveexec_b32 s47, s48
	s_cbranch_execz .LBB55_858
.LBB55_857:
	v_and_b32_e32 v3, 0xffff, v1
	s_delay_alu instid0(VALU_DEP_1) | instskip(SKIP_1) | instid1(VALU_DEP_2)
	v_and_b32_e32 v4, 3, v3
	v_bfe_u32 v10, v3, 2, 5
	v_clz_i32_u32_e32 v5, v4
	s_delay_alu instid0(VALU_DEP_2) | instskip(NEXT) | instid1(VALU_DEP_2)
	v_cmp_eq_u32_e32 vcc_lo, 0, v10
	v_min_u32_e32 v5, 32, v5
	s_delay_alu instid0(VALU_DEP_1) | instskip(NEXT) | instid1(VALU_DEP_1)
	v_subrev_nc_u32_e32 v7, 29, v5
	v_dual_lshlrev_b32 v3, v7, v3 :: v_dual_sub_nc_u32 v5, 30, v5
	s_delay_alu instid0(VALU_DEP_1) | instskip(NEXT) | instid1(VALU_DEP_1)
	v_dual_lshlrev_b32 v1, 24, v1 :: v_dual_bitop2_b32 v3, 3, v3 bitop3:0x40
	v_dual_cndmask_b32 v3, v4, v3, vcc_lo :: v_dual_cndmask_b32 v5, v10, v5, vcc_lo
	s_delay_alu instid0(VALU_DEP_2) | instskip(NEXT) | instid1(VALU_DEP_2)
	v_and_b32_e32 v1, 0x80000000, v1
	v_lshlrev_b32_e32 v3, 21, v3
	s_delay_alu instid0(VALU_DEP_3) | instskip(NEXT) | instid1(VALU_DEP_1)
	v_lshl_add_u32 v4, v5, 23, 0x37800000
	v_or3_b32 v1, v1, v4, v3
	s_delay_alu instid0(VALU_DEP_1)
	v_cvt_i32_f32_e32 v4, v1
.LBB55_858:
	s_or_b32 exec_lo, exec_lo, s47
	s_mov_b32 s47, 0
	s_branch .LBB55_864
.LBB55_859:
	s_mov_b32 s48, -1
                                        ; implicit-def: $vgpr4
	s_branch .LBB55_870
.LBB55_860:
	s_and_not1_saveexec_b32 s47, s47
	s_cbranch_execz .LBB55_845
.LBB55_861:
	v_cmp_ne_u16_e32 vcc_lo, 0, v1
	s_and_not1_b32 s48, s48, exec_lo
	s_and_b32 s49, vcc_lo, exec_lo
	s_delay_alu instid0(SALU_CYCLE_1)
	s_or_b32 s48, s48, s49
	s_or_b32 exec_lo, exec_lo, s47
	v_mov_b32_e32 v4, 0
	s_and_saveexec_b32 s47, s48
	s_cbranch_execnz .LBB55_846
	s_branch .LBB55_847
.LBB55_862:
	s_mov_b32 s47, -1
                                        ; implicit-def: $vgpr4
	s_branch .LBB55_867
.LBB55_863:
	s_mov_b32 s47, -1
                                        ; implicit-def: $vgpr4
.LBB55_864:
	s_delay_alu instid0(SALU_CYCLE_1)
	s_and_b32 vcc_lo, exec_lo, s47
	s_cbranch_vccz .LBB55_866
; %bb.865:
	global_load_u8 v1, v[8:9], off
	s_wait_loadcnt 0x0
	v_lshlrev_b32_e32 v1, 24, v1
	s_delay_alu instid0(VALU_DEP_1) | instskip(NEXT) | instid1(VALU_DEP_1)
	v_and_b32_e32 v3, 0x7f000000, v1
	v_clz_i32_u32_e32 v4, v3
	v_add_nc_u32_e32 v7, 0x1000000, v3
	v_cmp_ne_u32_e32 vcc_lo, 0, v3
	s_delay_alu instid0(VALU_DEP_3) | instskip(NEXT) | instid1(VALU_DEP_1)
	v_min_u32_e32 v4, 32, v4
	v_sub_nc_u32_e64 v4, v4, 4 clamp
	s_delay_alu instid0(VALU_DEP_1) | instskip(NEXT) | instid1(VALU_DEP_1)
	v_dual_lshlrev_b32 v5, v4, v3 :: v_dual_lshlrev_b32 v4, 23, v4
	v_lshrrev_b32_e32 v5, 4, v5
	s_delay_alu instid0(VALU_DEP_1) | instskip(NEXT) | instid1(VALU_DEP_1)
	v_dual_sub_nc_u32 v4, v5, v4 :: v_dual_ashrrev_i32 v5, 8, v7
	v_add_nc_u32_e32 v4, 0x3c000000, v4
	s_delay_alu instid0(VALU_DEP_1) | instskip(NEXT) | instid1(VALU_DEP_1)
	v_and_or_b32 v4, 0x7f800000, v5, v4
	v_cndmask_b32_e32 v3, 0, v4, vcc_lo
	s_delay_alu instid0(VALU_DEP_1) | instskip(NEXT) | instid1(VALU_DEP_1)
	v_and_or_b32 v1, 0x80000000, v1, v3
	v_cvt_i32_f32_e32 v4, v1
.LBB55_866:
	s_mov_b32 s47, 0
.LBB55_867:
	s_delay_alu instid0(SALU_CYCLE_1)
	s_and_not1_b32 vcc_lo, exec_lo, s47
	s_cbranch_vccnz .LBB55_869
; %bb.868:
	global_load_u8 v1, v[8:9], off
	s_wait_loadcnt 0x0
	v_lshlrev_b32_e32 v3, 25, v1
	v_lshlrev_b16 v1, 8, v1
	s_delay_alu instid0(VALU_DEP_1) | instskip(NEXT) | instid1(VALU_DEP_3)
	v_and_or_b32 v5, 0x7f00, v1, 0.5
	v_lshrrev_b32_e32 v4, 4, v3
	v_bfe_i32 v1, v1, 0, 16
	s_delay_alu instid0(VALU_DEP_3) | instskip(NEXT) | instid1(VALU_DEP_3)
	v_add_f32_e32 v5, -0.5, v5
	v_or_b32_e32 v4, 0x70000000, v4
	s_delay_alu instid0(VALU_DEP_1) | instskip(SKIP_1) | instid1(VALU_DEP_2)
	v_mul_f32_e32 v4, 0x7800000, v4
	v_cmp_gt_u32_e32 vcc_lo, 0x8000000, v3
	v_cndmask_b32_e32 v3, v4, v5, vcc_lo
	s_delay_alu instid0(VALU_DEP_1) | instskip(NEXT) | instid1(VALU_DEP_1)
	v_and_or_b32 v1, 0x80000000, v1, v3
	v_cvt_i32_f32_e32 v4, v1
.LBB55_869:
	s_mov_b32 s48, 0
	s_mov_b32 s47, -1
.LBB55_870:
	s_and_not1_b32 vcc_lo, exec_lo, s48
	s_cbranch_vccnz .LBB55_883
; %bb.871:
	s_cmp_gt_i32 s25, 14
	s_cbranch_scc0 .LBB55_874
; %bb.872:
	s_cmp_eq_u32 s25, 15
	s_cbranch_scc0 .LBB55_877
; %bb.873:
	global_load_u16 v1, v[8:9], off
	s_mov_b32 s47, -1
	s_mov_b32 s24, 0
	s_wait_loadcnt 0x0
	v_lshlrev_b32_e32 v1, 16, v1
	s_delay_alu instid0(VALU_DEP_1)
	v_cvt_i32_f32_e32 v4, v1
	s_branch .LBB55_878
.LBB55_874:
	s_mov_b32 s48, -1
                                        ; implicit-def: $vgpr4
	s_branch .LBB55_879
.LBB55_875:
	s_and_not1_saveexec_b32 s47, s47
	s_cbranch_execz .LBB55_856
.LBB55_876:
	v_cmp_ne_u16_e32 vcc_lo, 0, v1
	s_and_not1_b32 s48, s48, exec_lo
	s_and_b32 s49, vcc_lo, exec_lo
	s_delay_alu instid0(SALU_CYCLE_1)
	s_or_b32 s48, s48, s49
	s_or_b32 exec_lo, exec_lo, s47
	v_mov_b32_e32 v4, 0
	s_and_saveexec_b32 s47, s48
	s_cbranch_execnz .LBB55_857
	s_branch .LBB55_858
.LBB55_877:
	s_mov_b32 s24, -1
                                        ; implicit-def: $vgpr4
.LBB55_878:
	s_mov_b32 s48, 0
.LBB55_879:
	s_delay_alu instid0(SALU_CYCLE_1)
	s_and_b32 vcc_lo, exec_lo, s48
	s_cbranch_vccz .LBB55_883
; %bb.880:
	s_cmp_eq_u32 s25, 11
	s_cbranch_scc0 .LBB55_882
; %bb.881:
	global_load_u8 v1, v[8:9], off
	s_mov_b32 s24, 0
	s_mov_b32 s47, -1
	s_wait_loadcnt 0x0
	v_cmp_ne_u16_e32 vcc_lo, 0, v1
	v_cndmask_b32_e64 v4, 0, 1, vcc_lo
	s_branch .LBB55_883
.LBB55_882:
	s_mov_b32 s24, -1
                                        ; implicit-def: $vgpr4
.LBB55_883:
	s_mov_b32 s25, 0
.LBB55_884:
	s_delay_alu instid0(SALU_CYCLE_1)
	s_and_b32 vcc_lo, exec_lo, s25
	s_cbranch_vccz .LBB55_933
; %bb.885:
	s_and_b32 s0, 0xffff, s0
	s_delay_alu instid0(SALU_CYCLE_1)
	s_cmp_lt_i32 s0, 5
	s_cbranch_scc1 .LBB55_890
; %bb.886:
	s_cmp_lt_i32 s0, 8
	s_cbranch_scc1 .LBB55_891
; %bb.887:
	;; [unrolled: 3-line block ×3, first 2 shown]
	s_cmp_gt_i32 s0, 9
	s_cbranch_scc0 .LBB55_893
; %bb.889:
	s_wait_loadcnt 0x0
	global_load_b64 v[4:5], v[8:9], off
	s_mov_b32 s25, 0
	s_wait_loadcnt 0x0
	v_cvt_i32_f64_e32 v4, v[4:5]
	s_branch .LBB55_894
.LBB55_890:
	s_mov_b32 s25, -1
                                        ; implicit-def: $vgpr4
	s_branch .LBB55_912
.LBB55_891:
	s_mov_b32 s25, -1
                                        ; implicit-def: $vgpr4
	s_branch .LBB55_900
.LBB55_892:
	s_mov_b32 s25, -1
                                        ; implicit-def: $vgpr4
	s_branch .LBB55_897
.LBB55_893:
	s_mov_b32 s25, -1
                                        ; implicit-def: $vgpr4
.LBB55_894:
	s_delay_alu instid0(SALU_CYCLE_1)
	s_and_not1_b32 vcc_lo, exec_lo, s25
	s_cbranch_vccnz .LBB55_896
; %bb.895:
	global_load_b32 v1, v[8:9], off
	s_wait_loadcnt 0x0
	v_cvt_i32_f32_e32 v4, v1
.LBB55_896:
	s_mov_b32 s25, 0
.LBB55_897:
	s_delay_alu instid0(SALU_CYCLE_1)
	s_and_not1_b32 vcc_lo, exec_lo, s25
	s_cbranch_vccnz .LBB55_899
; %bb.898:
	global_load_b32 v1, v[8:9], off
	s_wait_loadcnt 0x0
	v_cvt_i16_f16_e32 v4, v1
.LBB55_899:
	s_mov_b32 s25, 0
.LBB55_900:
	s_delay_alu instid0(SALU_CYCLE_1)
	s_and_not1_b32 vcc_lo, exec_lo, s25
	s_cbranch_vccnz .LBB55_911
; %bb.901:
	s_cmp_lt_i32 s0, 6
	s_cbranch_scc1 .LBB55_904
; %bb.902:
	s_cmp_gt_i32 s0, 6
	s_cbranch_scc0 .LBB55_905
; %bb.903:
	s_wait_loadcnt 0x0
	global_load_b64 v[4:5], v[8:9], off
	s_mov_b32 s25, 0
	s_wait_loadcnt 0x0
	v_cvt_i32_f64_e32 v4, v[4:5]
	s_branch .LBB55_906
.LBB55_904:
	s_mov_b32 s25, -1
                                        ; implicit-def: $vgpr4
	s_branch .LBB55_909
.LBB55_905:
	s_mov_b32 s25, -1
                                        ; implicit-def: $vgpr4
.LBB55_906:
	s_delay_alu instid0(SALU_CYCLE_1)
	s_and_not1_b32 vcc_lo, exec_lo, s25
	s_cbranch_vccnz .LBB55_908
; %bb.907:
	global_load_b32 v1, v[8:9], off
	s_wait_loadcnt 0x0
	v_cvt_i32_f32_e32 v4, v1
.LBB55_908:
	s_mov_b32 s25, 0
.LBB55_909:
	s_delay_alu instid0(SALU_CYCLE_1)
	s_and_not1_b32 vcc_lo, exec_lo, s25
	s_cbranch_vccnz .LBB55_911
; %bb.910:
	global_load_u16 v1, v[8:9], off
	s_wait_loadcnt 0x0
	v_cvt_i16_f16_e32 v4, v1
.LBB55_911:
	s_mov_b32 s25, 0
.LBB55_912:
	s_delay_alu instid0(SALU_CYCLE_1)
	s_and_not1_b32 vcc_lo, exec_lo, s25
	s_cbranch_vccnz .LBB55_932
; %bb.913:
	s_cmp_lt_i32 s0, 2
	s_cbranch_scc1 .LBB55_917
; %bb.914:
	s_cmp_lt_i32 s0, 3
	s_cbranch_scc1 .LBB55_918
; %bb.915:
	s_cmp_gt_i32 s0, 3
	s_cbranch_scc0 .LBB55_919
; %bb.916:
	s_wait_loadcnt 0x0
	global_load_b64 v[4:5], v[8:9], off
	s_mov_b32 s25, 0
	s_branch .LBB55_920
.LBB55_917:
	s_mov_b32 s25, -1
                                        ; implicit-def: $vgpr4
	s_branch .LBB55_926
.LBB55_918:
	s_mov_b32 s25, -1
                                        ; implicit-def: $vgpr4
	s_branch .LBB55_923
.LBB55_919:
	s_mov_b32 s25, -1
                                        ; implicit-def: $vgpr4
.LBB55_920:
	s_delay_alu instid0(SALU_CYCLE_1)
	s_and_not1_b32 vcc_lo, exec_lo, s25
	s_cbranch_vccnz .LBB55_922
; %bb.921:
	s_wait_loadcnt 0x0
	global_load_b32 v4, v[8:9], off
.LBB55_922:
	s_mov_b32 s25, 0
.LBB55_923:
	s_delay_alu instid0(SALU_CYCLE_1)
	s_and_not1_b32 vcc_lo, exec_lo, s25
	s_cbranch_vccnz .LBB55_925
; %bb.924:
	s_wait_loadcnt 0x0
	global_load_u16 v4, v[8:9], off
.LBB55_925:
	s_mov_b32 s25, 0
.LBB55_926:
	s_delay_alu instid0(SALU_CYCLE_1)
	s_and_not1_b32 vcc_lo, exec_lo, s25
	s_cbranch_vccnz .LBB55_932
; %bb.927:
	s_cmp_gt_i32 s0, 0
	s_mov_b32 s0, 0
	s_cbranch_scc0 .LBB55_929
; %bb.928:
	s_wait_loadcnt 0x0
	global_load_u8 v4, v[8:9], off
	s_branch .LBB55_930
.LBB55_929:
	s_mov_b32 s0, -1
                                        ; implicit-def: $vgpr4
.LBB55_930:
	s_delay_alu instid0(SALU_CYCLE_1)
	s_and_not1_b32 vcc_lo, exec_lo, s0
	s_cbranch_vccnz .LBB55_932
; %bb.931:
	s_wait_loadcnt 0x0
	global_load_u8 v4, v[8:9], off
.LBB55_932:
	s_mov_b32 s47, -1
.LBB55_933:
	s_delay_alu instid0(SALU_CYCLE_1)
	s_and_not1_b32 vcc_lo, exec_lo, s47
	s_cbranch_vccnz .LBB55_941
; %bb.934:
	v_mov_b32_e32 v7, 0
	s_and_b32 s0, s9, 0xff
	s_delay_alu instid0(SALU_CYCLE_1) | instskip(NEXT) | instid1(VALU_DEP_1)
	s_cmp_lt_i32 s0, 11
	v_add_nc_u64_e32 v[6:7], s[16:17], v[6:7]
	s_cbranch_scc1 .LBB55_942
; %bb.935:
	s_and_b32 s47, 0xffff, s0
	s_delay_alu instid0(SALU_CYCLE_1)
	s_cmp_gt_i32 s47, 25
	s_cbranch_scc0 .LBB55_943
; %bb.936:
	s_cmp_gt_i32 s47, 28
	s_cbranch_scc0 .LBB55_944
; %bb.937:
	s_cmp_gt_i32 s47, 43
	s_cbranch_scc0 .LBB55_945
; %bb.938:
	s_cmp_gt_i32 s47, 45
	s_cbranch_scc0 .LBB55_946
; %bb.939:
	s_cmp_eq_u32 s47, 46
	s_mov_b32 s49, 0
	s_cbranch_scc0 .LBB55_949
; %bb.940:
	global_load_b32 v1, v[6:7], off
	s_mov_b32 s48, -1
	s_mov_b32 s25, 0
	s_wait_loadcnt 0x0
	v_lshlrev_b32_e32 v1, 16, v1
	s_wait_xcnt 0x1
	s_delay_alu instid0(VALU_DEP_1)
	v_cvt_i32_f32_e32 v8, v1
	s_branch .LBB55_951
.LBB55_941:
	s_mov_b32 s50, 0
	s_mov_b32 s0, s43
	;; [unrolled: 1-line block ×3, first 2 shown]
	s_branch .LBB55_1192
.LBB55_942:
	s_mov_b32 s47, -1
	s_mov_b32 s48, 0
	s_mov_b32 s25, s44
                                        ; implicit-def: $vgpr8
	s_branch .LBB55_1012
.LBB55_943:
	s_mov_b32 s49, -1
	s_mov_b32 s48, 0
	s_mov_b32 s25, s44
                                        ; implicit-def: $vgpr8
	s_branch .LBB55_978
.LBB55_944:
	s_mov_b32 s49, -1
	s_mov_b32 s48, 0
	s_mov_b32 s25, s44
                                        ; implicit-def: $vgpr8
	s_branch .LBB55_961
.LBB55_945:
	s_mov_b32 s49, -1
	s_mov_b32 s48, 0
	s_mov_b32 s25, s44
                                        ; implicit-def: $vgpr8
	s_branch .LBB55_956
.LBB55_946:
	s_mov_b32 s49, -1
	s_mov_b32 s48, 0
	s_mov_b32 s25, s44
	s_branch .LBB55_950
.LBB55_947:
	s_and_not1_saveexec_b32 s47, s47
	s_cbranch_execz .LBB55_714
.LBB55_948:
	v_add_f32_e64 v5, 0x42800000, |v4|
	s_and_not1_b32 s46, s46, exec_lo
	s_delay_alu instid0(VALU_DEP_1) | instskip(NEXT) | instid1(VALU_DEP_1)
	v_and_b32_e32 v5, 0xff, v5
	v_cmp_ne_u32_e32 vcc_lo, 0, v5
	s_and_b32 s48, vcc_lo, exec_lo
	s_delay_alu instid0(SALU_CYCLE_1)
	s_or_b32 s46, s46, s48
	s_or_b32 exec_lo, exec_lo, s47
	v_mov_b32_e32 v6, 0
	s_and_saveexec_b32 s47, s46
	s_cbranch_execnz .LBB55_715
	s_branch .LBB55_716
.LBB55_949:
	s_mov_b32 s25, -1
	s_mov_b32 s48, 0
.LBB55_950:
                                        ; implicit-def: $vgpr8
.LBB55_951:
	s_and_b32 vcc_lo, exec_lo, s49
	s_cbranch_vccz .LBB55_955
; %bb.952:
	s_cmp_eq_u32 s47, 44
	s_cbranch_scc0 .LBB55_954
; %bb.953:
	global_load_u8 v1, v[6:7], off
	s_mov_b32 s25, 0
	s_mov_b32 s48, -1
	s_wait_loadcnt 0x0
	v_lshlrev_b32_e32 v3, 23, v1
	v_cmp_ne_u32_e32 vcc_lo, 0, v1
	s_delay_alu instid0(VALU_DEP_2) | instskip(SKIP_1) | instid1(VALU_DEP_1)
	v_cvt_i32_f32_e32 v3, v3
	s_wait_xcnt 0x1
	v_cndmask_b32_e32 v8, 0, v3, vcc_lo
	s_branch .LBB55_955
.LBB55_954:
	s_mov_b32 s25, -1
                                        ; implicit-def: $vgpr8
.LBB55_955:
	s_mov_b32 s49, 0
.LBB55_956:
	s_delay_alu instid0(SALU_CYCLE_1)
	s_and_b32 vcc_lo, exec_lo, s49
	s_cbranch_vccz .LBB55_960
; %bb.957:
	s_cmp_eq_u32 s47, 29
	s_cbranch_scc0 .LBB55_959
; %bb.958:
	global_load_b64 v[8:9], v[6:7], off
	s_mov_b32 s48, -1
	s_mov_b32 s25, 0
	s_branch .LBB55_960
.LBB55_959:
	s_mov_b32 s25, -1
                                        ; implicit-def: $vgpr8
.LBB55_960:
	s_mov_b32 s49, 0
.LBB55_961:
	s_delay_alu instid0(SALU_CYCLE_1)
	s_and_b32 vcc_lo, exec_lo, s49
	s_cbranch_vccz .LBB55_977
; %bb.962:
	s_cmp_lt_i32 s47, 27
	s_cbranch_scc1 .LBB55_965
; %bb.963:
	s_cmp_gt_i32 s47, 27
	s_cbranch_scc0 .LBB55_966
; %bb.964:
	s_wait_loadcnt 0x0
	global_load_b32 v8, v[6:7], off
	s_mov_b32 s48, 0
	s_branch .LBB55_967
.LBB55_965:
	s_mov_b32 s48, -1
                                        ; implicit-def: $vgpr8
	s_branch .LBB55_970
.LBB55_966:
	s_mov_b32 s48, -1
                                        ; implicit-def: $vgpr8
.LBB55_967:
	s_delay_alu instid0(SALU_CYCLE_1)
	s_and_not1_b32 vcc_lo, exec_lo, s48
	s_cbranch_vccnz .LBB55_969
; %bb.968:
	s_wait_loadcnt 0x0
	global_load_u16 v8, v[6:7], off
.LBB55_969:
	s_mov_b32 s48, 0
.LBB55_970:
	s_delay_alu instid0(SALU_CYCLE_1)
	s_and_not1_b32 vcc_lo, exec_lo, s48
	s_cbranch_vccnz .LBB55_976
; %bb.971:
	global_load_u8 v1, v[6:7], off
	s_mov_b32 s49, 0
	s_mov_b32 s48, exec_lo
	s_wait_loadcnt 0x0
	v_cmpx_lt_i16_e32 0x7f, v1
	s_xor_b32 s48, exec_lo, s48
	s_cbranch_execz .LBB55_988
; %bb.972:
	v_cmp_ne_u16_e32 vcc_lo, 0x80, v1
	s_and_b32 s49, vcc_lo, exec_lo
	s_and_not1_saveexec_b32 s48, s48
	s_cbranch_execnz .LBB55_989
.LBB55_973:
	s_or_b32 exec_lo, exec_lo, s48
	v_mov_b32_e32 v8, 0
	s_and_saveexec_b32 s48, s49
	s_cbranch_execz .LBB55_975
.LBB55_974:
	v_and_b32_e32 v3, 0xffff, v1
	s_delay_alu instid0(VALU_DEP_1) | instskip(SKIP_1) | instid1(VALU_DEP_2)
	v_and_b32_e32 v5, 7, v3
	v_bfe_u32 v10, v3, 3, 4
	v_clz_i32_u32_e32 v8, v5
	s_delay_alu instid0(VALU_DEP_2) | instskip(NEXT) | instid1(VALU_DEP_2)
	v_cmp_eq_u32_e32 vcc_lo, 0, v10
	v_min_u32_e32 v8, 32, v8
	s_delay_alu instid0(VALU_DEP_1) | instskip(NEXT) | instid1(VALU_DEP_1)
	v_subrev_nc_u32_e32 v9, 28, v8
	v_dual_lshlrev_b32 v3, v9, v3 :: v_dual_sub_nc_u32 v8, 29, v8
	s_delay_alu instid0(VALU_DEP_1) | instskip(NEXT) | instid1(VALU_DEP_1)
	v_dual_lshlrev_b32 v1, 24, v1 :: v_dual_bitop2_b32 v3, 7, v3 bitop3:0x40
	v_dual_cndmask_b32 v8, v10, v8 :: v_dual_cndmask_b32 v3, v5, v3
	s_delay_alu instid0(VALU_DEP_2) | instskip(NEXT) | instid1(VALU_DEP_2)
	v_and_b32_e32 v1, 0x80000000, v1
	v_lshl_add_u32 v5, v8, 23, 0x3b800000
	s_delay_alu instid0(VALU_DEP_3) | instskip(NEXT) | instid1(VALU_DEP_1)
	v_lshlrev_b32_e32 v3, 20, v3
	v_or3_b32 v1, v1, v5, v3
	s_delay_alu instid0(VALU_DEP_1)
	v_cvt_i32_f32_e32 v8, v1
.LBB55_975:
	s_or_b32 exec_lo, exec_lo, s48
.LBB55_976:
	s_mov_b32 s48, -1
.LBB55_977:
	s_mov_b32 s49, 0
.LBB55_978:
	s_delay_alu instid0(SALU_CYCLE_1)
	s_and_b32 vcc_lo, exec_lo, s49
	s_cbranch_vccz .LBB55_1011
; %bb.979:
	s_cmp_gt_i32 s47, 22
	s_cbranch_scc0 .LBB55_987
; %bb.980:
	s_cmp_lt_i32 s47, 24
	s_cbranch_scc1 .LBB55_990
; %bb.981:
	s_cmp_gt_i32 s47, 24
	s_cbranch_scc0 .LBB55_991
; %bb.982:
	global_load_u8 v1, v[6:7], off
	s_mov_b32 s49, 0
	s_mov_b32 s48, exec_lo
	s_wait_loadcnt 0x0
	v_cmpx_lt_i16_e32 0x7f, v1
	s_xor_b32 s48, exec_lo, s48
	s_cbranch_execz .LBB55_1003
; %bb.983:
	v_cmp_ne_u16_e32 vcc_lo, 0x80, v1
	s_and_b32 s49, vcc_lo, exec_lo
	s_and_not1_saveexec_b32 s48, s48
	s_cbranch_execnz .LBB55_1004
.LBB55_984:
	s_or_b32 exec_lo, exec_lo, s48
	v_mov_b32_e32 v8, 0
	s_and_saveexec_b32 s48, s49
	s_cbranch_execz .LBB55_986
.LBB55_985:
	v_and_b32_e32 v3, 0xffff, v1
	s_delay_alu instid0(VALU_DEP_1) | instskip(SKIP_1) | instid1(VALU_DEP_2)
	v_and_b32_e32 v5, 3, v3
	v_bfe_u32 v10, v3, 2, 5
	v_clz_i32_u32_e32 v8, v5
	s_delay_alu instid0(VALU_DEP_2) | instskip(NEXT) | instid1(VALU_DEP_2)
	v_cmp_eq_u32_e32 vcc_lo, 0, v10
	v_min_u32_e32 v8, 32, v8
	s_delay_alu instid0(VALU_DEP_1) | instskip(NEXT) | instid1(VALU_DEP_1)
	v_subrev_nc_u32_e32 v9, 29, v8
	v_dual_lshlrev_b32 v3, v9, v3 :: v_dual_sub_nc_u32 v8, 30, v8
	s_delay_alu instid0(VALU_DEP_1) | instskip(NEXT) | instid1(VALU_DEP_1)
	v_dual_lshlrev_b32 v1, 24, v1 :: v_dual_bitop2_b32 v3, 3, v3 bitop3:0x40
	v_dual_cndmask_b32 v8, v10, v8 :: v_dual_cndmask_b32 v3, v5, v3
	s_delay_alu instid0(VALU_DEP_2) | instskip(NEXT) | instid1(VALU_DEP_2)
	v_and_b32_e32 v1, 0x80000000, v1
	v_lshl_add_u32 v5, v8, 23, 0x37800000
	s_delay_alu instid0(VALU_DEP_3) | instskip(NEXT) | instid1(VALU_DEP_1)
	v_lshlrev_b32_e32 v3, 21, v3
	v_or3_b32 v1, v1, v5, v3
	s_delay_alu instid0(VALU_DEP_1)
	v_cvt_i32_f32_e32 v8, v1
.LBB55_986:
	s_or_b32 exec_lo, exec_lo, s48
	s_mov_b32 s48, 0
	s_branch .LBB55_992
.LBB55_987:
	s_mov_b32 s49, -1
                                        ; implicit-def: $vgpr8
	s_branch .LBB55_998
.LBB55_988:
	s_and_not1_saveexec_b32 s48, s48
	s_cbranch_execz .LBB55_973
.LBB55_989:
	v_cmp_ne_u16_e32 vcc_lo, 0, v1
	s_and_not1_b32 s49, s49, exec_lo
	s_and_b32 s50, vcc_lo, exec_lo
	s_delay_alu instid0(SALU_CYCLE_1)
	s_or_b32 s49, s49, s50
	s_or_b32 exec_lo, exec_lo, s48
	v_mov_b32_e32 v8, 0
	s_and_saveexec_b32 s48, s49
	s_cbranch_execnz .LBB55_974
	s_branch .LBB55_975
.LBB55_990:
	s_mov_b32 s48, -1
                                        ; implicit-def: $vgpr8
	s_branch .LBB55_995
.LBB55_991:
	s_mov_b32 s48, -1
                                        ; implicit-def: $vgpr8
.LBB55_992:
	s_delay_alu instid0(SALU_CYCLE_1)
	s_and_b32 vcc_lo, exec_lo, s48
	s_cbranch_vccz .LBB55_994
; %bb.993:
	global_load_u8 v1, v[6:7], off
	s_wait_loadcnt 0x0
	v_lshlrev_b32_e32 v1, 24, v1
	s_delay_alu instid0(VALU_DEP_1) | instskip(NEXT) | instid1(VALU_DEP_1)
	v_and_b32_e32 v3, 0x7f000000, v1
	v_clz_i32_u32_e32 v5, v3
	s_wait_xcnt 0x1
	v_add_nc_u32_e32 v9, 0x1000000, v3
	v_cmp_ne_u32_e32 vcc_lo, 0, v3
	s_delay_alu instid0(VALU_DEP_3) | instskip(NEXT) | instid1(VALU_DEP_1)
	v_min_u32_e32 v5, 32, v5
	v_sub_nc_u32_e64 v5, v5, 4 clamp
	s_delay_alu instid0(VALU_DEP_1) | instskip(NEXT) | instid1(VALU_DEP_1)
	v_dual_lshlrev_b32 v8, v5, v3 :: v_dual_lshlrev_b32 v5, 23, v5
	v_lshrrev_b32_e32 v8, 4, v8
	s_delay_alu instid0(VALU_DEP_1) | instskip(SKIP_1) | instid1(VALU_DEP_2)
	v_sub_nc_u32_e32 v5, v8, v5
	v_ashrrev_i32_e32 v8, 8, v9
	v_add_nc_u32_e32 v5, 0x3c000000, v5
	s_delay_alu instid0(VALU_DEP_1) | instskip(NEXT) | instid1(VALU_DEP_1)
	v_and_or_b32 v5, 0x7f800000, v8, v5
	v_cndmask_b32_e32 v3, 0, v5, vcc_lo
	s_delay_alu instid0(VALU_DEP_1) | instskip(NEXT) | instid1(VALU_DEP_1)
	v_and_or_b32 v1, 0x80000000, v1, v3
	v_cvt_i32_f32_e32 v8, v1
.LBB55_994:
	s_mov_b32 s48, 0
.LBB55_995:
	s_delay_alu instid0(SALU_CYCLE_1)
	s_and_not1_b32 vcc_lo, exec_lo, s48
	s_cbranch_vccnz .LBB55_997
; %bb.996:
	global_load_u8 v1, v[6:7], off
	s_wait_loadcnt 0x0
	v_lshlrev_b32_e32 v3, 25, v1
	v_lshlrev_b16 v1, 8, v1
	s_wait_xcnt 0x1
	s_delay_alu instid0(VALU_DEP_1) | instskip(SKIP_1) | instid1(VALU_DEP_2)
	v_and_or_b32 v8, 0x7f00, v1, 0.5
	v_bfe_i32 v1, v1, 0, 16
	v_dual_add_f32 v8, -0.5, v8 :: v_dual_lshrrev_b32 v5, 4, v3
	v_cmp_gt_u32_e32 vcc_lo, 0x8000000, v3
	s_delay_alu instid0(VALU_DEP_2) | instskip(NEXT) | instid1(VALU_DEP_1)
	v_or_b32_e32 v5, 0x70000000, v5
	v_mul_f32_e32 v5, 0x7800000, v5
	s_delay_alu instid0(VALU_DEP_1) | instskip(NEXT) | instid1(VALU_DEP_1)
	v_cndmask_b32_e32 v3, v5, v8, vcc_lo
	v_and_or_b32 v1, 0x80000000, v1, v3
	s_delay_alu instid0(VALU_DEP_1)
	v_cvt_i32_f32_e32 v8, v1
.LBB55_997:
	s_mov_b32 s49, 0
	s_mov_b32 s48, -1
.LBB55_998:
	s_and_not1_b32 vcc_lo, exec_lo, s49
	s_cbranch_vccnz .LBB55_1011
; %bb.999:
	s_cmp_gt_i32 s47, 14
	s_cbranch_scc0 .LBB55_1002
; %bb.1000:
	s_cmp_eq_u32 s47, 15
	s_cbranch_scc0 .LBB55_1005
; %bb.1001:
	global_load_u16 v1, v[6:7], off
	s_mov_b32 s48, -1
	s_mov_b32 s25, 0
	s_wait_loadcnt 0x0
	v_lshlrev_b32_e32 v1, 16, v1
	s_wait_xcnt 0x1
	s_delay_alu instid0(VALU_DEP_1)
	v_cvt_i32_f32_e32 v8, v1
	s_branch .LBB55_1006
.LBB55_1002:
	s_mov_b32 s49, -1
                                        ; implicit-def: $vgpr8
	s_branch .LBB55_1007
.LBB55_1003:
	s_and_not1_saveexec_b32 s48, s48
	s_cbranch_execz .LBB55_984
.LBB55_1004:
	v_cmp_ne_u16_e32 vcc_lo, 0, v1
	s_and_not1_b32 s49, s49, exec_lo
	s_and_b32 s50, vcc_lo, exec_lo
	s_delay_alu instid0(SALU_CYCLE_1)
	s_or_b32 s49, s49, s50
	s_or_b32 exec_lo, exec_lo, s48
	v_mov_b32_e32 v8, 0
	s_and_saveexec_b32 s48, s49
	s_cbranch_execnz .LBB55_985
	s_branch .LBB55_986
.LBB55_1005:
	s_mov_b32 s25, -1
                                        ; implicit-def: $vgpr8
.LBB55_1006:
	s_mov_b32 s49, 0
.LBB55_1007:
	s_delay_alu instid0(SALU_CYCLE_1)
	s_and_b32 vcc_lo, exec_lo, s49
	s_cbranch_vccz .LBB55_1011
; %bb.1008:
	s_cmp_eq_u32 s47, 11
	s_cbranch_scc0 .LBB55_1010
; %bb.1009:
	global_load_u8 v1, v[6:7], off
	s_mov_b32 s25, 0
	s_mov_b32 s48, -1
	s_wait_loadcnt 0x0
	v_cmp_ne_u16_e32 vcc_lo, 0, v1
	s_wait_xcnt 0x1
	v_cndmask_b32_e64 v8, 0, 1, vcc_lo
	s_branch .LBB55_1011
.LBB55_1010:
	s_mov_b32 s25, -1
                                        ; implicit-def: $vgpr8
.LBB55_1011:
	s_mov_b32 s47, 0
.LBB55_1012:
	s_delay_alu instid0(SALU_CYCLE_1)
	s_and_b32 vcc_lo, exec_lo, s47
	s_cbranch_vccz .LBB55_1061
; %bb.1013:
	s_and_b32 s0, 0xffff, s0
	s_delay_alu instid0(SALU_CYCLE_1)
	s_cmp_lt_i32 s0, 5
	s_cbranch_scc1 .LBB55_1018
; %bb.1014:
	s_cmp_lt_i32 s0, 8
	s_cbranch_scc1 .LBB55_1019
; %bb.1015:
	;; [unrolled: 3-line block ×3, first 2 shown]
	s_cmp_gt_i32 s0, 9
	s_cbranch_scc0 .LBB55_1021
; %bb.1017:
	s_wait_loadcnt 0x0
	global_load_b64 v[8:9], v[6:7], off
	s_mov_b32 s47, 0
	s_wait_loadcnt 0x0
	v_cvt_i32_f64_e32 v8, v[8:9]
	s_branch .LBB55_1022
.LBB55_1018:
	s_mov_b32 s47, -1
                                        ; implicit-def: $vgpr8
	s_branch .LBB55_1040
.LBB55_1019:
	s_mov_b32 s47, -1
                                        ; implicit-def: $vgpr8
	s_branch .LBB55_1028
.LBB55_1020:
	s_mov_b32 s47, -1
                                        ; implicit-def: $vgpr8
	s_branch .LBB55_1025
.LBB55_1021:
	s_mov_b32 s47, -1
                                        ; implicit-def: $vgpr8
.LBB55_1022:
	s_delay_alu instid0(SALU_CYCLE_1)
	s_and_not1_b32 vcc_lo, exec_lo, s47
	s_cbranch_vccnz .LBB55_1024
; %bb.1023:
	global_load_b32 v1, v[6:7], off
	s_wait_loadcnt 0x0
	s_wait_xcnt 0x1
	v_cvt_i32_f32_e32 v8, v1
.LBB55_1024:
	s_mov_b32 s47, 0
.LBB55_1025:
	s_delay_alu instid0(SALU_CYCLE_1)
	s_and_not1_b32 vcc_lo, exec_lo, s47
	s_cbranch_vccnz .LBB55_1027
; %bb.1026:
	global_load_b32 v1, v[6:7], off
	s_wait_loadcnt 0x0
	s_wait_xcnt 0x1
	v_cvt_i16_f16_e32 v8, v1
.LBB55_1027:
	s_mov_b32 s47, 0
.LBB55_1028:
	s_delay_alu instid0(SALU_CYCLE_1)
	s_and_not1_b32 vcc_lo, exec_lo, s47
	s_cbranch_vccnz .LBB55_1039
; %bb.1029:
	s_cmp_lt_i32 s0, 6
	s_cbranch_scc1 .LBB55_1032
; %bb.1030:
	s_cmp_gt_i32 s0, 6
	s_cbranch_scc0 .LBB55_1033
; %bb.1031:
	s_wait_loadcnt 0x0
	global_load_b64 v[8:9], v[6:7], off
	s_mov_b32 s47, 0
	s_wait_loadcnt 0x0
	v_cvt_i32_f64_e32 v8, v[8:9]
	s_branch .LBB55_1034
.LBB55_1032:
	s_mov_b32 s47, -1
                                        ; implicit-def: $vgpr8
	s_branch .LBB55_1037
.LBB55_1033:
	s_mov_b32 s47, -1
                                        ; implicit-def: $vgpr8
.LBB55_1034:
	s_delay_alu instid0(SALU_CYCLE_1)
	s_and_not1_b32 vcc_lo, exec_lo, s47
	s_cbranch_vccnz .LBB55_1036
; %bb.1035:
	global_load_b32 v1, v[6:7], off
	s_wait_loadcnt 0x0
	s_wait_xcnt 0x1
	v_cvt_i32_f32_e32 v8, v1
.LBB55_1036:
	s_mov_b32 s47, 0
.LBB55_1037:
	s_delay_alu instid0(SALU_CYCLE_1)
	s_and_not1_b32 vcc_lo, exec_lo, s47
	s_cbranch_vccnz .LBB55_1039
; %bb.1038:
	global_load_u16 v1, v[6:7], off
	s_wait_loadcnt 0x0
	s_wait_xcnt 0x1
	v_cvt_i16_f16_e32 v8, v1
.LBB55_1039:
	s_mov_b32 s47, 0
.LBB55_1040:
	s_delay_alu instid0(SALU_CYCLE_1)
	s_and_not1_b32 vcc_lo, exec_lo, s47
	s_cbranch_vccnz .LBB55_1060
; %bb.1041:
	s_cmp_lt_i32 s0, 2
	s_cbranch_scc1 .LBB55_1045
; %bb.1042:
	s_cmp_lt_i32 s0, 3
	s_cbranch_scc1 .LBB55_1046
; %bb.1043:
	s_cmp_gt_i32 s0, 3
	s_cbranch_scc0 .LBB55_1047
; %bb.1044:
	s_wait_loadcnt 0x0
	global_load_b64 v[8:9], v[6:7], off
	s_mov_b32 s47, 0
	s_branch .LBB55_1048
.LBB55_1045:
	s_mov_b32 s47, -1
                                        ; implicit-def: $vgpr8
	s_branch .LBB55_1054
.LBB55_1046:
	s_mov_b32 s47, -1
                                        ; implicit-def: $vgpr8
	s_branch .LBB55_1051
.LBB55_1047:
	s_mov_b32 s47, -1
                                        ; implicit-def: $vgpr8
.LBB55_1048:
	s_delay_alu instid0(SALU_CYCLE_1)
	s_and_not1_b32 vcc_lo, exec_lo, s47
	s_cbranch_vccnz .LBB55_1050
; %bb.1049:
	s_wait_loadcnt 0x0
	global_load_b32 v8, v[6:7], off
.LBB55_1050:
	s_mov_b32 s47, 0
.LBB55_1051:
	s_delay_alu instid0(SALU_CYCLE_1)
	s_and_not1_b32 vcc_lo, exec_lo, s47
	s_cbranch_vccnz .LBB55_1053
; %bb.1052:
	s_wait_loadcnt 0x0
	global_load_u16 v8, v[6:7], off
.LBB55_1053:
	s_mov_b32 s47, 0
.LBB55_1054:
	s_delay_alu instid0(SALU_CYCLE_1)
	s_and_not1_b32 vcc_lo, exec_lo, s47
	s_cbranch_vccnz .LBB55_1060
; %bb.1055:
	s_cmp_gt_i32 s0, 0
	s_mov_b32 s0, 0
	s_cbranch_scc0 .LBB55_1057
; %bb.1056:
	s_wait_loadcnt 0x0
	global_load_u8 v8, v[6:7], off
	s_branch .LBB55_1058
.LBB55_1057:
	s_mov_b32 s0, -1
                                        ; implicit-def: $vgpr8
.LBB55_1058:
	s_delay_alu instid0(SALU_CYCLE_1)
	s_and_not1_b32 vcc_lo, exec_lo, s0
	s_cbranch_vccnz .LBB55_1060
; %bb.1059:
	s_wait_loadcnt 0x0
	global_load_u8 v8, v[6:7], off
.LBB55_1060:
	s_mov_b32 s48, -1
.LBB55_1061:
	s_delay_alu instid0(SALU_CYCLE_1)
	s_and_not1_b32 vcc_lo, exec_lo, s48
	s_cbranch_vccnz .LBB55_1075
; %bb.1062:
	s_wait_loadcnt 0x0
	s_delay_alu instid0(VALU_DEP_1) | instskip(SKIP_1) | instid1(VALU_DEP_4)
	v_bfe_i32 v3, v8, 0, 8
	s_wait_xcnt 0x0
	v_and_b32_e32 v6, 0xff, v4
	s_mov_b32 s47, 0
	s_mov_b32 s0, exec_lo
	v_sub_nc_u16 v1, 0, v3
	s_delay_alu instid0(VALU_DEP_1)
	v_max_i16 v5, v3, v1
	v_cmpx_ne_u16_e32 0, v6
	s_cbranch_execz .LBB55_1066
; %bb.1063:
	v_bfe_i32 v1, v4, 0, 8
	s_delay_alu instid0(VALU_DEP_1) | instskip(NEXT) | instid1(VALU_DEP_1)
	v_sub_nc_u16 v6, 0, v1
	v_max_i16 v6, v1, v6
	v_and_b32_e32 v1, 0xff, v5
	s_delay_alu instid0(VALU_DEP_2)
	v_and_b32_e32 v6, 0xffff, v6
.LBB55_1064:                            ; =>This Inner Loop Header: Depth=1
	s_delay_alu instid0(VALU_DEP_2) | instskip(NEXT) | instid1(VALU_DEP_2)
	v_bfe_i32 v8, v1, 0, 8
	v_mov_b32_e32 v5, v6
	s_delay_alu instid0(VALU_DEP_2) | instskip(NEXT) | instid1(VALU_DEP_2)
	v_cvt_f32_i32_e32 v10, v8
	v_bfe_i32 v6, v5, 0, 8
	s_delay_alu instid0(VALU_DEP_1) | instskip(SKIP_1) | instid1(VALU_DEP_2)
	v_cvt_f32_i32_e32 v7, v6
	v_xor_b32_e32 v6, v8, v6
	v_rcp_iflag_f32_e32 v9, v7
	v_nop
	s_delay_alu instid0(TRANS32_DEP_1) | instskip(NEXT) | instid1(VALU_DEP_1)
	v_dual_ashrrev_i32 v6, 30, v6 :: v_dual_mul_f32 v8, v10, v9
	v_trunc_f32_e32 v8, v8
	s_delay_alu instid0(VALU_DEP_1) | instskip(SKIP_1) | instid1(VALU_DEP_2)
	v_dual_fma_f32 v9, -v8, v7, v10 :: v_dual_bitop2_b32 v6, 1, v6 bitop3:0x54
	v_cvt_i32_f32_e32 v8, v8
	v_cmp_ge_f32_e64 vcc_lo, |v9|, |v7|
	s_delay_alu instid0(VALU_DEP_3) | instskip(NEXT) | instid1(VALU_DEP_1)
	v_cndmask_b32_e32 v6, 0, v6, vcc_lo
	v_add_nc_u32_e32 v6, v8, v6
	s_delay_alu instid0(VALU_DEP_1) | instskip(NEXT) | instid1(VALU_DEP_1)
	v_mul_lo_u32 v6, v6, v5
	v_sub_nc_u32_e32 v1, v1, v6
	s_delay_alu instid0(VALU_DEP_1) | instskip(SKIP_1) | instid1(VALU_DEP_2)
	v_bfe_i32 v6, v1, 0, 8
	v_mov_b32_e32 v1, v5
	v_cmp_eq_u16_e32 vcc_lo, 0, v6
	v_and_b32_e32 v6, 0xffff, v6
	s_or_b32 s47, vcc_lo, s47
	s_delay_alu instid0(SALU_CYCLE_1)
	s_and_not1_b32 exec_lo, exec_lo, s47
	s_cbranch_execnz .LBB55_1064
; %bb.1065:
	s_or_b32 exec_lo, exec_lo, s47
.LBB55_1066:
	s_delay_alu instid0(SALU_CYCLE_1) | instskip(NEXT) | instid1(VALU_DEP_2)
	s_or_b32 exec_lo, exec_lo, s0
	v_and_b32_e32 v6, 0xff, v5
	v_mov_b32_e32 v1, 0
	s_mov_b32 s0, exec_lo
	s_delay_alu instid0(VALU_DEP_2)
	v_cmpx_ne_u16_e32 0, v6
	s_cbranch_execz .LBB55_1068
; %bb.1067:
	v_bfe_i32 v1, v5, 0, 8
	v_bfe_i32 v4, v4, 0, 8
	s_delay_alu instid0(VALU_DEP_2) | instskip(NEXT) | instid1(VALU_DEP_2)
	v_cvt_f32_i32_e32 v5, v1
	v_cvt_f32_i32_e32 v7, v4
	v_xor_b32_e32 v1, v4, v1
	s_delay_alu instid0(VALU_DEP_3) | instskip(SKIP_1) | instid1(TRANS32_DEP_1)
	v_rcp_iflag_f32_e32 v6, v5
	v_nop
	v_dual_mul_f32 v6, v7, v6 :: v_dual_ashrrev_i32 v1, 30, v1
	s_delay_alu instid0(VALU_DEP_1) | instskip(NEXT) | instid1(VALU_DEP_2)
	v_or_b32_e32 v1, 1, v1
	v_trunc_f32_e32 v4, v6
	s_delay_alu instid0(VALU_DEP_1) | instskip(SKIP_1) | instid1(VALU_DEP_2)
	v_fma_f32 v6, -v4, v5, v7
	v_cvt_i32_f32_e32 v4, v4
	v_cmp_ge_f32_e64 vcc_lo, |v6|, |v5|
	v_cndmask_b32_e32 v1, 0, v1, vcc_lo
	s_delay_alu instid0(VALU_DEP_1) | instskip(NEXT) | instid1(VALU_DEP_1)
	v_add_nc_u32_e32 v1, v4, v1
	v_bfe_i32 v1, v1, 0, 8
	s_delay_alu instid0(VALU_DEP_1) | instskip(NEXT) | instid1(VALU_DEP_1)
	v_mul_i32_i24_e32 v1, v1, v3
	v_sub_nc_u32_e32 v3, 0, v1
	s_delay_alu instid0(VALU_DEP_1)
	v_max_i32_e32 v1, v1, v3
.LBB55_1068:
	s_or_b32 exec_lo, exec_lo, s0
	v_mov_b32_e32 v3, 0
	s_and_b32 s47, s31, 0xff
	s_delay_alu instid0(SALU_CYCLE_1) | instskip(NEXT) | instid1(VALU_DEP_1)
	s_cmp_lt_i32 s47, 11
	v_add_nc_u64_e32 v[2:3], s[4:5], v[2:3]
	s_cbranch_scc1 .LBB55_1076
; %bb.1069:
	s_and_b32 s48, 0xffff, s47
	s_delay_alu instid0(SALU_CYCLE_1)
	s_cmp_gt_i32 s48, 25
	s_cbranch_scc0 .LBB55_1077
; %bb.1070:
	s_cmp_gt_i32 s48, 28
	s_cbranch_scc0 .LBB55_1078
; %bb.1071:
	;; [unrolled: 3-line block ×4, first 2 shown]
	s_mov_b32 s50, 0
	s_mov_b32 s0, -1
	s_cmp_eq_u32 s48, 46
	s_mov_b32 s49, 0
	s_cbranch_scc0 .LBB55_1081
; %bb.1074:
	v_bfe_i32 v4, v1, 0, 8
	s_mov_b32 s49, -1
	s_mov_b32 s0, 0
	s_delay_alu instid0(VALU_DEP_1) | instskip(NEXT) | instid1(VALU_DEP_1)
	v_bfe_i32 v4, v4, 0, 16
	v_cvt_f32_i32_e32 v4, v4
	s_delay_alu instid0(VALU_DEP_1) | instskip(NEXT) | instid1(VALU_DEP_1)
	v_bfe_u32 v5, v4, 16, 1
	v_add3_u32 v4, v4, v5, 0x7fff
	s_delay_alu instid0(VALU_DEP_1)
	v_lshrrev_b32_e32 v4, 16, v4
	global_store_b32 v[2:3], v4, off
	s_branch .LBB55_1081
.LBB55_1075:
	s_mov_b32 s50, 0
	s_mov_b32 s0, s43
	s_branch .LBB55_1192
.LBB55_1076:
	s_mov_b32 s48, -1
	s_mov_b32 s49, 0
	s_mov_b32 s0, s43
	s_branch .LBB55_1150
.LBB55_1077:
	s_mov_b32 s50, -1
	s_mov_b32 s49, 0
	s_mov_b32 s0, s43
	s_branch .LBB55_1108
.LBB55_1078:
	s_mov_b32 s50, -1
	s_mov_b32 s49, 0
	s_mov_b32 s0, s43
	s_branch .LBB55_1091
.LBB55_1079:
	s_mov_b32 s50, -1
	s_mov_b32 s49, 0
	s_mov_b32 s0, s43
	s_branch .LBB55_1087
.LBB55_1080:
	s_mov_b32 s50, -1
	s_mov_b32 s49, 0
	s_mov_b32 s0, s43
.LBB55_1081:
	s_and_b32 vcc_lo, exec_lo, s50
	s_cbranch_vccz .LBB55_1086
; %bb.1082:
	s_cmp_eq_u32 s48, 44
	s_mov_b32 s0, -1
	s_cbranch_scc0 .LBB55_1086
; %bb.1083:
	s_wait_xcnt 0x0
	v_bfe_i32 v4, v1, 0, 8
	v_mov_b32_e32 v5, 0xff
	s_mov_b32 s49, exec_lo
	s_delay_alu instid0(VALU_DEP_2) | instskip(NEXT) | instid1(VALU_DEP_1)
	v_bfe_i32 v4, v4, 0, 16
	v_cvt_f32_i32_e32 v4, v4
	s_delay_alu instid0(VALU_DEP_1) | instskip(NEXT) | instid1(VALU_DEP_1)
	v_bfe_u32 v6, v4, 23, 8
	v_cmpx_ne_u32_e32 0xff, v6
	s_cbranch_execz .LBB55_1085
; %bb.1084:
	v_and_b32_e32 v5, 0x400000, v4
	v_and_or_b32 v6, 0x3fffff, v4, v6
	v_lshrrev_b32_e32 v4, 23, v4
	s_delay_alu instid0(VALU_DEP_3) | instskip(NEXT) | instid1(VALU_DEP_3)
	v_cmp_ne_u32_e32 vcc_lo, 0, v5
	v_cmp_ne_u32_e64 s0, 0, v6
	s_and_b32 s0, vcc_lo, s0
	s_delay_alu instid0(SALU_CYCLE_1) | instskip(NEXT) | instid1(VALU_DEP_1)
	v_cndmask_b32_e64 v5, 0, 1, s0
	v_add_nc_u32_e32 v5, v4, v5
.LBB55_1085:
	s_or_b32 exec_lo, exec_lo, s49
	s_mov_b32 s49, -1
	s_mov_b32 s0, 0
	global_store_b8 v[2:3], v5, off
.LBB55_1086:
	s_mov_b32 s50, 0
.LBB55_1087:
	s_delay_alu instid0(SALU_CYCLE_1)
	s_and_b32 vcc_lo, exec_lo, s50
	s_cbranch_vccz .LBB55_1090
; %bb.1088:
	s_cmp_eq_u32 s48, 29
	s_mov_b32 s0, -1
	s_cbranch_scc0 .LBB55_1090
; %bb.1089:
	s_wait_xcnt 0x0
	v_bfe_i32 v4, v1, 0, 8
	s_mov_b32 s49, -1
	s_mov_b32 s0, 0
	s_mov_b32 s50, 0
	s_delay_alu instid0(VALU_DEP_1)
	v_ashrrev_i32_e32 v5, 31, v4
	global_store_b64 v[2:3], v[4:5], off
	s_branch .LBB55_1091
.LBB55_1090:
	s_mov_b32 s50, 0
.LBB55_1091:
	s_delay_alu instid0(SALU_CYCLE_1)
	s_and_b32 vcc_lo, exec_lo, s50
	s_cbranch_vccz .LBB55_1107
; %bb.1092:
	s_cmp_lt_i32 s48, 27
	s_mov_b32 s49, -1
	s_cbranch_scc1 .LBB55_1098
; %bb.1093:
	s_cmp_gt_i32 s48, 27
	s_cbranch_scc0 .LBB55_1095
; %bb.1094:
	s_wait_xcnt 0x0
	v_bfe_i32 v4, v1, 0, 8
	s_mov_b32 s49, 0
	global_store_b32 v[2:3], v4, off
.LBB55_1095:
	s_and_not1_b32 vcc_lo, exec_lo, s49
	s_cbranch_vccnz .LBB55_1097
; %bb.1096:
	s_wait_xcnt 0x0
	v_bfe_i32 v4, v1, 0, 8
	global_store_b16 v[2:3], v4, off
.LBB55_1097:
	s_mov_b32 s49, 0
.LBB55_1098:
	s_delay_alu instid0(SALU_CYCLE_1)
	s_and_not1_b32 vcc_lo, exec_lo, s49
	s_cbranch_vccnz .LBB55_1106
; %bb.1099:
	s_wait_xcnt 0x0
	v_bfe_i32 v4, v1, 0, 8
	v_mov_b32_e32 v6, 0x80
	s_mov_b32 s49, exec_lo
	s_delay_alu instid0(VALU_DEP_2) | instskip(NEXT) | instid1(VALU_DEP_1)
	v_bfe_i32 v4, v4, 0, 16
	v_cvt_f32_i32_e32 v4, v4
	s_delay_alu instid0(VALU_DEP_1) | instskip(NEXT) | instid1(VALU_DEP_1)
	v_and_b32_e32 v5, 0x7fffffff, v4
	v_cmpx_gt_u32_e32 0x43800000, v5
	s_cbranch_execz .LBB55_1105
; %bb.1100:
	v_cmp_lt_u32_e32 vcc_lo, 0x3bffffff, v5
	s_mov_b32 s50, 0
                                        ; implicit-def: $vgpr5
	s_and_saveexec_b32 s51, vcc_lo
	s_delay_alu instid0(SALU_CYCLE_1)
	s_xor_b32 s51, exec_lo, s51
	s_cbranch_execz .LBB55_1220
; %bb.1101:
	v_bfe_u32 v5, v4, 20, 1
	s_mov_b32 s50, exec_lo
	s_delay_alu instid0(VALU_DEP_1) | instskip(NEXT) | instid1(VALU_DEP_1)
	v_add3_u32 v5, v4, v5, 0x487ffff
	v_lshrrev_b32_e32 v5, 20, v5
	s_and_not1_saveexec_b32 s51, s51
	s_cbranch_execnz .LBB55_1221
.LBB55_1102:
	s_or_b32 exec_lo, exec_lo, s51
	v_mov_b32_e32 v6, 0
	s_and_saveexec_b32 s51, s50
.LBB55_1103:
	v_lshrrev_b32_e32 v4, 24, v4
	s_delay_alu instid0(VALU_DEP_1)
	v_and_or_b32 v6, 0x80, v4, v5
.LBB55_1104:
	s_or_b32 exec_lo, exec_lo, s51
.LBB55_1105:
	s_delay_alu instid0(SALU_CYCLE_1)
	s_or_b32 exec_lo, exec_lo, s49
	global_store_b8 v[2:3], v6, off
.LBB55_1106:
	s_mov_b32 s49, -1
.LBB55_1107:
	s_mov_b32 s50, 0
.LBB55_1108:
	s_delay_alu instid0(SALU_CYCLE_1)
	s_and_b32 vcc_lo, exec_lo, s50
	s_cbranch_vccz .LBB55_1149
; %bb.1109:
	s_cmp_gt_i32 s48, 22
	s_mov_b32 s50, -1
	s_cbranch_scc0 .LBB55_1141
; %bb.1110:
	s_cmp_lt_i32 s48, 24
	s_mov_b32 s49, -1
	s_cbranch_scc1 .LBB55_1130
; %bb.1111:
	s_cmp_gt_i32 s48, 24
	s_cbranch_scc0 .LBB55_1119
; %bb.1112:
	s_wait_xcnt 0x0
	v_bfe_i32 v4, v1, 0, 8
	v_mov_b32_e32 v6, 0x80
	s_mov_b32 s49, exec_lo
	s_delay_alu instid0(VALU_DEP_2) | instskip(NEXT) | instid1(VALU_DEP_1)
	v_bfe_i32 v4, v4, 0, 16
	v_cvt_f32_i32_e32 v4, v4
	s_delay_alu instid0(VALU_DEP_1) | instskip(NEXT) | instid1(VALU_DEP_1)
	v_and_b32_e32 v5, 0x7fffffff, v4
	v_cmpx_gt_u32_e32 0x47800000, v5
	s_cbranch_execz .LBB55_1118
; %bb.1113:
	v_cmp_lt_u32_e32 vcc_lo, 0x37ffffff, v5
	s_mov_b32 s50, 0
                                        ; implicit-def: $vgpr5
	s_and_saveexec_b32 s51, vcc_lo
	s_delay_alu instid0(SALU_CYCLE_1)
	s_xor_b32 s51, exec_lo, s51
	s_cbranch_execz .LBB55_2281
; %bb.1114:
	v_bfe_u32 v5, v4, 21, 1
	s_mov_b32 s50, exec_lo
	s_delay_alu instid0(VALU_DEP_1) | instskip(NEXT) | instid1(VALU_DEP_1)
	v_add3_u32 v5, v4, v5, 0x88fffff
	v_lshrrev_b32_e32 v5, 21, v5
	s_and_not1_saveexec_b32 s51, s51
	s_cbranch_execnz .LBB55_2282
.LBB55_1115:
	s_or_b32 exec_lo, exec_lo, s51
	v_mov_b32_e32 v6, 0
	s_and_saveexec_b32 s51, s50
.LBB55_1116:
	v_lshrrev_b32_e32 v4, 24, v4
	s_delay_alu instid0(VALU_DEP_1)
	v_and_or_b32 v6, 0x80, v4, v5
.LBB55_1117:
	s_or_b32 exec_lo, exec_lo, s51
.LBB55_1118:
	s_delay_alu instid0(SALU_CYCLE_1)
	s_or_b32 exec_lo, exec_lo, s49
	s_mov_b32 s49, 0
	global_store_b8 v[2:3], v6, off
.LBB55_1119:
	s_and_b32 vcc_lo, exec_lo, s49
	s_cbranch_vccz .LBB55_1129
; %bb.1120:
	s_wait_xcnt 0x0
	v_bfe_i32 v4, v1, 0, 8
	s_mov_b32 s49, exec_lo
                                        ; implicit-def: $vgpr5
	s_delay_alu instid0(VALU_DEP_1) | instskip(NEXT) | instid1(VALU_DEP_1)
	v_bfe_i32 v4, v4, 0, 16
	v_cvt_f32_i32_e32 v4, v4
	s_delay_alu instid0(VALU_DEP_1) | instskip(NEXT) | instid1(VALU_DEP_1)
	v_and_b32_e32 v6, 0x7fffffff, v4
	v_cmpx_gt_u32_e32 0x43f00000, v6
	s_xor_b32 s49, exec_lo, s49
	s_cbranch_execz .LBB55_1126
; %bb.1121:
	s_mov_b32 s50, exec_lo
                                        ; implicit-def: $vgpr5
	v_cmpx_lt_u32_e32 0x3c7fffff, v6
	s_xor_b32 s50, exec_lo, s50
; %bb.1122:
	v_bfe_u32 v5, v4, 20, 1
	s_delay_alu instid0(VALU_DEP_1) | instskip(NEXT) | instid1(VALU_DEP_1)
	v_add3_u32 v5, v4, v5, 0x407ffff
	v_and_b32_e32 v6, 0xff00000, v5
	v_lshrrev_b32_e32 v5, 20, v5
	s_delay_alu instid0(VALU_DEP_2) | instskip(NEXT) | instid1(VALU_DEP_2)
	v_cmp_ne_u32_e32 vcc_lo, 0x7f00000, v6
	v_cndmask_b32_e32 v5, 0x7e, v5, vcc_lo
; %bb.1123:
	s_and_not1_saveexec_b32 s50, s50
; %bb.1124:
	v_add_f32_e64 v5, 0x46800000, |v4|
; %bb.1125:
	s_or_b32 exec_lo, exec_lo, s50
                                        ; implicit-def: $vgpr6
.LBB55_1126:
	s_and_not1_saveexec_b32 s49, s49
; %bb.1127:
	v_mov_b32_e32 v5, 0x7f
	v_cmp_lt_u32_e32 vcc_lo, 0x7f800000, v6
	s_delay_alu instid0(VALU_DEP_2)
	v_cndmask_b32_e32 v5, 0x7e, v5, vcc_lo
; %bb.1128:
	s_or_b32 exec_lo, exec_lo, s49
	v_lshrrev_b32_e32 v4, 24, v4
	s_delay_alu instid0(VALU_DEP_1)
	v_and_or_b32 v4, 0x80, v4, v5
	global_store_b8 v[2:3], v4, off
.LBB55_1129:
	s_mov_b32 s49, 0
.LBB55_1130:
	s_delay_alu instid0(SALU_CYCLE_1)
	s_and_not1_b32 vcc_lo, exec_lo, s49
	s_cbranch_vccnz .LBB55_1140
; %bb.1131:
	s_wait_xcnt 0x0
	v_bfe_i32 v4, v1, 0, 8
	s_mov_b32 s49, exec_lo
                                        ; implicit-def: $vgpr5
	s_delay_alu instid0(VALU_DEP_1) | instskip(NEXT) | instid1(VALU_DEP_1)
	v_bfe_i32 v4, v4, 0, 16
	v_cvt_f32_i32_e32 v4, v4
	s_delay_alu instid0(VALU_DEP_1) | instskip(NEXT) | instid1(VALU_DEP_1)
	v_and_b32_e32 v6, 0x7fffffff, v4
	v_cmpx_gt_u32_e32 0x47800000, v6
	s_xor_b32 s49, exec_lo, s49
	s_cbranch_execz .LBB55_1137
; %bb.1132:
	s_mov_b32 s50, exec_lo
                                        ; implicit-def: $vgpr5
	v_cmpx_lt_u32_e32 0x387fffff, v6
	s_xor_b32 s50, exec_lo, s50
; %bb.1133:
	v_bfe_u32 v5, v4, 21, 1
	s_delay_alu instid0(VALU_DEP_1) | instskip(NEXT) | instid1(VALU_DEP_1)
	v_add3_u32 v5, v4, v5, 0x80fffff
	v_lshrrev_b32_e32 v5, 21, v5
; %bb.1134:
	s_and_not1_saveexec_b32 s50, s50
; %bb.1135:
	v_add_f32_e64 v5, 0x43000000, |v4|
; %bb.1136:
	s_or_b32 exec_lo, exec_lo, s50
                                        ; implicit-def: $vgpr6
.LBB55_1137:
	s_and_not1_saveexec_b32 s49, s49
; %bb.1138:
	v_mov_b32_e32 v5, 0x7f
	v_cmp_lt_u32_e32 vcc_lo, 0x7f800000, v6
	s_delay_alu instid0(VALU_DEP_2)
	v_cndmask_b32_e32 v5, 0x7c, v5, vcc_lo
; %bb.1139:
	s_or_b32 exec_lo, exec_lo, s49
	v_lshrrev_b32_e32 v4, 24, v4
	s_delay_alu instid0(VALU_DEP_1)
	v_and_or_b32 v4, 0x80, v4, v5
	global_store_b8 v[2:3], v4, off
.LBB55_1140:
	s_mov_b32 s50, 0
	s_mov_b32 s49, -1
.LBB55_1141:
	s_and_not1_b32 vcc_lo, exec_lo, s50
	s_cbranch_vccnz .LBB55_1149
; %bb.1142:
	s_cmp_gt_i32 s48, 14
	s_mov_b32 s50, -1
	s_cbranch_scc0 .LBB55_1146
; %bb.1143:
	s_cmp_eq_u32 s48, 15
	s_mov_b32 s0, -1
	s_cbranch_scc0 .LBB55_1145
; %bb.1144:
	s_wait_xcnt 0x0
	v_bfe_i32 v4, v1, 0, 8
	s_mov_b32 s49, -1
	s_mov_b32 s0, 0
	s_delay_alu instid0(VALU_DEP_1) | instskip(NEXT) | instid1(VALU_DEP_1)
	v_bfe_i32 v4, v4, 0, 16
	v_cvt_f32_i32_e32 v4, v4
	s_delay_alu instid0(VALU_DEP_1) | instskip(NEXT) | instid1(VALU_DEP_1)
	v_bfe_u32 v5, v4, 16, 1
	v_add3_u32 v4, v4, v5, 0x7fff
	global_store_d16_hi_b16 v[2:3], v4, off
.LBB55_1145:
	s_mov_b32 s50, 0
.LBB55_1146:
	s_delay_alu instid0(SALU_CYCLE_1)
	s_and_b32 vcc_lo, exec_lo, s50
	s_cbranch_vccz .LBB55_1149
; %bb.1147:
	s_cmp_eq_u32 s48, 11
	s_mov_b32 s0, -1
	s_cbranch_scc0 .LBB55_1149
; %bb.1148:
	s_wait_xcnt 0x0
	v_and_b32_e32 v4, 0xff, v1
	s_mov_b32 s0, 0
	s_mov_b32 s49, -1
	s_delay_alu instid0(VALU_DEP_1)
	v_cmp_ne_u16_e32 vcc_lo, 0, v4
	v_cndmask_b32_e64 v4, 0, 1, vcc_lo
	global_store_b8 v[2:3], v4, off
.LBB55_1149:
	s_mov_b32 s48, 0
.LBB55_1150:
	s_delay_alu instid0(SALU_CYCLE_1)
	s_and_b32 vcc_lo, exec_lo, s48
	s_cbranch_vccz .LBB55_1189
; %bb.1151:
	s_and_b32 s47, 0xffff, s47
	s_mov_b32 s48, -1
	s_cmp_lt_i32 s47, 5
	s_cbranch_scc1 .LBB55_1172
; %bb.1152:
	s_cmp_lt_i32 s47, 8
	s_cbranch_scc1 .LBB55_1162
; %bb.1153:
	;; [unrolled: 3-line block ×3, first 2 shown]
	s_cmp_gt_i32 s47, 9
	s_cbranch_scc0 .LBB55_1156
; %bb.1155:
	s_wait_xcnt 0x0
	v_bfe_i32 v4, v1, 0, 8
	v_mov_b32_e32 v6, 0
	s_mov_b32 s48, 0
	s_delay_alu instid0(VALU_DEP_2) | instskip(NEXT) | instid1(VALU_DEP_2)
	v_bfe_i32 v4, v4, 0, 16
	v_mov_b32_e32 v7, v6
	s_delay_alu instid0(VALU_DEP_2)
	v_cvt_f64_i32_e32 v[4:5], v4
	global_store_b128 v[2:3], v[4:7], off
.LBB55_1156:
	s_and_not1_b32 vcc_lo, exec_lo, s48
	s_cbranch_vccnz .LBB55_1158
; %bb.1157:
	s_wait_xcnt 0x0
	v_bfe_i32 v4, v1, 0, 8
	v_mov_b32_e32 v5, 0
	s_delay_alu instid0(VALU_DEP_2) | instskip(NEXT) | instid1(VALU_DEP_1)
	v_bfe_i32 v4, v4, 0, 16
	v_cvt_f32_i32_e32 v4, v4
	global_store_b64 v[2:3], v[4:5], off
.LBB55_1158:
	s_mov_b32 s48, 0
.LBB55_1159:
	s_delay_alu instid0(SALU_CYCLE_1)
	s_and_not1_b32 vcc_lo, exec_lo, s48
	s_cbranch_vccnz .LBB55_1161
; %bb.1160:
	s_wait_xcnt 0x0
	v_bfe_i32 v4, v1, 0, 8
	s_delay_alu instid0(VALU_DEP_1) | instskip(NEXT) | instid1(VALU_DEP_1)
	v_cvt_f16_i16_e32 v4, v4
	v_and_b32_e32 v4, 0xffff, v4
	global_store_b32 v[2:3], v4, off
.LBB55_1161:
	s_mov_b32 s48, 0
.LBB55_1162:
	s_delay_alu instid0(SALU_CYCLE_1)
	s_and_not1_b32 vcc_lo, exec_lo, s48
	s_cbranch_vccnz .LBB55_1171
; %bb.1163:
	s_cmp_lt_i32 s47, 6
	s_mov_b32 s48, -1
	s_cbranch_scc1 .LBB55_1169
; %bb.1164:
	s_cmp_gt_i32 s47, 6
	s_cbranch_scc0 .LBB55_1166
; %bb.1165:
	s_wait_xcnt 0x0
	v_bfe_i32 v4, v1, 0, 8
	s_mov_b32 s48, 0
	s_delay_alu instid0(VALU_DEP_1) | instskip(NEXT) | instid1(VALU_DEP_1)
	v_bfe_i32 v4, v4, 0, 16
	v_cvt_f64_i32_e32 v[4:5], v4
	global_store_b64 v[2:3], v[4:5], off
.LBB55_1166:
	s_and_not1_b32 vcc_lo, exec_lo, s48
	s_cbranch_vccnz .LBB55_1168
; %bb.1167:
	s_wait_xcnt 0x0
	v_bfe_i32 v4, v1, 0, 8
	s_delay_alu instid0(VALU_DEP_1) | instskip(NEXT) | instid1(VALU_DEP_1)
	v_bfe_i32 v4, v4, 0, 16
	v_cvt_f32_i32_e32 v4, v4
	global_store_b32 v[2:3], v4, off
.LBB55_1168:
	s_mov_b32 s48, 0
.LBB55_1169:
	s_delay_alu instid0(SALU_CYCLE_1)
	s_and_not1_b32 vcc_lo, exec_lo, s48
	s_cbranch_vccnz .LBB55_1171
; %bb.1170:
	s_wait_xcnt 0x0
	v_bfe_i32 v4, v1, 0, 8
	s_delay_alu instid0(VALU_DEP_1)
	v_cvt_f16_i16_e32 v4, v4
	global_store_b16 v[2:3], v4, off
.LBB55_1171:
	s_mov_b32 s48, 0
.LBB55_1172:
	s_delay_alu instid0(SALU_CYCLE_1)
	s_and_not1_b32 vcc_lo, exec_lo, s48
	s_cbranch_vccnz .LBB55_1188
; %bb.1173:
	s_cmp_lt_i32 s47, 2
	s_mov_b32 s48, -1
	s_cbranch_scc1 .LBB55_1183
; %bb.1174:
	s_cmp_lt_i32 s47, 3
	s_cbranch_scc1 .LBB55_1180
; %bb.1175:
	s_cmp_gt_i32 s47, 3
	s_cbranch_scc0 .LBB55_1177
; %bb.1176:
	s_wait_xcnt 0x0
	v_bfe_i32 v4, v1, 0, 8
	s_mov_b32 s48, 0
	s_delay_alu instid0(VALU_DEP_1)
	v_ashrrev_i32_e32 v5, 31, v4
	global_store_b64 v[2:3], v[4:5], off
.LBB55_1177:
	s_and_not1_b32 vcc_lo, exec_lo, s48
	s_cbranch_vccnz .LBB55_1179
; %bb.1178:
	s_wait_xcnt 0x0
	v_bfe_i32 v4, v1, 0, 8
	global_store_b32 v[2:3], v4, off
.LBB55_1179:
	s_mov_b32 s48, 0
.LBB55_1180:
	s_delay_alu instid0(SALU_CYCLE_1)
	s_and_not1_b32 vcc_lo, exec_lo, s48
	s_cbranch_vccnz .LBB55_1182
; %bb.1181:
	s_wait_xcnt 0x0
	v_bfe_i32 v4, v1, 0, 8
	global_store_b16 v[2:3], v4, off
.LBB55_1182:
	s_mov_b32 s48, 0
.LBB55_1183:
	s_delay_alu instid0(SALU_CYCLE_1)
	s_and_not1_b32 vcc_lo, exec_lo, s48
	s_cbranch_vccnz .LBB55_1188
; %bb.1184:
	s_cmp_gt_i32 s47, 0
	s_mov_b32 s47, -1
	s_cbranch_scc0 .LBB55_1186
; %bb.1185:
	s_mov_b32 s47, 0
	global_store_b8 v[2:3], v1, off
.LBB55_1186:
	s_and_not1_b32 vcc_lo, exec_lo, s47
	s_cbranch_vccnz .LBB55_1188
; %bb.1187:
	global_store_b8 v[2:3], v1, off
.LBB55_1188:
	s_mov_b32 s49, -1
.LBB55_1189:
	s_delay_alu instid0(SALU_CYCLE_1)
	s_and_not1_b32 vcc_lo, exec_lo, s49
	s_cbranch_vccnz .LBB55_1191
; %bb.1190:
	v_add_nc_u32_e32 v0, 0x80, v0
	s_mov_b32 s50, -1
	s_branch .LBB55_1193
.LBB55_1191:
	s_mov_b32 s50, 0
.LBB55_1192:
                                        ; implicit-def: $vgpr0
.LBB55_1193:
	s_and_not1_b32 s47, s43, exec_lo
	s_and_b32 s0, s0, exec_lo
	s_and_b32 s25, s25, exec_lo
	s_or_b32 s48, s47, s0
	s_and_not1_b32 s0, s44, exec_lo
	s_and_not1_b32 s47, s42, exec_lo
	s_and_b32 s24, s24, exec_lo
	s_or_b32 s49, s0, s25
	s_or_b32 s47, s47, s24
	s_or_not1_b32 s51, s50, exec_lo
.LBB55_1194:
	s_wait_xcnt 0x0
	s_or_b32 exec_lo, exec_lo, s46
	s_mov_b32 s25, 0
	s_mov_b32 s50, 0
	;; [unrolled: 1-line block ×3, first 2 shown]
                                        ; implicit-def: $sgpr0
                                        ; implicit-def: $vgpr8_vgpr9
                                        ; implicit-def: $vgpr6
                                        ; implicit-def: $vgpr2
                                        ; implicit-def: $vgpr4
	s_and_saveexec_b32 s46, s51
	s_cbranch_execz .LBB55_1285
; %bb.1195:
	v_cmp_gt_i32_e32 vcc_lo, s36, v0
	s_mov_b32 s51, s47
                                        ; implicit-def: $sgpr0
                                        ; implicit-def: $vgpr8_vgpr9
                                        ; implicit-def: $vgpr6
                                        ; implicit-def: $vgpr2
                                        ; implicit-def: $vgpr4
	s_and_saveexec_b32 s36, vcc_lo
	s_cbranch_execz .LBB55_1284
; %bb.1196:
	s_and_not1_b32 vcc_lo, exec_lo, s29
	s_cbranch_vccnz .LBB55_1202
; %bb.1197:
	s_and_not1_b32 vcc_lo, exec_lo, s37
	s_cbranch_vccnz .LBB55_1203
; %bb.1198:
	v_dual_mov_b32 v2, 0 :: v_dual_mov_b32 v1, v0
	s_wait_loadcnt 0x0
	v_dual_mov_b32 v4, 0 :: v_dual_mov_b32 v6, 0
	s_add_co_i32 s0, s35, 1
	s_mov_b64 s[24:25], 0xffffffffffffffe8
	s_and_b32 s0, s0, 30
	s_add_nc_u64 s[24:25], s[2:3], s[24:25]
.LBB55_1199:                            ; =>This Inner Loop Header: Depth=1
	s_clause 0x1
	s_load_b128 s[52:55], s[24:25], 0x1c
	s_load_b64 s[50:51], s[24:25], 0x2c
	s_add_co_i32 s0, s0, -2
	s_delay_alu instid0(SALU_CYCLE_1) | instskip(SKIP_2) | instid1(VALU_DEP_1)
	s_cmp_eq_u32 s0, 0
	s_wait_kmcnt 0x0
	v_mul_hi_u32 v3, s53, v1
	v_add_nc_u32_e32 v3, v1, v3
	s_delay_alu instid0(VALU_DEP_1) | instskip(NEXT) | instid1(VALU_DEP_1)
	v_lshrrev_b32_e32 v3, s54, v3
	v_mul_hi_u32 v5, s50, v3
	v_mul_lo_u32 v7, v3, s52
	s_clause 0x1
	s_load_b128 s[56:59], s[24:25], 0xdc
	s_load_b64 s[52:53], s[24:25], 0xec
	s_wait_xcnt 0x0
	s_add_nc_u64 s[24:25], s[24:25], 24
	s_delay_alu instid0(VALU_DEP_1) | instskip(NEXT) | instid1(VALU_DEP_1)
	v_dual_add_nc_u32 v5, v3, v5 :: v_dual_sub_nc_u32 v7, v1, v7
	v_lshrrev_b32_e32 v1, s51, v5
	s_wait_kmcnt 0x0
	s_delay_alu instid0(VALU_DEP_2) | instskip(NEXT) | instid1(VALU_DEP_2)
	v_mad_u32 v2, v7, s56, v2
	v_mul_lo_u32 v5, v1, s55
	v_mad_u32 v6, v7, s58, v6
	v_mad_u32 v4, v7, s57, v4
	s_delay_alu instid0(VALU_DEP_3) | instskip(NEXT) | instid1(VALU_DEP_1)
	v_sub_nc_u32_e32 v3, v3, v5
	v_mad_u32 v2, v3, s59, v2
	s_delay_alu instid0(VALU_DEP_4) | instskip(NEXT) | instid1(VALU_DEP_4)
	v_mad_u32 v6, v3, s53, v6
	v_mad_u32 v4, v3, s52, v4
	s_cbranch_scc0 .LBB55_1199
; %bb.1200:
	s_bitcmp1_b32 s35, 0
	s_cselect_b32 s0, -1, 0
	s_delay_alu instid0(SALU_CYCLE_1)
	s_and_b32 vcc_lo, exec_lo, s0
	s_cbranch_vccnz .LBB55_1204
; %bb.1201:
	s_clause 0x1
	s_load_b96 s[52:54], s[24:25], 0x1c
	s_load_b96 s[56:58], s[24:25], 0xdc
	s_wait_kmcnt 0x0
	v_mul_hi_u32 v3, s53, v1
	s_delay_alu instid0(VALU_DEP_1) | instskip(NEXT) | instid1(VALU_DEP_1)
	v_add_nc_u32_e32 v3, v1, v3
	v_lshrrev_b32_e32 v3, s54, v3
	s_delay_alu instid0(VALU_DEP_1) | instskip(NEXT) | instid1(VALU_DEP_1)
	v_mul_lo_u32 v3, v3, s52
	v_sub_nc_u32_e32 v1, v1, v3
	s_delay_alu instid0(VALU_DEP_1)
	v_mad_u32 v2, v1, s56, v2
	v_mad_u32 v4, v1, s57, v4
	;; [unrolled: 1-line block ×3, first 2 shown]
	s_branch .LBB55_1204
.LBB55_1202:
	s_mov_b32 s0, -1
                                        ; implicit-def: $vgpr6
                                        ; implicit-def: $vgpr4
                                        ; implicit-def: $vgpr2
	s_branch .LBB55_1205
.LBB55_1203:
	s_wait_loadcnt 0x0
	v_dual_mov_b32 v6, 0 :: v_dual_mov_b32 v4, 0
	v_mov_b32_e32 v2, 0
.LBB55_1204:
	s_mov_b32 s0, 0
.LBB55_1205:
	s_delay_alu instid0(SALU_CYCLE_1)
	s_and_not1_b32 vcc_lo, exec_lo, s0
	s_cbranch_vccnz .LBB55_1208
; %bb.1206:
	v_mov_b32_e32 v1, 0
	s_and_not1_b32 vcc_lo, exec_lo, s34
	s_delay_alu instid0(VALU_DEP_1) | instskip(NEXT) | instid1(VALU_DEP_1)
	v_mul_u64_e32 v[2:3], s[18:19], v[0:1]
	v_add_nc_u32_e32 v2, v0, v3
	s_wait_loadcnt 0x0
	s_delay_alu instid0(VALU_DEP_1) | instskip(NEXT) | instid1(VALU_DEP_1)
	v_lshrrev_b32_e32 v8, s10, v2
	v_mul_lo_u32 v2, v8, s8
	s_delay_alu instid0(VALU_DEP_1) | instskip(NEXT) | instid1(VALU_DEP_1)
	v_sub_nc_u32_e32 v0, v0, v2
	v_mul_lo_u32 v2, v0, s12
	v_mul_lo_u32 v6, v0, s14
	;; [unrolled: 1-line block ×3, first 2 shown]
	s_cbranch_vccnz .LBB55_1208
; %bb.1207:
	v_mov_b32_e32 v9, v1
	s_delay_alu instid0(VALU_DEP_1) | instskip(NEXT) | instid1(VALU_DEP_1)
	v_mul_u64_e32 v[0:1], s[22:23], v[8:9]
	v_add_nc_u32_e32 v0, v8, v1
	s_delay_alu instid0(VALU_DEP_1) | instskip(NEXT) | instid1(VALU_DEP_1)
	v_lshrrev_b32_e32 v0, s1, v0
	v_mul_lo_u32 v0, v0, s11
	s_delay_alu instid0(VALU_DEP_1) | instskip(NEXT) | instid1(VALU_DEP_1)
	v_sub_nc_u32_e32 v0, v8, v0
	v_mad_u32 v2, v0, s15, v2
	v_mad_u32 v4, v0, s20, v4
	;; [unrolled: 1-line block ×3, first 2 shown]
.LBB55_1208:
	s_wait_loadcnt 0x0
	v_mov_b32_e32 v5, 0
	s_and_b32 s0, s33, 0xff
	s_delay_alu instid0(SALU_CYCLE_1) | instskip(NEXT) | instid1(VALU_DEP_1)
	s_cmp_lt_i32 s0, 11
	v_add_nc_u64_e32 v[8:9], s[6:7], v[4:5]
	s_cbranch_scc1 .LBB55_1215
; %bb.1209:
	s_and_b32 s1, 0xffff, s0
	s_mov_b32 s7, 0
	s_cmp_gt_i32 s1, 25
	s_cbranch_scc0 .LBB55_1216
; %bb.1210:
	s_cmp_gt_i32 s1, 28
	s_cbranch_scc0 .LBB55_1217
; %bb.1211:
	;; [unrolled: 3-line block ×4, first 2 shown]
	s_cmp_eq_u32 s1, 46
	s_mov_b32 s10, 0
	s_cbranch_scc0 .LBB55_1222
; %bb.1214:
	global_load_b32 v0, v[8:9], off
	s_mov_b32 s6, 0
	s_mov_b32 s8, -1
	s_wait_loadcnt 0x0
	v_lshlrev_b32_e32 v0, 16, v0
	s_delay_alu instid0(VALU_DEP_1)
	v_cvt_i32_f32_e32 v4, v0
	s_branch .LBB55_1224
.LBB55_1215:
	s_mov_b32 s1, -1
	s_mov_b32 s8, 0
	s_mov_b32 s7, 0
	;; [unrolled: 1-line block ×3, first 2 shown]
                                        ; implicit-def: $vgpr4
	s_branch .LBB55_1283
.LBB55_1216:
	s_mov_b32 s10, -1
	s_mov_b32 s8, 0
	s_mov_b32 s6, s47
                                        ; implicit-def: $vgpr4
	s_branch .LBB55_1251
.LBB55_1217:
	s_mov_b32 s10, -1
	s_mov_b32 s8, 0
	s_mov_b32 s6, s47
                                        ; implicit-def: $vgpr4
	s_branch .LBB55_1234
.LBB55_1218:
	s_mov_b32 s10, -1
	s_mov_b32 s8, 0
	s_mov_b32 s6, s47
                                        ; implicit-def: $vgpr4
	s_branch .LBB55_1229
.LBB55_1219:
	s_mov_b32 s10, -1
	s_mov_b32 s8, 0
	s_mov_b32 s6, s47
	s_branch .LBB55_1223
.LBB55_1220:
	s_and_not1_saveexec_b32 s51, s51
	s_cbranch_execz .LBB55_1102
.LBB55_1221:
	v_add_f32_e64 v5, 0x46000000, |v4|
	s_and_not1_b32 s50, s50, exec_lo
	s_delay_alu instid0(VALU_DEP_1) | instskip(NEXT) | instid1(VALU_DEP_1)
	v_and_b32_e32 v5, 0xff, v5
	v_cmp_ne_u32_e32 vcc_lo, 0, v5
	s_and_b32 s52, vcc_lo, exec_lo
	s_delay_alu instid0(SALU_CYCLE_1)
	s_or_b32 s50, s50, s52
	s_or_b32 exec_lo, exec_lo, s51
	v_mov_b32_e32 v6, 0
	s_and_saveexec_b32 s51, s50
	s_cbranch_execnz .LBB55_1103
	s_branch .LBB55_1104
.LBB55_1222:
	s_mov_b32 s6, -1
	s_mov_b32 s8, 0
.LBB55_1223:
                                        ; implicit-def: $vgpr4
.LBB55_1224:
	s_and_b32 vcc_lo, exec_lo, s10
	s_cbranch_vccz .LBB55_1228
; %bb.1225:
	s_cmp_eq_u32 s1, 44
	s_cbranch_scc0 .LBB55_1227
; %bb.1226:
	global_load_u8 v0, v[8:9], off
	s_mov_b32 s6, 0
	s_mov_b32 s8, -1
	s_wait_loadcnt 0x0
	v_lshlrev_b32_e32 v1, 23, v0
	v_cmp_ne_u32_e32 vcc_lo, 0, v0
	s_delay_alu instid0(VALU_DEP_2) | instskip(NEXT) | instid1(VALU_DEP_1)
	v_cvt_i32_f32_e32 v1, v1
	v_cndmask_b32_e32 v4, 0, v1, vcc_lo
	s_branch .LBB55_1228
.LBB55_1227:
	s_mov_b32 s6, -1
                                        ; implicit-def: $vgpr4
.LBB55_1228:
	s_mov_b32 s10, 0
.LBB55_1229:
	s_delay_alu instid0(SALU_CYCLE_1)
	s_and_b32 vcc_lo, exec_lo, s10
	s_cbranch_vccz .LBB55_1233
; %bb.1230:
	s_cmp_eq_u32 s1, 29
	s_cbranch_scc0 .LBB55_1232
; %bb.1231:
	global_load_b64 v[4:5], v[8:9], off
	s_mov_b32 s6, 0
	s_mov_b32 s8, -1
	s_branch .LBB55_1233
.LBB55_1232:
	s_mov_b32 s6, -1
                                        ; implicit-def: $vgpr4
.LBB55_1233:
	s_mov_b32 s10, 0
.LBB55_1234:
	s_delay_alu instid0(SALU_CYCLE_1)
	s_and_b32 vcc_lo, exec_lo, s10
	s_cbranch_vccz .LBB55_1250
; %bb.1235:
	s_cmp_lt_i32 s1, 27
	s_cbranch_scc1 .LBB55_1238
; %bb.1236:
	s_cmp_gt_i32 s1, 27
	s_cbranch_scc0 .LBB55_1239
; %bb.1237:
	s_wait_loadcnt 0x0
	global_load_b32 v4, v[8:9], off
	s_mov_b32 s8, 0
	s_branch .LBB55_1240
.LBB55_1238:
	s_mov_b32 s8, -1
                                        ; implicit-def: $vgpr4
	s_branch .LBB55_1243
.LBB55_1239:
	s_mov_b32 s8, -1
                                        ; implicit-def: $vgpr4
.LBB55_1240:
	s_delay_alu instid0(SALU_CYCLE_1)
	s_and_not1_b32 vcc_lo, exec_lo, s8
	s_cbranch_vccnz .LBB55_1242
; %bb.1241:
	s_wait_loadcnt 0x0
	global_load_u16 v4, v[8:9], off
.LBB55_1242:
	s_mov_b32 s8, 0
.LBB55_1243:
	s_delay_alu instid0(SALU_CYCLE_1)
	s_and_not1_b32 vcc_lo, exec_lo, s8
	s_cbranch_vccnz .LBB55_1249
; %bb.1244:
	global_load_u8 v0, v[8:9], off
	s_mov_b32 s10, 0
	s_mov_b32 s8, exec_lo
	s_wait_loadcnt 0x0
	v_cmpx_lt_i16_e32 0x7f, v0
	s_xor_b32 s8, exec_lo, s8
	s_cbranch_execz .LBB55_1261
; %bb.1245:
	v_cmp_ne_u16_e32 vcc_lo, 0x80, v0
	s_and_b32 s10, vcc_lo, exec_lo
	s_and_not1_saveexec_b32 s8, s8
	s_cbranch_execnz .LBB55_1262
.LBB55_1246:
	s_or_b32 exec_lo, exec_lo, s8
	v_mov_b32_e32 v4, 0
	s_and_saveexec_b32 s8, s10
	s_cbranch_execz .LBB55_1248
.LBB55_1247:
	v_and_b32_e32 v1, 0xffff, v0
	s_delay_alu instid0(VALU_DEP_1) | instskip(SKIP_1) | instid1(VALU_DEP_2)
	v_and_b32_e32 v3, 7, v1
	v_bfe_u32 v7, v1, 3, 4
	v_clz_i32_u32_e32 v4, v3
	s_delay_alu instid0(VALU_DEP_2) | instskip(NEXT) | instid1(VALU_DEP_2)
	v_cmp_eq_u32_e32 vcc_lo, 0, v7
	v_min_u32_e32 v4, 32, v4
	s_delay_alu instid0(VALU_DEP_1) | instskip(NEXT) | instid1(VALU_DEP_1)
	v_subrev_nc_u32_e32 v5, 28, v4
	v_dual_lshlrev_b32 v1, v5, v1 :: v_dual_sub_nc_u32 v4, 29, v4
	s_delay_alu instid0(VALU_DEP_1) | instskip(NEXT) | instid1(VALU_DEP_1)
	v_dual_lshlrev_b32 v0, 24, v0 :: v_dual_bitop2_b32 v1, 7, v1 bitop3:0x40
	v_cndmask_b32_e32 v1, v3, v1, vcc_lo
	s_delay_alu instid0(VALU_DEP_3) | instskip(NEXT) | instid1(VALU_DEP_3)
	v_cndmask_b32_e32 v4, v7, v4, vcc_lo
	v_and_b32_e32 v0, 0x80000000, v0
	s_delay_alu instid0(VALU_DEP_3) | instskip(NEXT) | instid1(VALU_DEP_3)
	v_lshlrev_b32_e32 v1, 20, v1
	v_lshl_add_u32 v3, v4, 23, 0x3b800000
	s_delay_alu instid0(VALU_DEP_1) | instskip(NEXT) | instid1(VALU_DEP_1)
	v_or3_b32 v0, v0, v3, v1
	v_cvt_i32_f32_e32 v4, v0
.LBB55_1248:
	s_or_b32 exec_lo, exec_lo, s8
.LBB55_1249:
	s_mov_b32 s8, -1
.LBB55_1250:
	s_mov_b32 s10, 0
.LBB55_1251:
	s_delay_alu instid0(SALU_CYCLE_1)
	s_and_b32 vcc_lo, exec_lo, s10
	s_cbranch_vccz .LBB55_1282
; %bb.1252:
	s_cmp_gt_i32 s1, 22
	s_cbranch_scc0 .LBB55_1260
; %bb.1253:
	s_cmp_lt_i32 s1, 24
	s_cbranch_scc1 .LBB55_1263
; %bb.1254:
	s_cmp_gt_i32 s1, 24
	s_cbranch_scc0 .LBB55_1264
; %bb.1255:
	global_load_u8 v0, v[8:9], off
	s_mov_b32 s8, 0
	s_mov_b32 s7, exec_lo
	s_wait_loadcnt 0x0
	v_cmpx_lt_i16_e32 0x7f, v0
	s_xor_b32 s7, exec_lo, s7
	s_cbranch_execz .LBB55_1276
; %bb.1256:
	v_cmp_ne_u16_e32 vcc_lo, 0x80, v0
	s_and_b32 s8, vcc_lo, exec_lo
	s_and_not1_saveexec_b32 s7, s7
	s_cbranch_execnz .LBB55_1277
.LBB55_1257:
	s_or_b32 exec_lo, exec_lo, s7
	v_mov_b32_e32 v4, 0
	s_and_saveexec_b32 s7, s8
	s_cbranch_execz .LBB55_1259
.LBB55_1258:
	v_and_b32_e32 v1, 0xffff, v0
	s_delay_alu instid0(VALU_DEP_1) | instskip(SKIP_1) | instid1(VALU_DEP_2)
	v_and_b32_e32 v3, 3, v1
	v_bfe_u32 v7, v1, 2, 5
	v_clz_i32_u32_e32 v4, v3
	s_delay_alu instid0(VALU_DEP_2) | instskip(NEXT) | instid1(VALU_DEP_2)
	v_cmp_eq_u32_e32 vcc_lo, 0, v7
	v_min_u32_e32 v4, 32, v4
	s_delay_alu instid0(VALU_DEP_1) | instskip(NEXT) | instid1(VALU_DEP_1)
	v_subrev_nc_u32_e32 v5, 29, v4
	v_dual_lshlrev_b32 v1, v5, v1 :: v_dual_sub_nc_u32 v4, 30, v4
	s_delay_alu instid0(VALU_DEP_1) | instskip(NEXT) | instid1(VALU_DEP_1)
	v_dual_lshlrev_b32 v0, 24, v0 :: v_dual_bitop2_b32 v1, 3, v1 bitop3:0x40
	v_cndmask_b32_e32 v1, v3, v1, vcc_lo
	s_delay_alu instid0(VALU_DEP_3) | instskip(NEXT) | instid1(VALU_DEP_3)
	v_cndmask_b32_e32 v4, v7, v4, vcc_lo
	v_and_b32_e32 v0, 0x80000000, v0
	s_delay_alu instid0(VALU_DEP_3) | instskip(NEXT) | instid1(VALU_DEP_3)
	v_lshlrev_b32_e32 v1, 21, v1
	v_lshl_add_u32 v3, v4, 23, 0x37800000
	s_delay_alu instid0(VALU_DEP_1) | instskip(NEXT) | instid1(VALU_DEP_1)
	v_or3_b32 v0, v0, v3, v1
	v_cvt_i32_f32_e32 v4, v0
.LBB55_1259:
	s_or_b32 exec_lo, exec_lo, s7
	s_mov_b32 s7, 0
	s_branch .LBB55_1265
.LBB55_1260:
	s_mov_b32 s7, -1
                                        ; implicit-def: $vgpr4
	s_branch .LBB55_1271
.LBB55_1261:
	s_and_not1_saveexec_b32 s8, s8
	s_cbranch_execz .LBB55_1246
.LBB55_1262:
	v_cmp_ne_u16_e32 vcc_lo, 0, v0
	s_and_not1_b32 s10, s10, exec_lo
	s_and_b32 s11, vcc_lo, exec_lo
	s_delay_alu instid0(SALU_CYCLE_1)
	s_or_b32 s10, s10, s11
	s_or_b32 exec_lo, exec_lo, s8
	v_mov_b32_e32 v4, 0
	s_and_saveexec_b32 s8, s10
	s_cbranch_execnz .LBB55_1247
	s_branch .LBB55_1248
.LBB55_1263:
	s_mov_b32 s7, -1
                                        ; implicit-def: $vgpr4
	s_branch .LBB55_1268
.LBB55_1264:
	s_mov_b32 s7, -1
                                        ; implicit-def: $vgpr4
.LBB55_1265:
	s_delay_alu instid0(SALU_CYCLE_1)
	s_and_b32 vcc_lo, exec_lo, s7
	s_cbranch_vccz .LBB55_1267
; %bb.1266:
	global_load_u8 v0, v[8:9], off
	s_wait_loadcnt 0x0
	v_lshlrev_b32_e32 v0, 24, v0
	s_delay_alu instid0(VALU_DEP_1) | instskip(NEXT) | instid1(VALU_DEP_1)
	v_and_b32_e32 v1, 0x7f000000, v0
	v_clz_i32_u32_e32 v3, v1
	v_add_nc_u32_e32 v5, 0x1000000, v1
	v_cmp_ne_u32_e32 vcc_lo, 0, v1
	s_delay_alu instid0(VALU_DEP_3) | instskip(NEXT) | instid1(VALU_DEP_1)
	v_min_u32_e32 v3, 32, v3
	v_sub_nc_u32_e64 v3, v3, 4 clamp
	s_delay_alu instid0(VALU_DEP_1) | instskip(NEXT) | instid1(VALU_DEP_1)
	v_dual_lshlrev_b32 v4, v3, v1 :: v_dual_lshlrev_b32 v3, 23, v3
	v_lshrrev_b32_e32 v4, 4, v4
	s_delay_alu instid0(VALU_DEP_1) | instskip(NEXT) | instid1(VALU_DEP_1)
	v_dual_sub_nc_u32 v3, v4, v3 :: v_dual_ashrrev_i32 v4, 8, v5
	v_add_nc_u32_e32 v3, 0x3c000000, v3
	s_delay_alu instid0(VALU_DEP_1) | instskip(NEXT) | instid1(VALU_DEP_1)
	v_and_or_b32 v3, 0x7f800000, v4, v3
	v_cndmask_b32_e32 v1, 0, v3, vcc_lo
	s_delay_alu instid0(VALU_DEP_1) | instskip(NEXT) | instid1(VALU_DEP_1)
	v_and_or_b32 v0, 0x80000000, v0, v1
	v_cvt_i32_f32_e32 v4, v0
.LBB55_1267:
	s_mov_b32 s7, 0
.LBB55_1268:
	s_delay_alu instid0(SALU_CYCLE_1)
	s_and_not1_b32 vcc_lo, exec_lo, s7
	s_cbranch_vccnz .LBB55_1270
; %bb.1269:
	global_load_u8 v0, v[8:9], off
	s_wait_loadcnt 0x0
	v_lshlrev_b32_e32 v1, 25, v0
	v_lshlrev_b16 v0, 8, v0
	s_delay_alu instid0(VALU_DEP_2) | instskip(NEXT) | instid1(VALU_DEP_2)
	v_cmp_gt_u32_e32 vcc_lo, 0x8000000, v1
	v_and_or_b32 v4, 0x7f00, v0, 0.5
	v_lshrrev_b32_e32 v3, 4, v1
	v_bfe_i32 v0, v0, 0, 16
	s_delay_alu instid0(VALU_DEP_3) | instskip(NEXT) | instid1(VALU_DEP_3)
	v_add_f32_e32 v4, -0.5, v4
	v_or_b32_e32 v3, 0x70000000, v3
	s_delay_alu instid0(VALU_DEP_1) | instskip(NEXT) | instid1(VALU_DEP_1)
	v_mul_f32_e32 v3, 0x7800000, v3
	v_cndmask_b32_e32 v1, v3, v4, vcc_lo
	s_delay_alu instid0(VALU_DEP_1) | instskip(NEXT) | instid1(VALU_DEP_1)
	v_and_or_b32 v0, 0x80000000, v0, v1
	v_cvt_i32_f32_e32 v4, v0
.LBB55_1270:
	s_mov_b32 s7, 0
	s_mov_b32 s8, -1
.LBB55_1271:
	s_and_not1_b32 vcc_lo, exec_lo, s7
	s_mov_b32 s7, 0
	s_cbranch_vccnz .LBB55_1282
; %bb.1272:
	s_cmp_gt_i32 s1, 14
	s_cbranch_scc0 .LBB55_1275
; %bb.1273:
	s_cmp_eq_u32 s1, 15
	s_cbranch_scc0 .LBB55_1278
; %bb.1274:
	global_load_u16 v0, v[8:9], off
	s_mov_b32 s6, 0
	s_mov_b32 s8, -1
	s_wait_loadcnt 0x0
	v_lshlrev_b32_e32 v0, 16, v0
	s_delay_alu instid0(VALU_DEP_1)
	v_cvt_i32_f32_e32 v4, v0
	s_branch .LBB55_1280
.LBB55_1275:
	s_mov_b32 s7, -1
	s_branch .LBB55_1279
.LBB55_1276:
	s_and_not1_saveexec_b32 s7, s7
	s_cbranch_execz .LBB55_1257
.LBB55_1277:
	v_cmp_ne_u16_e32 vcc_lo, 0, v0
	s_and_not1_b32 s8, s8, exec_lo
	s_and_b32 s10, vcc_lo, exec_lo
	s_delay_alu instid0(SALU_CYCLE_1)
	s_or_b32 s8, s8, s10
	s_or_b32 exec_lo, exec_lo, s7
	v_mov_b32_e32 v4, 0
	s_and_saveexec_b32 s7, s8
	s_cbranch_execnz .LBB55_1258
	s_branch .LBB55_1259
.LBB55_1278:
	s_mov_b32 s6, -1
.LBB55_1279:
                                        ; implicit-def: $vgpr4
.LBB55_1280:
	s_and_b32 vcc_lo, exec_lo, s7
	s_mov_b32 s7, 0
	s_cbranch_vccz .LBB55_1282
; %bb.1281:
	s_cmp_lg_u32 s1, 11
	s_mov_b32 s7, -1
	s_cselect_b32 s1, -1, 0
	s_and_not1_b32 s6, s6, exec_lo
	s_and_b32 s1, s1, exec_lo
	s_delay_alu instid0(SALU_CYCLE_1)
	s_or_b32 s6, s6, s1
.LBB55_1282:
	s_mov_b32 s1, 0
.LBB55_1283:
	s_delay_alu instid0(SALU_CYCLE_1)
	s_and_b32 s50, s1, exec_lo
	s_and_not1_b32 s1, s47, exec_lo
	s_and_b32 s6, s6, exec_lo
	s_and_b32 s24, s8, exec_lo
	;; [unrolled: 1-line block ×3, first 2 shown]
	s_or_b32 s51, s1, s6
.LBB55_1284:
	s_wait_xcnt 0x0
	s_or_b32 exec_lo, exec_lo, s36
	s_delay_alu instid0(SALU_CYCLE_1)
	s_and_not1_b32 s1, s47, exec_lo
	s_and_b32 s6, s51, exec_lo
	s_and_b32 s24, s24, exec_lo
	;; [unrolled: 1-line block ×4, first 2 shown]
	s_or_b32 s47, s1, s6
.LBB55_1285:
	s_or_b32 exec_lo, exec_lo, s46
	s_delay_alu instid0(SALU_CYCLE_1)
	s_and_not1_b32 s1, s43, exec_lo
	s_and_b32 s6, s48, exec_lo
	s_and_not1_b32 s7, s44, exec_lo
	s_and_b32 s8, s49, exec_lo
	s_or_b32 s43, s1, s6
	s_and_not1_b32 s1, s42, exec_lo
	s_and_b32 s6, s47, exec_lo
	s_or_b32 s44, s7, s8
	s_and_b32 s24, s24, exec_lo
	s_and_b32 s46, s50, exec_lo
	;; [unrolled: 1-line block ×3, first 2 shown]
	s_or_b32 s42, s1, s6
.LBB55_1286:
	s_or_b32 exec_lo, exec_lo, s45
	s_delay_alu instid0(SALU_CYCLE_1)
	s_and_not1_b32 s1, s38, exec_lo
	s_and_b32 s6, s43, exec_lo
	s_and_not1_b32 s7, s39, exec_lo
	s_and_b32 s8, s44, exec_lo
	s_or_b32 s38, s1, s6
	s_and_not1_b32 s1, s40, exec_lo
	s_and_b32 s6, s42, exec_lo
	s_or_b32 s39, s7, s8
	s_and_b32 s24, s24, exec_lo
	s_and_b32 s43, s46, exec_lo
	;; [unrolled: 1-line block ×3, first 2 shown]
	s_or_b32 s40, s1, s6
	s_or_b32 exec_lo, exec_lo, s41
	s_mov_b32 s1, 0
	s_and_saveexec_b32 s6, s40
	s_cbranch_execz .LBB55_400
.LBB55_1287:
	s_mov_b32 s1, exec_lo
	s_and_not1_b32 s19, s19, exec_lo
	s_trap 2
	s_or_b32 exec_lo, exec_lo, s6
	s_and_saveexec_b32 s6, s19
	s_delay_alu instid0(SALU_CYCLE_1)
	s_xor_b32 s6, exec_lo, s6
	s_cbranch_execnz .LBB55_401
.LBB55_1288:
	s_or_b32 exec_lo, exec_lo, s6
	s_and_saveexec_b32 s6, s43
	s_cbranch_execz .LBB55_1334
.LBB55_1289:
	s_sext_i32_i16 s7, s0
	s_delay_alu instid0(SALU_CYCLE_1)
	s_cmp_lt_i32 s7, 5
	s_cbranch_scc1 .LBB55_1294
; %bb.1290:
	s_cmp_lt_i32 s7, 8
	s_cbranch_scc1 .LBB55_1295
; %bb.1291:
	;; [unrolled: 3-line block ×3, first 2 shown]
	s_cmp_gt_i32 s7, 9
	s_cbranch_scc0 .LBB55_1297
; %bb.1293:
	s_wait_loadcnt 0x0
	global_load_b64 v[0:1], v[8:9], off
	s_mov_b32 s7, 0
	s_wait_loadcnt 0x0
	v_cvt_i32_f64_e32 v4, v[0:1]
	s_branch .LBB55_1298
.LBB55_1294:
                                        ; implicit-def: $vgpr4
	s_branch .LBB55_1315
.LBB55_1295:
                                        ; implicit-def: $vgpr4
	s_branch .LBB55_1304
.LBB55_1296:
	s_mov_b32 s7, -1
                                        ; implicit-def: $vgpr4
	s_branch .LBB55_1301
.LBB55_1297:
	s_mov_b32 s7, -1
                                        ; implicit-def: $vgpr4
.LBB55_1298:
	s_delay_alu instid0(SALU_CYCLE_1)
	s_and_not1_b32 vcc_lo, exec_lo, s7
	s_cbranch_vccnz .LBB55_1300
; %bb.1299:
	s_wait_loadcnt 0x0
	global_load_b32 v0, v[8:9], off
	s_wait_loadcnt 0x0
	v_cvt_i32_f32_e32 v4, v0
.LBB55_1300:
	s_mov_b32 s7, 0
.LBB55_1301:
	s_delay_alu instid0(SALU_CYCLE_1)
	s_and_not1_b32 vcc_lo, exec_lo, s7
	s_cbranch_vccnz .LBB55_1303
; %bb.1302:
	s_wait_loadcnt 0x0
	global_load_b32 v0, v[8:9], off
	s_wait_loadcnt 0x0
	v_cvt_i16_f16_e32 v4, v0
.LBB55_1303:
	s_cbranch_execnz .LBB55_1314
.LBB55_1304:
	s_sext_i32_i16 s7, s0
	s_delay_alu instid0(SALU_CYCLE_1)
	s_cmp_lt_i32 s7, 6
	s_cbranch_scc1 .LBB55_1307
; %bb.1305:
	s_cmp_gt_i32 s7, 6
	s_cbranch_scc0 .LBB55_1308
; %bb.1306:
	s_wait_loadcnt 0x0
	global_load_b64 v[0:1], v[8:9], off
	s_mov_b32 s7, 0
	s_wait_loadcnt 0x0
	v_cvt_i32_f64_e32 v4, v[0:1]
	s_branch .LBB55_1309
.LBB55_1307:
	s_mov_b32 s7, -1
                                        ; implicit-def: $vgpr4
	s_branch .LBB55_1312
.LBB55_1308:
	s_mov_b32 s7, -1
                                        ; implicit-def: $vgpr4
.LBB55_1309:
	s_delay_alu instid0(SALU_CYCLE_1)
	s_and_not1_b32 vcc_lo, exec_lo, s7
	s_cbranch_vccnz .LBB55_1311
; %bb.1310:
	s_wait_loadcnt 0x0
	global_load_b32 v0, v[8:9], off
	s_wait_loadcnt 0x0
	v_cvt_i32_f32_e32 v4, v0
.LBB55_1311:
	s_mov_b32 s7, 0
.LBB55_1312:
	s_delay_alu instid0(SALU_CYCLE_1)
	s_and_not1_b32 vcc_lo, exec_lo, s7
	s_cbranch_vccnz .LBB55_1314
; %bb.1313:
	s_wait_loadcnt 0x0
	global_load_u16 v0, v[8:9], off
	s_wait_loadcnt 0x0
	v_cvt_i16_f16_e32 v4, v0
.LBB55_1314:
	s_cbranch_execnz .LBB55_1333
.LBB55_1315:
	s_sext_i32_i16 s7, s0
	s_delay_alu instid0(SALU_CYCLE_1)
	s_cmp_lt_i32 s7, 2
	s_cbranch_scc1 .LBB55_1319
; %bb.1316:
	s_cmp_lt_i32 s7, 3
	s_cbranch_scc1 .LBB55_1320
; %bb.1317:
	s_cmp_gt_i32 s7, 3
	s_cbranch_scc0 .LBB55_1321
; %bb.1318:
	s_wait_loadcnt 0x0
	global_load_b64 v[4:5], v[8:9], off
	s_mov_b32 s7, 0
	s_branch .LBB55_1322
.LBB55_1319:
                                        ; implicit-def: $vgpr4
	s_branch .LBB55_1328
.LBB55_1320:
	s_mov_b32 s7, -1
                                        ; implicit-def: $vgpr4
	s_branch .LBB55_1325
.LBB55_1321:
	s_mov_b32 s7, -1
                                        ; implicit-def: $vgpr4
.LBB55_1322:
	s_delay_alu instid0(SALU_CYCLE_1)
	s_and_not1_b32 vcc_lo, exec_lo, s7
	s_cbranch_vccnz .LBB55_1324
; %bb.1323:
	s_wait_loadcnt 0x0
	global_load_b32 v4, v[8:9], off
.LBB55_1324:
	s_mov_b32 s7, 0
.LBB55_1325:
	s_delay_alu instid0(SALU_CYCLE_1)
	s_and_not1_b32 vcc_lo, exec_lo, s7
	s_cbranch_vccnz .LBB55_1327
; %bb.1326:
	s_wait_loadcnt 0x0
	global_load_u16 v4, v[8:9], off
.LBB55_1327:
	s_cbranch_execnz .LBB55_1333
.LBB55_1328:
	s_sext_i32_i16 s0, s0
	s_delay_alu instid0(SALU_CYCLE_1)
	s_cmp_gt_i32 s0, 0
	s_mov_b32 s0, 0
	s_cbranch_scc0 .LBB55_1330
; %bb.1329:
	s_wait_loadcnt 0x0
	global_load_u8 v4, v[8:9], off
	s_branch .LBB55_1331
.LBB55_1330:
	s_mov_b32 s0, -1
                                        ; implicit-def: $vgpr4
.LBB55_1331:
	s_delay_alu instid0(SALU_CYCLE_1)
	s_and_not1_b32 vcc_lo, exec_lo, s0
	s_cbranch_vccnz .LBB55_1333
; %bb.1332:
	s_wait_loadcnt 0x0
	global_load_u8 v4, v[8:9], off
.LBB55_1333:
	s_or_b32 s24, s24, exec_lo
.LBB55_1334:
	s_wait_xcnt 0x0
	s_or_b32 exec_lo, exec_lo, s6
	s_mov_b32 s8, 0
	s_mov_b32 s7, 0
	s_mov_b32 s10, 0
                                        ; implicit-def: $sgpr0
                                        ; implicit-def: $vgpr0_vgpr1
                                        ; implicit-def: $vgpr8
	s_and_saveexec_b32 s6, s24
	s_cbranch_execz .LBB55_1342
; %bb.1335:
	v_mov_b32_e32 v7, 0
	s_and_b32 s0, s9, 0xff
	s_delay_alu instid0(SALU_CYCLE_1) | instskip(NEXT) | instid1(VALU_DEP_1)
	s_cmp_lt_i32 s0, 11
	v_add_nc_u64_e32 v[0:1], s[16:17], v[6:7]
	s_cbranch_scc1 .LBB55_1345
; %bb.1336:
	s_and_b32 s7, 0xffff, s0
	s_mov_b32 s9, 0
	s_cmp_gt_i32 s7, 25
	s_cbranch_scc0 .LBB55_1346
; %bb.1337:
	s_cmp_gt_i32 s7, 28
	s_cbranch_scc0 .LBB55_1347
; %bb.1338:
	;; [unrolled: 3-line block ×4, first 2 shown]
	s_cmp_eq_u32 s7, 46
	s_mov_b32 s11, 0
	s_cbranch_scc0 .LBB55_1350
; %bb.1341:
	global_load_b32 v3, v[0:1], off
	s_mov_b32 s10, -1
	s_wait_loadcnt 0x0
	v_lshlrev_b32_e32 v3, 16, v3
	s_delay_alu instid0(VALU_DEP_1)
	v_cvt_i32_f32_e32 v8, v3
	s_branch .LBB55_1352
.LBB55_1342:
	s_or_b32 exec_lo, exec_lo, s6
	s_and_saveexec_b32 s6, s39
	s_cbranch_execnz .LBB55_1411
.LBB55_1343:
	s_or_b32 exec_lo, exec_lo, s6
	s_and_saveexec_b32 s6, s8
	s_delay_alu instid0(SALU_CYCLE_1)
	s_xor_b32 s6, exec_lo, s6
	s_cbranch_execz .LBB55_1412
.LBB55_1344:
	global_load_u8 v3, v[0:1], off
	s_or_b32 s10, s10, exec_lo
	s_wait_loadcnt 0x0
	v_cmp_ne_u16_e32 vcc_lo, 0, v3
	v_cndmask_b32_e64 v8, 0, 1, vcc_lo
	s_wait_xcnt 0x0
	s_or_b32 exec_lo, exec_lo, s6
	s_and_saveexec_b32 s6, s7
	s_cbranch_execz .LBB55_1458
	s_branch .LBB55_1413
.LBB55_1345:
	s_mov_b32 s7, -1
	s_mov_b32 s9, 0
	s_mov_b32 s8, s39
                                        ; implicit-def: $vgpr8
	s_branch .LBB55_1410
.LBB55_1346:
	s_mov_b32 s8, s39
                                        ; implicit-def: $vgpr8
	s_cbranch_execnz .LBB55_1379
	s_branch .LBB55_1409
.LBB55_1347:
	s_mov_b32 s11, -1
	s_mov_b32 s8, s39
                                        ; implicit-def: $vgpr8
	s_branch .LBB55_1362
.LBB55_1348:
	s_mov_b32 s11, -1
	s_mov_b32 s8, s39
                                        ; implicit-def: $vgpr8
	s_branch .LBB55_1357
.LBB55_1349:
	s_mov_b32 s11, -1
	s_mov_b32 s8, s39
	s_branch .LBB55_1351
.LBB55_1350:
	s_mov_b32 s8, -1
.LBB55_1351:
                                        ; implicit-def: $vgpr8
.LBB55_1352:
	s_and_b32 vcc_lo, exec_lo, s11
	s_cbranch_vccz .LBB55_1356
; %bb.1353:
	s_cmp_eq_u32 s7, 44
	s_cbranch_scc0 .LBB55_1355
; %bb.1354:
	global_load_u8 v3, v[0:1], off
	s_mov_b32 s8, 0
	s_mov_b32 s10, -1
	s_wait_loadcnt 0x0
	v_lshlrev_b32_e32 v5, 23, v3
	v_cmp_ne_u32_e32 vcc_lo, 0, v3
	s_delay_alu instid0(VALU_DEP_2) | instskip(NEXT) | instid1(VALU_DEP_1)
	v_cvt_i32_f32_e32 v5, v5
	v_cndmask_b32_e32 v8, 0, v5, vcc_lo
	s_branch .LBB55_1356
.LBB55_1355:
	s_mov_b32 s8, -1
                                        ; implicit-def: $vgpr8
.LBB55_1356:
	s_mov_b32 s11, 0
.LBB55_1357:
	s_delay_alu instid0(SALU_CYCLE_1)
	s_and_b32 vcc_lo, exec_lo, s11
	s_cbranch_vccz .LBB55_1361
; %bb.1358:
	s_cmp_eq_u32 s7, 29
	s_cbranch_scc0 .LBB55_1360
; %bb.1359:
	s_wait_loadcnt 0x0
	global_load_b64 v[8:9], v[0:1], off
	s_mov_b32 s8, 0
	s_mov_b32 s10, -1
	s_branch .LBB55_1361
.LBB55_1360:
	s_mov_b32 s8, -1
                                        ; implicit-def: $vgpr8
.LBB55_1361:
	s_mov_b32 s11, 0
.LBB55_1362:
	s_delay_alu instid0(SALU_CYCLE_1)
	s_and_b32 vcc_lo, exec_lo, s11
	s_cbranch_vccz .LBB55_1378
; %bb.1363:
	s_cmp_lt_i32 s7, 27
	s_cbranch_scc1 .LBB55_1366
; %bb.1364:
	s_cmp_gt_i32 s7, 27
	s_cbranch_scc0 .LBB55_1367
; %bb.1365:
	s_wait_loadcnt 0x0
	global_load_b32 v8, v[0:1], off
	s_mov_b32 s10, 0
	s_branch .LBB55_1368
.LBB55_1366:
	s_mov_b32 s10, -1
                                        ; implicit-def: $vgpr8
	s_branch .LBB55_1371
.LBB55_1367:
	s_mov_b32 s10, -1
                                        ; implicit-def: $vgpr8
.LBB55_1368:
	s_delay_alu instid0(SALU_CYCLE_1)
	s_and_not1_b32 vcc_lo, exec_lo, s10
	s_cbranch_vccnz .LBB55_1370
; %bb.1369:
	s_wait_loadcnt 0x0
	global_load_u16 v8, v[0:1], off
.LBB55_1370:
	s_mov_b32 s10, 0
.LBB55_1371:
	s_delay_alu instid0(SALU_CYCLE_1)
	s_and_not1_b32 vcc_lo, exec_lo, s10
	s_cbranch_vccnz .LBB55_1377
; %bb.1372:
	global_load_u8 v3, v[0:1], off
	s_mov_b32 s11, 0
	s_mov_b32 s10, exec_lo
	s_wait_loadcnt 0x0
	v_cmpx_lt_i16_e32 0x7f, v3
	s_xor_b32 s10, exec_lo, s10
	s_cbranch_execz .LBB55_1388
; %bb.1373:
	v_cmp_ne_u16_e32 vcc_lo, 0x80, v3
	s_and_b32 s11, vcc_lo, exec_lo
	s_and_not1_saveexec_b32 s10, s10
	s_cbranch_execnz .LBB55_1389
.LBB55_1374:
	s_or_b32 exec_lo, exec_lo, s10
	v_mov_b32_e32 v8, 0
	s_and_saveexec_b32 s10, s11
	s_cbranch_execz .LBB55_1376
.LBB55_1375:
	v_and_b32_e32 v5, 0xffff, v3
	s_delay_alu instid0(VALU_DEP_1) | instskip(SKIP_1) | instid1(VALU_DEP_2)
	v_and_b32_e32 v6, 7, v5
	v_bfe_u32 v9, v5, 3, 4
	v_clz_i32_u32_e32 v7, v6
	s_delay_alu instid0(VALU_DEP_2) | instskip(NEXT) | instid1(VALU_DEP_2)
	v_cmp_eq_u32_e32 vcc_lo, 0, v9
	v_min_u32_e32 v7, 32, v7
	s_delay_alu instid0(VALU_DEP_1) | instskip(NEXT) | instid1(VALU_DEP_1)
	v_subrev_nc_u32_e32 v8, 28, v7
	v_dual_lshlrev_b32 v5, v8, v5 :: v_dual_sub_nc_u32 v7, 29, v7
	s_delay_alu instid0(VALU_DEP_1) | instskip(NEXT) | instid1(VALU_DEP_1)
	v_dual_lshlrev_b32 v3, 24, v3 :: v_dual_bitop2_b32 v5, 7, v5 bitop3:0x40
	v_dual_cndmask_b32 v5, v6, v5, vcc_lo :: v_dual_cndmask_b32 v7, v9, v7, vcc_lo
	s_delay_alu instid0(VALU_DEP_2) | instskip(NEXT) | instid1(VALU_DEP_2)
	v_and_b32_e32 v3, 0x80000000, v3
	v_lshlrev_b32_e32 v5, 20, v5
	s_delay_alu instid0(VALU_DEP_3) | instskip(NEXT) | instid1(VALU_DEP_1)
	v_lshl_add_u32 v6, v7, 23, 0x3b800000
	v_or3_b32 v3, v3, v6, v5
	s_delay_alu instid0(VALU_DEP_1)
	v_cvt_i32_f32_e32 v8, v3
.LBB55_1376:
	s_or_b32 exec_lo, exec_lo, s10
.LBB55_1377:
	s_mov_b32 s10, -1
.LBB55_1378:
	s_branch .LBB55_1409
.LBB55_1379:
	s_cmp_gt_i32 s7, 22
	s_cbranch_scc0 .LBB55_1387
; %bb.1380:
	s_cmp_lt_i32 s7, 24
	s_cbranch_scc1 .LBB55_1390
; %bb.1381:
	s_cmp_gt_i32 s7, 24
	s_cbranch_scc0 .LBB55_1391
; %bb.1382:
	global_load_u8 v3, v[0:1], off
	s_mov_b32 s10, 0
	s_mov_b32 s9, exec_lo
	s_wait_loadcnt 0x0
	v_cmpx_lt_i16_e32 0x7f, v3
	s_xor_b32 s9, exec_lo, s9
	s_cbranch_execz .LBB55_1403
; %bb.1383:
	v_cmp_ne_u16_e32 vcc_lo, 0x80, v3
	s_and_b32 s10, vcc_lo, exec_lo
	s_and_not1_saveexec_b32 s9, s9
	s_cbranch_execnz .LBB55_1404
.LBB55_1384:
	s_or_b32 exec_lo, exec_lo, s9
	v_mov_b32_e32 v8, 0
	s_and_saveexec_b32 s9, s10
	s_cbranch_execz .LBB55_1386
.LBB55_1385:
	v_and_b32_e32 v5, 0xffff, v3
	s_delay_alu instid0(VALU_DEP_1) | instskip(SKIP_1) | instid1(VALU_DEP_2)
	v_and_b32_e32 v6, 3, v5
	v_bfe_u32 v9, v5, 2, 5
	v_clz_i32_u32_e32 v7, v6
	s_delay_alu instid0(VALU_DEP_2) | instskip(NEXT) | instid1(VALU_DEP_2)
	v_cmp_eq_u32_e32 vcc_lo, 0, v9
	v_min_u32_e32 v7, 32, v7
	s_delay_alu instid0(VALU_DEP_1) | instskip(NEXT) | instid1(VALU_DEP_1)
	v_subrev_nc_u32_e32 v8, 29, v7
	v_dual_lshlrev_b32 v5, v8, v5 :: v_dual_sub_nc_u32 v7, 30, v7
	s_delay_alu instid0(VALU_DEP_1) | instskip(NEXT) | instid1(VALU_DEP_1)
	v_dual_lshlrev_b32 v3, 24, v3 :: v_dual_bitop2_b32 v5, 3, v5 bitop3:0x40
	v_dual_cndmask_b32 v5, v6, v5, vcc_lo :: v_dual_cndmask_b32 v7, v9, v7, vcc_lo
	s_delay_alu instid0(VALU_DEP_2) | instskip(NEXT) | instid1(VALU_DEP_2)
	v_and_b32_e32 v3, 0x80000000, v3
	v_lshlrev_b32_e32 v5, 21, v5
	s_delay_alu instid0(VALU_DEP_3) | instskip(NEXT) | instid1(VALU_DEP_1)
	v_lshl_add_u32 v6, v7, 23, 0x37800000
	v_or3_b32 v3, v3, v6, v5
	s_delay_alu instid0(VALU_DEP_1)
	v_cvt_i32_f32_e32 v8, v3
.LBB55_1386:
	s_or_b32 exec_lo, exec_lo, s9
	s_mov_b32 s9, 0
	s_branch .LBB55_1392
.LBB55_1387:
	s_mov_b32 s9, -1
                                        ; implicit-def: $vgpr8
	s_branch .LBB55_1398
.LBB55_1388:
	s_and_not1_saveexec_b32 s10, s10
	s_cbranch_execz .LBB55_1374
.LBB55_1389:
	v_cmp_ne_u16_e32 vcc_lo, 0, v3
	s_and_not1_b32 s11, s11, exec_lo
	s_and_b32 s12, vcc_lo, exec_lo
	s_delay_alu instid0(SALU_CYCLE_1)
	s_or_b32 s11, s11, s12
	s_or_b32 exec_lo, exec_lo, s10
	v_mov_b32_e32 v8, 0
	s_and_saveexec_b32 s10, s11
	s_cbranch_execnz .LBB55_1375
	s_branch .LBB55_1376
.LBB55_1390:
	s_mov_b32 s9, -1
                                        ; implicit-def: $vgpr8
	s_branch .LBB55_1395
.LBB55_1391:
	s_mov_b32 s9, -1
                                        ; implicit-def: $vgpr8
.LBB55_1392:
	s_delay_alu instid0(SALU_CYCLE_1)
	s_and_b32 vcc_lo, exec_lo, s9
	s_cbranch_vccz .LBB55_1394
; %bb.1393:
	global_load_u8 v3, v[0:1], off
	s_wait_loadcnt 0x0
	v_lshlrev_b32_e32 v3, 24, v3
	s_delay_alu instid0(VALU_DEP_1) | instskip(NEXT) | instid1(VALU_DEP_1)
	v_and_b32_e32 v5, 0x7f000000, v3
	v_clz_i32_u32_e32 v6, v5
	v_cmp_ne_u32_e32 vcc_lo, 0, v5
	v_add_nc_u32_e32 v8, 0x1000000, v5
	s_delay_alu instid0(VALU_DEP_3) | instskip(NEXT) | instid1(VALU_DEP_1)
	v_min_u32_e32 v6, 32, v6
	v_sub_nc_u32_e64 v6, v6, 4 clamp
	s_delay_alu instid0(VALU_DEP_1) | instskip(NEXT) | instid1(VALU_DEP_1)
	v_dual_lshlrev_b32 v7, v6, v5 :: v_dual_lshlrev_b32 v6, 23, v6
	v_lshrrev_b32_e32 v7, 4, v7
	s_delay_alu instid0(VALU_DEP_1) | instskip(NEXT) | instid1(VALU_DEP_1)
	v_dual_sub_nc_u32 v6, v7, v6 :: v_dual_ashrrev_i32 v7, 8, v8
	v_add_nc_u32_e32 v6, 0x3c000000, v6
	s_delay_alu instid0(VALU_DEP_1) | instskip(NEXT) | instid1(VALU_DEP_1)
	v_and_or_b32 v6, 0x7f800000, v7, v6
	v_cndmask_b32_e32 v5, 0, v6, vcc_lo
	s_delay_alu instid0(VALU_DEP_1) | instskip(NEXT) | instid1(VALU_DEP_1)
	v_and_or_b32 v3, 0x80000000, v3, v5
	v_cvt_i32_f32_e32 v8, v3
.LBB55_1394:
	s_mov_b32 s9, 0
.LBB55_1395:
	s_delay_alu instid0(SALU_CYCLE_1)
	s_and_not1_b32 vcc_lo, exec_lo, s9
	s_cbranch_vccnz .LBB55_1397
; %bb.1396:
	global_load_u8 v3, v[0:1], off
	s_wait_loadcnt 0x0
	v_lshlrev_b32_e32 v5, 25, v3
	v_lshlrev_b16 v3, 8, v3
	s_delay_alu instid0(VALU_DEP_1) | instskip(NEXT) | instid1(VALU_DEP_3)
	v_and_or_b32 v7, 0x7f00, v3, 0.5
	v_lshrrev_b32_e32 v6, 4, v5
	v_bfe_i32 v3, v3, 0, 16
	s_delay_alu instid0(VALU_DEP_3) | instskip(NEXT) | instid1(VALU_DEP_3)
	v_add_f32_e32 v7, -0.5, v7
	v_or_b32_e32 v6, 0x70000000, v6
	s_delay_alu instid0(VALU_DEP_1) | instskip(SKIP_1) | instid1(VALU_DEP_2)
	v_mul_f32_e32 v6, 0x7800000, v6
	v_cmp_gt_u32_e32 vcc_lo, 0x8000000, v5
	v_cndmask_b32_e32 v5, v6, v7, vcc_lo
	s_delay_alu instid0(VALU_DEP_1) | instskip(NEXT) | instid1(VALU_DEP_1)
	v_and_or_b32 v3, 0x80000000, v3, v5
	v_cvt_i32_f32_e32 v8, v3
.LBB55_1397:
	s_mov_b32 s9, 0
	s_mov_b32 s10, -1
.LBB55_1398:
	s_and_not1_b32 vcc_lo, exec_lo, s9
	s_mov_b32 s9, 0
	s_cbranch_vccnz .LBB55_1409
; %bb.1399:
	s_cmp_gt_i32 s7, 14
	s_cbranch_scc0 .LBB55_1402
; %bb.1400:
	s_cmp_eq_u32 s7, 15
	s_cbranch_scc0 .LBB55_1405
; %bb.1401:
	global_load_u16 v3, v[0:1], off
	s_mov_b32 s8, 0
	s_mov_b32 s10, -1
	s_wait_loadcnt 0x0
	v_lshlrev_b32_e32 v3, 16, v3
	s_delay_alu instid0(VALU_DEP_1)
	v_cvt_i32_f32_e32 v8, v3
	s_branch .LBB55_1407
.LBB55_1402:
	s_mov_b32 s9, -1
	s_branch .LBB55_1406
.LBB55_1403:
	s_and_not1_saveexec_b32 s9, s9
	s_cbranch_execz .LBB55_1384
.LBB55_1404:
	v_cmp_ne_u16_e32 vcc_lo, 0, v3
	s_and_not1_b32 s10, s10, exec_lo
	s_and_b32 s11, vcc_lo, exec_lo
	s_delay_alu instid0(SALU_CYCLE_1)
	s_or_b32 s10, s10, s11
	s_or_b32 exec_lo, exec_lo, s9
	v_mov_b32_e32 v8, 0
	s_and_saveexec_b32 s9, s10
	s_cbranch_execnz .LBB55_1385
	s_branch .LBB55_1386
.LBB55_1405:
	s_mov_b32 s8, -1
.LBB55_1406:
                                        ; implicit-def: $vgpr8
.LBB55_1407:
	s_and_b32 vcc_lo, exec_lo, s9
	s_mov_b32 s9, 0
	s_cbranch_vccz .LBB55_1409
; %bb.1408:
	s_cmp_lg_u32 s7, 11
	s_mov_b32 s9, -1
	s_cselect_b32 s7, -1, 0
	s_and_not1_b32 s8, s8, exec_lo
	s_and_b32 s7, s7, exec_lo
	s_delay_alu instid0(SALU_CYCLE_1)
	s_or_b32 s8, s8, s7
.LBB55_1409:
	s_mov_b32 s7, 0
.LBB55_1410:
	s_and_not1_b32 s11, s39, exec_lo
	s_and_b32 s12, s8, exec_lo
	s_and_b32 s10, s10, exec_lo
	;; [unrolled: 1-line block ×4, first 2 shown]
	s_or_b32 s39, s11, s12
	s_wait_xcnt 0x0
	s_or_b32 exec_lo, exec_lo, s6
	s_and_saveexec_b32 s6, s39
	s_cbranch_execz .LBB55_1343
.LBB55_1411:
	s_or_b32 s1, s1, exec_lo
	s_and_not1_b32 s8, s8, exec_lo
	s_trap 2
	s_or_b32 exec_lo, exec_lo, s6
	s_and_saveexec_b32 s6, s8
	s_delay_alu instid0(SALU_CYCLE_1)
	s_xor_b32 s6, exec_lo, s6
	s_cbranch_execnz .LBB55_1344
.LBB55_1412:
	s_or_b32 exec_lo, exec_lo, s6
	s_and_saveexec_b32 s6, s7
	s_cbranch_execz .LBB55_1458
.LBB55_1413:
	s_sext_i32_i16 s7, s0
	s_delay_alu instid0(SALU_CYCLE_1)
	s_cmp_lt_i32 s7, 5
	s_cbranch_scc1 .LBB55_1418
; %bb.1414:
	s_cmp_lt_i32 s7, 8
	s_cbranch_scc1 .LBB55_1419
; %bb.1415:
	;; [unrolled: 3-line block ×3, first 2 shown]
	s_cmp_gt_i32 s7, 9
	s_cbranch_scc0 .LBB55_1421
; %bb.1417:
	global_load_b64 v[6:7], v[0:1], off
	s_mov_b32 s7, 0
	s_wait_loadcnt 0x0
	v_cvt_i32_f64_e32 v8, v[6:7]
	s_branch .LBB55_1422
.LBB55_1418:
                                        ; implicit-def: $vgpr8
	s_branch .LBB55_1439
.LBB55_1419:
                                        ; implicit-def: $vgpr8
	s_branch .LBB55_1428
.LBB55_1420:
	s_mov_b32 s7, -1
                                        ; implicit-def: $vgpr8
	s_branch .LBB55_1425
.LBB55_1421:
	s_mov_b32 s7, -1
                                        ; implicit-def: $vgpr8
.LBB55_1422:
	s_delay_alu instid0(SALU_CYCLE_1)
	s_and_not1_b32 vcc_lo, exec_lo, s7
	s_cbranch_vccnz .LBB55_1424
; %bb.1423:
	global_load_b32 v3, v[0:1], off
	s_wait_loadcnt 0x0
	v_cvt_i32_f32_e32 v8, v3
.LBB55_1424:
	s_mov_b32 s7, 0
.LBB55_1425:
	s_delay_alu instid0(SALU_CYCLE_1)
	s_and_not1_b32 vcc_lo, exec_lo, s7
	s_cbranch_vccnz .LBB55_1427
; %bb.1426:
	global_load_b32 v3, v[0:1], off
	s_wait_loadcnt 0x0
	v_cvt_i16_f16_e32 v8, v3
.LBB55_1427:
	s_cbranch_execnz .LBB55_1438
.LBB55_1428:
	s_sext_i32_i16 s7, s0
	s_delay_alu instid0(SALU_CYCLE_1)
	s_cmp_lt_i32 s7, 6
	s_cbranch_scc1 .LBB55_1431
; %bb.1429:
	s_cmp_gt_i32 s7, 6
	s_cbranch_scc0 .LBB55_1432
; %bb.1430:
	global_load_b64 v[6:7], v[0:1], off
	s_mov_b32 s7, 0
	s_wait_loadcnt 0x0
	v_cvt_i32_f64_e32 v8, v[6:7]
	s_branch .LBB55_1433
.LBB55_1431:
	s_mov_b32 s7, -1
                                        ; implicit-def: $vgpr8
	s_branch .LBB55_1436
.LBB55_1432:
	s_mov_b32 s7, -1
                                        ; implicit-def: $vgpr8
.LBB55_1433:
	s_delay_alu instid0(SALU_CYCLE_1)
	s_and_not1_b32 vcc_lo, exec_lo, s7
	s_cbranch_vccnz .LBB55_1435
; %bb.1434:
	global_load_b32 v3, v[0:1], off
	s_wait_loadcnt 0x0
	v_cvt_i32_f32_e32 v8, v3
.LBB55_1435:
	s_mov_b32 s7, 0
.LBB55_1436:
	s_delay_alu instid0(SALU_CYCLE_1)
	s_and_not1_b32 vcc_lo, exec_lo, s7
	s_cbranch_vccnz .LBB55_1438
; %bb.1437:
	global_load_u16 v3, v[0:1], off
	s_wait_loadcnt 0x0
	v_cvt_i16_f16_e32 v8, v3
.LBB55_1438:
	s_cbranch_execnz .LBB55_1457
.LBB55_1439:
	s_sext_i32_i16 s7, s0
	s_delay_alu instid0(SALU_CYCLE_1)
	s_cmp_lt_i32 s7, 2
	s_cbranch_scc1 .LBB55_1443
; %bb.1440:
	s_cmp_lt_i32 s7, 3
	s_cbranch_scc1 .LBB55_1444
; %bb.1441:
	s_cmp_gt_i32 s7, 3
	s_cbranch_scc0 .LBB55_1445
; %bb.1442:
	s_wait_loadcnt 0x0
	global_load_b64 v[8:9], v[0:1], off
	s_mov_b32 s7, 0
	s_branch .LBB55_1446
.LBB55_1443:
                                        ; implicit-def: $vgpr8
	s_branch .LBB55_1452
.LBB55_1444:
	s_mov_b32 s7, -1
                                        ; implicit-def: $vgpr8
	s_branch .LBB55_1449
.LBB55_1445:
	s_mov_b32 s7, -1
                                        ; implicit-def: $vgpr8
.LBB55_1446:
	s_delay_alu instid0(SALU_CYCLE_1)
	s_and_not1_b32 vcc_lo, exec_lo, s7
	s_cbranch_vccnz .LBB55_1448
; %bb.1447:
	s_wait_loadcnt 0x0
	global_load_b32 v8, v[0:1], off
.LBB55_1448:
	s_mov_b32 s7, 0
.LBB55_1449:
	s_delay_alu instid0(SALU_CYCLE_1)
	s_and_not1_b32 vcc_lo, exec_lo, s7
	s_cbranch_vccnz .LBB55_1451
; %bb.1450:
	s_wait_loadcnt 0x0
	global_load_u16 v8, v[0:1], off
.LBB55_1451:
	s_cbranch_execnz .LBB55_1457
.LBB55_1452:
	s_sext_i32_i16 s0, s0
	s_delay_alu instid0(SALU_CYCLE_1)
	s_cmp_gt_i32 s0, 0
	s_mov_b32 s0, 0
	s_cbranch_scc0 .LBB55_1454
; %bb.1453:
	s_wait_loadcnt 0x0
	global_load_u8 v8, v[0:1], off
	s_branch .LBB55_1455
.LBB55_1454:
	s_mov_b32 s0, -1
                                        ; implicit-def: $vgpr8
.LBB55_1455:
	s_delay_alu instid0(SALU_CYCLE_1)
	s_and_not1_b32 vcc_lo, exec_lo, s0
	s_cbranch_vccnz .LBB55_1457
; %bb.1456:
	s_wait_loadcnt 0x0
	global_load_u8 v8, v[0:1], off
.LBB55_1457:
	s_or_b32 s10, s10, exec_lo
.LBB55_1458:
	s_wait_xcnt 0x0
	s_or_b32 exec_lo, exec_lo, s6
	s_mov_b32 s0, 0
	s_mov_b32 s8, 0
                                        ; implicit-def: $sgpr6
                                        ; implicit-def: $vgpr0_vgpr1
                                        ; implicit-def: $vgpr5
	s_and_saveexec_b32 s7, s10
	s_cbranch_execz .LBB55_1472
; %bb.1459:
	s_wait_loadcnt 0x0
	s_delay_alu instid0(VALU_DEP_1) | instskip(SKIP_3) | instid1(VALU_DEP_2)
	v_bfe_i32 v0, v8, 0, 8
	v_and_b32_e32 v3, 0xff, v4
	s_mov_b32 s6, 0
	s_mov_b32 s0, exec_lo
	v_sub_nc_u16 v1, 0, v0
	s_delay_alu instid0(VALU_DEP_1)
	v_max_i16 v1, v0, v1
	v_cmpx_ne_u16_e32 0, v3
	s_cbranch_execz .LBB55_1463
; %bb.1460:
	v_bfe_i32 v3, v4, 0, 8
	s_delay_alu instid0(VALU_DEP_1) | instskip(NEXT) | instid1(VALU_DEP_1)
	v_sub_nc_u16 v5, 0, v3
	v_max_i16 v5, v3, v5
	v_and_b32_e32 v3, 0xff, v1
	s_delay_alu instid0(VALU_DEP_2)
	v_and_b32_e32 v5, 0xffff, v5
.LBB55_1461:                            ; =>This Inner Loop Header: Depth=1
	s_delay_alu instid0(VALU_DEP_2) | instskip(NEXT) | instid1(VALU_DEP_2)
	v_bfe_i32 v7, v3, 0, 8
	v_mov_b32_e32 v1, v5
	s_delay_alu instid0(VALU_DEP_2) | instskip(NEXT) | instid1(VALU_DEP_2)
	v_cvt_f32_i32_e32 v9, v7
	v_bfe_i32 v5, v1, 0, 8
	s_delay_alu instid0(VALU_DEP_1) | instskip(SKIP_1) | instid1(VALU_DEP_2)
	v_cvt_f32_i32_e32 v6, v5
	v_xor_b32_e32 v5, v7, v5
	v_rcp_iflag_f32_e32 v8, v6
	v_nop
	s_delay_alu instid0(TRANS32_DEP_1) | instskip(NEXT) | instid1(VALU_DEP_1)
	v_dual_ashrrev_i32 v5, 30, v5 :: v_dual_mul_f32 v7, v9, v8
	v_trunc_f32_e32 v7, v7
	s_delay_alu instid0(VALU_DEP_1) | instskip(SKIP_1) | instid1(VALU_DEP_2)
	v_dual_fma_f32 v8, -v7, v6, v9 :: v_dual_bitop2_b32 v5, 1, v5 bitop3:0x54
	v_cvt_i32_f32_e32 v7, v7
	v_cmp_ge_f32_e64 vcc_lo, |v8|, |v6|
	s_delay_alu instid0(VALU_DEP_3) | instskip(NEXT) | instid1(VALU_DEP_1)
	v_cndmask_b32_e32 v5, 0, v5, vcc_lo
	v_add_nc_u32_e32 v5, v7, v5
	s_delay_alu instid0(VALU_DEP_1) | instskip(NEXT) | instid1(VALU_DEP_1)
	v_mul_lo_u32 v5, v5, v1
	v_sub_nc_u32_e32 v3, v3, v5
	s_delay_alu instid0(VALU_DEP_1) | instskip(SKIP_1) | instid1(VALU_DEP_2)
	v_bfe_i32 v5, v3, 0, 8
	v_mov_b32_e32 v3, v1
	v_cmp_eq_u16_e32 vcc_lo, 0, v5
	v_and_b32_e32 v5, 0xffff, v5
	s_or_b32 s6, vcc_lo, s6
	s_delay_alu instid0(SALU_CYCLE_1)
	s_and_not1_b32 exec_lo, exec_lo, s6
	s_cbranch_execnz .LBB55_1461
; %bb.1462:
	s_or_b32 exec_lo, exec_lo, s6
.LBB55_1463:
	s_delay_alu instid0(SALU_CYCLE_1) | instskip(NEXT) | instid1(VALU_DEP_2)
	s_or_b32 exec_lo, exec_lo, s0
	v_and_b32_e32 v3, 0xff, v1
	v_mov_b32_e32 v5, 0
	s_mov_b32 s0, exec_lo
	s_delay_alu instid0(VALU_DEP_2)
	v_cmpx_ne_u16_e32 0, v3
	s_cbranch_execz .LBB55_1465
; %bb.1464:
	v_bfe_i32 v1, v1, 0, 8
	v_bfe_i32 v4, v4, 0, 8
	s_delay_alu instid0(VALU_DEP_2) | instskip(NEXT) | instid1(VALU_DEP_2)
	v_cvt_f32_i32_e32 v3, v1
	v_cvt_f32_i32_e32 v6, v4
	v_xor_b32_e32 v1, v4, v1
	s_delay_alu instid0(VALU_DEP_3) | instskip(SKIP_1) | instid1(TRANS32_DEP_1)
	v_rcp_iflag_f32_e32 v5, v3
	v_nop
	v_mul_f32_e32 v5, v6, v5
	s_delay_alu instid0(VALU_DEP_1) | instskip(NEXT) | instid1(VALU_DEP_1)
	v_trunc_f32_e32 v4, v5
	v_dual_fma_f32 v5, -v4, v3, v6 :: v_dual_ashrrev_i32 v1, 30, v1
	v_cvt_i32_f32_e32 v4, v4
	s_delay_alu instid0(VALU_DEP_2) | instskip(NEXT) | instid1(VALU_DEP_3)
	v_cmp_ge_f32_e64 vcc_lo, |v5|, |v3|
	v_or_b32_e32 v1, 1, v1
	s_delay_alu instid0(VALU_DEP_1) | instskip(NEXT) | instid1(VALU_DEP_1)
	v_cndmask_b32_e32 v1, 0, v1, vcc_lo
	v_add_nc_u32_e32 v1, v4, v1
	s_delay_alu instid0(VALU_DEP_1) | instskip(NEXT) | instid1(VALU_DEP_1)
	v_bfe_i32 v1, v1, 0, 8
	v_mul_i32_i24_e32 v0, v1, v0
	s_delay_alu instid0(VALU_DEP_1) | instskip(NEXT) | instid1(VALU_DEP_1)
	v_sub_nc_u32_e32 v1, 0, v0
	v_max_i32_e32 v5, v0, v1
.LBB55_1465:
	s_or_b32 exec_lo, exec_lo, s0
	v_mov_b32_e32 v3, 0
	s_and_b32 s6, s31, 0xff
	s_delay_alu instid0(SALU_CYCLE_1) | instskip(NEXT) | instid1(VALU_DEP_1)
	s_cmp_lt_i32 s6, 11
	v_add_nc_u64_e32 v[0:1], s[4:5], v[2:3]
	s_cbranch_scc1 .LBB55_1475
; %bb.1466:
	s_and_b32 s4, 0xffff, s6
	s_mov_b32 s5, -1
	s_cmp_gt_i32 s4, 25
	s_mov_b32 s0, s38
	s_cbranch_scc0 .LBB55_1503
; %bb.1467:
	s_cmp_gt_i32 s4, 28
	s_mov_b32 s0, s38
	s_cbranch_scc0 .LBB55_1487
; %bb.1468:
	;; [unrolled: 4-line block ×4, first 2 shown]
	s_cmp_eq_u32 s4, 46
	s_mov_b32 s0, -1
	s_cbranch_scc0 .LBB55_1476
; %bb.1471:
	v_bfe_i32 v2, v5, 0, 8
	s_mov_b32 s0, 0
	s_mov_b32 s5, 0
	s_delay_alu instid0(VALU_DEP_1) | instskip(NEXT) | instid1(VALU_DEP_1)
	v_bfe_i32 v2, v2, 0, 16
	v_cvt_f32_i32_e32 v2, v2
	s_delay_alu instid0(VALU_DEP_1) | instskip(NEXT) | instid1(VALU_DEP_1)
	v_bfe_u32 v3, v2, 16, 1
	v_add3_u32 v2, v2, v3, 0x7fff
	s_delay_alu instid0(VALU_DEP_1)
	v_lshrrev_b32_e32 v2, 16, v2
	global_store_b32 v[0:1], v2, off
	s_branch .LBB55_1477
.LBB55_1472:
	s_or_b32 exec_lo, exec_lo, s7
	s_and_saveexec_b32 s4, s38
	s_cbranch_execnz .LBB55_1545
.LBB55_1473:
	s_or_b32 exec_lo, exec_lo, s4
	s_and_saveexec_b32 s4, s0
	s_delay_alu instid0(SALU_CYCLE_1)
	s_xor_b32 s0, exec_lo, s4
	s_cbranch_execz .LBB55_1546
.LBB55_1474:
	s_wait_loadcnt 0x0
	v_and_b32_e32 v2, 0xff, v5
	s_delay_alu instid0(VALU_DEP_1)
	v_cmp_ne_u16_e32 vcc_lo, 0, v2
	v_cndmask_b32_e64 v2, 0, 1, vcc_lo
	global_store_b8 v[0:1], v2, off
	s_wait_xcnt 0x0
	s_or_b32 exec_lo, exec_lo, s0
	s_and_saveexec_b32 s0, s8
	s_delay_alu instid0(SALU_CYCLE_1)
	s_xor_b32 s0, exec_lo, s0
	s_cbranch_execz .LBB55_1584
	s_branch .LBB55_1547
.LBB55_1475:
	s_mov_b32 s9, 0
	s_mov_b32 s5, -1
	s_mov_b32 s0, s38
	s_branch .LBB55_1544
.LBB55_1476:
	s_mov_b32 s5, 0
.LBB55_1477:
	s_delay_alu instid0(SALU_CYCLE_1)
	s_and_b32 vcc_lo, exec_lo, s5
	s_cbranch_vccz .LBB55_1482
; %bb.1478:
	s_cmp_eq_u32 s4, 44
	s_mov_b32 s0, -1
	s_cbranch_scc0 .LBB55_1482
; %bb.1479:
	s_wait_xcnt 0x0
	v_bfe_i32 v2, v5, 0, 8
	v_mov_b32_e32 v3, 0xff
	s_mov_b32 s5, exec_lo
	s_delay_alu instid0(VALU_DEP_2) | instskip(NEXT) | instid1(VALU_DEP_1)
	v_bfe_i32 v2, v2, 0, 16
	v_cvt_f32_i32_e32 v2, v2
	s_delay_alu instid0(VALU_DEP_1) | instskip(NEXT) | instid1(VALU_DEP_1)
	v_bfe_u32 v4, v2, 23, 8
	v_cmpx_ne_u32_e32 0xff, v4
	s_cbranch_execz .LBB55_1481
; %bb.1480:
	v_and_b32_e32 v3, 0x400000, v2
	v_and_or_b32 v4, 0x3fffff, v2, v4
	v_lshrrev_b32_e32 v2, 23, v2
	s_delay_alu instid0(VALU_DEP_3) | instskip(NEXT) | instid1(VALU_DEP_3)
	v_cmp_ne_u32_e32 vcc_lo, 0, v3
	v_cmp_ne_u32_e64 s0, 0, v4
	s_and_b32 s0, vcc_lo, s0
	s_delay_alu instid0(SALU_CYCLE_1) | instskip(NEXT) | instid1(VALU_DEP_1)
	v_cndmask_b32_e64 v3, 0, 1, s0
	v_add_nc_u32_e32 v3, v2, v3
.LBB55_1481:
	s_or_b32 exec_lo, exec_lo, s5
	s_mov_b32 s0, 0
	global_store_b8 v[0:1], v3, off
.LBB55_1482:
	s_mov_b32 s5, 0
.LBB55_1483:
	s_delay_alu instid0(SALU_CYCLE_1)
	s_and_b32 vcc_lo, exec_lo, s5
	s_cbranch_vccz .LBB55_1486
; %bb.1484:
	s_cmp_eq_u32 s4, 29
	s_mov_b32 s0, -1
	s_cbranch_scc0 .LBB55_1486
; %bb.1485:
	s_wait_xcnt 0x0
	v_bfe_i32 v2, v5, 0, 8
	s_mov_b32 s0, 0
	s_mov_b32 s5, 0
	s_delay_alu instid0(VALU_DEP_1)
	v_ashrrev_i32_e32 v3, 31, v2
	global_store_b64 v[0:1], v[2:3], off
	s_branch .LBB55_1487
.LBB55_1486:
	s_mov_b32 s5, 0
.LBB55_1487:
	s_delay_alu instid0(SALU_CYCLE_1)
	s_and_b32 vcc_lo, exec_lo, s5
	s_cbranch_vccz .LBB55_1502
; %bb.1488:
	s_cmp_lt_i32 s4, 27
	s_mov_b32 s5, -1
	s_cbranch_scc1 .LBB55_1494
; %bb.1489:
	s_cmp_gt_i32 s4, 27
	s_cbranch_scc0 .LBB55_1491
; %bb.1490:
	s_wait_xcnt 0x0
	v_bfe_i32 v2, v5, 0, 8
	s_mov_b32 s5, 0
	global_store_b32 v[0:1], v2, off
.LBB55_1491:
	s_and_not1_b32 vcc_lo, exec_lo, s5
	s_cbranch_vccnz .LBB55_1493
; %bb.1492:
	s_wait_xcnt 0x0
	v_bfe_i32 v2, v5, 0, 8
	global_store_b16 v[0:1], v2, off
.LBB55_1493:
	s_mov_b32 s5, 0
.LBB55_1494:
	s_delay_alu instid0(SALU_CYCLE_1)
	s_and_not1_b32 vcc_lo, exec_lo, s5
	s_cbranch_vccnz .LBB55_1502
; %bb.1495:
	s_wait_xcnt 0x0
	v_bfe_i32 v2, v5, 0, 8
	v_mov_b32_e32 v4, 0x80
	s_mov_b32 s5, exec_lo
	s_delay_alu instid0(VALU_DEP_2) | instskip(NEXT) | instid1(VALU_DEP_1)
	v_bfe_i32 v2, v2, 0, 16
	v_cvt_f32_i32_e32 v2, v2
	s_delay_alu instid0(VALU_DEP_1) | instskip(NEXT) | instid1(VALU_DEP_1)
	v_and_b32_e32 v3, 0x7fffffff, v2
	v_cmpx_gt_u32_e32 0x43800000, v3
	s_cbranch_execz .LBB55_1501
; %bb.1496:
	v_cmp_lt_u32_e32 vcc_lo, 0x3bffffff, v3
	s_mov_b32 s8, 0
                                        ; implicit-def: $vgpr3
	s_and_saveexec_b32 s9, vcc_lo
	s_delay_alu instid0(SALU_CYCLE_1)
	s_xor_b32 s9, exec_lo, s9
	s_cbranch_execz .LBB55_1643
; %bb.1497:
	v_bfe_u32 v3, v2, 20, 1
	s_mov_b32 s8, exec_lo
	s_delay_alu instid0(VALU_DEP_1) | instskip(NEXT) | instid1(VALU_DEP_1)
	v_add3_u32 v3, v2, v3, 0x487ffff
	v_lshrrev_b32_e32 v3, 20, v3
	s_and_not1_saveexec_b32 s9, s9
	s_cbranch_execnz .LBB55_1644
.LBB55_1498:
	s_or_b32 exec_lo, exec_lo, s9
	v_mov_b32_e32 v4, 0
	s_and_saveexec_b32 s9, s8
.LBB55_1499:
	v_lshrrev_b32_e32 v2, 24, v2
	s_delay_alu instid0(VALU_DEP_1)
	v_and_or_b32 v4, 0x80, v2, v3
.LBB55_1500:
	s_or_b32 exec_lo, exec_lo, s9
.LBB55_1501:
	s_delay_alu instid0(SALU_CYCLE_1)
	s_or_b32 exec_lo, exec_lo, s5
	global_store_b8 v[0:1], v4, off
.LBB55_1502:
	s_mov_b32 s5, 0
.LBB55_1503:
	s_delay_alu instid0(SALU_CYCLE_1)
	s_and_b32 vcc_lo, exec_lo, s5
	s_mov_b32 s5, 0
	s_cbranch_vccz .LBB55_1543
; %bb.1504:
	s_cmp_gt_i32 s4, 22
	s_mov_b32 s8, -1
	s_cbranch_scc0 .LBB55_1536
; %bb.1505:
	s_cmp_lt_i32 s4, 24
	s_cbranch_scc1 .LBB55_1525
; %bb.1506:
	s_cmp_gt_i32 s4, 24
	s_cbranch_scc0 .LBB55_1514
; %bb.1507:
	s_wait_xcnt 0x0
	v_bfe_i32 v2, v5, 0, 8
	v_mov_b32_e32 v4, 0x80
	s_mov_b32 s8, exec_lo
	s_delay_alu instid0(VALU_DEP_2) | instskip(NEXT) | instid1(VALU_DEP_1)
	v_bfe_i32 v2, v2, 0, 16
	v_cvt_f32_i32_e32 v2, v2
	s_delay_alu instid0(VALU_DEP_1) | instskip(NEXT) | instid1(VALU_DEP_1)
	v_and_b32_e32 v3, 0x7fffffff, v2
	v_cmpx_gt_u32_e32 0x47800000, v3
	s_cbranch_execz .LBB55_1513
; %bb.1508:
	v_cmp_lt_u32_e32 vcc_lo, 0x37ffffff, v3
	s_mov_b32 s9, 0
                                        ; implicit-def: $vgpr3
	s_and_saveexec_b32 s10, vcc_lo
	s_delay_alu instid0(SALU_CYCLE_1)
	s_xor_b32 s10, exec_lo, s10
	s_cbranch_execz .LBB55_1764
; %bb.1509:
	v_bfe_u32 v3, v2, 21, 1
	s_mov_b32 s9, exec_lo
	s_delay_alu instid0(VALU_DEP_1) | instskip(NEXT) | instid1(VALU_DEP_1)
	v_add3_u32 v3, v2, v3, 0x88fffff
	v_lshrrev_b32_e32 v3, 21, v3
	s_and_not1_saveexec_b32 s10, s10
	s_cbranch_execnz .LBB55_1765
.LBB55_1510:
	s_or_b32 exec_lo, exec_lo, s10
	v_mov_b32_e32 v4, 0
	s_and_saveexec_b32 s10, s9
.LBB55_1511:
	v_lshrrev_b32_e32 v2, 24, v2
	s_delay_alu instid0(VALU_DEP_1)
	v_and_or_b32 v4, 0x80, v2, v3
.LBB55_1512:
	s_or_b32 exec_lo, exec_lo, s10
.LBB55_1513:
	s_delay_alu instid0(SALU_CYCLE_1)
	s_or_b32 exec_lo, exec_lo, s8
	s_mov_b32 s8, 0
	global_store_b8 v[0:1], v4, off
.LBB55_1514:
	s_and_b32 vcc_lo, exec_lo, s8
	s_cbranch_vccz .LBB55_1524
; %bb.1515:
	s_wait_xcnt 0x0
	v_bfe_i32 v2, v5, 0, 8
	s_mov_b32 s8, exec_lo
                                        ; implicit-def: $vgpr3
	s_delay_alu instid0(VALU_DEP_1) | instskip(NEXT) | instid1(VALU_DEP_1)
	v_bfe_i32 v2, v2, 0, 16
	v_cvt_f32_i32_e32 v2, v2
	s_delay_alu instid0(VALU_DEP_1) | instskip(NEXT) | instid1(VALU_DEP_1)
	v_and_b32_e32 v4, 0x7fffffff, v2
	v_cmpx_gt_u32_e32 0x43f00000, v4
	s_xor_b32 s8, exec_lo, s8
	s_cbranch_execz .LBB55_1521
; %bb.1516:
	s_mov_b32 s9, exec_lo
                                        ; implicit-def: $vgpr3
	v_cmpx_lt_u32_e32 0x3c7fffff, v4
	s_xor_b32 s9, exec_lo, s9
; %bb.1517:
	v_bfe_u32 v3, v2, 20, 1
	s_delay_alu instid0(VALU_DEP_1) | instskip(NEXT) | instid1(VALU_DEP_1)
	v_add3_u32 v3, v2, v3, 0x407ffff
	v_and_b32_e32 v4, 0xff00000, v3
	v_lshrrev_b32_e32 v3, 20, v3
	s_delay_alu instid0(VALU_DEP_2) | instskip(NEXT) | instid1(VALU_DEP_2)
	v_cmp_ne_u32_e32 vcc_lo, 0x7f00000, v4
	v_cndmask_b32_e32 v3, 0x7e, v3, vcc_lo
; %bb.1518:
	s_and_not1_saveexec_b32 s9, s9
; %bb.1519:
	v_add_f32_e64 v3, 0x46800000, |v2|
; %bb.1520:
	s_or_b32 exec_lo, exec_lo, s9
                                        ; implicit-def: $vgpr4
.LBB55_1521:
	s_and_not1_saveexec_b32 s8, s8
; %bb.1522:
	v_mov_b32_e32 v3, 0x7f
	v_cmp_lt_u32_e32 vcc_lo, 0x7f800000, v4
	s_delay_alu instid0(VALU_DEP_2)
	v_cndmask_b32_e32 v3, 0x7e, v3, vcc_lo
; %bb.1523:
	s_or_b32 exec_lo, exec_lo, s8
	v_lshrrev_b32_e32 v2, 24, v2
	s_delay_alu instid0(VALU_DEP_1)
	v_and_or_b32 v2, 0x80, v2, v3
	global_store_b8 v[0:1], v2, off
.LBB55_1524:
	s_mov_b32 s8, 0
.LBB55_1525:
	s_delay_alu instid0(SALU_CYCLE_1)
	s_and_not1_b32 vcc_lo, exec_lo, s8
	s_cbranch_vccnz .LBB55_1535
; %bb.1526:
	s_wait_xcnt 0x0
	v_bfe_i32 v2, v5, 0, 8
	s_mov_b32 s8, exec_lo
                                        ; implicit-def: $vgpr3
	s_delay_alu instid0(VALU_DEP_1) | instskip(NEXT) | instid1(VALU_DEP_1)
	v_bfe_i32 v2, v2, 0, 16
	v_cvt_f32_i32_e32 v2, v2
	s_delay_alu instid0(VALU_DEP_1) | instskip(NEXT) | instid1(VALU_DEP_1)
	v_and_b32_e32 v4, 0x7fffffff, v2
	v_cmpx_gt_u32_e32 0x47800000, v4
	s_xor_b32 s8, exec_lo, s8
	s_cbranch_execz .LBB55_1532
; %bb.1527:
	s_mov_b32 s9, exec_lo
                                        ; implicit-def: $vgpr3
	v_cmpx_lt_u32_e32 0x387fffff, v4
	s_xor_b32 s9, exec_lo, s9
; %bb.1528:
	v_bfe_u32 v3, v2, 21, 1
	s_delay_alu instid0(VALU_DEP_1) | instskip(NEXT) | instid1(VALU_DEP_1)
	v_add3_u32 v3, v2, v3, 0x80fffff
	v_lshrrev_b32_e32 v3, 21, v3
; %bb.1529:
	s_and_not1_saveexec_b32 s9, s9
; %bb.1530:
	v_add_f32_e64 v3, 0x43000000, |v2|
; %bb.1531:
	s_or_b32 exec_lo, exec_lo, s9
                                        ; implicit-def: $vgpr4
.LBB55_1532:
	s_and_not1_saveexec_b32 s8, s8
; %bb.1533:
	v_mov_b32_e32 v3, 0x7f
	v_cmp_lt_u32_e32 vcc_lo, 0x7f800000, v4
	s_delay_alu instid0(VALU_DEP_2)
	v_cndmask_b32_e32 v3, 0x7c, v3, vcc_lo
; %bb.1534:
	s_or_b32 exec_lo, exec_lo, s8
	v_lshrrev_b32_e32 v2, 24, v2
	s_delay_alu instid0(VALU_DEP_1)
	v_and_or_b32 v2, 0x80, v2, v3
	global_store_b8 v[0:1], v2, off
.LBB55_1535:
	s_mov_b32 s8, 0
.LBB55_1536:
	s_delay_alu instid0(SALU_CYCLE_1)
	s_and_not1_b32 vcc_lo, exec_lo, s8
	s_mov_b32 s9, 0
	s_cbranch_vccnz .LBB55_1544
; %bb.1537:
	s_cmp_gt_i32 s4, 14
	s_mov_b32 s8, -1
	s_cbranch_scc0 .LBB55_1541
; %bb.1538:
	s_cmp_eq_u32 s4, 15
	s_mov_b32 s0, -1
	s_cbranch_scc0 .LBB55_1540
; %bb.1539:
	s_wait_xcnt 0x0
	v_bfe_i32 v2, v5, 0, 8
	s_mov_b32 s0, 0
	s_delay_alu instid0(VALU_DEP_1) | instskip(NEXT) | instid1(VALU_DEP_1)
	v_bfe_i32 v2, v2, 0, 16
	v_cvt_f32_i32_e32 v2, v2
	s_delay_alu instid0(VALU_DEP_1) | instskip(NEXT) | instid1(VALU_DEP_1)
	v_bfe_u32 v3, v2, 16, 1
	v_add3_u32 v2, v2, v3, 0x7fff
	global_store_d16_hi_b16 v[0:1], v2, off
.LBB55_1540:
	s_mov_b32 s8, 0
.LBB55_1541:
	s_delay_alu instid0(SALU_CYCLE_1)
	s_and_b32 vcc_lo, exec_lo, s8
	s_cbranch_vccz .LBB55_1544
; %bb.1542:
	s_cmp_lg_u32 s4, 11
	s_mov_b32 s9, -1
	s_cselect_b32 s4, -1, 0
	s_and_not1_b32 s0, s0, exec_lo
	s_and_b32 s4, s4, exec_lo
	s_delay_alu instid0(SALU_CYCLE_1)
	s_or_b32 s0, s0, s4
	s_branch .LBB55_1544
.LBB55_1543:
	s_mov_b32 s9, 0
.LBB55_1544:
	s_and_b32 s8, s5, exec_lo
	s_and_not1_b32 s4, s38, exec_lo
	s_and_b32 s5, s0, exec_lo
	s_and_b32 s0, s9, exec_lo
	s_or_b32 s38, s4, s5
	s_wait_xcnt 0x0
	s_or_b32 exec_lo, exec_lo, s7
	s_and_saveexec_b32 s4, s38
	s_cbranch_execz .LBB55_1473
.LBB55_1545:
	s_or_b32 s1, s1, exec_lo
	s_and_not1_b32 s0, s0, exec_lo
	s_trap 2
	s_or_b32 exec_lo, exec_lo, s4
	s_and_saveexec_b32 s4, s0
	s_delay_alu instid0(SALU_CYCLE_1)
	s_xor_b32 s0, exec_lo, s4
	s_cbranch_execnz .LBB55_1474
.LBB55_1546:
	s_or_b32 exec_lo, exec_lo, s0
	s_and_saveexec_b32 s0, s8
	s_delay_alu instid0(SALU_CYCLE_1)
	s_xor_b32 s0, exec_lo, s0
	s_cbranch_execz .LBB55_1584
.LBB55_1547:
	s_sext_i32_i16 s5, s6
	s_mov_b32 s4, -1
	s_cmp_lt_i32 s5, 5
	s_cbranch_scc1 .LBB55_1568
; %bb.1548:
	s_cmp_lt_i32 s5, 8
	s_cbranch_scc1 .LBB55_1558
; %bb.1549:
	;; [unrolled: 3-line block ×3, first 2 shown]
	s_cmp_gt_i32 s5, 9
	s_cbranch_scc0 .LBB55_1552
; %bb.1551:
	s_wait_loadcnt 0x0
	v_bfe_i32 v2, v5, 0, 8
	v_mov_b32_e32 v8, 0
	s_mov_b32 s4, 0
	s_delay_alu instid0(VALU_DEP_2) | instskip(NEXT) | instid1(VALU_DEP_2)
	v_bfe_i32 v2, v2, 0, 16
	v_mov_b32_e32 v9, v8
	s_delay_alu instid0(VALU_DEP_2)
	v_cvt_f64_i32_e32 v[6:7], v2
	global_store_b128 v[0:1], v[6:9], off
.LBB55_1552:
	s_and_not1_b32 vcc_lo, exec_lo, s4
	s_cbranch_vccnz .LBB55_1554
; %bb.1553:
	s_wait_loadcnt 0x0
	v_bfe_i32 v2, v5, 0, 8
	v_mov_b32_e32 v3, 0
	s_delay_alu instid0(VALU_DEP_2) | instskip(NEXT) | instid1(VALU_DEP_1)
	v_bfe_i32 v2, v2, 0, 16
	v_cvt_f32_i32_e32 v2, v2
	global_store_b64 v[0:1], v[2:3], off
.LBB55_1554:
	s_mov_b32 s4, 0
.LBB55_1555:
	s_delay_alu instid0(SALU_CYCLE_1)
	s_and_not1_b32 vcc_lo, exec_lo, s4
	s_cbranch_vccnz .LBB55_1557
; %bb.1556:
	s_wait_loadcnt 0x0
	v_bfe_i32 v2, v5, 0, 8
	s_delay_alu instid0(VALU_DEP_1) | instskip(NEXT) | instid1(VALU_DEP_1)
	v_cvt_f16_i16_e32 v2, v2
	v_and_b32_e32 v2, 0xffff, v2
	global_store_b32 v[0:1], v2, off
.LBB55_1557:
	s_mov_b32 s4, 0
.LBB55_1558:
	s_delay_alu instid0(SALU_CYCLE_1)
	s_and_not1_b32 vcc_lo, exec_lo, s4
	s_cbranch_vccnz .LBB55_1567
; %bb.1559:
	s_sext_i32_i16 s5, s6
	s_mov_b32 s4, -1
	s_cmp_lt_i32 s5, 6
	s_cbranch_scc1 .LBB55_1565
; %bb.1560:
	s_cmp_gt_i32 s5, 6
	s_cbranch_scc0 .LBB55_1562
; %bb.1561:
	s_wait_loadcnt 0x0
	v_bfe_i32 v2, v5, 0, 8
	s_mov_b32 s4, 0
	s_delay_alu instid0(VALU_DEP_1) | instskip(NEXT) | instid1(VALU_DEP_1)
	v_bfe_i32 v2, v2, 0, 16
	v_cvt_f64_i32_e32 v[2:3], v2
	global_store_b64 v[0:1], v[2:3], off
.LBB55_1562:
	s_and_not1_b32 vcc_lo, exec_lo, s4
	s_cbranch_vccnz .LBB55_1564
; %bb.1563:
	s_wait_loadcnt 0x0
	v_bfe_i32 v2, v5, 0, 8
	s_delay_alu instid0(VALU_DEP_1) | instskip(NEXT) | instid1(VALU_DEP_1)
	v_bfe_i32 v2, v2, 0, 16
	v_cvt_f32_i32_e32 v2, v2
	global_store_b32 v[0:1], v2, off
.LBB55_1564:
	s_mov_b32 s4, 0
.LBB55_1565:
	s_delay_alu instid0(SALU_CYCLE_1)
	s_and_not1_b32 vcc_lo, exec_lo, s4
	s_cbranch_vccnz .LBB55_1567
; %bb.1566:
	s_wait_loadcnt 0x0
	v_bfe_i32 v2, v5, 0, 8
	s_delay_alu instid0(VALU_DEP_1)
	v_cvt_f16_i16_e32 v2, v2
	global_store_b16 v[0:1], v2, off
.LBB55_1567:
	s_mov_b32 s4, 0
.LBB55_1568:
	s_delay_alu instid0(SALU_CYCLE_1)
	s_and_not1_b32 vcc_lo, exec_lo, s4
	s_cbranch_vccnz .LBB55_1584
; %bb.1569:
	s_sext_i32_i16 s5, s6
	s_mov_b32 s4, -1
	s_cmp_lt_i32 s5, 2
	s_cbranch_scc1 .LBB55_1579
; %bb.1570:
	s_cmp_lt_i32 s5, 3
	s_cbranch_scc1 .LBB55_1576
; %bb.1571:
	s_cmp_gt_i32 s5, 3
	s_cbranch_scc0 .LBB55_1573
; %bb.1572:
	s_wait_loadcnt 0x0
	v_bfe_i32 v2, v5, 0, 8
	s_mov_b32 s4, 0
	s_delay_alu instid0(VALU_DEP_1)
	v_ashrrev_i32_e32 v3, 31, v2
	global_store_b64 v[0:1], v[2:3], off
.LBB55_1573:
	s_and_not1_b32 vcc_lo, exec_lo, s4
	s_cbranch_vccnz .LBB55_1575
; %bb.1574:
	s_wait_loadcnt 0x0
	v_bfe_i32 v2, v5, 0, 8
	global_store_b32 v[0:1], v2, off
.LBB55_1575:
	s_mov_b32 s4, 0
.LBB55_1576:
	s_delay_alu instid0(SALU_CYCLE_1)
	s_and_not1_b32 vcc_lo, exec_lo, s4
	s_cbranch_vccnz .LBB55_1578
; %bb.1577:
	s_wait_loadcnt 0x0
	v_bfe_i32 v2, v5, 0, 8
	global_store_b16 v[0:1], v2, off
.LBB55_1578:
	s_mov_b32 s4, 0
.LBB55_1579:
	s_delay_alu instid0(SALU_CYCLE_1)
	s_and_not1_b32 vcc_lo, exec_lo, s4
	s_cbranch_vccnz .LBB55_1584
; %bb.1580:
	s_sext_i32_i16 s4, s6
	s_delay_alu instid0(SALU_CYCLE_1)
	s_cmp_gt_i32 s4, 0
	s_mov_b32 s4, -1
	s_cbranch_scc0 .LBB55_1582
; %bb.1581:
	s_mov_b32 s4, 0
	s_wait_loadcnt 0x0
	global_store_b8 v[0:1], v5, off
.LBB55_1582:
	s_and_not1_b32 vcc_lo, exec_lo, s4
	s_cbranch_vccnz .LBB55_1584
; %bb.1583:
	s_wait_loadcnt 0x0
	global_store_b8 v[0:1], v5, off
.LBB55_1584:
	s_wait_xcnt 0x0
	s_or_b32 exec_lo, exec_lo, s0
	s_delay_alu instid0(SALU_CYCLE_1)
	s_and_b32 s8, s1, exec_lo
                                        ; implicit-def: $vgpr1
                                        ; implicit-def: $vgpr0
.LBB55_1585:
	s_or_saveexec_b32 s9, s30
	s_mov_b32 s0, 0
                                        ; implicit-def: $vgpr2_vgpr3
                                        ; implicit-def: $sgpr1
                                        ; implicit-def: $vgpr8
	s_xor_b32 exec_lo, exec_lo, s9
	s_cbranch_execz .LBB55_2743
; %bb.1586:
	v_cndmask_b32_e64 v3, 0, 1, s29
	s_and_not1_b32 vcc_lo, exec_lo, s29
	s_cbranch_vccnz .LBB55_1592
; %bb.1587:
	s_cmp_lg_u32 s26, 0
	s_mov_b32 s4, 0
	s_cbranch_scc0 .LBB55_1596
; %bb.1588:
	s_min_u32 s5, s27, 15
	v_dual_mov_b32 v6, 0 :: v_dual_mov_b32 v2, v0
	v_dual_mov_b32 v22, 0 :: v_dual_mov_b32 v20, 0
	s_add_co_i32 s6, s5, 1
	s_mov_b64 s[0:1], 0xffffffffffffffe8
	s_and_b32 s6, s6, 30
	s_add_nc_u64 s[0:1], s[2:3], s[0:1]
.LBB55_1589:                            ; =>This Inner Loop Header: Depth=1
	s_clause 0x1
	s_load_b128 s[12:15], s[0:1], 0x1c
	s_load_b64 s[10:11], s[0:1], 0x2c
	s_add_co_i32 s6, s6, -2
	s_delay_alu instid0(SALU_CYCLE_1) | instskip(SKIP_3) | instid1(VALU_DEP_1)
	s_cmp_lg_u32 s6, 0
	s_wait_loadcnt 0x0
	s_wait_kmcnt 0x0
	v_mul_hi_u32 v4, s13, v2
	v_add_nc_u32_e32 v4, v2, v4
	s_delay_alu instid0(VALU_DEP_1) | instskip(NEXT) | instid1(VALU_DEP_1)
	v_lshrrev_b32_e32 v4, s14, v4
	v_mul_hi_u32 v5, s10, v4
	v_mul_lo_u32 v7, v4, s12
	s_clause 0x1
	s_load_b128 s[16:19], s[0:1], 0xdc
	s_load_b64 s[12:13], s[0:1], 0xec
	s_wait_xcnt 0x0
	s_add_nc_u64 s[0:1], s[0:1], 24
	s_delay_alu instid0(VALU_DEP_1) | instskip(NEXT) | instid1(VALU_DEP_1)
	v_dual_add_nc_u32 v5, v4, v5 :: v_dual_sub_nc_u32 v7, v2, v7
	v_lshrrev_b32_e32 v2, s11, v5
	s_wait_kmcnt 0x0
	s_delay_alu instid0(VALU_DEP_2) | instskip(NEXT) | instid1(VALU_DEP_2)
	v_mad_u32 v6, v7, s16, v6
	v_mul_lo_u32 v5, v2, s15
	v_mad_u32 v8, v7, s18, v20
	v_mad_u32 v7, v7, s17, v22
	s_delay_alu instid0(VALU_DEP_3) | instskip(NEXT) | instid1(VALU_DEP_1)
	v_sub_nc_u32_e32 v4, v4, v5
	v_mad_u32 v6, v4, s19, v6
	s_delay_alu instid0(VALU_DEP_4) | instskip(NEXT) | instid1(VALU_DEP_4)
	v_mad_u32 v20, v4, s13, v8
	v_mad_u32 v22, v4, s12, v7
	s_cbranch_scc1 .LBB55_1589
; %bb.1590:
	s_bitcmp1_b32 s5, 0
	s_cselect_b32 s5, -1, 0
	s_delay_alu instid0(SALU_CYCLE_1)
	s_and_b32 vcc_lo, exec_lo, s5
	s_cbranch_vccnz .LBB55_1593
; %bb.1591:
	s_clause 0x1
	s_load_b96 s[12:14], s[0:1], 0x1c
	s_load_b96 s[16:18], s[0:1], 0xdc
	s_wait_kmcnt 0x0
	v_mul_hi_u32 v4, s13, v2
	s_delay_alu instid0(VALU_DEP_1) | instskip(NEXT) | instid1(VALU_DEP_1)
	v_add_nc_u32_e32 v4, v2, v4
	v_lshrrev_b32_e32 v4, s14, v4
	s_delay_alu instid0(VALU_DEP_1) | instskip(NEXT) | instid1(VALU_DEP_1)
	v_mul_lo_u32 v4, v4, s12
	v_sub_nc_u32_e32 v2, v2, v4
	s_delay_alu instid0(VALU_DEP_1)
	v_mad_u32 v6, v2, s16, v6
	v_mad_u32 v22, v2, s17, v22
	;; [unrolled: 1-line block ×3, first 2 shown]
	s_and_not1_b32 vcc_lo, exec_lo, s4
	s_cbranch_vccz .LBB55_1594
	s_branch .LBB55_1597
.LBB55_1592:
	s_mov_b32 s4, -1
                                        ; implicit-def: $vgpr20
                                        ; implicit-def: $vgpr22
                                        ; implicit-def: $vgpr6
.LBB55_1593:
	s_delay_alu instid0(SALU_CYCLE_1)
	s_and_not1_b32 vcc_lo, exec_lo, s4
	s_cbranch_vccnz .LBB55_1597
.LBB55_1594:
	s_clause 0x1
	s_load_b96 s[4:6], s[2:3], 0x4
	s_load_b96 s[12:14], s[2:3], 0xc4
	s_cmp_lt_u32 s26, 2
	s_wait_kmcnt 0x0
	v_mul_hi_u32 v2, s5, v0
	s_delay_alu instid0(VALU_DEP_1) | instskip(NEXT) | instid1(VALU_DEP_1)
	v_add_nc_u32_e32 v2, v0, v2
	v_lshrrev_b32_e32 v2, s6, v2
	s_wait_loadcnt 0x0
	s_delay_alu instid0(VALU_DEP_1) | instskip(NEXT) | instid1(VALU_DEP_1)
	v_mul_lo_u32 v4, v2, s4
	v_sub_nc_u32_e32 v4, v0, v4
	s_delay_alu instid0(VALU_DEP_1)
	v_mul_lo_u32 v6, v4, s12
	v_mul_lo_u32 v20, v4, s14
	;; [unrolled: 1-line block ×3, first 2 shown]
	s_cbranch_scc1 .LBB55_1597
; %bb.1595:
	s_clause 0x1
	s_load_b96 s[4:6], s[2:3], 0x10
	s_load_b96 s[12:14], s[2:3], 0xd0
	s_wait_kmcnt 0x0
	v_mul_hi_u32 v4, s5, v2
	s_delay_alu instid0(VALU_DEP_1) | instskip(NEXT) | instid1(VALU_DEP_1)
	v_add_nc_u32_e32 v4, v2, v4
	v_lshrrev_b32_e32 v4, s6, v4
	s_delay_alu instid0(VALU_DEP_1) | instskip(NEXT) | instid1(VALU_DEP_1)
	v_mul_lo_u32 v4, v4, s4
	v_sub_nc_u32_e32 v2, v2, v4
	s_delay_alu instid0(VALU_DEP_1)
	v_mad_u32 v6, v2, s12, v6
	v_mad_u32 v22, v2, s13, v22
	;; [unrolled: 1-line block ×3, first 2 shown]
	s_branch .LBB55_1597
.LBB55_1596:
	v_dual_mov_b32 v20, 0 :: v_dual_mov_b32 v22, 0
	v_mov_b32_e32 v6, 0
	s_and_not1_b32 vcc_lo, exec_lo, s4
	s_cbranch_vccz .LBB55_1594
.LBB55_1597:
	v_cmp_ne_u32_e32 vcc_lo, 1, v3
	v_add_nc_u32_e32 v2, 0x80, v0
	s_cbranch_vccnz .LBB55_1603
; %bb.1598:
	s_cmp_lg_u32 s26, 0
	s_mov_b32 s4, 0
	s_cbranch_scc0 .LBB55_1607
; %bb.1599:
	s_min_u32 s5, s27, 15
	s_wait_loadcnt 0x0
	v_dual_mov_b32 v4, 0 :: v_dual_mov_b32 v5, v2
	v_dual_mov_b32 v18, 0 :: v_dual_mov_b32 v16, 0
	s_add_co_i32 s6, s5, 1
	s_mov_b64 s[0:1], 0xffffffffffffffe8
	s_and_b32 s6, s6, 30
	s_add_nc_u64 s[0:1], s[2:3], s[0:1]
.LBB55_1600:                            ; =>This Inner Loop Header: Depth=1
	s_clause 0x1
	s_load_b128 s[12:15], s[0:1], 0x1c
	s_load_b64 s[10:11], s[0:1], 0x2c
	s_add_co_i32 s6, s6, -2
	s_delay_alu instid0(SALU_CYCLE_1) | instskip(SKIP_2) | instid1(VALU_DEP_1)
	s_cmp_lg_u32 s6, 0
	s_wait_kmcnt 0x0
	v_mul_hi_u32 v7, s13, v5
	v_add_nc_u32_e32 v7, v5, v7
	s_delay_alu instid0(VALU_DEP_1) | instskip(NEXT) | instid1(VALU_DEP_1)
	v_lshrrev_b32_e32 v7, s14, v7
	v_mul_hi_u32 v8, s10, v7
	v_mul_lo_u32 v9, v7, s12
	s_clause 0x1
	s_load_b128 s[16:19], s[0:1], 0xdc
	s_load_b64 s[12:13], s[0:1], 0xec
	s_wait_xcnt 0x0
	s_add_nc_u64 s[0:1], s[0:1], 24
	s_delay_alu instid0(VALU_DEP_1) | instskip(NEXT) | instid1(VALU_DEP_1)
	v_dual_add_nc_u32 v8, v7, v8 :: v_dual_sub_nc_u32 v9, v5, v9
	v_lshrrev_b32_e32 v5, s11, v8
	s_wait_kmcnt 0x0
	s_delay_alu instid0(VALU_DEP_2) | instskip(NEXT) | instid1(VALU_DEP_2)
	v_mad_u32 v4, v9, s16, v4
	v_mul_lo_u32 v8, v5, s15
	v_mad_u32 v10, v9, s18, v16
	v_mad_u32 v9, v9, s17, v18
	s_delay_alu instid0(VALU_DEP_3) | instskip(NEXT) | instid1(VALU_DEP_1)
	v_sub_nc_u32_e32 v7, v7, v8
	v_mad_u32 v4, v7, s19, v4
	s_delay_alu instid0(VALU_DEP_4) | instskip(NEXT) | instid1(VALU_DEP_4)
	v_mad_u32 v16, v7, s13, v10
	v_mad_u32 v18, v7, s12, v9
	s_cbranch_scc1 .LBB55_1600
; %bb.1601:
	s_bitcmp1_b32 s5, 0
	s_cselect_b32 s5, -1, 0
	s_delay_alu instid0(SALU_CYCLE_1)
	s_and_b32 vcc_lo, exec_lo, s5
	s_cbranch_vccnz .LBB55_1604
; %bb.1602:
	s_clause 0x1
	s_load_b96 s[12:14], s[0:1], 0x1c
	s_load_b96 s[16:18], s[0:1], 0xdc
	s_wait_kmcnt 0x0
	v_mul_hi_u32 v7, s13, v5
	s_delay_alu instid0(VALU_DEP_1) | instskip(NEXT) | instid1(VALU_DEP_1)
	v_add_nc_u32_e32 v7, v5, v7
	v_lshrrev_b32_e32 v7, s14, v7
	s_delay_alu instid0(VALU_DEP_1) | instskip(NEXT) | instid1(VALU_DEP_1)
	v_mul_lo_u32 v7, v7, s12
	v_sub_nc_u32_e32 v5, v5, v7
	s_delay_alu instid0(VALU_DEP_1)
	v_mad_u32 v4, v5, s16, v4
	v_mad_u32 v18, v5, s17, v18
	;; [unrolled: 1-line block ×3, first 2 shown]
	s_and_not1_b32 vcc_lo, exec_lo, s4
	s_cbranch_vccz .LBB55_1605
	s_branch .LBB55_1608
.LBB55_1603:
	s_mov_b32 s4, -1
                                        ; implicit-def: $vgpr16
                                        ; implicit-def: $vgpr18
                                        ; implicit-def: $vgpr4
.LBB55_1604:
	s_delay_alu instid0(SALU_CYCLE_1)
	s_and_not1_b32 vcc_lo, exec_lo, s4
	s_cbranch_vccnz .LBB55_1608
.LBB55_1605:
	s_clause 0x1
	s_load_b96 s[4:6], s[2:3], 0x4
	s_load_b96 s[12:14], s[2:3], 0xc4
	s_cmp_lt_u32 s26, 2
	s_wait_loadcnt 0x0
	s_wait_kmcnt 0x0
	v_mul_hi_u32 v4, s5, v2
	s_delay_alu instid0(VALU_DEP_1) | instskip(NEXT) | instid1(VALU_DEP_1)
	v_add_nc_u32_e32 v4, v2, v4
	v_lshrrev_b32_e32 v5, s6, v4
	s_delay_alu instid0(VALU_DEP_1) | instskip(NEXT) | instid1(VALU_DEP_1)
	v_mul_lo_u32 v4, v5, s4
	v_sub_nc_u32_e32 v2, v2, v4
	s_delay_alu instid0(VALU_DEP_1)
	v_mul_lo_u32 v4, v2, s12
	v_mul_lo_u32 v16, v2, s14
	;; [unrolled: 1-line block ×3, first 2 shown]
	s_cbranch_scc1 .LBB55_1608
; %bb.1606:
	s_clause 0x1
	s_load_b96 s[4:6], s[2:3], 0x10
	s_load_b96 s[12:14], s[2:3], 0xd0
	s_wait_kmcnt 0x0
	v_mul_hi_u32 v2, s5, v5
	s_delay_alu instid0(VALU_DEP_1) | instskip(NEXT) | instid1(VALU_DEP_1)
	v_add_nc_u32_e32 v2, v5, v2
	v_lshrrev_b32_e32 v2, s6, v2
	s_delay_alu instid0(VALU_DEP_1) | instskip(NEXT) | instid1(VALU_DEP_1)
	v_mul_lo_u32 v2, v2, s4
	v_sub_nc_u32_e32 v2, v5, v2
	s_delay_alu instid0(VALU_DEP_1)
	v_mad_u32 v4, v2, s12, v4
	v_mad_u32 v18, v2, s13, v18
	;; [unrolled: 1-line block ×3, first 2 shown]
	s_branch .LBB55_1608
.LBB55_1607:
	v_dual_mov_b32 v16, 0 :: v_dual_mov_b32 v18, 0
	s_wait_loadcnt 0x0
	v_mov_b32_e32 v4, 0
	s_and_not1_b32 vcc_lo, exec_lo, s4
	s_cbranch_vccz .LBB55_1605
.LBB55_1608:
	v_cmp_ne_u32_e32 vcc_lo, 1, v3
	v_add_nc_u32_e32 v0, 0x100, v0
	s_cbranch_vccnz .LBB55_1614
; %bb.1609:
	s_cmp_lg_u32 s26, 0
	s_mov_b32 s4, 0
	s_cbranch_scc0 .LBB55_1618
; %bb.1610:
	s_min_u32 s5, s27, 15
	s_wait_loadcnt 0x0
	v_dual_mov_b32 v2, 0 :: v_dual_mov_b32 v5, v0
	v_dual_mov_b32 v14, 0 :: v_dual_mov_b32 v12, 0
	s_add_co_i32 s6, s5, 1
	s_mov_b64 s[0:1], 0xffffffffffffffe8
	s_and_b32 s6, s6, 30
	s_add_nc_u64 s[0:1], s[2:3], s[0:1]
.LBB55_1611:                            ; =>This Inner Loop Header: Depth=1
	s_clause 0x1
	s_load_b128 s[12:15], s[0:1], 0x1c
	s_load_b64 s[10:11], s[0:1], 0x2c
	s_add_co_i32 s6, s6, -2
	s_delay_alu instid0(SALU_CYCLE_1) | instskip(SKIP_2) | instid1(VALU_DEP_1)
	s_cmp_lg_u32 s6, 0
	s_wait_kmcnt 0x0
	v_mul_hi_u32 v7, s13, v5
	v_add_nc_u32_e32 v7, v5, v7
	s_delay_alu instid0(VALU_DEP_1) | instskip(NEXT) | instid1(VALU_DEP_1)
	v_lshrrev_b32_e32 v7, s14, v7
	v_mul_hi_u32 v8, s10, v7
	v_mul_lo_u32 v9, v7, s12
	s_clause 0x1
	s_load_b128 s[16:19], s[0:1], 0xdc
	s_load_b64 s[12:13], s[0:1], 0xec
	s_wait_xcnt 0x0
	s_add_nc_u64 s[0:1], s[0:1], 24
	s_delay_alu instid0(VALU_DEP_1) | instskip(NEXT) | instid1(VALU_DEP_1)
	v_dual_add_nc_u32 v8, v7, v8 :: v_dual_sub_nc_u32 v9, v5, v9
	v_lshrrev_b32_e32 v5, s11, v8
	s_wait_kmcnt 0x0
	s_delay_alu instid0(VALU_DEP_2) | instskip(NEXT) | instid1(VALU_DEP_2)
	v_mad_u32 v2, v9, s16, v2
	v_mul_lo_u32 v8, v5, s15
	v_mad_u32 v10, v9, s18, v12
	v_mad_u32 v9, v9, s17, v14
	s_delay_alu instid0(VALU_DEP_3) | instskip(NEXT) | instid1(VALU_DEP_1)
	v_sub_nc_u32_e32 v7, v7, v8
	v_mad_u32 v2, v7, s19, v2
	s_delay_alu instid0(VALU_DEP_4) | instskip(NEXT) | instid1(VALU_DEP_4)
	v_mad_u32 v12, v7, s13, v10
	v_mad_u32 v14, v7, s12, v9
	s_cbranch_scc1 .LBB55_1611
; %bb.1612:
	s_bitcmp1_b32 s5, 0
	s_cselect_b32 s5, -1, 0
	s_delay_alu instid0(SALU_CYCLE_1)
	s_and_b32 vcc_lo, exec_lo, s5
	s_cbranch_vccnz .LBB55_1615
; %bb.1613:
	s_clause 0x1
	s_load_b96 s[12:14], s[0:1], 0x1c
	s_load_b96 s[16:18], s[0:1], 0xdc
	s_wait_kmcnt 0x0
	v_mul_hi_u32 v7, s13, v5
	s_delay_alu instid0(VALU_DEP_1) | instskip(NEXT) | instid1(VALU_DEP_1)
	v_add_nc_u32_e32 v7, v5, v7
	v_lshrrev_b32_e32 v7, s14, v7
	s_delay_alu instid0(VALU_DEP_1) | instskip(NEXT) | instid1(VALU_DEP_1)
	v_mul_lo_u32 v7, v7, s12
	v_sub_nc_u32_e32 v5, v5, v7
	s_delay_alu instid0(VALU_DEP_1)
	v_mad_u32 v2, v5, s16, v2
	v_mad_u32 v14, v5, s17, v14
	;; [unrolled: 1-line block ×3, first 2 shown]
	s_and_not1_b32 vcc_lo, exec_lo, s4
	s_cbranch_vccz .LBB55_1616
	s_branch .LBB55_1619
.LBB55_1614:
	s_mov_b32 s4, -1
                                        ; implicit-def: $vgpr12
                                        ; implicit-def: $vgpr14
                                        ; implicit-def: $vgpr2
.LBB55_1615:
	s_delay_alu instid0(SALU_CYCLE_1)
	s_and_not1_b32 vcc_lo, exec_lo, s4
	s_cbranch_vccnz .LBB55_1619
.LBB55_1616:
	s_clause 0x1
	s_load_b96 s[4:6], s[2:3], 0x4
	s_load_b96 s[12:14], s[2:3], 0xc4
	s_cmp_lt_u32 s26, 2
	s_wait_kmcnt 0x0
	v_mul_hi_u32 v2, s5, v0
	s_delay_alu instid0(VALU_DEP_1) | instskip(SKIP_1) | instid1(VALU_DEP_1)
	v_add_nc_u32_e32 v2, v0, v2
	s_wait_loadcnt 0x0
	v_lshrrev_b32_e32 v5, s6, v2
	s_delay_alu instid0(VALU_DEP_1) | instskip(NEXT) | instid1(VALU_DEP_1)
	v_mul_lo_u32 v2, v5, s4
	v_sub_nc_u32_e32 v0, v0, v2
	s_delay_alu instid0(VALU_DEP_1)
	v_mul_lo_u32 v2, v0, s12
	v_mul_lo_u32 v12, v0, s14
	;; [unrolled: 1-line block ×3, first 2 shown]
	s_cbranch_scc1 .LBB55_1619
; %bb.1617:
	s_clause 0x1
	s_load_b96 s[4:6], s[2:3], 0x10
	s_load_b96 s[12:14], s[2:3], 0xd0
	s_wait_kmcnt 0x0
	v_mul_hi_u32 v0, s5, v5
	s_delay_alu instid0(VALU_DEP_1) | instskip(NEXT) | instid1(VALU_DEP_1)
	v_add_nc_u32_e32 v0, v5, v0
	v_lshrrev_b32_e32 v0, s6, v0
	s_delay_alu instid0(VALU_DEP_1) | instskip(NEXT) | instid1(VALU_DEP_1)
	v_mul_lo_u32 v0, v0, s4
	v_sub_nc_u32_e32 v0, v5, v0
	s_delay_alu instid0(VALU_DEP_1)
	v_mad_u32 v2, v0, s12, v2
	v_mad_u32 v14, v0, s13, v14
	;; [unrolled: 1-line block ×3, first 2 shown]
	s_branch .LBB55_1619
.LBB55_1618:
	v_dual_mov_b32 v12, 0 :: v_dual_mov_b32 v14, 0
	v_mov_b32_e32 v2, 0
	s_and_not1_b32 vcc_lo, exec_lo, s4
	s_cbranch_vccz .LBB55_1616
.LBB55_1619:
	v_cmp_ne_u32_e32 vcc_lo, 1, v3
	s_cbranch_vccnz .LBB55_1625
; %bb.1620:
	s_cmp_lg_u32 s26, 0
	s_mov_b32 s4, 0
	s_cbranch_scc0 .LBB55_1629
; %bb.1621:
	s_min_u32 s5, s27, 15
	v_dual_mov_b32 v0, 0 :: v_dual_mov_b32 v3, v1
	s_wait_loadcnt 0x0
	v_dual_mov_b32 v10, 0 :: v_dual_mov_b32 v8, 0
	s_add_co_i32 s6, s5, 1
	s_mov_b64 s[0:1], 0xffffffffffffffe8
	s_and_b32 s6, s6, 30
	s_add_nc_u64 s[0:1], s[2:3], s[0:1]
.LBB55_1622:                            ; =>This Inner Loop Header: Depth=1
	s_clause 0x1
	s_load_b128 s[12:15], s[0:1], 0x1c
	s_load_b64 s[10:11], s[0:1], 0x2c
	s_add_co_i32 s6, s6, -2
	s_delay_alu instid0(SALU_CYCLE_1) | instskip(SKIP_2) | instid1(VALU_DEP_1)
	s_cmp_lg_u32 s6, 0
	s_wait_kmcnt 0x0
	v_mul_hi_u32 v5, s13, v3
	v_add_nc_u32_e32 v5, v3, v5
	s_delay_alu instid0(VALU_DEP_1) | instskip(NEXT) | instid1(VALU_DEP_1)
	v_lshrrev_b32_e32 v5, s14, v5
	v_mul_hi_u32 v7, s10, v5
	v_mul_lo_u32 v9, v5, s12
	s_clause 0x1
	s_load_b128 s[16:19], s[0:1], 0xdc
	s_load_b64 s[12:13], s[0:1], 0xec
	s_wait_xcnt 0x0
	s_add_nc_u64 s[0:1], s[0:1], 24
	s_delay_alu instid0(VALU_DEP_1) | instskip(NEXT) | instid1(VALU_DEP_1)
	v_dual_add_nc_u32 v7, v5, v7 :: v_dual_sub_nc_u32 v9, v3, v9
	v_lshrrev_b32_e32 v3, s11, v7
	s_wait_kmcnt 0x0
	s_delay_alu instid0(VALU_DEP_2) | instskip(NEXT) | instid1(VALU_DEP_2)
	v_mad_u32 v0, v9, s16, v0
	v_mul_lo_u32 v7, v3, s15
	v_mad_u32 v8, v9, s18, v8
	v_mad_u32 v9, v9, s17, v10
	s_delay_alu instid0(VALU_DEP_3) | instskip(NEXT) | instid1(VALU_DEP_1)
	v_sub_nc_u32_e32 v5, v5, v7
	v_mad_u32 v0, v5, s19, v0
	s_delay_alu instid0(VALU_DEP_4) | instskip(NEXT) | instid1(VALU_DEP_4)
	v_mad_u32 v8, v5, s13, v8
	v_mad_u32 v10, v5, s12, v9
	s_cbranch_scc1 .LBB55_1622
; %bb.1623:
	s_bitcmp1_b32 s5, 0
	s_cselect_b32 s5, -1, 0
	s_delay_alu instid0(SALU_CYCLE_1)
	s_and_b32 vcc_lo, exec_lo, s5
	s_cbranch_vccnz .LBB55_1626
; %bb.1624:
	s_clause 0x1
	s_load_b96 s[12:14], s[0:1], 0x1c
	s_load_b96 s[16:18], s[0:1], 0xdc
	s_wait_kmcnt 0x0
	v_mul_hi_u32 v5, s13, v3
	s_delay_alu instid0(VALU_DEP_1) | instskip(NEXT) | instid1(VALU_DEP_1)
	v_add_nc_u32_e32 v5, v3, v5
	v_lshrrev_b32_e32 v5, s14, v5
	s_delay_alu instid0(VALU_DEP_1) | instskip(NEXT) | instid1(VALU_DEP_1)
	v_mul_lo_u32 v5, v5, s12
	v_sub_nc_u32_e32 v3, v3, v5
	s_delay_alu instid0(VALU_DEP_1)
	v_mad_u32 v0, v3, s16, v0
	v_mad_u32 v10, v3, s17, v10
	;; [unrolled: 1-line block ×3, first 2 shown]
	s_and_not1_b32 vcc_lo, exec_lo, s4
	s_cbranch_vccz .LBB55_1627
	s_branch .LBB55_1630
.LBB55_1625:
	s_mov_b32 s4, -1
                                        ; implicit-def: $vgpr8
                                        ; implicit-def: $vgpr10
                                        ; implicit-def: $vgpr0
.LBB55_1626:
	s_delay_alu instid0(SALU_CYCLE_1)
	s_and_not1_b32 vcc_lo, exec_lo, s4
	s_cbranch_vccnz .LBB55_1630
.LBB55_1627:
	s_clause 0x1
	s_load_b96 s[4:6], s[2:3], 0x4
	s_load_b96 s[12:14], s[2:3], 0xc4
	s_cmp_lt_u32 s26, 2
	s_wait_kmcnt 0x0
	v_mul_hi_u32 v0, s5, v1
	s_delay_alu instid0(VALU_DEP_1) | instskip(NEXT) | instid1(VALU_DEP_1)
	v_add_nc_u32_e32 v0, v1, v0
	v_lshrrev_b32_e32 v3, s6, v0
	s_delay_alu instid0(VALU_DEP_1) | instskip(NEXT) | instid1(VALU_DEP_1)
	v_mul_lo_u32 v0, v3, s4
	v_sub_nc_u32_e32 v1, v1, v0
	s_delay_alu instid0(VALU_DEP_1)
	v_mul_lo_u32 v0, v1, s12
	s_wait_loadcnt 0x0
	v_mul_lo_u32 v8, v1, s14
	v_mul_lo_u32 v10, v1, s13
	s_cbranch_scc1 .LBB55_1630
; %bb.1628:
	s_clause 0x1
	s_load_b96 s[4:6], s[2:3], 0x10
	s_load_b96 s[12:14], s[2:3], 0xd0
	s_wait_kmcnt 0x0
	v_mul_hi_u32 v1, s5, v3
	s_delay_alu instid0(VALU_DEP_1) | instskip(NEXT) | instid1(VALU_DEP_1)
	v_add_nc_u32_e32 v1, v3, v1
	v_lshrrev_b32_e32 v1, s6, v1
	s_delay_alu instid0(VALU_DEP_1) | instskip(NEXT) | instid1(VALU_DEP_1)
	v_mul_lo_u32 v1, v1, s4
	v_sub_nc_u32_e32 v1, v3, v1
	s_delay_alu instid0(VALU_DEP_1)
	v_mad_u32 v0, v1, s12, v0
	v_mad_u32 v10, v1, s13, v10
	;; [unrolled: 1-line block ×3, first 2 shown]
	s_branch .LBB55_1630
.LBB55_1629:
	s_wait_loadcnt 0x0
	v_dual_mov_b32 v8, 0 :: v_dual_mov_b32 v10, 0
	v_mov_b32_e32 v0, 0
	s_and_not1_b32 vcc_lo, exec_lo, s4
	s_cbranch_vccz .LBB55_1627
.LBB55_1630:
	v_mov_b32_e32 v23, 0
	s_load_b128 s[4:7], s[2:3], 0x188
	global_load_u8 v1, v23, s[2:3] offset:418
	s_wait_kmcnt 0x0
	v_add_nc_u64_e32 v[24:25], s[6:7], v[22:23]
	s_wait_loadcnt 0x0
	v_and_b32_e32 v3, 0xffff, v1
	v_readfirstlane_b32 s11, v1
	s_delay_alu instid0(VALU_DEP_2)
	v_cmp_gt_i32_e32 vcc_lo, 11, v3
	s_cbranch_vccnz .LBB55_1637
; %bb.1631:
	s_and_b32 s0, 0xffff, s11
	s_mov_b32 s12, 0
	s_cmp_gt_i32 s0, 25
	s_cbranch_scc0 .LBB55_1639
; %bb.1632:
	s_cmp_gt_i32 s0, 28
	s_cbranch_scc0 .LBB55_1640
; %bb.1633:
	;; [unrolled: 3-line block ×4, first 2 shown]
	s_cmp_eq_u32 s0, 46
	s_mov_b32 s10, 0
	s_cbranch_scc0 .LBB55_1645
; %bb.1636:
	global_load_b32 v1, v[24:25], off
	s_mov_b32 s1, 0
	s_mov_b32 s13, -1
	s_wait_loadcnt 0x0
	v_lshlrev_b32_e32 v1, 16, v1
	s_delay_alu instid0(VALU_DEP_1)
	v_cvt_i32_f32_e32 v22, v1
	s_branch .LBB55_1647
.LBB55_1637:
	s_mov_b32 s13, 0
	s_mov_b32 s10, s8
                                        ; implicit-def: $vgpr22
	s_cbranch_execnz .LBB55_1705
.LBB55_1638:
	s_and_not1_b32 vcc_lo, exec_lo, s13
	s_cbranch_vccz .LBB55_1750
	s_branch .LBB55_2741
.LBB55_1639:
	s_mov_b32 s13, 0
	s_mov_b32 s1, 0
                                        ; implicit-def: $vgpr22
	s_cbranch_execnz .LBB55_1672
	s_branch .LBB55_1701
.LBB55_1640:
	s_mov_b32 s13, 0
	s_mov_b32 s1, 0
                                        ; implicit-def: $vgpr22
	s_cbranch_execz .LBB55_1671
	s_branch .LBB55_1656
.LBB55_1641:
	s_mov_b32 s13, 0
	s_mov_b32 s1, 0
                                        ; implicit-def: $vgpr22
	s_cbranch_execnz .LBB55_1652
	s_branch .LBB55_1655
.LBB55_1642:
	s_mov_b32 s10, -1
	s_mov_b32 s13, 0
	s_mov_b32 s1, 0
	s_branch .LBB55_1646
.LBB55_1643:
	s_and_not1_saveexec_b32 s9, s9
	s_cbranch_execz .LBB55_1498
.LBB55_1644:
	v_add_f32_e64 v3, 0x46000000, |v2|
	s_and_not1_b32 s8, s8, exec_lo
	s_delay_alu instid0(VALU_DEP_1) | instskip(NEXT) | instid1(VALU_DEP_1)
	v_and_b32_e32 v3, 0xff, v3
	v_cmp_ne_u32_e32 vcc_lo, 0, v3
	s_and_b32 s10, vcc_lo, exec_lo
	s_delay_alu instid0(SALU_CYCLE_1)
	s_or_b32 s8, s8, s10
	s_or_b32 exec_lo, exec_lo, s9
	v_mov_b32_e32 v4, 0
	s_and_saveexec_b32 s9, s8
	s_cbranch_execnz .LBB55_1499
	s_branch .LBB55_1500
.LBB55_1645:
	s_mov_b32 s1, -1
	s_mov_b32 s13, 0
.LBB55_1646:
                                        ; implicit-def: $vgpr22
.LBB55_1647:
	s_and_b32 vcc_lo, exec_lo, s10
	s_cbranch_vccz .LBB55_1650
; %bb.1648:
	s_cmp_eq_u32 s0, 44
	s_cbranch_scc0 .LBB55_1651
; %bb.1649:
	global_load_u8 v1, v[24:25], off
	s_mov_b32 s1, 0
	s_mov_b32 s13, -1
	s_wait_loadcnt 0x0
	v_lshlrev_b32_e32 v3, 23, v1
	v_cmp_ne_u32_e32 vcc_lo, 0, v1
	s_delay_alu instid0(VALU_DEP_2) | instskip(NEXT) | instid1(VALU_DEP_1)
	v_cvt_i32_f32_e32 v3, v3
	v_cndmask_b32_e32 v22, 0, v3, vcc_lo
.LBB55_1650:
	s_branch .LBB55_1655
.LBB55_1651:
	s_mov_b32 s1, -1
                                        ; implicit-def: $vgpr22
	s_branch .LBB55_1655
.LBB55_1652:
	s_cmp_eq_u32 s0, 29
	s_cbranch_scc0 .LBB55_1654
; %bb.1653:
	global_load_b64 v[22:23], v[24:25], off
	s_mov_b32 s1, 0
	s_mov_b32 s13, -1
	s_branch .LBB55_1655
.LBB55_1654:
	s_mov_b32 s1, -1
                                        ; implicit-def: $vgpr22
.LBB55_1655:
	s_branch .LBB55_1671
.LBB55_1656:
	s_cmp_lt_i32 s0, 27
	s_cbranch_scc1 .LBB55_1659
; %bb.1657:
	s_cmp_gt_i32 s0, 27
	s_cbranch_scc0 .LBB55_1660
; %bb.1658:
	s_wait_loadcnt 0x0
	global_load_b32 v22, v[24:25], off
	s_mov_b32 s10, 0
	s_branch .LBB55_1661
.LBB55_1659:
	s_mov_b32 s10, -1
                                        ; implicit-def: $vgpr22
	s_branch .LBB55_1664
.LBB55_1660:
	s_mov_b32 s10, -1
                                        ; implicit-def: $vgpr22
.LBB55_1661:
	s_delay_alu instid0(SALU_CYCLE_1)
	s_and_not1_b32 vcc_lo, exec_lo, s10
	s_cbranch_vccnz .LBB55_1663
; %bb.1662:
	s_wait_loadcnt 0x0
	global_load_u16 v22, v[24:25], off
.LBB55_1663:
	s_mov_b32 s10, 0
.LBB55_1664:
	s_delay_alu instid0(SALU_CYCLE_1)
	s_and_not1_b32 vcc_lo, exec_lo, s10
	s_cbranch_vccnz .LBB55_1670
; %bb.1665:
	global_load_u8 v1, v[24:25], off
	s_mov_b32 s13, 0
	s_mov_b32 s10, exec_lo
	s_wait_loadcnt 0x0
	v_cmpx_lt_i16_e32 0x7f, v1
	s_xor_b32 s10, exec_lo, s10
	s_cbranch_execz .LBB55_1681
; %bb.1666:
	v_cmp_ne_u16_e32 vcc_lo, 0x80, v1
	s_and_b32 s13, vcc_lo, exec_lo
	s_and_not1_saveexec_b32 s10, s10
	s_cbranch_execnz .LBB55_1682
.LBB55_1667:
	s_or_b32 exec_lo, exec_lo, s10
	v_mov_b32_e32 v22, 0
	s_and_saveexec_b32 s10, s13
	s_cbranch_execz .LBB55_1669
.LBB55_1668:
	v_and_b32_e32 v3, 0xffff, v1
	s_delay_alu instid0(VALU_DEP_1) | instskip(SKIP_1) | instid1(VALU_DEP_2)
	v_dual_lshlrev_b32 v1, 24, v1 :: v_dual_bitop2_b32 v5, 7, v3 bitop3:0x40
	v_bfe_u32 v11, v3, 3, 4
	v_and_b32_e32 v1, 0x80000000, v1
	s_delay_alu instid0(VALU_DEP_3) | instskip(NEXT) | instid1(VALU_DEP_3)
	v_clz_i32_u32_e32 v7, v5
	v_cmp_eq_u32_e32 vcc_lo, 0, v11
	s_delay_alu instid0(VALU_DEP_2) | instskip(NEXT) | instid1(VALU_DEP_1)
	v_min_u32_e32 v7, 32, v7
	v_subrev_nc_u32_e32 v9, 28, v7
	v_sub_nc_u32_e32 v7, 29, v7
	s_delay_alu instid0(VALU_DEP_2) | instskip(NEXT) | instid1(VALU_DEP_2)
	v_lshlrev_b32_e32 v3, v9, v3
	v_cndmask_b32_e32 v7, v11, v7, vcc_lo
	s_delay_alu instid0(VALU_DEP_2) | instskip(NEXT) | instid1(VALU_DEP_1)
	v_and_b32_e32 v3, 7, v3
	v_cndmask_b32_e32 v3, v5, v3, vcc_lo
	s_delay_alu instid0(VALU_DEP_3) | instskip(NEXT) | instid1(VALU_DEP_2)
	v_lshl_add_u32 v5, v7, 23, 0x3b800000
	v_lshlrev_b32_e32 v3, 20, v3
	s_delay_alu instid0(VALU_DEP_1) | instskip(NEXT) | instid1(VALU_DEP_1)
	v_or3_b32 v1, v1, v5, v3
	v_cvt_i32_f32_e32 v22, v1
.LBB55_1669:
	s_or_b32 exec_lo, exec_lo, s10
.LBB55_1670:
	s_mov_b32 s13, -1
.LBB55_1671:
	s_branch .LBB55_1701
.LBB55_1672:
	s_cmp_gt_i32 s0, 22
	s_cbranch_scc0 .LBB55_1680
; %bb.1673:
	s_cmp_lt_i32 s0, 24
	s_cbranch_scc1 .LBB55_1683
; %bb.1674:
	s_cmp_gt_i32 s0, 24
	s_cbranch_scc0 .LBB55_1684
; %bb.1675:
	global_load_u8 v1, v[24:25], off
	s_mov_b32 s10, exec_lo
	s_wait_loadcnt 0x0
	v_cmpx_lt_i16_e32 0x7f, v1
	s_xor_b32 s10, exec_lo, s10
	s_cbranch_execz .LBB55_1695
; %bb.1676:
	v_cmp_ne_u16_e32 vcc_lo, 0x80, v1
	s_and_b32 s12, vcc_lo, exec_lo
	s_and_not1_saveexec_b32 s10, s10
	s_cbranch_execnz .LBB55_1696
.LBB55_1677:
	s_or_b32 exec_lo, exec_lo, s10
	v_mov_b32_e32 v22, 0
	s_and_saveexec_b32 s10, s12
	s_cbranch_execz .LBB55_1679
.LBB55_1678:
	v_and_b32_e32 v3, 0xffff, v1
	s_delay_alu instid0(VALU_DEP_1) | instskip(SKIP_1) | instid1(VALU_DEP_2)
	v_dual_lshlrev_b32 v1, 24, v1 :: v_dual_bitop2_b32 v5, 3, v3 bitop3:0x40
	v_bfe_u32 v11, v3, 2, 5
	v_and_b32_e32 v1, 0x80000000, v1
	s_delay_alu instid0(VALU_DEP_3) | instskip(NEXT) | instid1(VALU_DEP_3)
	v_clz_i32_u32_e32 v7, v5
	v_cmp_eq_u32_e32 vcc_lo, 0, v11
	s_delay_alu instid0(VALU_DEP_2) | instskip(NEXT) | instid1(VALU_DEP_1)
	v_min_u32_e32 v7, 32, v7
	v_subrev_nc_u32_e32 v9, 29, v7
	v_sub_nc_u32_e32 v7, 30, v7
	s_delay_alu instid0(VALU_DEP_2) | instskip(NEXT) | instid1(VALU_DEP_2)
	v_lshlrev_b32_e32 v3, v9, v3
	v_cndmask_b32_e32 v7, v11, v7, vcc_lo
	s_delay_alu instid0(VALU_DEP_2) | instskip(NEXT) | instid1(VALU_DEP_1)
	v_and_b32_e32 v3, 3, v3
	v_cndmask_b32_e32 v3, v5, v3, vcc_lo
	s_delay_alu instid0(VALU_DEP_3) | instskip(NEXT) | instid1(VALU_DEP_2)
	v_lshl_add_u32 v5, v7, 23, 0x37800000
	v_lshlrev_b32_e32 v3, 21, v3
	s_delay_alu instid0(VALU_DEP_1) | instskip(NEXT) | instid1(VALU_DEP_1)
	v_or3_b32 v1, v1, v5, v3
	v_cvt_i32_f32_e32 v22, v1
.LBB55_1679:
	s_or_b32 exec_lo, exec_lo, s10
	s_mov_b32 s10, 0
	s_branch .LBB55_1685
.LBB55_1680:
                                        ; implicit-def: $vgpr22
	s_mov_b32 s12, 0
	s_branch .LBB55_1691
.LBB55_1681:
	s_and_not1_saveexec_b32 s10, s10
	s_cbranch_execz .LBB55_1667
.LBB55_1682:
	v_cmp_ne_u16_e32 vcc_lo, 0, v1
	s_and_not1_b32 s13, s13, exec_lo
	s_and_b32 s14, vcc_lo, exec_lo
	s_delay_alu instid0(SALU_CYCLE_1)
	s_or_b32 s13, s13, s14
	s_or_b32 exec_lo, exec_lo, s10
	v_mov_b32_e32 v22, 0
	s_and_saveexec_b32 s10, s13
	s_cbranch_execnz .LBB55_1668
	s_branch .LBB55_1669
.LBB55_1683:
	s_mov_b32 s10, -1
                                        ; implicit-def: $vgpr22
	s_branch .LBB55_1688
.LBB55_1684:
	s_mov_b32 s10, -1
                                        ; implicit-def: $vgpr22
.LBB55_1685:
	s_delay_alu instid0(SALU_CYCLE_1)
	s_and_b32 vcc_lo, exec_lo, s10
	s_cbranch_vccz .LBB55_1687
; %bb.1686:
	global_load_u8 v1, v[24:25], off
	s_wait_loadcnt 0x0
	v_lshlrev_b32_e32 v1, 24, v1
	s_delay_alu instid0(VALU_DEP_1) | instskip(NEXT) | instid1(VALU_DEP_1)
	v_and_b32_e32 v3, 0x7f000000, v1
	v_clz_i32_u32_e32 v5, v3
	v_add_nc_u32_e32 v9, 0x1000000, v3
	v_cmp_ne_u32_e32 vcc_lo, 0, v3
	s_delay_alu instid0(VALU_DEP_3) | instskip(NEXT) | instid1(VALU_DEP_1)
	v_min_u32_e32 v5, 32, v5
	v_sub_nc_u32_e64 v5, v5, 4 clamp
	s_delay_alu instid0(VALU_DEP_1) | instskip(NEXT) | instid1(VALU_DEP_1)
	v_dual_lshlrev_b32 v7, v5, v3 :: v_dual_lshlrev_b32 v5, 23, v5
	v_lshrrev_b32_e32 v7, 4, v7
	s_delay_alu instid0(VALU_DEP_1) | instskip(SKIP_1) | instid1(VALU_DEP_2)
	v_sub_nc_u32_e32 v5, v7, v5
	v_ashrrev_i32_e32 v7, 8, v9
	v_add_nc_u32_e32 v5, 0x3c000000, v5
	s_delay_alu instid0(VALU_DEP_1) | instskip(NEXT) | instid1(VALU_DEP_1)
	v_and_or_b32 v5, 0x7f800000, v7, v5
	v_cndmask_b32_e32 v3, 0, v5, vcc_lo
	s_delay_alu instid0(VALU_DEP_1) | instskip(NEXT) | instid1(VALU_DEP_1)
	v_and_or_b32 v1, 0x80000000, v1, v3
	v_cvt_i32_f32_e32 v22, v1
.LBB55_1687:
	s_mov_b32 s10, 0
.LBB55_1688:
	s_delay_alu instid0(SALU_CYCLE_1)
	s_and_not1_b32 vcc_lo, exec_lo, s10
	s_cbranch_vccnz .LBB55_1690
; %bb.1689:
	global_load_u8 v1, v[24:25], off
	s_wait_loadcnt 0x0
	v_lshlrev_b32_e32 v3, 25, v1
	v_lshlrev_b16 v1, 8, v1
	s_delay_alu instid0(VALU_DEP_1) | instskip(SKIP_1) | instid1(VALU_DEP_2)
	v_and_or_b32 v7, 0x7f00, v1, 0.5
	v_bfe_i32 v1, v1, 0, 16
	v_add_f32_e32 v7, -0.5, v7
	v_lshrrev_b32_e32 v5, 4, v3
	v_cmp_gt_u32_e32 vcc_lo, 0x8000000, v3
	s_delay_alu instid0(VALU_DEP_2) | instskip(NEXT) | instid1(VALU_DEP_1)
	v_or_b32_e32 v5, 0x70000000, v5
	v_mul_f32_e32 v5, 0x7800000, v5
	s_delay_alu instid0(VALU_DEP_1) | instskip(NEXT) | instid1(VALU_DEP_1)
	v_cndmask_b32_e32 v3, v5, v7, vcc_lo
	v_and_or_b32 v1, 0x80000000, v1, v3
	s_delay_alu instid0(VALU_DEP_1)
	v_cvt_i32_f32_e32 v22, v1
.LBB55_1690:
	s_mov_b32 s13, -1
	s_mov_b32 s12, 0
	s_cbranch_execnz .LBB55_1701
.LBB55_1691:
	s_cmp_gt_i32 s0, 14
	s_cbranch_scc0 .LBB55_1694
; %bb.1692:
	s_cmp_eq_u32 s0, 15
	s_cbranch_scc0 .LBB55_1697
; %bb.1693:
	global_load_u16 v1, v[24:25], off
	s_mov_b32 s1, 0
	s_mov_b32 s13, -1
	s_wait_loadcnt 0x0
	v_lshlrev_b32_e32 v1, 16, v1
	s_delay_alu instid0(VALU_DEP_1)
	v_cvt_i32_f32_e32 v22, v1
	s_branch .LBB55_1698
.LBB55_1694:
	s_mov_b32 s10, -1
                                        ; implicit-def: $vgpr22
	s_branch .LBB55_1699
.LBB55_1695:
	s_and_not1_saveexec_b32 s10, s10
	s_cbranch_execz .LBB55_1677
.LBB55_1696:
	v_cmp_ne_u16_e32 vcc_lo, 0, v1
	s_and_not1_b32 s12, s12, exec_lo
	s_and_b32 s13, vcc_lo, exec_lo
	s_delay_alu instid0(SALU_CYCLE_1)
	s_or_b32 s12, s12, s13
	s_or_b32 exec_lo, exec_lo, s10
	v_mov_b32_e32 v22, 0
	s_and_saveexec_b32 s10, s12
	s_cbranch_execnz .LBB55_1678
	s_branch .LBB55_1679
.LBB55_1697:
	s_mov_b32 s1, -1
                                        ; implicit-def: $vgpr22
.LBB55_1698:
	s_mov_b32 s10, 0
.LBB55_1699:
	s_delay_alu instid0(SALU_CYCLE_1)
	s_and_b32 vcc_lo, exec_lo, s10
	s_cbranch_vccz .LBB55_1701
; %bb.1700:
	s_cmp_lg_u32 s0, 11
	s_mov_b32 s12, -1
	s_cselect_b32 s1, -1, 0
.LBB55_1701:
	s_delay_alu instid0(SALU_CYCLE_1)
	s_and_b32 vcc_lo, exec_lo, s1
	s_mov_b32 s10, s8
	s_cbranch_vccnz .LBB55_1762
; %bb.1702:
	s_and_not1_b32 vcc_lo, exec_lo, s12
	s_cbranch_vccnz .LBB55_1704
.LBB55_1703:
	global_load_u8 v1, v[24:25], off
	s_mov_b32 s13, -1
	s_wait_loadcnt 0x0
	v_cmp_ne_u16_e32 vcc_lo, 0, v1
	v_cndmask_b32_e64 v22, 0, 1, vcc_lo
.LBB55_1704:
	s_branch .LBB55_1638
.LBB55_1705:
	s_and_b32 s0, 0xffff, s11
	s_delay_alu instid0(SALU_CYCLE_1)
	s_cmp_lt_i32 s0, 5
	s_cbranch_scc1 .LBB55_1710
; %bb.1706:
	s_cmp_lt_i32 s0, 8
	s_cbranch_scc1 .LBB55_1711
; %bb.1707:
	;; [unrolled: 3-line block ×3, first 2 shown]
	s_cmp_gt_i32 s0, 9
	s_cbranch_scc0 .LBB55_1713
; %bb.1709:
	s_wait_loadcnt 0x0
	global_load_b64 v[22:23], v[24:25], off
	s_mov_b32 s1, 0
	s_wait_loadcnt 0x0
	v_cvt_i32_f64_e32 v22, v[22:23]
	s_branch .LBB55_1714
.LBB55_1710:
                                        ; implicit-def: $vgpr22
	s_branch .LBB55_1731
.LBB55_1711:
                                        ; implicit-def: $vgpr22
	s_branch .LBB55_1720
.LBB55_1712:
	s_mov_b32 s1, -1
                                        ; implicit-def: $vgpr22
	s_branch .LBB55_1717
.LBB55_1713:
	s_mov_b32 s1, -1
                                        ; implicit-def: $vgpr22
.LBB55_1714:
	s_delay_alu instid0(SALU_CYCLE_1)
	s_and_not1_b32 vcc_lo, exec_lo, s1
	s_cbranch_vccnz .LBB55_1716
; %bb.1715:
	global_load_b32 v1, v[24:25], off
	s_wait_loadcnt 0x0
	v_cvt_i32_f32_e32 v22, v1
.LBB55_1716:
	s_mov_b32 s1, 0
.LBB55_1717:
	s_delay_alu instid0(SALU_CYCLE_1)
	s_and_not1_b32 vcc_lo, exec_lo, s1
	s_cbranch_vccnz .LBB55_1719
; %bb.1718:
	global_load_b32 v1, v[24:25], off
	s_wait_loadcnt 0x0
	v_cvt_i16_f16_e32 v22, v1
.LBB55_1719:
	s_cbranch_execnz .LBB55_1730
.LBB55_1720:
	s_cmp_lt_i32 s0, 6
	s_cbranch_scc1 .LBB55_1723
; %bb.1721:
	s_cmp_gt_i32 s0, 6
	s_cbranch_scc0 .LBB55_1724
; %bb.1722:
	s_wait_loadcnt 0x0
	global_load_b64 v[22:23], v[24:25], off
	s_mov_b32 s1, 0
	s_wait_loadcnt 0x0
	v_cvt_i32_f64_e32 v22, v[22:23]
	s_branch .LBB55_1725
.LBB55_1723:
	s_mov_b32 s1, -1
                                        ; implicit-def: $vgpr22
	s_branch .LBB55_1728
.LBB55_1724:
	s_mov_b32 s1, -1
                                        ; implicit-def: $vgpr22
.LBB55_1725:
	s_delay_alu instid0(SALU_CYCLE_1)
	s_and_not1_b32 vcc_lo, exec_lo, s1
	s_cbranch_vccnz .LBB55_1727
; %bb.1726:
	global_load_b32 v1, v[24:25], off
	s_wait_loadcnt 0x0
	v_cvt_i32_f32_e32 v22, v1
.LBB55_1727:
	s_mov_b32 s1, 0
.LBB55_1728:
	s_delay_alu instid0(SALU_CYCLE_1)
	s_and_not1_b32 vcc_lo, exec_lo, s1
	s_cbranch_vccnz .LBB55_1730
; %bb.1729:
	global_load_u16 v1, v[24:25], off
	s_wait_loadcnt 0x0
	v_cvt_i16_f16_e32 v22, v1
.LBB55_1730:
	s_cbranch_execnz .LBB55_1749
.LBB55_1731:
	s_cmp_lt_i32 s0, 2
	s_cbranch_scc1 .LBB55_1735
; %bb.1732:
	s_cmp_lt_i32 s0, 3
	s_cbranch_scc1 .LBB55_1736
; %bb.1733:
	s_cmp_gt_i32 s0, 3
	s_cbranch_scc0 .LBB55_1737
; %bb.1734:
	s_wait_loadcnt 0x0
	global_load_b64 v[22:23], v[24:25], off
	s_mov_b32 s1, 0
	s_branch .LBB55_1738
.LBB55_1735:
                                        ; implicit-def: $vgpr22
	s_branch .LBB55_1744
.LBB55_1736:
	s_mov_b32 s1, -1
                                        ; implicit-def: $vgpr22
	s_branch .LBB55_1741
.LBB55_1737:
	s_mov_b32 s1, -1
                                        ; implicit-def: $vgpr22
.LBB55_1738:
	s_delay_alu instid0(SALU_CYCLE_1)
	s_and_not1_b32 vcc_lo, exec_lo, s1
	s_cbranch_vccnz .LBB55_1740
; %bb.1739:
	s_wait_loadcnt 0x0
	global_load_b32 v22, v[24:25], off
.LBB55_1740:
	s_mov_b32 s1, 0
.LBB55_1741:
	s_delay_alu instid0(SALU_CYCLE_1)
	s_and_not1_b32 vcc_lo, exec_lo, s1
	s_cbranch_vccnz .LBB55_1743
; %bb.1742:
	s_wait_loadcnt 0x0
	global_load_u16 v22, v[24:25], off
.LBB55_1743:
	s_cbranch_execnz .LBB55_1749
.LBB55_1744:
	s_cmp_gt_i32 s0, 0
	s_mov_b32 s0, 0
	s_cbranch_scc0 .LBB55_1746
; %bb.1745:
	s_wait_loadcnt 0x0
	global_load_u8 v22, v[24:25], off
	s_branch .LBB55_1747
.LBB55_1746:
	s_mov_b32 s0, -1
                                        ; implicit-def: $vgpr22
.LBB55_1747:
	s_delay_alu instid0(SALU_CYCLE_1)
	s_and_not1_b32 vcc_lo, exec_lo, s0
	s_cbranch_vccnz .LBB55_1749
; %bb.1748:
	s_wait_loadcnt 0x0
	global_load_u8 v22, v[24:25], off
.LBB55_1749:
.LBB55_1750:
	v_mov_b32_e32 v21, 0
	s_load_b64 s[0:1], s[2:3], 0x198
	global_load_u8 v1, v21, s[2:3] offset:419
	s_wait_kmcnt 0x0
	v_add_nc_u64_e32 v[20:21], s[0:1], v[20:21]
	s_wait_loadcnt 0x0
	v_and_b32_e32 v3, 0xffff, v1
	v_readfirstlane_b32 s12, v1
	s_delay_alu instid0(VALU_DEP_2)
	v_cmp_gt_i32_e32 vcc_lo, 11, v3
	s_cbranch_vccnz .LBB55_1757
; %bb.1751:
	s_and_b32 s13, 0xffff, s12
	s_mov_b32 s15, 0
	s_cmp_gt_i32 s13, 25
	s_cbranch_scc0 .LBB55_1759
; %bb.1752:
	s_cmp_gt_i32 s13, 28
	s_cbranch_scc0 .LBB55_1760
; %bb.1753:
	;; [unrolled: 3-line block ×4, first 2 shown]
	s_cmp_eq_u32 s13, 46
	s_mov_b32 s17, 0
	s_cbranch_scc0 .LBB55_1766
; %bb.1756:
	global_load_b32 v1, v[20:21], off
	s_mov_b32 s14, 0
	s_mov_b32 s16, -1
	s_wait_loadcnt 0x0
	v_lshlrev_b32_e32 v1, 16, v1
	s_delay_alu instid0(VALU_DEP_1)
	v_cvt_i32_f32_e32 v24, v1
	s_branch .LBB55_1768
.LBB55_1757:
	s_mov_b32 s16, 0
                                        ; implicit-def: $vgpr24
	s_cbranch_execnz .LBB55_1829
.LBB55_1758:
	s_and_not1_b32 vcc_lo, exec_lo, s16
	s_cbranch_vccnz .LBB55_2741
	s_branch .LBB55_1876
.LBB55_1759:
	s_mov_b32 s16, 0
	s_mov_b32 s14, 0
                                        ; implicit-def: $vgpr24
	s_cbranch_execnz .LBB55_1795
	s_branch .LBB55_1825
.LBB55_1760:
	s_mov_b32 s17, -1
	s_mov_b32 s16, 0
	s_mov_b32 s14, 0
                                        ; implicit-def: $vgpr24
	s_branch .LBB55_1778
.LBB55_1761:
	s_mov_b32 s17, -1
	s_mov_b32 s16, 0
	s_mov_b32 s14, 0
                                        ; implicit-def: $vgpr24
	s_branch .LBB55_1773
.LBB55_1762:
	s_or_b32 s10, s8, exec_lo
	s_trap 2
	s_cbranch_execz .LBB55_1703
	s_branch .LBB55_1704
.LBB55_1763:
	s_mov_b32 s17, -1
	s_mov_b32 s16, 0
	s_mov_b32 s14, 0
	s_branch .LBB55_1767
.LBB55_1764:
	s_and_not1_saveexec_b32 s10, s10
	s_cbranch_execz .LBB55_1510
.LBB55_1765:
	v_add_f32_e64 v3, 0x42800000, |v2|
	s_and_not1_b32 s9, s9, exec_lo
	s_delay_alu instid0(VALU_DEP_1) | instskip(NEXT) | instid1(VALU_DEP_1)
	v_and_b32_e32 v3, 0xff, v3
	v_cmp_ne_u32_e32 vcc_lo, 0, v3
	s_and_b32 s11, vcc_lo, exec_lo
	s_delay_alu instid0(SALU_CYCLE_1)
	s_or_b32 s9, s9, s11
	s_or_b32 exec_lo, exec_lo, s10
	v_mov_b32_e32 v4, 0
	s_and_saveexec_b32 s10, s9
	s_cbranch_execnz .LBB55_1511
	s_branch .LBB55_1512
.LBB55_1766:
	s_mov_b32 s14, -1
	s_mov_b32 s16, 0
.LBB55_1767:
                                        ; implicit-def: $vgpr24
.LBB55_1768:
	s_and_b32 vcc_lo, exec_lo, s17
	s_cbranch_vccz .LBB55_1772
; %bb.1769:
	s_cmp_eq_u32 s13, 44
	s_cbranch_scc0 .LBB55_1771
; %bb.1770:
	global_load_u8 v1, v[20:21], off
	s_mov_b32 s14, 0
	s_mov_b32 s16, -1
	s_wait_loadcnt 0x0
	v_lshlrev_b32_e32 v3, 23, v1
	v_cmp_ne_u32_e32 vcc_lo, 0, v1
	s_delay_alu instid0(VALU_DEP_2) | instskip(NEXT) | instid1(VALU_DEP_1)
	v_cvt_i32_f32_e32 v3, v3
	v_cndmask_b32_e32 v24, 0, v3, vcc_lo
	s_branch .LBB55_1772
.LBB55_1771:
	s_mov_b32 s14, -1
                                        ; implicit-def: $vgpr24
.LBB55_1772:
	s_mov_b32 s17, 0
.LBB55_1773:
	s_delay_alu instid0(SALU_CYCLE_1)
	s_and_b32 vcc_lo, exec_lo, s17
	s_cbranch_vccz .LBB55_1777
; %bb.1774:
	s_cmp_eq_u32 s13, 29
	s_cbranch_scc0 .LBB55_1776
; %bb.1775:
	global_load_b64 v[24:25], v[20:21], off
	s_mov_b32 s14, 0
	s_mov_b32 s16, -1
	s_branch .LBB55_1777
.LBB55_1776:
	s_mov_b32 s14, -1
                                        ; implicit-def: $vgpr24
.LBB55_1777:
	s_mov_b32 s17, 0
.LBB55_1778:
	s_delay_alu instid0(SALU_CYCLE_1)
	s_and_b32 vcc_lo, exec_lo, s17
	s_cbranch_vccz .LBB55_1794
; %bb.1779:
	s_cmp_lt_i32 s13, 27
	s_cbranch_scc1 .LBB55_1782
; %bb.1780:
	s_cmp_gt_i32 s13, 27
	s_cbranch_scc0 .LBB55_1783
; %bb.1781:
	s_wait_loadcnt 0x0
	global_load_b32 v24, v[20:21], off
	s_mov_b32 s16, 0
	s_branch .LBB55_1784
.LBB55_1782:
	s_mov_b32 s16, -1
                                        ; implicit-def: $vgpr24
	s_branch .LBB55_1787
.LBB55_1783:
	s_mov_b32 s16, -1
                                        ; implicit-def: $vgpr24
.LBB55_1784:
	s_delay_alu instid0(SALU_CYCLE_1)
	s_and_not1_b32 vcc_lo, exec_lo, s16
	s_cbranch_vccnz .LBB55_1786
; %bb.1785:
	s_wait_loadcnt 0x0
	global_load_u16 v24, v[20:21], off
.LBB55_1786:
	s_mov_b32 s16, 0
.LBB55_1787:
	s_delay_alu instid0(SALU_CYCLE_1)
	s_and_not1_b32 vcc_lo, exec_lo, s16
	s_cbranch_vccnz .LBB55_1793
; %bb.1788:
	global_load_u8 v1, v[20:21], off
	s_mov_b32 s17, 0
	s_mov_b32 s16, exec_lo
	s_wait_loadcnt 0x0
	v_cmpx_lt_i16_e32 0x7f, v1
	s_xor_b32 s16, exec_lo, s16
	s_cbranch_execz .LBB55_1804
; %bb.1789:
	v_cmp_ne_u16_e32 vcc_lo, 0x80, v1
	s_and_b32 s17, vcc_lo, exec_lo
	s_and_not1_saveexec_b32 s16, s16
	s_cbranch_execnz .LBB55_1805
.LBB55_1790:
	s_or_b32 exec_lo, exec_lo, s16
	v_mov_b32_e32 v24, 0
	s_and_saveexec_b32 s16, s17
	s_cbranch_execz .LBB55_1792
.LBB55_1791:
	v_and_b32_e32 v3, 0xffff, v1
	s_delay_alu instid0(VALU_DEP_1) | instskip(SKIP_1) | instid1(VALU_DEP_2)
	v_dual_lshlrev_b32 v1, 24, v1 :: v_dual_bitop2_b32 v5, 7, v3 bitop3:0x40
	v_bfe_u32 v11, v3, 3, 4
	v_and_b32_e32 v1, 0x80000000, v1
	s_delay_alu instid0(VALU_DEP_3) | instskip(NEXT) | instid1(VALU_DEP_3)
	v_clz_i32_u32_e32 v7, v5
	v_cmp_eq_u32_e32 vcc_lo, 0, v11
	s_delay_alu instid0(VALU_DEP_2) | instskip(NEXT) | instid1(VALU_DEP_1)
	v_min_u32_e32 v7, 32, v7
	v_subrev_nc_u32_e32 v9, 28, v7
	v_sub_nc_u32_e32 v7, 29, v7
	s_delay_alu instid0(VALU_DEP_2) | instskip(NEXT) | instid1(VALU_DEP_2)
	v_lshlrev_b32_e32 v3, v9, v3
	v_cndmask_b32_e32 v7, v11, v7, vcc_lo
	s_delay_alu instid0(VALU_DEP_2) | instskip(NEXT) | instid1(VALU_DEP_1)
	v_and_b32_e32 v3, 7, v3
	v_cndmask_b32_e32 v3, v5, v3, vcc_lo
	s_delay_alu instid0(VALU_DEP_3) | instskip(NEXT) | instid1(VALU_DEP_2)
	v_lshl_add_u32 v5, v7, 23, 0x3b800000
	v_lshlrev_b32_e32 v3, 20, v3
	s_delay_alu instid0(VALU_DEP_1) | instskip(NEXT) | instid1(VALU_DEP_1)
	v_or3_b32 v1, v1, v5, v3
	v_cvt_i32_f32_e32 v24, v1
.LBB55_1792:
	s_or_b32 exec_lo, exec_lo, s16
.LBB55_1793:
	s_mov_b32 s16, -1
.LBB55_1794:
	s_branch .LBB55_1825
.LBB55_1795:
	s_cmp_gt_i32 s13, 22
	s_cbranch_scc0 .LBB55_1803
; %bb.1796:
	s_cmp_lt_i32 s13, 24
	s_cbranch_scc1 .LBB55_1806
; %bb.1797:
	s_cmp_gt_i32 s13, 24
	s_cbranch_scc0 .LBB55_1807
; %bb.1798:
	global_load_u8 v1, v[20:21], off
	s_mov_b32 s16, 0
	s_mov_b32 s15, exec_lo
	s_wait_loadcnt 0x0
	v_cmpx_lt_i16_e32 0x7f, v1
	s_xor_b32 s15, exec_lo, s15
	s_cbranch_execz .LBB55_1819
; %bb.1799:
	v_cmp_ne_u16_e32 vcc_lo, 0x80, v1
	s_and_b32 s16, vcc_lo, exec_lo
	s_and_not1_saveexec_b32 s15, s15
	s_cbranch_execnz .LBB55_1820
.LBB55_1800:
	s_or_b32 exec_lo, exec_lo, s15
	v_mov_b32_e32 v24, 0
	s_and_saveexec_b32 s15, s16
	s_cbranch_execz .LBB55_1802
.LBB55_1801:
	v_and_b32_e32 v3, 0xffff, v1
	s_delay_alu instid0(VALU_DEP_1) | instskip(SKIP_1) | instid1(VALU_DEP_2)
	v_dual_lshlrev_b32 v1, 24, v1 :: v_dual_bitop2_b32 v5, 3, v3 bitop3:0x40
	v_bfe_u32 v11, v3, 2, 5
	v_and_b32_e32 v1, 0x80000000, v1
	s_delay_alu instid0(VALU_DEP_3) | instskip(NEXT) | instid1(VALU_DEP_3)
	v_clz_i32_u32_e32 v7, v5
	v_cmp_eq_u32_e32 vcc_lo, 0, v11
	s_delay_alu instid0(VALU_DEP_2) | instskip(NEXT) | instid1(VALU_DEP_1)
	v_min_u32_e32 v7, 32, v7
	v_subrev_nc_u32_e32 v9, 29, v7
	v_sub_nc_u32_e32 v7, 30, v7
	s_delay_alu instid0(VALU_DEP_2) | instskip(NEXT) | instid1(VALU_DEP_2)
	v_lshlrev_b32_e32 v3, v9, v3
	v_cndmask_b32_e32 v7, v11, v7, vcc_lo
	s_delay_alu instid0(VALU_DEP_2) | instskip(NEXT) | instid1(VALU_DEP_1)
	v_and_b32_e32 v3, 3, v3
	v_cndmask_b32_e32 v3, v5, v3, vcc_lo
	s_delay_alu instid0(VALU_DEP_3) | instskip(NEXT) | instid1(VALU_DEP_2)
	v_lshl_add_u32 v5, v7, 23, 0x37800000
	v_lshlrev_b32_e32 v3, 21, v3
	s_delay_alu instid0(VALU_DEP_1) | instskip(NEXT) | instid1(VALU_DEP_1)
	v_or3_b32 v1, v1, v5, v3
	v_cvt_i32_f32_e32 v24, v1
.LBB55_1802:
	s_or_b32 exec_lo, exec_lo, s15
	s_mov_b32 s15, 0
	s_branch .LBB55_1808
.LBB55_1803:
	s_mov_b32 s15, -1
                                        ; implicit-def: $vgpr24
	s_branch .LBB55_1814
.LBB55_1804:
	s_and_not1_saveexec_b32 s16, s16
	s_cbranch_execz .LBB55_1790
.LBB55_1805:
	v_cmp_ne_u16_e32 vcc_lo, 0, v1
	s_and_not1_b32 s17, s17, exec_lo
	s_and_b32 s18, vcc_lo, exec_lo
	s_delay_alu instid0(SALU_CYCLE_1)
	s_or_b32 s17, s17, s18
	s_or_b32 exec_lo, exec_lo, s16
	v_mov_b32_e32 v24, 0
	s_and_saveexec_b32 s16, s17
	s_cbranch_execnz .LBB55_1791
	s_branch .LBB55_1792
.LBB55_1806:
	s_mov_b32 s15, -1
                                        ; implicit-def: $vgpr24
	s_branch .LBB55_1811
.LBB55_1807:
	s_mov_b32 s15, -1
                                        ; implicit-def: $vgpr24
.LBB55_1808:
	s_delay_alu instid0(SALU_CYCLE_1)
	s_and_b32 vcc_lo, exec_lo, s15
	s_cbranch_vccz .LBB55_1810
; %bb.1809:
	global_load_u8 v1, v[20:21], off
	s_wait_loadcnt 0x0
	v_lshlrev_b32_e32 v1, 24, v1
	s_delay_alu instid0(VALU_DEP_1) | instskip(NEXT) | instid1(VALU_DEP_1)
	v_and_b32_e32 v3, 0x7f000000, v1
	v_clz_i32_u32_e32 v5, v3
	v_add_nc_u32_e32 v9, 0x1000000, v3
	v_cmp_ne_u32_e32 vcc_lo, 0, v3
	s_delay_alu instid0(VALU_DEP_3) | instskip(NEXT) | instid1(VALU_DEP_1)
	v_min_u32_e32 v5, 32, v5
	v_sub_nc_u32_e64 v5, v5, 4 clamp
	s_delay_alu instid0(VALU_DEP_1) | instskip(NEXT) | instid1(VALU_DEP_1)
	v_dual_lshlrev_b32 v7, v5, v3 :: v_dual_lshlrev_b32 v5, 23, v5
	v_lshrrev_b32_e32 v7, 4, v7
	s_delay_alu instid0(VALU_DEP_1) | instskip(SKIP_1) | instid1(VALU_DEP_2)
	v_sub_nc_u32_e32 v5, v7, v5
	v_ashrrev_i32_e32 v7, 8, v9
	v_add_nc_u32_e32 v5, 0x3c000000, v5
	s_delay_alu instid0(VALU_DEP_1) | instskip(NEXT) | instid1(VALU_DEP_1)
	v_and_or_b32 v5, 0x7f800000, v7, v5
	v_cndmask_b32_e32 v3, 0, v5, vcc_lo
	s_delay_alu instid0(VALU_DEP_1) | instskip(NEXT) | instid1(VALU_DEP_1)
	v_and_or_b32 v1, 0x80000000, v1, v3
	v_cvt_i32_f32_e32 v24, v1
.LBB55_1810:
	s_mov_b32 s15, 0
.LBB55_1811:
	s_delay_alu instid0(SALU_CYCLE_1)
	s_and_not1_b32 vcc_lo, exec_lo, s15
	s_cbranch_vccnz .LBB55_1813
; %bb.1812:
	global_load_u8 v1, v[20:21], off
	s_wait_loadcnt 0x0
	v_lshlrev_b32_e32 v3, 25, v1
	v_lshlrev_b16 v1, 8, v1
	s_delay_alu instid0(VALU_DEP_1) | instskip(SKIP_1) | instid1(VALU_DEP_2)
	v_and_or_b32 v7, 0x7f00, v1, 0.5
	v_bfe_i32 v1, v1, 0, 16
	v_add_f32_e32 v7, -0.5, v7
	v_lshrrev_b32_e32 v5, 4, v3
	v_cmp_gt_u32_e32 vcc_lo, 0x8000000, v3
	s_delay_alu instid0(VALU_DEP_2) | instskip(NEXT) | instid1(VALU_DEP_1)
	v_or_b32_e32 v5, 0x70000000, v5
	v_mul_f32_e32 v5, 0x7800000, v5
	s_delay_alu instid0(VALU_DEP_1) | instskip(NEXT) | instid1(VALU_DEP_1)
	v_cndmask_b32_e32 v3, v5, v7, vcc_lo
	v_and_or_b32 v1, 0x80000000, v1, v3
	s_delay_alu instid0(VALU_DEP_1)
	v_cvt_i32_f32_e32 v24, v1
.LBB55_1813:
	s_mov_b32 s15, 0
	s_mov_b32 s16, -1
.LBB55_1814:
	s_and_not1_b32 vcc_lo, exec_lo, s15
	s_mov_b32 s15, 0
	s_cbranch_vccnz .LBB55_1825
; %bb.1815:
	s_cmp_gt_i32 s13, 14
	s_cbranch_scc0 .LBB55_1818
; %bb.1816:
	s_cmp_eq_u32 s13, 15
	s_cbranch_scc0 .LBB55_1821
; %bb.1817:
	global_load_u16 v1, v[20:21], off
	s_mov_b32 s14, 0
	s_mov_b32 s16, -1
	s_wait_loadcnt 0x0
	v_lshlrev_b32_e32 v1, 16, v1
	s_delay_alu instid0(VALU_DEP_1)
	v_cvt_i32_f32_e32 v24, v1
	s_branch .LBB55_1823
.LBB55_1818:
	s_mov_b32 s15, -1
	s_branch .LBB55_1822
.LBB55_1819:
	s_and_not1_saveexec_b32 s15, s15
	s_cbranch_execz .LBB55_1800
.LBB55_1820:
	v_cmp_ne_u16_e32 vcc_lo, 0, v1
	s_and_not1_b32 s16, s16, exec_lo
	s_and_b32 s17, vcc_lo, exec_lo
	s_delay_alu instid0(SALU_CYCLE_1)
	s_or_b32 s16, s16, s17
	s_or_b32 exec_lo, exec_lo, s15
	v_mov_b32_e32 v24, 0
	s_and_saveexec_b32 s15, s16
	s_cbranch_execnz .LBB55_1801
	s_branch .LBB55_1802
.LBB55_1821:
	s_mov_b32 s14, -1
.LBB55_1822:
                                        ; implicit-def: $vgpr24
.LBB55_1823:
	s_and_b32 vcc_lo, exec_lo, s15
	s_mov_b32 s15, 0
	s_cbranch_vccz .LBB55_1825
; %bb.1824:
	s_cmp_lg_u32 s13, 11
	s_mov_b32 s15, -1
	s_cselect_b32 s14, -1, 0
.LBB55_1825:
	s_delay_alu instid0(SALU_CYCLE_1)
	s_and_b32 vcc_lo, exec_lo, s14
	s_cbranch_vccnz .LBB55_1894
; %bb.1826:
	s_and_not1_b32 vcc_lo, exec_lo, s15
	s_cbranch_vccnz .LBB55_1828
.LBB55_1827:
	global_load_u8 v1, v[20:21], off
	s_mov_b32 s16, -1
	s_wait_loadcnt 0x0
	v_cmp_ne_u16_e32 vcc_lo, 0, v1
	v_cndmask_b32_e64 v24, 0, 1, vcc_lo
.LBB55_1828:
	s_branch .LBB55_1758
.LBB55_1829:
	s_and_b32 s13, 0xffff, s12
	s_delay_alu instid0(SALU_CYCLE_1)
	s_cmp_lt_i32 s13, 5
	s_cbranch_scc1 .LBB55_1834
; %bb.1830:
	s_cmp_lt_i32 s13, 8
	s_cbranch_scc1 .LBB55_1835
; %bb.1831:
	;; [unrolled: 3-line block ×3, first 2 shown]
	s_cmp_gt_i32 s13, 9
	s_cbranch_scc0 .LBB55_1837
; %bb.1833:
	s_wait_loadcnt 0x0
	global_load_b64 v[24:25], v[20:21], off
	s_mov_b32 s14, 0
	s_wait_loadcnt 0x0
	v_cvt_i32_f64_e32 v24, v[24:25]
	s_branch .LBB55_1838
.LBB55_1834:
                                        ; implicit-def: $vgpr24
	s_branch .LBB55_1856
.LBB55_1835:
	s_mov_b32 s14, -1
                                        ; implicit-def: $vgpr24
	s_branch .LBB55_1844
.LBB55_1836:
	s_mov_b32 s14, -1
                                        ; implicit-def: $vgpr24
	s_branch .LBB55_1841
.LBB55_1837:
	s_mov_b32 s14, -1
                                        ; implicit-def: $vgpr24
.LBB55_1838:
	s_delay_alu instid0(SALU_CYCLE_1)
	s_and_not1_b32 vcc_lo, exec_lo, s14
	s_cbranch_vccnz .LBB55_1840
; %bb.1839:
	global_load_b32 v1, v[20:21], off
	s_wait_loadcnt 0x0
	v_cvt_i32_f32_e32 v24, v1
.LBB55_1840:
	s_mov_b32 s14, 0
.LBB55_1841:
	s_delay_alu instid0(SALU_CYCLE_1)
	s_and_not1_b32 vcc_lo, exec_lo, s14
	s_cbranch_vccnz .LBB55_1843
; %bb.1842:
	global_load_b32 v1, v[20:21], off
	s_wait_loadcnt 0x0
	v_cvt_i16_f16_e32 v24, v1
.LBB55_1843:
	s_mov_b32 s14, 0
.LBB55_1844:
	s_delay_alu instid0(SALU_CYCLE_1)
	s_and_not1_b32 vcc_lo, exec_lo, s14
	s_cbranch_vccnz .LBB55_1855
; %bb.1845:
	s_cmp_lt_i32 s13, 6
	s_cbranch_scc1 .LBB55_1848
; %bb.1846:
	s_cmp_gt_i32 s13, 6
	s_cbranch_scc0 .LBB55_1849
; %bb.1847:
	s_wait_loadcnt 0x0
	global_load_b64 v[24:25], v[20:21], off
	s_mov_b32 s14, 0
	s_wait_loadcnt 0x0
	v_cvt_i32_f64_e32 v24, v[24:25]
	s_branch .LBB55_1850
.LBB55_1848:
	s_mov_b32 s14, -1
                                        ; implicit-def: $vgpr24
	s_branch .LBB55_1853
.LBB55_1849:
	s_mov_b32 s14, -1
                                        ; implicit-def: $vgpr24
.LBB55_1850:
	s_delay_alu instid0(SALU_CYCLE_1)
	s_and_not1_b32 vcc_lo, exec_lo, s14
	s_cbranch_vccnz .LBB55_1852
; %bb.1851:
	global_load_b32 v1, v[20:21], off
	s_wait_loadcnt 0x0
	v_cvt_i32_f32_e32 v24, v1
.LBB55_1852:
	s_mov_b32 s14, 0
.LBB55_1853:
	s_delay_alu instid0(SALU_CYCLE_1)
	s_and_not1_b32 vcc_lo, exec_lo, s14
	s_cbranch_vccnz .LBB55_1855
; %bb.1854:
	global_load_u16 v1, v[20:21], off
	s_wait_loadcnt 0x0
	v_cvt_i16_f16_e32 v24, v1
.LBB55_1855:
	s_cbranch_execnz .LBB55_1875
.LBB55_1856:
	s_cmp_lt_i32 s13, 2
	s_cbranch_scc1 .LBB55_1860
; %bb.1857:
	s_cmp_lt_i32 s13, 3
	s_cbranch_scc1 .LBB55_1861
; %bb.1858:
	s_cmp_gt_i32 s13, 3
	s_cbranch_scc0 .LBB55_1862
; %bb.1859:
	s_wait_loadcnt 0x0
	global_load_b64 v[24:25], v[20:21], off
	s_mov_b32 s14, 0
	s_branch .LBB55_1863
.LBB55_1860:
	s_mov_b32 s14, -1
                                        ; implicit-def: $vgpr24
	s_branch .LBB55_1869
.LBB55_1861:
	s_mov_b32 s14, -1
                                        ; implicit-def: $vgpr24
	s_branch .LBB55_1866
.LBB55_1862:
	s_mov_b32 s14, -1
                                        ; implicit-def: $vgpr24
.LBB55_1863:
	s_delay_alu instid0(SALU_CYCLE_1)
	s_and_not1_b32 vcc_lo, exec_lo, s14
	s_cbranch_vccnz .LBB55_1865
; %bb.1864:
	s_wait_loadcnt 0x0
	global_load_b32 v24, v[20:21], off
.LBB55_1865:
	s_mov_b32 s14, 0
.LBB55_1866:
	s_delay_alu instid0(SALU_CYCLE_1)
	s_and_not1_b32 vcc_lo, exec_lo, s14
	s_cbranch_vccnz .LBB55_1868
; %bb.1867:
	s_wait_loadcnt 0x0
	global_load_u16 v24, v[20:21], off
.LBB55_1868:
	s_mov_b32 s14, 0
.LBB55_1869:
	s_delay_alu instid0(SALU_CYCLE_1)
	s_and_not1_b32 vcc_lo, exec_lo, s14
	s_cbranch_vccnz .LBB55_1875
; %bb.1870:
	s_cmp_gt_i32 s13, 0
	s_mov_b32 s13, 0
	s_cbranch_scc0 .LBB55_1872
; %bb.1871:
	s_wait_loadcnt 0x0
	global_load_u8 v24, v[20:21], off
	s_branch .LBB55_1873
.LBB55_1872:
	s_mov_b32 s13, -1
                                        ; implicit-def: $vgpr24
.LBB55_1873:
	s_delay_alu instid0(SALU_CYCLE_1)
	s_and_not1_b32 vcc_lo, exec_lo, s13
	s_cbranch_vccnz .LBB55_1875
; %bb.1874:
	s_wait_loadcnt 0x0
	global_load_u8 v24, v[20:21], off
.LBB55_1875:
.LBB55_1876:
	s_wait_loadcnt 0x0
	s_delay_alu instid0(VALU_DEP_1) | instskip(SKIP_3) | instid1(VALU_DEP_2)
	v_bfe_i32 v3, v24, 0, 8
	v_and_b32_e32 v7, 0xff, v22
	s_mov_b32 s14, 0
	s_mov_b32 s13, exec_lo
	v_sub_nc_u16 v1, 0, v3
	s_delay_alu instid0(VALU_DEP_1)
	v_max_i16 v5, v3, v1
	s_wait_xcnt 0x0
	v_cmpx_ne_u16_e32 0, v7
	s_cbranch_execz .LBB55_1880
; %bb.1877:
	v_bfe_i32 v1, v22, 0, 8
	s_delay_alu instid0(VALU_DEP_1) | instskip(NEXT) | instid1(VALU_DEP_1)
	v_sub_nc_u16 v7, 0, v1
	v_max_i16 v7, v1, v7
	v_and_b32_e32 v1, 0xff, v5
	s_delay_alu instid0(VALU_DEP_2)
	v_and_b32_e32 v7, 0xffff, v7
.LBB55_1878:                            ; =>This Inner Loop Header: Depth=1
	s_delay_alu instid0(VALU_DEP_1) | instskip(NEXT) | instid1(VALU_DEP_3)
	v_mov_b32_e32 v5, v7
	v_bfe_i32 v11, v1, 0, 8
	s_delay_alu instid0(VALU_DEP_2) | instskip(NEXT) | instid1(VALU_DEP_2)
	v_bfe_i32 v7, v5, 0, 8
	v_cvt_f32_i32_e32 v15, v11
	s_delay_alu instid0(VALU_DEP_2) | instskip(SKIP_1) | instid1(VALU_DEP_2)
	v_cvt_f32_i32_e32 v9, v7
	v_xor_b32_e32 v7, v11, v7
	v_rcp_iflag_f32_e32 v13, v9
	v_nop
	s_delay_alu instid0(TRANS32_DEP_1) | instskip(NEXT) | instid1(VALU_DEP_1)
	v_mul_f32_e32 v11, v15, v13
	v_trunc_f32_e32 v11, v11
	s_delay_alu instid0(VALU_DEP_1) | instskip(SKIP_1) | instid1(VALU_DEP_2)
	v_dual_fma_f32 v13, -v11, v9, v15 :: v_dual_ashrrev_i32 v7, 30, v7
	v_cvt_i32_f32_e32 v11, v11
	v_cmp_ge_f32_e64 vcc_lo, |v13|, |v9|
	s_delay_alu instid0(VALU_DEP_3) | instskip(NEXT) | instid1(VALU_DEP_1)
	v_or_b32_e32 v7, 1, v7
	v_cndmask_b32_e32 v7, 0, v7, vcc_lo
	s_delay_alu instid0(VALU_DEP_1) | instskip(NEXT) | instid1(VALU_DEP_1)
	v_add_nc_u32_e32 v7, v11, v7
	v_mul_lo_u32 v7, v7, v5
	s_delay_alu instid0(VALU_DEP_1) | instskip(NEXT) | instid1(VALU_DEP_1)
	v_sub_nc_u32_e32 v1, v1, v7
	v_bfe_i32 v7, v1, 0, 8
	v_mov_b32_e32 v1, v5
	s_delay_alu instid0(VALU_DEP_2) | instskip(SKIP_2) | instid1(SALU_CYCLE_1)
	v_cmp_eq_u16_e32 vcc_lo, 0, v7
	v_and_b32_e32 v7, 0xffff, v7
	s_or_b32 s14, vcc_lo, s14
	s_and_not1_b32 exec_lo, exec_lo, s14
	s_cbranch_execnz .LBB55_1878
; %bb.1879:
	s_or_b32 exec_lo, exec_lo, s14
.LBB55_1880:
	s_delay_alu instid0(SALU_CYCLE_1) | instskip(SKIP_3) | instid1(VALU_DEP_2)
	s_or_b32 exec_lo, exec_lo, s13
	v_and_b32_e32 v7, 0xff, v5
	v_mov_b32_e32 v1, 0
	s_mov_b32 s13, exec_lo
	v_cmpx_ne_u16_e32 0, v7
	s_cbranch_execz .LBB55_1882
; %bb.1881:
	v_bfe_i32 v1, v5, 0, 8
	v_bfe_i32 v7, v22, 0, 8
	s_delay_alu instid0(VALU_DEP_2) | instskip(NEXT) | instid1(VALU_DEP_2)
	v_cvt_f32_i32_e32 v5, v1
	v_cvt_f32_i32_e32 v11, v7
	v_xor_b32_e32 v1, v7, v1
	s_delay_alu instid0(VALU_DEP_3) | instskip(NEXT) | instid1(VALU_DEP_1)
	v_rcp_iflag_f32_e32 v9, v5
	v_ashrrev_i32_e32 v1, 30, v1
	s_delay_alu instid0(VALU_DEP_1) | instskip(NEXT) | instid1(TRANS32_DEP_1)
	v_or_b32_e32 v1, 1, v1
	v_mul_f32_e32 v9, v11, v9
	s_delay_alu instid0(VALU_DEP_1) | instskip(NEXT) | instid1(VALU_DEP_1)
	v_trunc_f32_e32 v7, v9
	v_fma_f32 v9, -v7, v5, v11
	v_cvt_i32_f32_e32 v7, v7
	s_delay_alu instid0(VALU_DEP_2) | instskip(SKIP_1) | instid1(VALU_DEP_1)
	v_cmp_ge_f32_e64 vcc_lo, |v9|, |v5|
	v_cndmask_b32_e32 v1, 0, v1, vcc_lo
	v_add_nc_u32_e32 v1, v7, v1
	s_delay_alu instid0(VALU_DEP_1) | instskip(NEXT) | instid1(VALU_DEP_1)
	v_bfe_i32 v1, v1, 0, 8
	v_mul_i32_i24_e32 v1, v1, v3
	s_delay_alu instid0(VALU_DEP_1) | instskip(NEXT) | instid1(VALU_DEP_1)
	v_sub_nc_u32_e32 v3, 0, v1
	v_max_i32_e32 v1, v1, v3
.LBB55_1882:
	s_or_b32 exec_lo, exec_lo, s13
	v_mov_b32_e32 v19, 0
	s_and_b32 s11, 0xffff, s11
	s_delay_alu instid0(SALU_CYCLE_1) | instskip(NEXT) | instid1(VALU_DEP_1)
	s_cmp_lt_i32 s11, 11
	v_add_nc_u64_e32 v[20:21], s[6:7], v[18:19]
	s_cbranch_scc1 .LBB55_1889
; %bb.1883:
	s_cmp_gt_i32 s11, 25
	s_mov_b32 s14, 0
	s_cbranch_scc0 .LBB55_1891
; %bb.1884:
	s_cmp_gt_i32 s11, 28
	s_cbranch_scc0 .LBB55_1892
; %bb.1885:
	s_cmp_gt_i32 s11, 43
	s_cbranch_scc0 .LBB55_1893
; %bb.1886:
	s_cmp_gt_i32 s11, 45
	s_cbranch_scc0 .LBB55_1895
; %bb.1887:
	s_cmp_eq_u32 s11, 46
	s_mov_b32 s16, 0
	s_cbranch_scc0 .LBB55_1896
; %bb.1888:
	global_load_b32 v3, v[20:21], off
	s_mov_b32 s13, 0
	s_mov_b32 s15, -1
	s_wait_loadcnt 0x0
	v_lshlrev_b32_e32 v3, 16, v3
	s_delay_alu instid0(VALU_DEP_1)
	v_cvt_i32_f32_e32 v18, v3
	s_branch .LBB55_1898
.LBB55_1889:
	s_mov_b32 s15, 0
                                        ; implicit-def: $vgpr18
	s_cbranch_execnz .LBB55_1960
.LBB55_1890:
	s_and_not1_b32 vcc_lo, exec_lo, s15
	s_cbranch_vccnz .LBB55_2741
	s_branch .LBB55_2008
.LBB55_1891:
	s_mov_b32 s16, -1
	s_mov_b32 s15, 0
	s_mov_b32 s13, 0
                                        ; implicit-def: $vgpr18
	s_branch .LBB55_1925
.LBB55_1892:
	s_mov_b32 s16, -1
	s_mov_b32 s15, 0
	s_mov_b32 s13, 0
                                        ; implicit-def: $vgpr18
	s_branch .LBB55_1908
.LBB55_1893:
	s_mov_b32 s16, -1
	s_mov_b32 s15, 0
	s_mov_b32 s13, 0
                                        ; implicit-def: $vgpr18
	s_branch .LBB55_1903
.LBB55_1894:
	s_or_b32 s10, s10, exec_lo
	s_trap 2
	s_cbranch_execz .LBB55_1827
	s_branch .LBB55_1828
.LBB55_1895:
	s_mov_b32 s16, -1
	s_mov_b32 s15, 0
	s_mov_b32 s13, 0
	s_branch .LBB55_1897
.LBB55_1896:
	s_mov_b32 s13, -1
	s_mov_b32 s15, 0
.LBB55_1897:
                                        ; implicit-def: $vgpr18
.LBB55_1898:
	s_and_b32 vcc_lo, exec_lo, s16
	s_cbranch_vccz .LBB55_1902
; %bb.1899:
	s_cmp_eq_u32 s11, 44
	s_cbranch_scc0 .LBB55_1901
; %bb.1900:
	global_load_u8 v3, v[20:21], off
	s_mov_b32 s13, 0
	s_mov_b32 s15, -1
	s_wait_loadcnt 0x0
	v_lshlrev_b32_e32 v5, 23, v3
	v_cmp_ne_u32_e32 vcc_lo, 0, v3
	s_delay_alu instid0(VALU_DEP_2) | instskip(NEXT) | instid1(VALU_DEP_1)
	v_cvt_i32_f32_e32 v5, v5
	v_cndmask_b32_e32 v18, 0, v5, vcc_lo
	s_branch .LBB55_1902
.LBB55_1901:
	s_mov_b32 s13, -1
                                        ; implicit-def: $vgpr18
.LBB55_1902:
	s_mov_b32 s16, 0
.LBB55_1903:
	s_delay_alu instid0(SALU_CYCLE_1)
	s_and_b32 vcc_lo, exec_lo, s16
	s_cbranch_vccz .LBB55_1907
; %bb.1904:
	s_cmp_eq_u32 s11, 29
	s_cbranch_scc0 .LBB55_1906
; %bb.1905:
	global_load_b64 v[18:19], v[20:21], off
	s_mov_b32 s13, 0
	s_mov_b32 s15, -1
	s_branch .LBB55_1907
.LBB55_1906:
	s_mov_b32 s13, -1
                                        ; implicit-def: $vgpr18
.LBB55_1907:
	s_mov_b32 s16, 0
.LBB55_1908:
	s_delay_alu instid0(SALU_CYCLE_1)
	s_and_b32 vcc_lo, exec_lo, s16
	s_cbranch_vccz .LBB55_1924
; %bb.1909:
	s_cmp_lt_i32 s11, 27
	s_cbranch_scc1 .LBB55_1912
; %bb.1910:
	s_cmp_gt_i32 s11, 27
	s_cbranch_scc0 .LBB55_1913
; %bb.1911:
	s_wait_loadcnt 0x0
	global_load_b32 v18, v[20:21], off
	s_mov_b32 s15, 0
	s_branch .LBB55_1914
.LBB55_1912:
	s_mov_b32 s15, -1
                                        ; implicit-def: $vgpr18
	s_branch .LBB55_1917
.LBB55_1913:
	s_mov_b32 s15, -1
                                        ; implicit-def: $vgpr18
.LBB55_1914:
	s_delay_alu instid0(SALU_CYCLE_1)
	s_and_not1_b32 vcc_lo, exec_lo, s15
	s_cbranch_vccnz .LBB55_1916
; %bb.1915:
	s_wait_loadcnt 0x0
	global_load_u16 v18, v[20:21], off
.LBB55_1916:
	s_mov_b32 s15, 0
.LBB55_1917:
	s_delay_alu instid0(SALU_CYCLE_1)
	s_and_not1_b32 vcc_lo, exec_lo, s15
	s_cbranch_vccnz .LBB55_1923
; %bb.1918:
	global_load_u8 v3, v[20:21], off
	s_mov_b32 s16, 0
	s_mov_b32 s15, exec_lo
	s_wait_loadcnt 0x0
	v_cmpx_lt_i16_e32 0x7f, v3
	s_xor_b32 s15, exec_lo, s15
	s_cbranch_execz .LBB55_1935
; %bb.1919:
	v_cmp_ne_u16_e32 vcc_lo, 0x80, v3
	s_and_b32 s16, vcc_lo, exec_lo
	s_and_not1_saveexec_b32 s15, s15
	s_cbranch_execnz .LBB55_1936
.LBB55_1920:
	s_or_b32 exec_lo, exec_lo, s15
	v_mov_b32_e32 v18, 0
	s_and_saveexec_b32 s15, s16
	s_cbranch_execz .LBB55_1922
.LBB55_1921:
	v_and_b32_e32 v5, 0xffff, v3
	s_delay_alu instid0(VALU_DEP_1) | instskip(SKIP_1) | instid1(VALU_DEP_2)
	v_dual_lshlrev_b32 v3, 24, v3 :: v_dual_bitop2_b32 v7, 7, v5 bitop3:0x40
	v_bfe_u32 v13, v5, 3, 4
	v_and_b32_e32 v3, 0x80000000, v3
	s_delay_alu instid0(VALU_DEP_3) | instskip(NEXT) | instid1(VALU_DEP_3)
	v_clz_i32_u32_e32 v9, v7
	v_cmp_eq_u32_e32 vcc_lo, 0, v13
	s_delay_alu instid0(VALU_DEP_2) | instskip(NEXT) | instid1(VALU_DEP_1)
	v_min_u32_e32 v9, 32, v9
	v_subrev_nc_u32_e32 v11, 28, v9
	v_sub_nc_u32_e32 v9, 29, v9
	s_delay_alu instid0(VALU_DEP_2) | instskip(NEXT) | instid1(VALU_DEP_2)
	v_lshlrev_b32_e32 v5, v11, v5
	v_cndmask_b32_e32 v9, v13, v9, vcc_lo
	s_delay_alu instid0(VALU_DEP_2) | instskip(NEXT) | instid1(VALU_DEP_1)
	v_and_b32_e32 v5, 7, v5
	v_cndmask_b32_e32 v5, v7, v5, vcc_lo
	s_delay_alu instid0(VALU_DEP_3) | instskip(NEXT) | instid1(VALU_DEP_2)
	v_lshl_add_u32 v7, v9, 23, 0x3b800000
	v_lshlrev_b32_e32 v5, 20, v5
	s_delay_alu instid0(VALU_DEP_1) | instskip(NEXT) | instid1(VALU_DEP_1)
	v_or3_b32 v3, v3, v7, v5
	v_cvt_i32_f32_e32 v18, v3
.LBB55_1922:
	s_or_b32 exec_lo, exec_lo, s15
.LBB55_1923:
	s_mov_b32 s15, -1
.LBB55_1924:
	s_mov_b32 s16, 0
.LBB55_1925:
	s_delay_alu instid0(SALU_CYCLE_1)
	s_and_b32 vcc_lo, exec_lo, s16
	s_cbranch_vccz .LBB55_1956
; %bb.1926:
	s_cmp_gt_i32 s11, 22
	s_cbranch_scc0 .LBB55_1934
; %bb.1927:
	s_cmp_lt_i32 s11, 24
	s_cbranch_scc1 .LBB55_1937
; %bb.1928:
	s_cmp_gt_i32 s11, 24
	s_cbranch_scc0 .LBB55_1938
; %bb.1929:
	global_load_u8 v3, v[20:21], off
	s_mov_b32 s15, 0
	s_mov_b32 s14, exec_lo
	s_wait_loadcnt 0x0
	v_cmpx_lt_i16_e32 0x7f, v3
	s_xor_b32 s14, exec_lo, s14
	s_cbranch_execz .LBB55_1950
; %bb.1930:
	v_cmp_ne_u16_e32 vcc_lo, 0x80, v3
	s_and_b32 s15, vcc_lo, exec_lo
	s_and_not1_saveexec_b32 s14, s14
	s_cbranch_execnz .LBB55_1951
.LBB55_1931:
	s_or_b32 exec_lo, exec_lo, s14
	v_mov_b32_e32 v18, 0
	s_and_saveexec_b32 s14, s15
	s_cbranch_execz .LBB55_1933
.LBB55_1932:
	v_and_b32_e32 v5, 0xffff, v3
	s_delay_alu instid0(VALU_DEP_1) | instskip(SKIP_1) | instid1(VALU_DEP_2)
	v_dual_lshlrev_b32 v3, 24, v3 :: v_dual_bitop2_b32 v7, 3, v5 bitop3:0x40
	v_bfe_u32 v13, v5, 2, 5
	v_and_b32_e32 v3, 0x80000000, v3
	s_delay_alu instid0(VALU_DEP_3) | instskip(NEXT) | instid1(VALU_DEP_3)
	v_clz_i32_u32_e32 v9, v7
	v_cmp_eq_u32_e32 vcc_lo, 0, v13
	s_delay_alu instid0(VALU_DEP_2) | instskip(NEXT) | instid1(VALU_DEP_1)
	v_min_u32_e32 v9, 32, v9
	v_subrev_nc_u32_e32 v11, 29, v9
	v_sub_nc_u32_e32 v9, 30, v9
	s_delay_alu instid0(VALU_DEP_2) | instskip(NEXT) | instid1(VALU_DEP_2)
	v_lshlrev_b32_e32 v5, v11, v5
	v_cndmask_b32_e32 v9, v13, v9, vcc_lo
	s_delay_alu instid0(VALU_DEP_2) | instskip(NEXT) | instid1(VALU_DEP_1)
	v_and_b32_e32 v5, 3, v5
	v_cndmask_b32_e32 v5, v7, v5, vcc_lo
	s_delay_alu instid0(VALU_DEP_3) | instskip(NEXT) | instid1(VALU_DEP_2)
	v_lshl_add_u32 v7, v9, 23, 0x37800000
	v_lshlrev_b32_e32 v5, 21, v5
	s_delay_alu instid0(VALU_DEP_1) | instskip(NEXT) | instid1(VALU_DEP_1)
	v_or3_b32 v3, v3, v7, v5
	v_cvt_i32_f32_e32 v18, v3
.LBB55_1933:
	s_or_b32 exec_lo, exec_lo, s14
	s_mov_b32 s14, 0
	s_branch .LBB55_1939
.LBB55_1934:
	s_mov_b32 s14, -1
                                        ; implicit-def: $vgpr18
	s_branch .LBB55_1945
.LBB55_1935:
	s_and_not1_saveexec_b32 s15, s15
	s_cbranch_execz .LBB55_1920
.LBB55_1936:
	v_cmp_ne_u16_e32 vcc_lo, 0, v3
	s_and_not1_b32 s16, s16, exec_lo
	s_and_b32 s17, vcc_lo, exec_lo
	s_delay_alu instid0(SALU_CYCLE_1)
	s_or_b32 s16, s16, s17
	s_or_b32 exec_lo, exec_lo, s15
	v_mov_b32_e32 v18, 0
	s_and_saveexec_b32 s15, s16
	s_cbranch_execnz .LBB55_1921
	s_branch .LBB55_1922
.LBB55_1937:
	s_mov_b32 s14, -1
                                        ; implicit-def: $vgpr18
	s_branch .LBB55_1942
.LBB55_1938:
	s_mov_b32 s14, -1
                                        ; implicit-def: $vgpr18
.LBB55_1939:
	s_delay_alu instid0(SALU_CYCLE_1)
	s_and_b32 vcc_lo, exec_lo, s14
	s_cbranch_vccz .LBB55_1941
; %bb.1940:
	global_load_u8 v3, v[20:21], off
	s_wait_loadcnt 0x0
	v_lshlrev_b32_e32 v3, 24, v3
	s_delay_alu instid0(VALU_DEP_1) | instskip(NEXT) | instid1(VALU_DEP_1)
	v_and_b32_e32 v5, 0x7f000000, v3
	v_clz_i32_u32_e32 v7, v5
	v_add_nc_u32_e32 v11, 0x1000000, v5
	v_cmp_ne_u32_e32 vcc_lo, 0, v5
	s_delay_alu instid0(VALU_DEP_3) | instskip(NEXT) | instid1(VALU_DEP_1)
	v_min_u32_e32 v7, 32, v7
	v_sub_nc_u32_e64 v7, v7, 4 clamp
	s_delay_alu instid0(VALU_DEP_1) | instskip(NEXT) | instid1(VALU_DEP_1)
	v_dual_lshlrev_b32 v9, v7, v5 :: v_dual_lshlrev_b32 v7, 23, v7
	v_lshrrev_b32_e32 v9, 4, v9
	s_delay_alu instid0(VALU_DEP_1) | instskip(SKIP_1) | instid1(VALU_DEP_2)
	v_sub_nc_u32_e32 v7, v9, v7
	v_ashrrev_i32_e32 v9, 8, v11
	v_add_nc_u32_e32 v7, 0x3c000000, v7
	s_delay_alu instid0(VALU_DEP_1) | instskip(NEXT) | instid1(VALU_DEP_1)
	v_and_or_b32 v7, 0x7f800000, v9, v7
	v_cndmask_b32_e32 v5, 0, v7, vcc_lo
	s_delay_alu instid0(VALU_DEP_1) | instskip(NEXT) | instid1(VALU_DEP_1)
	v_and_or_b32 v3, 0x80000000, v3, v5
	v_cvt_i32_f32_e32 v18, v3
.LBB55_1941:
	s_mov_b32 s14, 0
.LBB55_1942:
	s_delay_alu instid0(SALU_CYCLE_1)
	s_and_not1_b32 vcc_lo, exec_lo, s14
	s_cbranch_vccnz .LBB55_1944
; %bb.1943:
	global_load_u8 v3, v[20:21], off
	s_wait_loadcnt 0x0
	v_lshlrev_b32_e32 v5, 25, v3
	v_lshlrev_b16 v3, 8, v3
	s_delay_alu instid0(VALU_DEP_1) | instskip(SKIP_1) | instid1(VALU_DEP_2)
	v_and_or_b32 v9, 0x7f00, v3, 0.5
	v_bfe_i32 v3, v3, 0, 16
	v_add_f32_e32 v9, -0.5, v9
	v_lshrrev_b32_e32 v7, 4, v5
	v_cmp_gt_u32_e32 vcc_lo, 0x8000000, v5
	s_delay_alu instid0(VALU_DEP_2) | instskip(NEXT) | instid1(VALU_DEP_1)
	v_or_b32_e32 v7, 0x70000000, v7
	v_mul_f32_e32 v7, 0x7800000, v7
	s_delay_alu instid0(VALU_DEP_1) | instskip(NEXT) | instid1(VALU_DEP_1)
	v_cndmask_b32_e32 v5, v7, v9, vcc_lo
	v_and_or_b32 v3, 0x80000000, v3, v5
	s_delay_alu instid0(VALU_DEP_1)
	v_cvt_i32_f32_e32 v18, v3
.LBB55_1944:
	s_mov_b32 s14, 0
	s_mov_b32 s15, -1
.LBB55_1945:
	s_and_not1_b32 vcc_lo, exec_lo, s14
	s_mov_b32 s14, 0
	s_cbranch_vccnz .LBB55_1956
; %bb.1946:
	s_cmp_gt_i32 s11, 14
	s_cbranch_scc0 .LBB55_1949
; %bb.1947:
	s_cmp_eq_u32 s11, 15
	s_cbranch_scc0 .LBB55_1952
; %bb.1948:
	global_load_u16 v3, v[20:21], off
	s_mov_b32 s13, 0
	s_mov_b32 s15, -1
	s_wait_loadcnt 0x0
	v_lshlrev_b32_e32 v3, 16, v3
	s_delay_alu instid0(VALU_DEP_1)
	v_cvt_i32_f32_e32 v18, v3
	s_branch .LBB55_1954
.LBB55_1949:
	s_mov_b32 s14, -1
	s_branch .LBB55_1953
.LBB55_1950:
	s_and_not1_saveexec_b32 s14, s14
	s_cbranch_execz .LBB55_1931
.LBB55_1951:
	v_cmp_ne_u16_e32 vcc_lo, 0, v3
	s_and_not1_b32 s15, s15, exec_lo
	s_and_b32 s16, vcc_lo, exec_lo
	s_delay_alu instid0(SALU_CYCLE_1)
	s_or_b32 s15, s15, s16
	s_or_b32 exec_lo, exec_lo, s14
	v_mov_b32_e32 v18, 0
	s_and_saveexec_b32 s14, s15
	s_cbranch_execnz .LBB55_1932
	s_branch .LBB55_1933
.LBB55_1952:
	s_mov_b32 s13, -1
.LBB55_1953:
                                        ; implicit-def: $vgpr18
.LBB55_1954:
	s_and_b32 vcc_lo, exec_lo, s14
	s_mov_b32 s14, 0
	s_cbranch_vccz .LBB55_1956
; %bb.1955:
	s_cmp_lg_u32 s11, 11
	s_mov_b32 s14, -1
	s_cselect_b32 s13, -1, 0
.LBB55_1956:
	s_delay_alu instid0(SALU_CYCLE_1)
	s_and_b32 vcc_lo, exec_lo, s13
	s_cbranch_vccnz .LBB55_2019
; %bb.1957:
	s_and_not1_b32 vcc_lo, exec_lo, s14
	s_cbranch_vccnz .LBB55_1959
.LBB55_1958:
	global_load_u8 v3, v[20:21], off
	s_mov_b32 s15, -1
	s_wait_loadcnt 0x0
	v_cmp_ne_u16_e32 vcc_lo, 0, v3
	v_cndmask_b32_e64 v18, 0, 1, vcc_lo
.LBB55_1959:
	s_branch .LBB55_1890
.LBB55_1960:
	s_cmp_lt_i32 s11, 5
	s_cbranch_scc1 .LBB55_1965
; %bb.1961:
	s_cmp_lt_i32 s11, 8
	s_cbranch_scc1 .LBB55_1966
; %bb.1962:
	;; [unrolled: 3-line block ×3, first 2 shown]
	s_cmp_gt_i32 s11, 9
	s_cbranch_scc0 .LBB55_1968
; %bb.1964:
	s_wait_loadcnt 0x0
	global_load_b64 v[18:19], v[20:21], off
	s_mov_b32 s13, 0
	s_wait_loadcnt 0x0
	v_cvt_i32_f64_e32 v18, v[18:19]
	s_branch .LBB55_1969
.LBB55_1965:
	s_mov_b32 s13, -1
                                        ; implicit-def: $vgpr18
	s_branch .LBB55_1987
.LBB55_1966:
	s_mov_b32 s13, -1
                                        ; implicit-def: $vgpr18
	s_branch .LBB55_1975
.LBB55_1967:
	s_mov_b32 s13, -1
                                        ; implicit-def: $vgpr18
	s_branch .LBB55_1972
.LBB55_1968:
	s_mov_b32 s13, -1
                                        ; implicit-def: $vgpr18
.LBB55_1969:
	s_delay_alu instid0(SALU_CYCLE_1)
	s_and_not1_b32 vcc_lo, exec_lo, s13
	s_cbranch_vccnz .LBB55_1971
; %bb.1970:
	global_load_b32 v3, v[20:21], off
	s_wait_loadcnt 0x0
	v_cvt_i32_f32_e32 v18, v3
.LBB55_1971:
	s_mov_b32 s13, 0
.LBB55_1972:
	s_delay_alu instid0(SALU_CYCLE_1)
	s_and_not1_b32 vcc_lo, exec_lo, s13
	s_cbranch_vccnz .LBB55_1974
; %bb.1973:
	global_load_b32 v3, v[20:21], off
	s_wait_loadcnt 0x0
	v_cvt_i16_f16_e32 v18, v3
.LBB55_1974:
	s_mov_b32 s13, 0
.LBB55_1975:
	s_delay_alu instid0(SALU_CYCLE_1)
	s_and_not1_b32 vcc_lo, exec_lo, s13
	s_cbranch_vccnz .LBB55_1986
; %bb.1976:
	s_cmp_lt_i32 s11, 6
	s_cbranch_scc1 .LBB55_1979
; %bb.1977:
	s_cmp_gt_i32 s11, 6
	s_cbranch_scc0 .LBB55_1980
; %bb.1978:
	s_wait_loadcnt 0x0
	global_load_b64 v[18:19], v[20:21], off
	s_mov_b32 s13, 0
	s_wait_loadcnt 0x0
	v_cvt_i32_f64_e32 v18, v[18:19]
	s_branch .LBB55_1981
.LBB55_1979:
	s_mov_b32 s13, -1
                                        ; implicit-def: $vgpr18
	s_branch .LBB55_1984
.LBB55_1980:
	s_mov_b32 s13, -1
                                        ; implicit-def: $vgpr18
.LBB55_1981:
	s_delay_alu instid0(SALU_CYCLE_1)
	s_and_not1_b32 vcc_lo, exec_lo, s13
	s_cbranch_vccnz .LBB55_1983
; %bb.1982:
	global_load_b32 v3, v[20:21], off
	s_wait_loadcnt 0x0
	v_cvt_i32_f32_e32 v18, v3
.LBB55_1983:
	s_mov_b32 s13, 0
.LBB55_1984:
	s_delay_alu instid0(SALU_CYCLE_1)
	s_and_not1_b32 vcc_lo, exec_lo, s13
	s_cbranch_vccnz .LBB55_1986
; %bb.1985:
	global_load_u16 v3, v[20:21], off
	s_wait_loadcnt 0x0
	v_cvt_i16_f16_e32 v18, v3
.LBB55_1986:
	s_mov_b32 s13, 0
.LBB55_1987:
	s_delay_alu instid0(SALU_CYCLE_1)
	s_and_not1_b32 vcc_lo, exec_lo, s13
	s_cbranch_vccnz .LBB55_2007
; %bb.1988:
	s_cmp_lt_i32 s11, 2
	s_cbranch_scc1 .LBB55_1992
; %bb.1989:
	s_cmp_lt_i32 s11, 3
	s_cbranch_scc1 .LBB55_1993
; %bb.1990:
	s_cmp_gt_i32 s11, 3
	s_cbranch_scc0 .LBB55_1994
; %bb.1991:
	s_wait_loadcnt 0x0
	global_load_b64 v[18:19], v[20:21], off
	s_mov_b32 s13, 0
	s_branch .LBB55_1995
.LBB55_1992:
	s_mov_b32 s13, -1
                                        ; implicit-def: $vgpr18
	s_branch .LBB55_2001
.LBB55_1993:
	s_mov_b32 s13, -1
                                        ; implicit-def: $vgpr18
	s_branch .LBB55_1998
.LBB55_1994:
	s_mov_b32 s13, -1
                                        ; implicit-def: $vgpr18
.LBB55_1995:
	s_delay_alu instid0(SALU_CYCLE_1)
	s_and_not1_b32 vcc_lo, exec_lo, s13
	s_cbranch_vccnz .LBB55_1997
; %bb.1996:
	s_wait_loadcnt 0x0
	global_load_b32 v18, v[20:21], off
.LBB55_1997:
	s_mov_b32 s13, 0
.LBB55_1998:
	s_delay_alu instid0(SALU_CYCLE_1)
	s_and_not1_b32 vcc_lo, exec_lo, s13
	s_cbranch_vccnz .LBB55_2000
; %bb.1999:
	s_wait_loadcnt 0x0
	global_load_u16 v18, v[20:21], off
.LBB55_2000:
	s_mov_b32 s13, 0
.LBB55_2001:
	s_delay_alu instid0(SALU_CYCLE_1)
	s_and_not1_b32 vcc_lo, exec_lo, s13
	s_cbranch_vccnz .LBB55_2007
; %bb.2002:
	s_cmp_gt_i32 s11, 0
	s_mov_b32 s13, 0
	s_cbranch_scc0 .LBB55_2004
; %bb.2003:
	s_wait_loadcnt 0x0
	global_load_u8 v18, v[20:21], off
	s_branch .LBB55_2005
.LBB55_2004:
	s_mov_b32 s13, -1
                                        ; implicit-def: $vgpr18
.LBB55_2005:
	s_delay_alu instid0(SALU_CYCLE_1)
	s_and_not1_b32 vcc_lo, exec_lo, s13
	s_cbranch_vccnz .LBB55_2007
; %bb.2006:
	s_wait_loadcnt 0x0
	global_load_u8 v18, v[20:21], off
.LBB55_2007:
.LBB55_2008:
	v_mov_b32_e32 v17, 0
	s_and_b32 s12, 0xffff, s12
	s_delay_alu instid0(SALU_CYCLE_1) | instskip(NEXT) | instid1(VALU_DEP_1)
	s_cmp_lt_i32 s12, 11
	v_add_nc_u64_e32 v[16:17], s[0:1], v[16:17]
	s_cbranch_scc1 .LBB55_2015
; %bb.2009:
	s_cmp_gt_i32 s12, 25
	s_mov_b32 s14, 0
	s_cbranch_scc0 .LBB55_2016
; %bb.2010:
	s_cmp_gt_i32 s12, 28
	s_cbranch_scc0 .LBB55_2017
; %bb.2011:
	s_cmp_gt_i32 s12, 43
	;; [unrolled: 3-line block ×3, first 2 shown]
	s_cbranch_scc0 .LBB55_2020
; %bb.2013:
	s_cmp_eq_u32 s12, 46
	s_mov_b32 s16, 0
	s_cbranch_scc0 .LBB55_2021
; %bb.2014:
	global_load_b32 v3, v[16:17], off
	s_mov_b32 s13, 0
	s_mov_b32 s15, -1
	s_wait_loadcnt 0x0
	v_lshlrev_b32_e32 v3, 16, v3
	s_wait_xcnt 0x1
	s_delay_alu instid0(VALU_DEP_1)
	v_cvt_i32_f32_e32 v20, v3
	s_branch .LBB55_2023
.LBB55_2015:
	s_mov_b32 s13, -1
	s_mov_b32 s15, 0
                                        ; implicit-def: $vgpr20
	s_branch .LBB55_2085
.LBB55_2016:
	s_mov_b32 s16, -1
	s_mov_b32 s15, 0
	s_mov_b32 s13, 0
                                        ; implicit-def: $vgpr20
	s_branch .LBB55_2050
.LBB55_2017:
	s_mov_b32 s16, -1
	s_mov_b32 s15, 0
	s_mov_b32 s13, 0
                                        ; implicit-def: $vgpr20
	s_branch .LBB55_2033
.LBB55_2018:
	s_mov_b32 s16, -1
	s_mov_b32 s15, 0
	s_mov_b32 s13, 0
                                        ; implicit-def: $vgpr20
	s_branch .LBB55_2028
.LBB55_2019:
	s_or_b32 s10, s10, exec_lo
	s_trap 2
	s_cbranch_execz .LBB55_1958
	s_branch .LBB55_1959
.LBB55_2020:
	s_mov_b32 s16, -1
	s_mov_b32 s15, 0
	s_mov_b32 s13, 0
	s_branch .LBB55_2022
.LBB55_2021:
	s_mov_b32 s13, -1
	s_mov_b32 s15, 0
.LBB55_2022:
                                        ; implicit-def: $vgpr20
.LBB55_2023:
	s_and_b32 vcc_lo, exec_lo, s16
	s_cbranch_vccz .LBB55_2027
; %bb.2024:
	s_cmp_eq_u32 s12, 44
	s_cbranch_scc0 .LBB55_2026
; %bb.2025:
	global_load_u8 v3, v[16:17], off
	s_mov_b32 s13, 0
	s_mov_b32 s15, -1
	s_wait_loadcnt 0x0
	v_lshlrev_b32_e32 v5, 23, v3
	v_cmp_ne_u32_e32 vcc_lo, 0, v3
	s_delay_alu instid0(VALU_DEP_2) | instskip(SKIP_1) | instid1(VALU_DEP_1)
	v_cvt_i32_f32_e32 v5, v5
	s_wait_xcnt 0x1
	v_cndmask_b32_e32 v20, 0, v5, vcc_lo
	s_branch .LBB55_2027
.LBB55_2026:
	s_mov_b32 s13, -1
                                        ; implicit-def: $vgpr20
.LBB55_2027:
	s_mov_b32 s16, 0
.LBB55_2028:
	s_delay_alu instid0(SALU_CYCLE_1)
	s_and_b32 vcc_lo, exec_lo, s16
	s_cbranch_vccz .LBB55_2032
; %bb.2029:
	s_cmp_eq_u32 s12, 29
	s_cbranch_scc0 .LBB55_2031
; %bb.2030:
	global_load_b64 v[20:21], v[16:17], off
	s_mov_b32 s13, 0
	s_mov_b32 s15, -1
	s_branch .LBB55_2032
.LBB55_2031:
	s_mov_b32 s13, -1
                                        ; implicit-def: $vgpr20
.LBB55_2032:
	s_mov_b32 s16, 0
.LBB55_2033:
	s_delay_alu instid0(SALU_CYCLE_1)
	s_and_b32 vcc_lo, exec_lo, s16
	s_cbranch_vccz .LBB55_2049
; %bb.2034:
	s_cmp_lt_i32 s12, 27
	s_cbranch_scc1 .LBB55_2037
; %bb.2035:
	s_cmp_gt_i32 s12, 27
	s_cbranch_scc0 .LBB55_2038
; %bb.2036:
	s_wait_loadcnt 0x0
	global_load_b32 v20, v[16:17], off
	s_mov_b32 s15, 0
	s_branch .LBB55_2039
.LBB55_2037:
	s_mov_b32 s15, -1
                                        ; implicit-def: $vgpr20
	s_branch .LBB55_2042
.LBB55_2038:
	s_mov_b32 s15, -1
                                        ; implicit-def: $vgpr20
.LBB55_2039:
	s_delay_alu instid0(SALU_CYCLE_1)
	s_and_not1_b32 vcc_lo, exec_lo, s15
	s_cbranch_vccnz .LBB55_2041
; %bb.2040:
	s_wait_loadcnt 0x0
	global_load_u16 v20, v[16:17], off
.LBB55_2041:
	s_mov_b32 s15, 0
.LBB55_2042:
	s_delay_alu instid0(SALU_CYCLE_1)
	s_and_not1_b32 vcc_lo, exec_lo, s15
	s_cbranch_vccnz .LBB55_2048
; %bb.2043:
	global_load_u8 v3, v[16:17], off
	s_mov_b32 s16, 0
	s_mov_b32 s15, exec_lo
	s_wait_loadcnt 0x0
	v_cmpx_lt_i16_e32 0x7f, v3
	s_xor_b32 s15, exec_lo, s15
	s_cbranch_execz .LBB55_2060
; %bb.2044:
	v_cmp_ne_u16_e32 vcc_lo, 0x80, v3
	s_and_b32 s16, vcc_lo, exec_lo
	s_and_not1_saveexec_b32 s15, s15
	s_cbranch_execnz .LBB55_2061
.LBB55_2045:
	s_or_b32 exec_lo, exec_lo, s15
	v_mov_b32_e32 v20, 0
	s_and_saveexec_b32 s15, s16
	s_cbranch_execz .LBB55_2047
.LBB55_2046:
	v_and_b32_e32 v5, 0xffff, v3
	s_delay_alu instid0(VALU_DEP_1) | instskip(SKIP_1) | instid1(VALU_DEP_2)
	v_dual_lshlrev_b32 v3, 24, v3 :: v_dual_bitop2_b32 v7, 7, v5 bitop3:0x40
	v_bfe_u32 v13, v5, 3, 4
	v_and_b32_e32 v3, 0x80000000, v3
	s_delay_alu instid0(VALU_DEP_3) | instskip(NEXT) | instid1(VALU_DEP_3)
	v_clz_i32_u32_e32 v9, v7
	v_cmp_eq_u32_e32 vcc_lo, 0, v13
	s_delay_alu instid0(VALU_DEP_2) | instskip(NEXT) | instid1(VALU_DEP_1)
	v_min_u32_e32 v9, 32, v9
	v_subrev_nc_u32_e32 v11, 28, v9
	v_sub_nc_u32_e32 v9, 29, v9
	s_delay_alu instid0(VALU_DEP_2) | instskip(NEXT) | instid1(VALU_DEP_2)
	v_lshlrev_b32_e32 v5, v11, v5
	v_cndmask_b32_e32 v9, v13, v9, vcc_lo
	s_delay_alu instid0(VALU_DEP_2) | instskip(NEXT) | instid1(VALU_DEP_1)
	v_and_b32_e32 v5, 7, v5
	v_cndmask_b32_e32 v5, v7, v5, vcc_lo
	s_delay_alu instid0(VALU_DEP_3) | instskip(NEXT) | instid1(VALU_DEP_2)
	v_lshl_add_u32 v7, v9, 23, 0x3b800000
	v_lshlrev_b32_e32 v5, 20, v5
	s_delay_alu instid0(VALU_DEP_1) | instskip(NEXT) | instid1(VALU_DEP_1)
	v_or3_b32 v3, v3, v7, v5
	v_cvt_i32_f32_e32 v20, v3
.LBB55_2047:
	s_or_b32 exec_lo, exec_lo, s15
.LBB55_2048:
	s_mov_b32 s15, -1
.LBB55_2049:
	s_mov_b32 s16, 0
.LBB55_2050:
	s_delay_alu instid0(SALU_CYCLE_1)
	s_and_b32 vcc_lo, exec_lo, s16
	s_cbranch_vccz .LBB55_2081
; %bb.2051:
	s_cmp_gt_i32 s12, 22
	s_cbranch_scc0 .LBB55_2059
; %bb.2052:
	s_cmp_lt_i32 s12, 24
	s_cbranch_scc1 .LBB55_2062
; %bb.2053:
	s_cmp_gt_i32 s12, 24
	s_cbranch_scc0 .LBB55_2063
; %bb.2054:
	global_load_u8 v3, v[16:17], off
	s_mov_b32 s15, 0
	s_mov_b32 s14, exec_lo
	s_wait_loadcnt 0x0
	v_cmpx_lt_i16_e32 0x7f, v3
	s_xor_b32 s14, exec_lo, s14
	s_cbranch_execz .LBB55_2075
; %bb.2055:
	v_cmp_ne_u16_e32 vcc_lo, 0x80, v3
	s_and_b32 s15, vcc_lo, exec_lo
	s_and_not1_saveexec_b32 s14, s14
	s_cbranch_execnz .LBB55_2076
.LBB55_2056:
	s_or_b32 exec_lo, exec_lo, s14
	v_mov_b32_e32 v20, 0
	s_and_saveexec_b32 s14, s15
	s_cbranch_execz .LBB55_2058
.LBB55_2057:
	v_and_b32_e32 v5, 0xffff, v3
	s_delay_alu instid0(VALU_DEP_1) | instskip(SKIP_1) | instid1(VALU_DEP_2)
	v_dual_lshlrev_b32 v3, 24, v3 :: v_dual_bitop2_b32 v7, 3, v5 bitop3:0x40
	v_bfe_u32 v13, v5, 2, 5
	v_and_b32_e32 v3, 0x80000000, v3
	s_delay_alu instid0(VALU_DEP_3) | instskip(NEXT) | instid1(VALU_DEP_3)
	v_clz_i32_u32_e32 v9, v7
	v_cmp_eq_u32_e32 vcc_lo, 0, v13
	s_delay_alu instid0(VALU_DEP_2) | instskip(NEXT) | instid1(VALU_DEP_1)
	v_min_u32_e32 v9, 32, v9
	v_subrev_nc_u32_e32 v11, 29, v9
	v_sub_nc_u32_e32 v9, 30, v9
	s_delay_alu instid0(VALU_DEP_2) | instskip(NEXT) | instid1(VALU_DEP_2)
	v_lshlrev_b32_e32 v5, v11, v5
	v_cndmask_b32_e32 v9, v13, v9, vcc_lo
	s_delay_alu instid0(VALU_DEP_2) | instskip(NEXT) | instid1(VALU_DEP_1)
	v_and_b32_e32 v5, 3, v5
	v_cndmask_b32_e32 v5, v7, v5, vcc_lo
	s_delay_alu instid0(VALU_DEP_3) | instskip(NEXT) | instid1(VALU_DEP_2)
	v_lshl_add_u32 v7, v9, 23, 0x37800000
	v_lshlrev_b32_e32 v5, 21, v5
	s_delay_alu instid0(VALU_DEP_1) | instskip(NEXT) | instid1(VALU_DEP_1)
	v_or3_b32 v3, v3, v7, v5
	v_cvt_i32_f32_e32 v20, v3
.LBB55_2058:
	s_or_b32 exec_lo, exec_lo, s14
	s_mov_b32 s14, 0
	s_branch .LBB55_2064
.LBB55_2059:
	s_mov_b32 s14, -1
                                        ; implicit-def: $vgpr20
	s_branch .LBB55_2070
.LBB55_2060:
	s_and_not1_saveexec_b32 s15, s15
	s_cbranch_execz .LBB55_2045
.LBB55_2061:
	v_cmp_ne_u16_e32 vcc_lo, 0, v3
	s_and_not1_b32 s16, s16, exec_lo
	s_and_b32 s17, vcc_lo, exec_lo
	s_delay_alu instid0(SALU_CYCLE_1)
	s_or_b32 s16, s16, s17
	s_or_b32 exec_lo, exec_lo, s15
	v_mov_b32_e32 v20, 0
	s_and_saveexec_b32 s15, s16
	s_cbranch_execnz .LBB55_2046
	s_branch .LBB55_2047
.LBB55_2062:
	s_mov_b32 s14, -1
                                        ; implicit-def: $vgpr20
	s_branch .LBB55_2067
.LBB55_2063:
	s_mov_b32 s14, -1
                                        ; implicit-def: $vgpr20
.LBB55_2064:
	s_delay_alu instid0(SALU_CYCLE_1)
	s_and_b32 vcc_lo, exec_lo, s14
	s_cbranch_vccz .LBB55_2066
; %bb.2065:
	global_load_u8 v3, v[16:17], off
	s_wait_loadcnt 0x0
	v_lshlrev_b32_e32 v3, 24, v3
	s_delay_alu instid0(VALU_DEP_1) | instskip(NEXT) | instid1(VALU_DEP_1)
	v_and_b32_e32 v5, 0x7f000000, v3
	v_clz_i32_u32_e32 v7, v5
	v_add_nc_u32_e32 v11, 0x1000000, v5
	v_cmp_ne_u32_e32 vcc_lo, 0, v5
	s_delay_alu instid0(VALU_DEP_3) | instskip(NEXT) | instid1(VALU_DEP_1)
	v_min_u32_e32 v7, 32, v7
	v_sub_nc_u32_e64 v7, v7, 4 clamp
	s_delay_alu instid0(VALU_DEP_1) | instskip(NEXT) | instid1(VALU_DEP_1)
	v_dual_lshlrev_b32 v9, v7, v5 :: v_dual_lshlrev_b32 v7, 23, v7
	v_lshrrev_b32_e32 v9, 4, v9
	s_delay_alu instid0(VALU_DEP_1) | instskip(SKIP_1) | instid1(VALU_DEP_2)
	v_sub_nc_u32_e32 v7, v9, v7
	v_ashrrev_i32_e32 v9, 8, v11
	v_add_nc_u32_e32 v7, 0x3c000000, v7
	s_delay_alu instid0(VALU_DEP_1) | instskip(NEXT) | instid1(VALU_DEP_1)
	v_and_or_b32 v7, 0x7f800000, v9, v7
	v_cndmask_b32_e32 v5, 0, v7, vcc_lo
	s_delay_alu instid0(VALU_DEP_1) | instskip(SKIP_1) | instid1(VALU_DEP_1)
	v_and_or_b32 v3, 0x80000000, v3, v5
	s_wait_xcnt 0x1
	v_cvt_i32_f32_e32 v20, v3
.LBB55_2066:
	s_mov_b32 s14, 0
.LBB55_2067:
	s_delay_alu instid0(SALU_CYCLE_1)
	s_and_not1_b32 vcc_lo, exec_lo, s14
	s_cbranch_vccnz .LBB55_2069
; %bb.2068:
	global_load_u8 v3, v[16:17], off
	s_wait_loadcnt 0x0
	v_lshlrev_b32_e32 v5, 25, v3
	v_lshlrev_b16 v3, 8, v3
	s_delay_alu instid0(VALU_DEP_1) | instskip(SKIP_1) | instid1(VALU_DEP_2)
	v_and_or_b32 v9, 0x7f00, v3, 0.5
	v_bfe_i32 v3, v3, 0, 16
	v_add_f32_e32 v9, -0.5, v9
	v_lshrrev_b32_e32 v7, 4, v5
	v_cmp_gt_u32_e32 vcc_lo, 0x8000000, v5
	s_delay_alu instid0(VALU_DEP_2) | instskip(NEXT) | instid1(VALU_DEP_1)
	v_or_b32_e32 v7, 0x70000000, v7
	v_mul_f32_e32 v7, 0x7800000, v7
	s_delay_alu instid0(VALU_DEP_1) | instskip(NEXT) | instid1(VALU_DEP_1)
	v_cndmask_b32_e32 v5, v7, v9, vcc_lo
	v_and_or_b32 v3, 0x80000000, v3, v5
	s_wait_xcnt 0x1
	s_delay_alu instid0(VALU_DEP_1)
	v_cvt_i32_f32_e32 v20, v3
.LBB55_2069:
	s_mov_b32 s14, 0
	s_mov_b32 s15, -1
.LBB55_2070:
	s_and_not1_b32 vcc_lo, exec_lo, s14
	s_mov_b32 s14, 0
	s_cbranch_vccnz .LBB55_2081
; %bb.2071:
	s_cmp_gt_i32 s12, 14
	s_cbranch_scc0 .LBB55_2074
; %bb.2072:
	s_cmp_eq_u32 s12, 15
	s_cbranch_scc0 .LBB55_2077
; %bb.2073:
	global_load_u16 v3, v[16:17], off
	s_mov_b32 s13, 0
	s_mov_b32 s15, -1
	s_wait_loadcnt 0x0
	v_lshlrev_b32_e32 v3, 16, v3
	s_wait_xcnt 0x1
	s_delay_alu instid0(VALU_DEP_1)
	v_cvt_i32_f32_e32 v20, v3
	s_branch .LBB55_2079
.LBB55_2074:
	s_mov_b32 s14, -1
	s_branch .LBB55_2078
.LBB55_2075:
	s_and_not1_saveexec_b32 s14, s14
	s_cbranch_execz .LBB55_2056
.LBB55_2076:
	v_cmp_ne_u16_e32 vcc_lo, 0, v3
	s_and_not1_b32 s15, s15, exec_lo
	s_and_b32 s16, vcc_lo, exec_lo
	s_delay_alu instid0(SALU_CYCLE_1)
	s_or_b32 s15, s15, s16
	s_or_b32 exec_lo, exec_lo, s14
	v_mov_b32_e32 v20, 0
	s_and_saveexec_b32 s14, s15
	s_cbranch_execnz .LBB55_2057
	s_branch .LBB55_2058
.LBB55_2077:
	s_mov_b32 s13, -1
.LBB55_2078:
                                        ; implicit-def: $vgpr20
.LBB55_2079:
	s_and_b32 vcc_lo, exec_lo, s14
	s_mov_b32 s14, 0
	s_cbranch_vccz .LBB55_2081
; %bb.2080:
	s_cmp_lg_u32 s12, 11
	s_mov_b32 s14, -1
	s_cselect_b32 s13, -1, 0
.LBB55_2081:
	s_delay_alu instid0(SALU_CYCLE_1)
	s_and_b32 vcc_lo, exec_lo, s13
	s_cbranch_vccnz .LBB55_2152
; %bb.2082:
	s_and_not1_b32 vcc_lo, exec_lo, s14
	s_cbranch_vccnz .LBB55_2084
.LBB55_2083:
	global_load_u8 v3, v[16:17], off
	s_mov_b32 s15, -1
	s_wait_loadcnt 0x0
	v_cmp_ne_u16_e32 vcc_lo, 0, v3
	s_wait_xcnt 0x1
	v_cndmask_b32_e64 v20, 0, 1, vcc_lo
.LBB55_2084:
	s_mov_b32 s13, 0
.LBB55_2085:
	s_delay_alu instid0(SALU_CYCLE_1)
	s_and_b32 vcc_lo, exec_lo, s13
	s_cbranch_vccz .LBB55_2134
; %bb.2086:
	s_cmp_lt_i32 s12, 5
	s_cbranch_scc1 .LBB55_2091
; %bb.2087:
	s_cmp_lt_i32 s12, 8
	s_cbranch_scc1 .LBB55_2092
	;; [unrolled: 3-line block ×3, first 2 shown]
; %bb.2089:
	s_cmp_gt_i32 s12, 9
	s_cbranch_scc0 .LBB55_2094
; %bb.2090:
	s_wait_loadcnt 0x0
	global_load_b64 v[20:21], v[16:17], off
	s_mov_b32 s13, 0
	s_wait_loadcnt 0x0
	v_cvt_i32_f64_e32 v20, v[20:21]
	s_branch .LBB55_2095
.LBB55_2091:
	s_mov_b32 s13, -1
                                        ; implicit-def: $vgpr20
	s_branch .LBB55_2113
.LBB55_2092:
	s_mov_b32 s13, -1
                                        ; implicit-def: $vgpr20
	s_branch .LBB55_2101
.LBB55_2093:
	s_mov_b32 s13, -1
                                        ; implicit-def: $vgpr20
	s_branch .LBB55_2098
.LBB55_2094:
	s_mov_b32 s13, -1
                                        ; implicit-def: $vgpr20
.LBB55_2095:
	s_delay_alu instid0(SALU_CYCLE_1)
	s_and_not1_b32 vcc_lo, exec_lo, s13
	s_cbranch_vccnz .LBB55_2097
; %bb.2096:
	global_load_b32 v3, v[16:17], off
	s_wait_loadcnt 0x0
	s_wait_xcnt 0x1
	v_cvt_i32_f32_e32 v20, v3
.LBB55_2097:
	s_mov_b32 s13, 0
.LBB55_2098:
	s_delay_alu instid0(SALU_CYCLE_1)
	s_and_not1_b32 vcc_lo, exec_lo, s13
	s_cbranch_vccnz .LBB55_2100
; %bb.2099:
	global_load_b32 v3, v[16:17], off
	s_wait_loadcnt 0x0
	s_wait_xcnt 0x1
	v_cvt_i16_f16_e32 v20, v3
.LBB55_2100:
	s_mov_b32 s13, 0
.LBB55_2101:
	s_delay_alu instid0(SALU_CYCLE_1)
	s_and_not1_b32 vcc_lo, exec_lo, s13
	s_cbranch_vccnz .LBB55_2112
; %bb.2102:
	s_cmp_lt_i32 s12, 6
	s_cbranch_scc1 .LBB55_2105
; %bb.2103:
	s_cmp_gt_i32 s12, 6
	s_cbranch_scc0 .LBB55_2106
; %bb.2104:
	s_wait_loadcnt 0x0
	global_load_b64 v[20:21], v[16:17], off
	s_mov_b32 s13, 0
	s_wait_loadcnt 0x0
	v_cvt_i32_f64_e32 v20, v[20:21]
	s_branch .LBB55_2107
.LBB55_2105:
	s_mov_b32 s13, -1
                                        ; implicit-def: $vgpr20
	s_branch .LBB55_2110
.LBB55_2106:
	s_mov_b32 s13, -1
                                        ; implicit-def: $vgpr20
.LBB55_2107:
	s_delay_alu instid0(SALU_CYCLE_1)
	s_and_not1_b32 vcc_lo, exec_lo, s13
	s_cbranch_vccnz .LBB55_2109
; %bb.2108:
	global_load_b32 v3, v[16:17], off
	s_wait_loadcnt 0x0
	s_wait_xcnt 0x1
	v_cvt_i32_f32_e32 v20, v3
.LBB55_2109:
	s_mov_b32 s13, 0
.LBB55_2110:
	s_delay_alu instid0(SALU_CYCLE_1)
	s_and_not1_b32 vcc_lo, exec_lo, s13
	s_cbranch_vccnz .LBB55_2112
; %bb.2111:
	global_load_u16 v3, v[16:17], off
	s_wait_loadcnt 0x0
	s_wait_xcnt 0x1
	v_cvt_i16_f16_e32 v20, v3
.LBB55_2112:
	s_mov_b32 s13, 0
.LBB55_2113:
	s_delay_alu instid0(SALU_CYCLE_1)
	s_and_not1_b32 vcc_lo, exec_lo, s13
	s_cbranch_vccnz .LBB55_2133
; %bb.2114:
	s_cmp_lt_i32 s12, 2
	s_cbranch_scc1 .LBB55_2118
; %bb.2115:
	s_cmp_lt_i32 s12, 3
	s_cbranch_scc1 .LBB55_2119
; %bb.2116:
	s_cmp_gt_i32 s12, 3
	s_cbranch_scc0 .LBB55_2120
; %bb.2117:
	s_wait_loadcnt 0x0
	global_load_b64 v[20:21], v[16:17], off
	s_mov_b32 s13, 0
	s_branch .LBB55_2121
.LBB55_2118:
	s_mov_b32 s13, -1
                                        ; implicit-def: $vgpr20
	s_branch .LBB55_2127
.LBB55_2119:
	s_mov_b32 s13, -1
                                        ; implicit-def: $vgpr20
	s_branch .LBB55_2124
.LBB55_2120:
	s_mov_b32 s13, -1
                                        ; implicit-def: $vgpr20
.LBB55_2121:
	s_delay_alu instid0(SALU_CYCLE_1)
	s_and_not1_b32 vcc_lo, exec_lo, s13
	s_cbranch_vccnz .LBB55_2123
; %bb.2122:
	s_wait_loadcnt 0x0
	global_load_b32 v20, v[16:17], off
.LBB55_2123:
	s_mov_b32 s13, 0
.LBB55_2124:
	s_delay_alu instid0(SALU_CYCLE_1)
	s_and_not1_b32 vcc_lo, exec_lo, s13
	s_cbranch_vccnz .LBB55_2126
; %bb.2125:
	s_wait_loadcnt 0x0
	global_load_u16 v20, v[16:17], off
.LBB55_2126:
	s_mov_b32 s13, 0
.LBB55_2127:
	s_delay_alu instid0(SALU_CYCLE_1)
	s_and_not1_b32 vcc_lo, exec_lo, s13
	s_cbranch_vccnz .LBB55_2133
; %bb.2128:
	s_cmp_gt_i32 s12, 0
	s_mov_b32 s13, 0
	s_cbranch_scc0 .LBB55_2130
; %bb.2129:
	s_wait_loadcnt 0x0
	global_load_u8 v20, v[16:17], off
	s_branch .LBB55_2131
.LBB55_2130:
	s_mov_b32 s13, -1
                                        ; implicit-def: $vgpr20
.LBB55_2131:
	s_delay_alu instid0(SALU_CYCLE_1)
	s_and_not1_b32 vcc_lo, exec_lo, s13
	s_cbranch_vccnz .LBB55_2133
; %bb.2132:
	s_wait_loadcnt 0x0
	global_load_u8 v20, v[16:17], off
.LBB55_2133:
	s_mov_b32 s15, -1
.LBB55_2134:
	s_delay_alu instid0(SALU_CYCLE_1)
	s_and_not1_b32 vcc_lo, exec_lo, s15
	s_cbranch_vccnz .LBB55_2741
; %bb.2135:
	s_wait_loadcnt 0x0
	s_delay_alu instid0(VALU_DEP_1) | instskip(NEXT) | instid1(VALU_DEP_4)
	v_bfe_i32 v5, v20, 0, 8
	v_and_b32_e32 v3, 0xff, v18
	s_mov_b32 s14, 0
	s_mov_b32 s13, exec_lo
	s_delay_alu instid0(VALU_DEP_2) | instskip(NEXT) | instid1(VALU_DEP_1)
	v_sub_nc_u16 v7, 0, v5
	v_max_i16 v9, v5, v7
	v_bfe_i32 v7, v18, 0, 8
	s_wait_xcnt 0x0
	v_cmpx_ne_u16_e32 0, v3
	s_cbranch_execz .LBB55_2139
; %bb.2136:
	s_delay_alu instid0(VALU_DEP_2) | instskip(NEXT) | instid1(VALU_DEP_1)
	v_sub_nc_u16 v3, 0, v7
	v_max_i16 v11, v7, v3
	v_and_b32_e32 v3, 0xff, v9
	s_delay_alu instid0(VALU_DEP_2)
	v_and_b32_e32 v11, 0xffff, v11
.LBB55_2137:                            ; =>This Inner Loop Header: Depth=1
	s_delay_alu instid0(VALU_DEP_2) | instskip(NEXT) | instid1(VALU_DEP_1)
	v_bfe_i32 v15, v3, 0, 8
	v_cvt_f32_i32_e32 v17, v15
	s_delay_alu instid0(VALU_DEP_3) | instskip(NEXT) | instid1(VALU_DEP_1)
	v_mov_b32_e32 v9, v11
	v_bfe_i32 v11, v9, 0, 8
	s_delay_alu instid0(VALU_DEP_1) | instskip(SKIP_1) | instid1(VALU_DEP_2)
	v_cvt_f32_i32_e32 v13, v11
	v_xor_b32_e32 v11, v15, v11
	v_rcp_iflag_f32_e32 v16, v13
	v_nop
	s_delay_alu instid0(TRANS32_DEP_1) | instskip(NEXT) | instid1(VALU_DEP_1)
	v_mul_f32_e32 v15, v17, v16
	v_trunc_f32_e32 v15, v15
	s_delay_alu instid0(VALU_DEP_1) | instskip(SKIP_1) | instid1(VALU_DEP_2)
	v_dual_fma_f32 v16, -v15, v13, v17 :: v_dual_ashrrev_i32 v11, 30, v11
	v_cvt_i32_f32_e32 v15, v15
	v_cmp_ge_f32_e64 vcc_lo, |v16|, |v13|
	s_delay_alu instid0(VALU_DEP_3) | instskip(NEXT) | instid1(VALU_DEP_1)
	v_or_b32_e32 v11, 1, v11
	v_cndmask_b32_e32 v11, 0, v11, vcc_lo
	s_delay_alu instid0(VALU_DEP_1) | instskip(NEXT) | instid1(VALU_DEP_1)
	v_add_nc_u32_e32 v11, v15, v11
	v_mul_lo_u32 v11, v11, v9
	s_delay_alu instid0(VALU_DEP_1) | instskip(NEXT) | instid1(VALU_DEP_1)
	v_sub_nc_u32_e32 v3, v3, v11
	v_bfe_i32 v11, v3, 0, 8
	v_mov_b32_e32 v3, v9
	s_delay_alu instid0(VALU_DEP_2) | instskip(SKIP_2) | instid1(SALU_CYCLE_1)
	v_cmp_eq_u16_e32 vcc_lo, 0, v11
	v_and_b32_e32 v11, 0xffff, v11
	s_or_b32 s14, vcc_lo, s14
	s_and_not1_b32 exec_lo, exec_lo, s14
	s_cbranch_execnz .LBB55_2137
; %bb.2138:
	s_or_b32 exec_lo, exec_lo, s14
.LBB55_2139:
	s_delay_alu instid0(SALU_CYCLE_1) | instskip(SKIP_3) | instid1(VALU_DEP_2)
	s_or_b32 exec_lo, exec_lo, s13
	v_and_b32_e32 v11, 0xff, v9
	v_mov_b32_e32 v3, 0
	s_mov_b32 s13, exec_lo
	v_cmpx_ne_u16_e32 0, v11
	s_cbranch_execz .LBB55_2141
; %bb.2140:
	v_bfe_i32 v3, v9, 0, 8
	v_cvt_f32_i32_e32 v13, v7
	s_delay_alu instid0(VALU_DEP_2) | instskip(SKIP_1) | instid1(VALU_DEP_2)
	v_cvt_f32_i32_e32 v9, v3
	v_xor_b32_e32 v3, v7, v3
	v_rcp_iflag_f32_e32 v11, v9
	v_nop
	s_delay_alu instid0(TRANS32_DEP_1) | instskip(NEXT) | instid1(VALU_DEP_1)
	v_mul_f32_e32 v11, v13, v11
	v_trunc_f32_e32 v7, v11
	s_delay_alu instid0(VALU_DEP_1) | instskip(SKIP_1) | instid1(VALU_DEP_2)
	v_dual_fma_f32 v11, -v7, v9, v13 :: v_dual_ashrrev_i32 v3, 30, v3
	v_cvt_i32_f32_e32 v7, v7
	v_cmp_ge_f32_e64 vcc_lo, |v11|, |v9|
	s_delay_alu instid0(VALU_DEP_3) | instskip(NEXT) | instid1(VALU_DEP_1)
	v_or_b32_e32 v3, 1, v3
	v_cndmask_b32_e32 v3, 0, v3, vcc_lo
	s_delay_alu instid0(VALU_DEP_1) | instskip(NEXT) | instid1(VALU_DEP_1)
	v_add_nc_u32_e32 v3, v7, v3
	v_bfe_i32 v3, v3, 0, 8
	s_delay_alu instid0(VALU_DEP_1) | instskip(NEXT) | instid1(VALU_DEP_1)
	v_mul_i32_i24_e32 v3, v3, v5
	v_sub_nc_u32_e32 v5, 0, v3
	s_delay_alu instid0(VALU_DEP_1)
	v_max_i32_e32 v3, v3, v5
.LBB55_2141:
	s_or_b32 exec_lo, exec_lo, s13
	v_mov_b32_e32 v15, 0
	s_cmp_lt_i32 s11, 11
	s_delay_alu instid0(VALU_DEP_1)
	v_add_nc_u64_e32 v[16:17], s[6:7], v[14:15]
	s_cbranch_scc1 .LBB55_2148
; %bb.2142:
	s_cmp_gt_i32 s11, 25
	s_mov_b32 s14, 0
	s_cbranch_scc0 .LBB55_2149
; %bb.2143:
	s_cmp_gt_i32 s11, 28
	s_cbranch_scc0 .LBB55_2150
; %bb.2144:
	s_cmp_gt_i32 s11, 43
	;; [unrolled: 3-line block ×3, first 2 shown]
	s_cbranch_scc0 .LBB55_2153
; %bb.2146:
	s_cmp_eq_u32 s11, 46
	s_mov_b32 s16, 0
	s_cbranch_scc0 .LBB55_2154
; %bb.2147:
	global_load_b32 v5, v[16:17], off
	s_mov_b32 s13, 0
	s_mov_b32 s15, -1
	s_wait_loadcnt 0x0
	v_lshlrev_b32_e32 v5, 16, v5
	s_delay_alu instid0(VALU_DEP_1)
	v_cvt_i32_f32_e32 v14, v5
	s_branch .LBB55_2156
.LBB55_2148:
	s_mov_b32 s13, -1
	s_mov_b32 s15, 0
                                        ; implicit-def: $vgpr14
	s_branch .LBB55_2218
.LBB55_2149:
	s_mov_b32 s16, -1
	s_mov_b32 s15, 0
	s_mov_b32 s13, 0
                                        ; implicit-def: $vgpr14
	s_branch .LBB55_2183
.LBB55_2150:
	s_mov_b32 s16, -1
	s_mov_b32 s15, 0
	s_mov_b32 s13, 0
                                        ; implicit-def: $vgpr14
	s_branch .LBB55_2166
.LBB55_2151:
	s_mov_b32 s16, -1
	s_mov_b32 s15, 0
	s_mov_b32 s13, 0
                                        ; implicit-def: $vgpr14
	s_branch .LBB55_2161
.LBB55_2152:
	s_or_b32 s10, s10, exec_lo
	s_trap 2
	s_cbranch_execz .LBB55_2083
	s_branch .LBB55_2084
.LBB55_2153:
	s_mov_b32 s16, -1
	s_mov_b32 s15, 0
	s_mov_b32 s13, 0
	s_branch .LBB55_2155
.LBB55_2154:
	s_mov_b32 s13, -1
	s_mov_b32 s15, 0
.LBB55_2155:
                                        ; implicit-def: $vgpr14
.LBB55_2156:
	s_and_b32 vcc_lo, exec_lo, s16
	s_cbranch_vccz .LBB55_2160
; %bb.2157:
	s_cmp_eq_u32 s11, 44
	s_cbranch_scc0 .LBB55_2159
; %bb.2158:
	global_load_u8 v5, v[16:17], off
	s_mov_b32 s13, 0
	s_mov_b32 s15, -1
	s_wait_loadcnt 0x0
	v_lshlrev_b32_e32 v7, 23, v5
	v_cmp_ne_u32_e32 vcc_lo, 0, v5
	s_delay_alu instid0(VALU_DEP_2) | instskip(NEXT) | instid1(VALU_DEP_1)
	v_cvt_i32_f32_e32 v7, v7
	v_cndmask_b32_e32 v14, 0, v7, vcc_lo
	s_branch .LBB55_2160
.LBB55_2159:
	s_mov_b32 s13, -1
                                        ; implicit-def: $vgpr14
.LBB55_2160:
	s_mov_b32 s16, 0
.LBB55_2161:
	s_delay_alu instid0(SALU_CYCLE_1)
	s_and_b32 vcc_lo, exec_lo, s16
	s_cbranch_vccz .LBB55_2165
; %bb.2162:
	s_cmp_eq_u32 s11, 29
	s_cbranch_scc0 .LBB55_2164
; %bb.2163:
	global_load_b64 v[14:15], v[16:17], off
	s_mov_b32 s13, 0
	s_mov_b32 s15, -1
	s_branch .LBB55_2165
.LBB55_2164:
	s_mov_b32 s13, -1
                                        ; implicit-def: $vgpr14
.LBB55_2165:
	s_mov_b32 s16, 0
.LBB55_2166:
	s_delay_alu instid0(SALU_CYCLE_1)
	s_and_b32 vcc_lo, exec_lo, s16
	s_cbranch_vccz .LBB55_2182
; %bb.2167:
	s_cmp_lt_i32 s11, 27
	s_cbranch_scc1 .LBB55_2170
; %bb.2168:
	s_cmp_gt_i32 s11, 27
	s_cbranch_scc0 .LBB55_2171
; %bb.2169:
	s_wait_loadcnt 0x0
	global_load_b32 v14, v[16:17], off
	s_mov_b32 s15, 0
	s_branch .LBB55_2172
.LBB55_2170:
	s_mov_b32 s15, -1
                                        ; implicit-def: $vgpr14
	s_branch .LBB55_2175
.LBB55_2171:
	s_mov_b32 s15, -1
                                        ; implicit-def: $vgpr14
.LBB55_2172:
	s_delay_alu instid0(SALU_CYCLE_1)
	s_and_not1_b32 vcc_lo, exec_lo, s15
	s_cbranch_vccnz .LBB55_2174
; %bb.2173:
	s_wait_loadcnt 0x0
	global_load_u16 v14, v[16:17], off
.LBB55_2174:
	s_mov_b32 s15, 0
.LBB55_2175:
	s_delay_alu instid0(SALU_CYCLE_1)
	s_and_not1_b32 vcc_lo, exec_lo, s15
	s_cbranch_vccnz .LBB55_2181
; %bb.2176:
	global_load_u8 v5, v[16:17], off
	s_mov_b32 s16, 0
	s_mov_b32 s15, exec_lo
	s_wait_loadcnt 0x0
	v_cmpx_lt_i16_e32 0x7f, v5
	s_xor_b32 s15, exec_lo, s15
	s_cbranch_execz .LBB55_2193
; %bb.2177:
	v_cmp_ne_u16_e32 vcc_lo, 0x80, v5
	s_and_b32 s16, vcc_lo, exec_lo
	s_and_not1_saveexec_b32 s15, s15
	s_cbranch_execnz .LBB55_2194
.LBB55_2178:
	s_or_b32 exec_lo, exec_lo, s15
	v_mov_b32_e32 v14, 0
	s_and_saveexec_b32 s15, s16
	s_cbranch_execz .LBB55_2180
.LBB55_2179:
	v_and_b32_e32 v7, 0xffff, v5
	s_delay_alu instid0(VALU_DEP_1) | instskip(SKIP_1) | instid1(VALU_DEP_2)
	v_dual_lshlrev_b32 v5, 24, v5 :: v_dual_bitop2_b32 v9, 7, v7 bitop3:0x40
	v_bfe_u32 v14, v7, 3, 4
	v_and_b32_e32 v5, 0x80000000, v5
	s_delay_alu instid0(VALU_DEP_3) | instskip(NEXT) | instid1(VALU_DEP_3)
	v_clz_i32_u32_e32 v11, v9
	v_cmp_eq_u32_e32 vcc_lo, 0, v14
	s_delay_alu instid0(VALU_DEP_2) | instskip(NEXT) | instid1(VALU_DEP_1)
	v_min_u32_e32 v11, 32, v11
	v_subrev_nc_u32_e32 v13, 28, v11
	v_sub_nc_u32_e32 v11, 29, v11
	s_delay_alu instid0(VALU_DEP_2) | instskip(NEXT) | instid1(VALU_DEP_2)
	v_lshlrev_b32_e32 v7, v13, v7
	v_cndmask_b32_e32 v11, v14, v11, vcc_lo
	s_delay_alu instid0(VALU_DEP_2) | instskip(NEXT) | instid1(VALU_DEP_1)
	v_and_b32_e32 v7, 7, v7
	v_cndmask_b32_e32 v7, v9, v7, vcc_lo
	s_delay_alu instid0(VALU_DEP_3) | instskip(NEXT) | instid1(VALU_DEP_2)
	v_lshl_add_u32 v9, v11, 23, 0x3b800000
	v_lshlrev_b32_e32 v7, 20, v7
	s_delay_alu instid0(VALU_DEP_1) | instskip(NEXT) | instid1(VALU_DEP_1)
	v_or3_b32 v5, v5, v9, v7
	v_cvt_i32_f32_e32 v14, v5
.LBB55_2180:
	s_or_b32 exec_lo, exec_lo, s15
.LBB55_2181:
	s_mov_b32 s15, -1
.LBB55_2182:
	s_mov_b32 s16, 0
.LBB55_2183:
	s_delay_alu instid0(SALU_CYCLE_1)
	s_and_b32 vcc_lo, exec_lo, s16
	s_cbranch_vccz .LBB55_2214
; %bb.2184:
	s_cmp_gt_i32 s11, 22
	s_cbranch_scc0 .LBB55_2192
; %bb.2185:
	s_cmp_lt_i32 s11, 24
	s_cbranch_scc1 .LBB55_2195
; %bb.2186:
	s_cmp_gt_i32 s11, 24
	s_cbranch_scc0 .LBB55_2196
; %bb.2187:
	global_load_u8 v5, v[16:17], off
	s_mov_b32 s15, 0
	s_mov_b32 s14, exec_lo
	s_wait_loadcnt 0x0
	v_cmpx_lt_i16_e32 0x7f, v5
	s_xor_b32 s14, exec_lo, s14
	s_cbranch_execz .LBB55_2208
; %bb.2188:
	v_cmp_ne_u16_e32 vcc_lo, 0x80, v5
	s_and_b32 s15, vcc_lo, exec_lo
	s_and_not1_saveexec_b32 s14, s14
	s_cbranch_execnz .LBB55_2209
.LBB55_2189:
	s_or_b32 exec_lo, exec_lo, s14
	v_mov_b32_e32 v14, 0
	s_and_saveexec_b32 s14, s15
	s_cbranch_execz .LBB55_2191
.LBB55_2190:
	v_and_b32_e32 v7, 0xffff, v5
	s_delay_alu instid0(VALU_DEP_1) | instskip(SKIP_1) | instid1(VALU_DEP_2)
	v_dual_lshlrev_b32 v5, 24, v5 :: v_dual_bitop2_b32 v9, 3, v7 bitop3:0x40
	v_bfe_u32 v14, v7, 2, 5
	v_and_b32_e32 v5, 0x80000000, v5
	s_delay_alu instid0(VALU_DEP_3) | instskip(NEXT) | instid1(VALU_DEP_3)
	v_clz_i32_u32_e32 v11, v9
	v_cmp_eq_u32_e32 vcc_lo, 0, v14
	s_delay_alu instid0(VALU_DEP_2) | instskip(NEXT) | instid1(VALU_DEP_1)
	v_min_u32_e32 v11, 32, v11
	v_subrev_nc_u32_e32 v13, 29, v11
	v_sub_nc_u32_e32 v11, 30, v11
	s_delay_alu instid0(VALU_DEP_2) | instskip(NEXT) | instid1(VALU_DEP_2)
	v_lshlrev_b32_e32 v7, v13, v7
	v_cndmask_b32_e32 v11, v14, v11, vcc_lo
	s_delay_alu instid0(VALU_DEP_2) | instskip(NEXT) | instid1(VALU_DEP_1)
	v_and_b32_e32 v7, 3, v7
	v_cndmask_b32_e32 v7, v9, v7, vcc_lo
	s_delay_alu instid0(VALU_DEP_3) | instskip(NEXT) | instid1(VALU_DEP_2)
	v_lshl_add_u32 v9, v11, 23, 0x37800000
	v_lshlrev_b32_e32 v7, 21, v7
	s_delay_alu instid0(VALU_DEP_1) | instskip(NEXT) | instid1(VALU_DEP_1)
	v_or3_b32 v5, v5, v9, v7
	v_cvt_i32_f32_e32 v14, v5
.LBB55_2191:
	s_or_b32 exec_lo, exec_lo, s14
	s_mov_b32 s14, 0
	s_branch .LBB55_2197
.LBB55_2192:
	s_mov_b32 s14, -1
                                        ; implicit-def: $vgpr14
	s_branch .LBB55_2203
.LBB55_2193:
	s_and_not1_saveexec_b32 s15, s15
	s_cbranch_execz .LBB55_2178
.LBB55_2194:
	v_cmp_ne_u16_e32 vcc_lo, 0, v5
	s_and_not1_b32 s16, s16, exec_lo
	s_and_b32 s17, vcc_lo, exec_lo
	s_delay_alu instid0(SALU_CYCLE_1)
	s_or_b32 s16, s16, s17
	s_or_b32 exec_lo, exec_lo, s15
	v_mov_b32_e32 v14, 0
	s_and_saveexec_b32 s15, s16
	s_cbranch_execnz .LBB55_2179
	s_branch .LBB55_2180
.LBB55_2195:
	s_mov_b32 s14, -1
                                        ; implicit-def: $vgpr14
	s_branch .LBB55_2200
.LBB55_2196:
	s_mov_b32 s14, -1
                                        ; implicit-def: $vgpr14
.LBB55_2197:
	s_delay_alu instid0(SALU_CYCLE_1)
	s_and_b32 vcc_lo, exec_lo, s14
	s_cbranch_vccz .LBB55_2199
; %bb.2198:
	global_load_u8 v5, v[16:17], off
	s_wait_loadcnt 0x0
	v_lshlrev_b32_e32 v5, 24, v5
	s_delay_alu instid0(VALU_DEP_1) | instskip(NEXT) | instid1(VALU_DEP_1)
	v_and_b32_e32 v7, 0x7f000000, v5
	v_clz_i32_u32_e32 v9, v7
	v_add_nc_u32_e32 v13, 0x1000000, v7
	v_cmp_ne_u32_e32 vcc_lo, 0, v7
	s_delay_alu instid0(VALU_DEP_3) | instskip(NEXT) | instid1(VALU_DEP_1)
	v_min_u32_e32 v9, 32, v9
	v_sub_nc_u32_e64 v9, v9, 4 clamp
	s_delay_alu instid0(VALU_DEP_1) | instskip(NEXT) | instid1(VALU_DEP_1)
	v_dual_lshlrev_b32 v11, v9, v7 :: v_dual_lshlrev_b32 v9, 23, v9
	v_lshrrev_b32_e32 v11, 4, v11
	s_delay_alu instid0(VALU_DEP_1) | instskip(SKIP_1) | instid1(VALU_DEP_2)
	v_sub_nc_u32_e32 v9, v11, v9
	v_ashrrev_i32_e32 v11, 8, v13
	v_add_nc_u32_e32 v9, 0x3c000000, v9
	s_delay_alu instid0(VALU_DEP_1) | instskip(NEXT) | instid1(VALU_DEP_1)
	v_and_or_b32 v9, 0x7f800000, v11, v9
	v_cndmask_b32_e32 v7, 0, v9, vcc_lo
	s_delay_alu instid0(VALU_DEP_1) | instskip(NEXT) | instid1(VALU_DEP_1)
	v_and_or_b32 v5, 0x80000000, v5, v7
	v_cvt_i32_f32_e32 v14, v5
.LBB55_2199:
	s_mov_b32 s14, 0
.LBB55_2200:
	s_delay_alu instid0(SALU_CYCLE_1)
	s_and_not1_b32 vcc_lo, exec_lo, s14
	s_cbranch_vccnz .LBB55_2202
; %bb.2201:
	global_load_u8 v5, v[16:17], off
	s_wait_loadcnt 0x0
	v_lshlrev_b32_e32 v7, 25, v5
	v_lshlrev_b16 v5, 8, v5
	s_delay_alu instid0(VALU_DEP_1) | instskip(SKIP_1) | instid1(VALU_DEP_2)
	v_and_or_b32 v11, 0x7f00, v5, 0.5
	v_bfe_i32 v5, v5, 0, 16
	v_add_f32_e32 v11, -0.5, v11
	v_lshrrev_b32_e32 v9, 4, v7
	v_cmp_gt_u32_e32 vcc_lo, 0x8000000, v7
	s_delay_alu instid0(VALU_DEP_2) | instskip(NEXT) | instid1(VALU_DEP_1)
	v_or_b32_e32 v9, 0x70000000, v9
	v_mul_f32_e32 v9, 0x7800000, v9
	s_delay_alu instid0(VALU_DEP_1) | instskip(NEXT) | instid1(VALU_DEP_1)
	v_cndmask_b32_e32 v7, v9, v11, vcc_lo
	v_and_or_b32 v5, 0x80000000, v5, v7
	s_delay_alu instid0(VALU_DEP_1)
	v_cvt_i32_f32_e32 v14, v5
.LBB55_2202:
	s_mov_b32 s14, 0
	s_mov_b32 s15, -1
.LBB55_2203:
	s_and_not1_b32 vcc_lo, exec_lo, s14
	s_mov_b32 s14, 0
	s_cbranch_vccnz .LBB55_2214
; %bb.2204:
	s_cmp_gt_i32 s11, 14
	s_cbranch_scc0 .LBB55_2207
; %bb.2205:
	s_cmp_eq_u32 s11, 15
	s_cbranch_scc0 .LBB55_2210
; %bb.2206:
	global_load_u16 v5, v[16:17], off
	s_mov_b32 s13, 0
	s_mov_b32 s15, -1
	s_wait_loadcnt 0x0
	v_lshlrev_b32_e32 v5, 16, v5
	s_delay_alu instid0(VALU_DEP_1)
	v_cvt_i32_f32_e32 v14, v5
	s_branch .LBB55_2212
.LBB55_2207:
	s_mov_b32 s14, -1
	s_branch .LBB55_2211
.LBB55_2208:
	s_and_not1_saveexec_b32 s14, s14
	s_cbranch_execz .LBB55_2189
.LBB55_2209:
	v_cmp_ne_u16_e32 vcc_lo, 0, v5
	s_and_not1_b32 s15, s15, exec_lo
	s_and_b32 s16, vcc_lo, exec_lo
	s_delay_alu instid0(SALU_CYCLE_1)
	s_or_b32 s15, s15, s16
	s_or_b32 exec_lo, exec_lo, s14
	v_mov_b32_e32 v14, 0
	s_and_saveexec_b32 s14, s15
	s_cbranch_execnz .LBB55_2190
	s_branch .LBB55_2191
.LBB55_2210:
	s_mov_b32 s13, -1
.LBB55_2211:
                                        ; implicit-def: $vgpr14
.LBB55_2212:
	s_and_b32 vcc_lo, exec_lo, s14
	s_mov_b32 s14, 0
	s_cbranch_vccz .LBB55_2214
; %bb.2213:
	s_cmp_lg_u32 s11, 11
	s_mov_b32 s14, -1
	s_cselect_b32 s13, -1, 0
.LBB55_2214:
	s_delay_alu instid0(SALU_CYCLE_1)
	s_and_b32 vcc_lo, exec_lo, s13
	s_cbranch_vccnz .LBB55_2279
; %bb.2215:
	s_and_not1_b32 vcc_lo, exec_lo, s14
	s_cbranch_vccnz .LBB55_2217
.LBB55_2216:
	global_load_u8 v5, v[16:17], off
	s_mov_b32 s15, -1
	s_wait_loadcnt 0x0
	v_cmp_ne_u16_e32 vcc_lo, 0, v5
	v_cndmask_b32_e64 v14, 0, 1, vcc_lo
.LBB55_2217:
	s_mov_b32 s13, 0
.LBB55_2218:
	s_delay_alu instid0(SALU_CYCLE_1)
	s_and_b32 vcc_lo, exec_lo, s13
	s_cbranch_vccz .LBB55_2267
; %bb.2219:
	s_cmp_lt_i32 s11, 5
	s_cbranch_scc1 .LBB55_2224
; %bb.2220:
	s_cmp_lt_i32 s11, 8
	s_cbranch_scc1 .LBB55_2225
	;; [unrolled: 3-line block ×3, first 2 shown]
; %bb.2222:
	s_cmp_gt_i32 s11, 9
	s_cbranch_scc0 .LBB55_2227
; %bb.2223:
	s_wait_loadcnt 0x0
	global_load_b64 v[14:15], v[16:17], off
	s_mov_b32 s13, 0
	s_wait_loadcnt 0x0
	v_cvt_i32_f64_e32 v14, v[14:15]
	s_branch .LBB55_2228
.LBB55_2224:
	s_mov_b32 s13, -1
                                        ; implicit-def: $vgpr14
	s_branch .LBB55_2246
.LBB55_2225:
	s_mov_b32 s13, -1
                                        ; implicit-def: $vgpr14
	s_branch .LBB55_2234
.LBB55_2226:
	s_mov_b32 s13, -1
                                        ; implicit-def: $vgpr14
	s_branch .LBB55_2231
.LBB55_2227:
	s_mov_b32 s13, -1
                                        ; implicit-def: $vgpr14
.LBB55_2228:
	s_delay_alu instid0(SALU_CYCLE_1)
	s_and_not1_b32 vcc_lo, exec_lo, s13
	s_cbranch_vccnz .LBB55_2230
; %bb.2229:
	global_load_b32 v5, v[16:17], off
	s_wait_loadcnt 0x0
	v_cvt_i32_f32_e32 v14, v5
.LBB55_2230:
	s_mov_b32 s13, 0
.LBB55_2231:
	s_delay_alu instid0(SALU_CYCLE_1)
	s_and_not1_b32 vcc_lo, exec_lo, s13
	s_cbranch_vccnz .LBB55_2233
; %bb.2232:
	global_load_b32 v5, v[16:17], off
	s_wait_loadcnt 0x0
	v_cvt_i16_f16_e32 v14, v5
.LBB55_2233:
	s_mov_b32 s13, 0
.LBB55_2234:
	s_delay_alu instid0(SALU_CYCLE_1)
	s_and_not1_b32 vcc_lo, exec_lo, s13
	s_cbranch_vccnz .LBB55_2245
; %bb.2235:
	s_cmp_lt_i32 s11, 6
	s_cbranch_scc1 .LBB55_2238
; %bb.2236:
	s_cmp_gt_i32 s11, 6
	s_cbranch_scc0 .LBB55_2239
; %bb.2237:
	s_wait_loadcnt 0x0
	global_load_b64 v[14:15], v[16:17], off
	s_mov_b32 s13, 0
	s_wait_loadcnt 0x0
	v_cvt_i32_f64_e32 v14, v[14:15]
	s_branch .LBB55_2240
.LBB55_2238:
	s_mov_b32 s13, -1
                                        ; implicit-def: $vgpr14
	s_branch .LBB55_2243
.LBB55_2239:
	s_mov_b32 s13, -1
                                        ; implicit-def: $vgpr14
.LBB55_2240:
	s_delay_alu instid0(SALU_CYCLE_1)
	s_and_not1_b32 vcc_lo, exec_lo, s13
	s_cbranch_vccnz .LBB55_2242
; %bb.2241:
	global_load_b32 v5, v[16:17], off
	s_wait_loadcnt 0x0
	v_cvt_i32_f32_e32 v14, v5
.LBB55_2242:
	s_mov_b32 s13, 0
.LBB55_2243:
	s_delay_alu instid0(SALU_CYCLE_1)
	s_and_not1_b32 vcc_lo, exec_lo, s13
	s_cbranch_vccnz .LBB55_2245
; %bb.2244:
	global_load_u16 v5, v[16:17], off
	s_wait_loadcnt 0x0
	v_cvt_i16_f16_e32 v14, v5
.LBB55_2245:
	s_mov_b32 s13, 0
.LBB55_2246:
	s_delay_alu instid0(SALU_CYCLE_1)
	s_and_not1_b32 vcc_lo, exec_lo, s13
	s_cbranch_vccnz .LBB55_2266
; %bb.2247:
	s_cmp_lt_i32 s11, 2
	s_cbranch_scc1 .LBB55_2251
; %bb.2248:
	s_cmp_lt_i32 s11, 3
	s_cbranch_scc1 .LBB55_2252
; %bb.2249:
	s_cmp_gt_i32 s11, 3
	s_cbranch_scc0 .LBB55_2253
; %bb.2250:
	s_wait_loadcnt 0x0
	global_load_b64 v[14:15], v[16:17], off
	s_mov_b32 s13, 0
	s_branch .LBB55_2254
.LBB55_2251:
	s_mov_b32 s13, -1
                                        ; implicit-def: $vgpr14
	s_branch .LBB55_2260
.LBB55_2252:
	s_mov_b32 s13, -1
                                        ; implicit-def: $vgpr14
	s_branch .LBB55_2257
.LBB55_2253:
	s_mov_b32 s13, -1
                                        ; implicit-def: $vgpr14
.LBB55_2254:
	s_delay_alu instid0(SALU_CYCLE_1)
	s_and_not1_b32 vcc_lo, exec_lo, s13
	s_cbranch_vccnz .LBB55_2256
; %bb.2255:
	s_wait_loadcnt 0x0
	global_load_b32 v14, v[16:17], off
.LBB55_2256:
	s_mov_b32 s13, 0
.LBB55_2257:
	s_delay_alu instid0(SALU_CYCLE_1)
	s_and_not1_b32 vcc_lo, exec_lo, s13
	s_cbranch_vccnz .LBB55_2259
; %bb.2258:
	s_wait_loadcnt 0x0
	global_load_u16 v14, v[16:17], off
.LBB55_2259:
	s_mov_b32 s13, 0
.LBB55_2260:
	s_delay_alu instid0(SALU_CYCLE_1)
	s_and_not1_b32 vcc_lo, exec_lo, s13
	s_cbranch_vccnz .LBB55_2266
; %bb.2261:
	s_cmp_gt_i32 s11, 0
	s_mov_b32 s13, 0
	s_cbranch_scc0 .LBB55_2263
; %bb.2262:
	s_wait_loadcnt 0x0
	global_load_u8 v14, v[16:17], off
	s_branch .LBB55_2264
.LBB55_2263:
	s_mov_b32 s13, -1
                                        ; implicit-def: $vgpr14
.LBB55_2264:
	s_delay_alu instid0(SALU_CYCLE_1)
	s_and_not1_b32 vcc_lo, exec_lo, s13
	s_cbranch_vccnz .LBB55_2266
; %bb.2265:
	s_wait_loadcnt 0x0
	global_load_u8 v14, v[16:17], off
.LBB55_2266:
	s_mov_b32 s15, -1
.LBB55_2267:
	s_delay_alu instid0(SALU_CYCLE_1)
	s_and_not1_b32 vcc_lo, exec_lo, s15
	s_cbranch_vccnz .LBB55_2741
; %bb.2268:
	v_mov_b32_e32 v13, 0
	s_cmp_lt_i32 s12, 11
	s_delay_alu instid0(VALU_DEP_1)
	v_add_nc_u64_e32 v[12:13], s[0:1], v[12:13]
	s_cbranch_scc1 .LBB55_2275
; %bb.2269:
	s_cmp_gt_i32 s12, 25
	s_mov_b32 s14, 0
	s_cbranch_scc0 .LBB55_2276
; %bb.2270:
	s_cmp_gt_i32 s12, 28
	s_cbranch_scc0 .LBB55_2277
; %bb.2271:
	s_cmp_gt_i32 s12, 43
	;; [unrolled: 3-line block ×3, first 2 shown]
	s_cbranch_scc0 .LBB55_2280
; %bb.2273:
	s_cmp_eq_u32 s12, 46
	s_mov_b32 s16, 0
	s_cbranch_scc0 .LBB55_2283
; %bb.2274:
	global_load_b32 v5, v[12:13], off
	s_mov_b32 s13, 0
	s_mov_b32 s15, -1
	s_wait_loadcnt 0x0
	v_lshlrev_b32_e32 v5, 16, v5
	s_wait_xcnt 0x1
	s_delay_alu instid0(VALU_DEP_1)
	v_cvt_i32_f32_e32 v16, v5
	s_branch .LBB55_2285
.LBB55_2275:
	s_mov_b32 s13, -1
	s_mov_b32 s15, 0
                                        ; implicit-def: $vgpr16
	s_branch .LBB55_2347
.LBB55_2276:
	s_mov_b32 s16, -1
	s_mov_b32 s15, 0
	s_mov_b32 s13, 0
                                        ; implicit-def: $vgpr16
	s_branch .LBB55_2312
.LBB55_2277:
	s_mov_b32 s16, -1
	s_mov_b32 s15, 0
	s_mov_b32 s13, 0
                                        ; implicit-def: $vgpr16
	s_branch .LBB55_2295
.LBB55_2278:
	s_mov_b32 s16, -1
	s_mov_b32 s15, 0
	s_mov_b32 s13, 0
                                        ; implicit-def: $vgpr16
	s_branch .LBB55_2290
.LBB55_2279:
	s_or_b32 s10, s10, exec_lo
	s_trap 2
	s_cbranch_execz .LBB55_2216
	s_branch .LBB55_2217
.LBB55_2280:
	s_mov_b32 s16, -1
	s_mov_b32 s15, 0
	s_mov_b32 s13, 0
	s_branch .LBB55_2284
.LBB55_2281:
	s_and_not1_saveexec_b32 s51, s51
	s_cbranch_execz .LBB55_1115
.LBB55_2282:
	v_add_f32_e64 v5, 0x42800000, |v4|
	s_and_not1_b32 s50, s50, exec_lo
	s_delay_alu instid0(VALU_DEP_1) | instskip(NEXT) | instid1(VALU_DEP_1)
	v_and_b32_e32 v5, 0xff, v5
	v_cmp_ne_u32_e32 vcc_lo, 0, v5
	s_and_b32 s52, vcc_lo, exec_lo
	s_delay_alu instid0(SALU_CYCLE_1)
	s_or_b32 s50, s50, s52
	s_or_b32 exec_lo, exec_lo, s51
	v_mov_b32_e32 v6, 0
	s_and_saveexec_b32 s51, s50
	s_cbranch_execnz .LBB55_1116
	s_branch .LBB55_1117
.LBB55_2283:
	s_mov_b32 s13, -1
	s_mov_b32 s15, 0
.LBB55_2284:
                                        ; implicit-def: $vgpr16
.LBB55_2285:
	s_and_b32 vcc_lo, exec_lo, s16
	s_cbranch_vccz .LBB55_2289
; %bb.2286:
	s_cmp_eq_u32 s12, 44
	s_cbranch_scc0 .LBB55_2288
; %bb.2287:
	global_load_u8 v5, v[12:13], off
	s_mov_b32 s13, 0
	s_mov_b32 s15, -1
	s_wait_loadcnt 0x0
	v_lshlrev_b32_e32 v7, 23, v5
	v_cmp_ne_u32_e32 vcc_lo, 0, v5
	s_delay_alu instid0(VALU_DEP_2) | instskip(SKIP_1) | instid1(VALU_DEP_1)
	v_cvt_i32_f32_e32 v7, v7
	s_wait_xcnt 0x1
	v_cndmask_b32_e32 v16, 0, v7, vcc_lo
	s_branch .LBB55_2289
.LBB55_2288:
	s_mov_b32 s13, -1
                                        ; implicit-def: $vgpr16
.LBB55_2289:
	s_mov_b32 s16, 0
.LBB55_2290:
	s_delay_alu instid0(SALU_CYCLE_1)
	s_and_b32 vcc_lo, exec_lo, s16
	s_cbranch_vccz .LBB55_2294
; %bb.2291:
	s_cmp_eq_u32 s12, 29
	s_cbranch_scc0 .LBB55_2293
; %bb.2292:
	global_load_b64 v[16:17], v[12:13], off
	s_mov_b32 s13, 0
	s_mov_b32 s15, -1
	s_branch .LBB55_2294
.LBB55_2293:
	s_mov_b32 s13, -1
                                        ; implicit-def: $vgpr16
.LBB55_2294:
	s_mov_b32 s16, 0
.LBB55_2295:
	s_delay_alu instid0(SALU_CYCLE_1)
	s_and_b32 vcc_lo, exec_lo, s16
	s_cbranch_vccz .LBB55_2311
; %bb.2296:
	s_cmp_lt_i32 s12, 27
	s_cbranch_scc1 .LBB55_2299
; %bb.2297:
	s_cmp_gt_i32 s12, 27
	s_cbranch_scc0 .LBB55_2300
; %bb.2298:
	s_wait_loadcnt 0x0
	global_load_b32 v16, v[12:13], off
	s_mov_b32 s15, 0
	s_branch .LBB55_2301
.LBB55_2299:
	s_mov_b32 s15, -1
                                        ; implicit-def: $vgpr16
	s_branch .LBB55_2304
.LBB55_2300:
	s_mov_b32 s15, -1
                                        ; implicit-def: $vgpr16
.LBB55_2301:
	s_delay_alu instid0(SALU_CYCLE_1)
	s_and_not1_b32 vcc_lo, exec_lo, s15
	s_cbranch_vccnz .LBB55_2303
; %bb.2302:
	s_wait_loadcnt 0x0
	global_load_u16 v16, v[12:13], off
.LBB55_2303:
	s_mov_b32 s15, 0
.LBB55_2304:
	s_delay_alu instid0(SALU_CYCLE_1)
	s_and_not1_b32 vcc_lo, exec_lo, s15
	s_cbranch_vccnz .LBB55_2310
; %bb.2305:
	global_load_u8 v5, v[12:13], off
	s_mov_b32 s16, 0
	s_mov_b32 s15, exec_lo
	s_wait_loadcnt 0x0
	v_cmpx_lt_i16_e32 0x7f, v5
	s_xor_b32 s15, exec_lo, s15
	s_cbranch_execz .LBB55_2322
; %bb.2306:
	v_cmp_ne_u16_e32 vcc_lo, 0x80, v5
	s_and_b32 s16, vcc_lo, exec_lo
	s_and_not1_saveexec_b32 s15, s15
	s_cbranch_execnz .LBB55_2323
.LBB55_2307:
	s_or_b32 exec_lo, exec_lo, s15
	v_mov_b32_e32 v16, 0
	s_and_saveexec_b32 s15, s16
	s_cbranch_execz .LBB55_2309
.LBB55_2308:
	v_and_b32_e32 v7, 0xffff, v5
	s_delay_alu instid0(VALU_DEP_1) | instskip(SKIP_1) | instid1(VALU_DEP_2)
	v_dual_lshlrev_b32 v5, 24, v5 :: v_dual_bitop2_b32 v9, 7, v7 bitop3:0x40
	v_bfe_u32 v16, v7, 3, 4
	v_and_b32_e32 v5, 0x80000000, v5
	s_delay_alu instid0(VALU_DEP_3) | instskip(NEXT) | instid1(VALU_DEP_3)
	v_clz_i32_u32_e32 v11, v9
	v_cmp_eq_u32_e32 vcc_lo, 0, v16
	s_delay_alu instid0(VALU_DEP_2) | instskip(NEXT) | instid1(VALU_DEP_1)
	v_min_u32_e32 v11, 32, v11
	v_subrev_nc_u32_e32 v15, 28, v11
	v_sub_nc_u32_e32 v11, 29, v11
	s_delay_alu instid0(VALU_DEP_2) | instskip(NEXT) | instid1(VALU_DEP_2)
	v_lshlrev_b32_e32 v7, v15, v7
	v_cndmask_b32_e32 v11, v16, v11, vcc_lo
	s_delay_alu instid0(VALU_DEP_2) | instskip(NEXT) | instid1(VALU_DEP_1)
	v_and_b32_e32 v7, 7, v7
	v_cndmask_b32_e32 v7, v9, v7, vcc_lo
	s_delay_alu instid0(VALU_DEP_3) | instskip(NEXT) | instid1(VALU_DEP_2)
	v_lshl_add_u32 v9, v11, 23, 0x3b800000
	v_lshlrev_b32_e32 v7, 20, v7
	s_delay_alu instid0(VALU_DEP_1) | instskip(NEXT) | instid1(VALU_DEP_1)
	v_or3_b32 v5, v5, v9, v7
	v_cvt_i32_f32_e32 v16, v5
.LBB55_2309:
	s_or_b32 exec_lo, exec_lo, s15
.LBB55_2310:
	s_mov_b32 s15, -1
.LBB55_2311:
	s_mov_b32 s16, 0
.LBB55_2312:
	s_delay_alu instid0(SALU_CYCLE_1)
	s_and_b32 vcc_lo, exec_lo, s16
	s_cbranch_vccz .LBB55_2343
; %bb.2313:
	s_cmp_gt_i32 s12, 22
	s_cbranch_scc0 .LBB55_2321
; %bb.2314:
	s_cmp_lt_i32 s12, 24
	s_cbranch_scc1 .LBB55_2324
; %bb.2315:
	s_cmp_gt_i32 s12, 24
	s_cbranch_scc0 .LBB55_2325
; %bb.2316:
	global_load_u8 v5, v[12:13], off
	s_mov_b32 s15, 0
	s_mov_b32 s14, exec_lo
	s_wait_loadcnt 0x0
	v_cmpx_lt_i16_e32 0x7f, v5
	s_xor_b32 s14, exec_lo, s14
	s_cbranch_execz .LBB55_2337
; %bb.2317:
	v_cmp_ne_u16_e32 vcc_lo, 0x80, v5
	s_and_b32 s15, vcc_lo, exec_lo
	s_and_not1_saveexec_b32 s14, s14
	s_cbranch_execnz .LBB55_2338
.LBB55_2318:
	s_or_b32 exec_lo, exec_lo, s14
	v_mov_b32_e32 v16, 0
	s_and_saveexec_b32 s14, s15
	s_cbranch_execz .LBB55_2320
.LBB55_2319:
	v_and_b32_e32 v7, 0xffff, v5
	s_delay_alu instid0(VALU_DEP_1) | instskip(SKIP_1) | instid1(VALU_DEP_2)
	v_dual_lshlrev_b32 v5, 24, v5 :: v_dual_bitop2_b32 v9, 3, v7 bitop3:0x40
	v_bfe_u32 v16, v7, 2, 5
	v_and_b32_e32 v5, 0x80000000, v5
	s_delay_alu instid0(VALU_DEP_3) | instskip(NEXT) | instid1(VALU_DEP_3)
	v_clz_i32_u32_e32 v11, v9
	v_cmp_eq_u32_e32 vcc_lo, 0, v16
	s_delay_alu instid0(VALU_DEP_2) | instskip(NEXT) | instid1(VALU_DEP_1)
	v_min_u32_e32 v11, 32, v11
	v_subrev_nc_u32_e32 v15, 29, v11
	v_sub_nc_u32_e32 v11, 30, v11
	s_delay_alu instid0(VALU_DEP_2) | instskip(NEXT) | instid1(VALU_DEP_2)
	v_lshlrev_b32_e32 v7, v15, v7
	v_cndmask_b32_e32 v11, v16, v11, vcc_lo
	s_delay_alu instid0(VALU_DEP_2) | instskip(NEXT) | instid1(VALU_DEP_1)
	v_and_b32_e32 v7, 3, v7
	v_cndmask_b32_e32 v7, v9, v7, vcc_lo
	s_delay_alu instid0(VALU_DEP_3) | instskip(NEXT) | instid1(VALU_DEP_2)
	v_lshl_add_u32 v9, v11, 23, 0x37800000
	v_lshlrev_b32_e32 v7, 21, v7
	s_delay_alu instid0(VALU_DEP_1) | instskip(NEXT) | instid1(VALU_DEP_1)
	v_or3_b32 v5, v5, v9, v7
	v_cvt_i32_f32_e32 v16, v5
.LBB55_2320:
	s_or_b32 exec_lo, exec_lo, s14
	s_mov_b32 s14, 0
	s_branch .LBB55_2326
.LBB55_2321:
	s_mov_b32 s14, -1
                                        ; implicit-def: $vgpr16
	s_branch .LBB55_2332
.LBB55_2322:
	s_and_not1_saveexec_b32 s15, s15
	s_cbranch_execz .LBB55_2307
.LBB55_2323:
	v_cmp_ne_u16_e32 vcc_lo, 0, v5
	s_and_not1_b32 s16, s16, exec_lo
	s_and_b32 s17, vcc_lo, exec_lo
	s_delay_alu instid0(SALU_CYCLE_1)
	s_or_b32 s16, s16, s17
	s_or_b32 exec_lo, exec_lo, s15
	v_mov_b32_e32 v16, 0
	s_and_saveexec_b32 s15, s16
	s_cbranch_execnz .LBB55_2308
	s_branch .LBB55_2309
.LBB55_2324:
	s_mov_b32 s14, -1
                                        ; implicit-def: $vgpr16
	s_branch .LBB55_2329
.LBB55_2325:
	s_mov_b32 s14, -1
                                        ; implicit-def: $vgpr16
.LBB55_2326:
	s_delay_alu instid0(SALU_CYCLE_1)
	s_and_b32 vcc_lo, exec_lo, s14
	s_cbranch_vccz .LBB55_2328
; %bb.2327:
	global_load_u8 v5, v[12:13], off
	s_wait_loadcnt 0x0
	v_lshlrev_b32_e32 v5, 24, v5
	s_delay_alu instid0(VALU_DEP_1) | instskip(NEXT) | instid1(VALU_DEP_1)
	v_and_b32_e32 v7, 0x7f000000, v5
	v_clz_i32_u32_e32 v9, v7
	v_add_nc_u32_e32 v15, 0x1000000, v7
	v_cmp_ne_u32_e32 vcc_lo, 0, v7
	s_delay_alu instid0(VALU_DEP_3) | instskip(NEXT) | instid1(VALU_DEP_1)
	v_min_u32_e32 v9, 32, v9
	v_sub_nc_u32_e64 v9, v9, 4 clamp
	s_delay_alu instid0(VALU_DEP_1) | instskip(NEXT) | instid1(VALU_DEP_1)
	v_dual_lshlrev_b32 v11, v9, v7 :: v_dual_lshlrev_b32 v9, 23, v9
	v_lshrrev_b32_e32 v11, 4, v11
	s_delay_alu instid0(VALU_DEP_1) | instskip(NEXT) | instid1(VALU_DEP_1)
	v_dual_sub_nc_u32 v9, v11, v9 :: v_dual_ashrrev_i32 v11, 8, v15
	v_add_nc_u32_e32 v9, 0x3c000000, v9
	s_delay_alu instid0(VALU_DEP_1) | instskip(NEXT) | instid1(VALU_DEP_1)
	v_and_or_b32 v9, 0x7f800000, v11, v9
	v_cndmask_b32_e32 v7, 0, v9, vcc_lo
	s_delay_alu instid0(VALU_DEP_1) | instskip(SKIP_1) | instid1(VALU_DEP_1)
	v_and_or_b32 v5, 0x80000000, v5, v7
	s_wait_xcnt 0x1
	v_cvt_i32_f32_e32 v16, v5
.LBB55_2328:
	s_mov_b32 s14, 0
.LBB55_2329:
	s_delay_alu instid0(SALU_CYCLE_1)
	s_and_not1_b32 vcc_lo, exec_lo, s14
	s_cbranch_vccnz .LBB55_2331
; %bb.2330:
	global_load_u8 v5, v[12:13], off
	s_wait_loadcnt 0x0
	v_lshlrev_b32_e32 v7, 25, v5
	v_lshlrev_b16 v5, 8, v5
	s_delay_alu instid0(VALU_DEP_1) | instskip(SKIP_1) | instid1(VALU_DEP_2)
	v_and_or_b32 v11, 0x7f00, v5, 0.5
	v_bfe_i32 v5, v5, 0, 16
	v_add_f32_e32 v11, -0.5, v11
	v_lshrrev_b32_e32 v9, 4, v7
	v_cmp_gt_u32_e32 vcc_lo, 0x8000000, v7
	s_delay_alu instid0(VALU_DEP_2) | instskip(NEXT) | instid1(VALU_DEP_1)
	v_or_b32_e32 v9, 0x70000000, v9
	v_mul_f32_e32 v9, 0x7800000, v9
	s_delay_alu instid0(VALU_DEP_1) | instskip(NEXT) | instid1(VALU_DEP_1)
	v_cndmask_b32_e32 v7, v9, v11, vcc_lo
	v_and_or_b32 v5, 0x80000000, v5, v7
	s_wait_xcnt 0x1
	s_delay_alu instid0(VALU_DEP_1)
	v_cvt_i32_f32_e32 v16, v5
.LBB55_2331:
	s_mov_b32 s14, 0
	s_mov_b32 s15, -1
.LBB55_2332:
	s_and_not1_b32 vcc_lo, exec_lo, s14
	s_mov_b32 s14, 0
	s_cbranch_vccnz .LBB55_2343
; %bb.2333:
	s_cmp_gt_i32 s12, 14
	s_cbranch_scc0 .LBB55_2336
; %bb.2334:
	s_cmp_eq_u32 s12, 15
	s_cbranch_scc0 .LBB55_2339
; %bb.2335:
	global_load_u16 v5, v[12:13], off
	s_mov_b32 s13, 0
	s_mov_b32 s15, -1
	s_wait_loadcnt 0x0
	v_lshlrev_b32_e32 v5, 16, v5
	s_wait_xcnt 0x1
	s_delay_alu instid0(VALU_DEP_1)
	v_cvt_i32_f32_e32 v16, v5
	s_branch .LBB55_2341
.LBB55_2336:
	s_mov_b32 s14, -1
	s_branch .LBB55_2340
.LBB55_2337:
	s_and_not1_saveexec_b32 s14, s14
	s_cbranch_execz .LBB55_2318
.LBB55_2338:
	v_cmp_ne_u16_e32 vcc_lo, 0, v5
	s_and_not1_b32 s15, s15, exec_lo
	s_and_b32 s16, vcc_lo, exec_lo
	s_delay_alu instid0(SALU_CYCLE_1)
	s_or_b32 s15, s15, s16
	s_or_b32 exec_lo, exec_lo, s14
	v_mov_b32_e32 v16, 0
	s_and_saveexec_b32 s14, s15
	s_cbranch_execnz .LBB55_2319
	s_branch .LBB55_2320
.LBB55_2339:
	s_mov_b32 s13, -1
.LBB55_2340:
                                        ; implicit-def: $vgpr16
.LBB55_2341:
	s_and_b32 vcc_lo, exec_lo, s14
	s_mov_b32 s14, 0
	s_cbranch_vccz .LBB55_2343
; %bb.2342:
	s_cmp_lg_u32 s12, 11
	s_mov_b32 s14, -1
	s_cselect_b32 s13, -1, 0
.LBB55_2343:
	s_delay_alu instid0(SALU_CYCLE_1)
	s_and_b32 vcc_lo, exec_lo, s13
	s_cbranch_vccnz .LBB55_2414
; %bb.2344:
	s_and_not1_b32 vcc_lo, exec_lo, s14
	s_cbranch_vccnz .LBB55_2346
.LBB55_2345:
	global_load_u8 v5, v[12:13], off
	s_mov_b32 s15, -1
	s_wait_loadcnt 0x0
	v_cmp_ne_u16_e32 vcc_lo, 0, v5
	s_wait_xcnt 0x1
	v_cndmask_b32_e64 v16, 0, 1, vcc_lo
.LBB55_2346:
	s_mov_b32 s13, 0
.LBB55_2347:
	s_delay_alu instid0(SALU_CYCLE_1)
	s_and_b32 vcc_lo, exec_lo, s13
	s_cbranch_vccz .LBB55_2396
; %bb.2348:
	s_cmp_lt_i32 s12, 5
	s_cbranch_scc1 .LBB55_2353
; %bb.2349:
	s_cmp_lt_i32 s12, 8
	s_cbranch_scc1 .LBB55_2354
	;; [unrolled: 3-line block ×3, first 2 shown]
; %bb.2351:
	s_cmp_gt_i32 s12, 9
	s_cbranch_scc0 .LBB55_2356
; %bb.2352:
	s_wait_loadcnt 0x0
	global_load_b64 v[16:17], v[12:13], off
	s_mov_b32 s13, 0
	s_wait_loadcnt 0x0
	v_cvt_i32_f64_e32 v16, v[16:17]
	s_branch .LBB55_2357
.LBB55_2353:
	s_mov_b32 s13, -1
                                        ; implicit-def: $vgpr16
	s_branch .LBB55_2375
.LBB55_2354:
	s_mov_b32 s13, -1
                                        ; implicit-def: $vgpr16
	s_branch .LBB55_2363
.LBB55_2355:
	s_mov_b32 s13, -1
                                        ; implicit-def: $vgpr16
	s_branch .LBB55_2360
.LBB55_2356:
	s_mov_b32 s13, -1
                                        ; implicit-def: $vgpr16
.LBB55_2357:
	s_delay_alu instid0(SALU_CYCLE_1)
	s_and_not1_b32 vcc_lo, exec_lo, s13
	s_cbranch_vccnz .LBB55_2359
; %bb.2358:
	global_load_b32 v5, v[12:13], off
	s_wait_loadcnt 0x0
	s_wait_xcnt 0x1
	v_cvt_i32_f32_e32 v16, v5
.LBB55_2359:
	s_mov_b32 s13, 0
.LBB55_2360:
	s_delay_alu instid0(SALU_CYCLE_1)
	s_and_not1_b32 vcc_lo, exec_lo, s13
	s_cbranch_vccnz .LBB55_2362
; %bb.2361:
	global_load_b32 v5, v[12:13], off
	s_wait_loadcnt 0x0
	s_wait_xcnt 0x1
	v_cvt_i16_f16_e32 v16, v5
.LBB55_2362:
	s_mov_b32 s13, 0
.LBB55_2363:
	s_delay_alu instid0(SALU_CYCLE_1)
	s_and_not1_b32 vcc_lo, exec_lo, s13
	s_cbranch_vccnz .LBB55_2374
; %bb.2364:
	s_cmp_lt_i32 s12, 6
	s_cbranch_scc1 .LBB55_2367
; %bb.2365:
	s_cmp_gt_i32 s12, 6
	s_cbranch_scc0 .LBB55_2368
; %bb.2366:
	s_wait_loadcnt 0x0
	global_load_b64 v[16:17], v[12:13], off
	s_mov_b32 s13, 0
	s_wait_loadcnt 0x0
	v_cvt_i32_f64_e32 v16, v[16:17]
	s_branch .LBB55_2369
.LBB55_2367:
	s_mov_b32 s13, -1
                                        ; implicit-def: $vgpr16
	s_branch .LBB55_2372
.LBB55_2368:
	s_mov_b32 s13, -1
                                        ; implicit-def: $vgpr16
.LBB55_2369:
	s_delay_alu instid0(SALU_CYCLE_1)
	s_and_not1_b32 vcc_lo, exec_lo, s13
	s_cbranch_vccnz .LBB55_2371
; %bb.2370:
	global_load_b32 v5, v[12:13], off
	s_wait_loadcnt 0x0
	s_wait_xcnt 0x1
	v_cvt_i32_f32_e32 v16, v5
.LBB55_2371:
	s_mov_b32 s13, 0
.LBB55_2372:
	s_delay_alu instid0(SALU_CYCLE_1)
	s_and_not1_b32 vcc_lo, exec_lo, s13
	s_cbranch_vccnz .LBB55_2374
; %bb.2373:
	global_load_u16 v5, v[12:13], off
	s_wait_loadcnt 0x0
	s_wait_xcnt 0x1
	v_cvt_i16_f16_e32 v16, v5
.LBB55_2374:
	s_mov_b32 s13, 0
.LBB55_2375:
	s_delay_alu instid0(SALU_CYCLE_1)
	s_and_not1_b32 vcc_lo, exec_lo, s13
	s_cbranch_vccnz .LBB55_2395
; %bb.2376:
	s_cmp_lt_i32 s12, 2
	s_cbranch_scc1 .LBB55_2380
; %bb.2377:
	s_cmp_lt_i32 s12, 3
	s_cbranch_scc1 .LBB55_2381
; %bb.2378:
	s_cmp_gt_i32 s12, 3
	s_cbranch_scc0 .LBB55_2382
; %bb.2379:
	s_wait_loadcnt 0x0
	global_load_b64 v[16:17], v[12:13], off
	s_mov_b32 s13, 0
	s_branch .LBB55_2383
.LBB55_2380:
	s_mov_b32 s13, -1
                                        ; implicit-def: $vgpr16
	s_branch .LBB55_2389
.LBB55_2381:
	s_mov_b32 s13, -1
                                        ; implicit-def: $vgpr16
	s_branch .LBB55_2386
.LBB55_2382:
	s_mov_b32 s13, -1
                                        ; implicit-def: $vgpr16
.LBB55_2383:
	s_delay_alu instid0(SALU_CYCLE_1)
	s_and_not1_b32 vcc_lo, exec_lo, s13
	s_cbranch_vccnz .LBB55_2385
; %bb.2384:
	s_wait_loadcnt 0x0
	global_load_b32 v16, v[12:13], off
.LBB55_2385:
	s_mov_b32 s13, 0
.LBB55_2386:
	s_delay_alu instid0(SALU_CYCLE_1)
	s_and_not1_b32 vcc_lo, exec_lo, s13
	s_cbranch_vccnz .LBB55_2388
; %bb.2387:
	s_wait_loadcnt 0x0
	global_load_u16 v16, v[12:13], off
.LBB55_2388:
	s_mov_b32 s13, 0
.LBB55_2389:
	s_delay_alu instid0(SALU_CYCLE_1)
	s_and_not1_b32 vcc_lo, exec_lo, s13
	s_cbranch_vccnz .LBB55_2395
; %bb.2390:
	s_cmp_gt_i32 s12, 0
	s_mov_b32 s13, 0
	s_cbranch_scc0 .LBB55_2392
; %bb.2391:
	s_wait_loadcnt 0x0
	global_load_u8 v16, v[12:13], off
	s_branch .LBB55_2393
.LBB55_2392:
	s_mov_b32 s13, -1
                                        ; implicit-def: $vgpr16
.LBB55_2393:
	s_delay_alu instid0(SALU_CYCLE_1)
	s_and_not1_b32 vcc_lo, exec_lo, s13
	s_cbranch_vccnz .LBB55_2395
; %bb.2394:
	s_wait_loadcnt 0x0
	global_load_u8 v16, v[12:13], off
.LBB55_2395:
	s_mov_b32 s15, -1
.LBB55_2396:
	s_delay_alu instid0(SALU_CYCLE_1)
	s_and_not1_b32 vcc_lo, exec_lo, s15
	s_cbranch_vccnz .LBB55_2741
; %bb.2397:
	s_wait_loadcnt 0x0
	s_delay_alu instid0(VALU_DEP_1) | instskip(NEXT) | instid1(VALU_DEP_4)
	v_bfe_i32 v5, v16, 0, 8
	v_and_b32_e32 v9, 0xff, v14
	s_mov_b32 s14, 0
	s_mov_b32 s13, exec_lo
	s_delay_alu instid0(VALU_DEP_2) | instskip(NEXT) | instid1(VALU_DEP_1)
	v_sub_nc_u16 v7, 0, v5
	v_max_i16 v7, v5, v7
	s_wait_xcnt 0x0
	v_cmpx_ne_u16_e32 0, v9
	s_cbranch_execz .LBB55_2401
; %bb.2398:
	v_bfe_i32 v9, v14, 0, 8
	s_delay_alu instid0(VALU_DEP_1) | instskip(NEXT) | instid1(VALU_DEP_1)
	v_sub_nc_u16 v11, 0, v9
	v_max_i16 v11, v9, v11
	v_and_b32_e32 v9, 0xff, v7
	s_delay_alu instid0(VALU_DEP_2)
	v_and_b32_e32 v11, 0xffff, v11
.LBB55_2399:                            ; =>This Inner Loop Header: Depth=1
	s_delay_alu instid0(VALU_DEP_2) | instskip(NEXT) | instid1(VALU_DEP_2)
	v_bfe_i32 v13, v9, 0, 8
	v_mov_b32_e32 v7, v11
	s_delay_alu instid0(VALU_DEP_2) | instskip(NEXT) | instid1(VALU_DEP_2)
	v_cvt_f32_i32_e32 v16, v13
	v_bfe_i32 v11, v7, 0, 8
	s_delay_alu instid0(VALU_DEP_1) | instskip(SKIP_1) | instid1(VALU_DEP_2)
	v_cvt_f32_i32_e32 v12, v11
	v_xor_b32_e32 v11, v13, v11
	v_rcp_iflag_f32_e32 v15, v12
	v_nop
	s_delay_alu instid0(TRANS32_DEP_1) | instskip(NEXT) | instid1(VALU_DEP_1)
	v_mul_f32_e32 v13, v16, v15
	v_trunc_f32_e32 v13, v13
	s_delay_alu instid0(VALU_DEP_1) | instskip(NEXT) | instid1(VALU_DEP_1)
	v_dual_ashrrev_i32 v11, 30, v11 :: v_dual_fma_f32 v15, -v13, v12, v16
	v_or_b32_e32 v11, 1, v11
	v_cvt_i32_f32_e32 v13, v13
	s_delay_alu instid0(VALU_DEP_3) | instskip(NEXT) | instid1(VALU_DEP_3)
	v_cmp_ge_f32_e64 vcc_lo, |v15|, |v12|
	v_cndmask_b32_e32 v11, 0, v11, vcc_lo
	s_delay_alu instid0(VALU_DEP_1) | instskip(NEXT) | instid1(VALU_DEP_1)
	v_add_nc_u32_e32 v11, v13, v11
	v_mul_lo_u32 v11, v11, v7
	s_delay_alu instid0(VALU_DEP_1) | instskip(NEXT) | instid1(VALU_DEP_1)
	v_sub_nc_u32_e32 v9, v9, v11
	v_bfe_i32 v11, v9, 0, 8
	v_mov_b32_e32 v9, v7
	s_delay_alu instid0(VALU_DEP_2) | instskip(SKIP_2) | instid1(SALU_CYCLE_1)
	v_cmp_eq_u16_e32 vcc_lo, 0, v11
	v_and_b32_e32 v11, 0xffff, v11
	s_or_b32 s14, vcc_lo, s14
	s_and_not1_b32 exec_lo, exec_lo, s14
	s_cbranch_execnz .LBB55_2399
; %bb.2400:
	s_or_b32 exec_lo, exec_lo, s14
.LBB55_2401:
	s_delay_alu instid0(SALU_CYCLE_1) | instskip(SKIP_3) | instid1(VALU_DEP_2)
	s_or_b32 exec_lo, exec_lo, s13
	v_and_b32_e32 v9, 0xff, v7
	v_mov_b32_e32 v15, 0
	s_mov_b32 s13, exec_lo
	v_cmpx_ne_u16_e32 0, v9
	s_cbranch_execz .LBB55_2403
; %bb.2402:
	v_bfe_i32 v7, v7, 0, 8
	v_bfe_i32 v11, v14, 0, 8
	s_delay_alu instid0(VALU_DEP_2) | instskip(NEXT) | instid1(VALU_DEP_2)
	v_cvt_f32_i32_e32 v9, v7
	v_cvt_f32_i32_e32 v13, v11
	v_xor_b32_e32 v7, v11, v7
	s_delay_alu instid0(VALU_DEP_3) | instskip(SKIP_1) | instid1(TRANS32_DEP_1)
	v_rcp_iflag_f32_e32 v12, v9
	v_nop
	v_mul_f32_e32 v12, v13, v12
	s_delay_alu instid0(VALU_DEP_1) | instskip(NEXT) | instid1(VALU_DEP_1)
	v_trunc_f32_e32 v11, v12
	v_dual_ashrrev_i32 v7, 30, v7 :: v_dual_fma_f32 v12, -v11, v9, v13
	s_delay_alu instid0(VALU_DEP_1) | instskip(SKIP_1) | instid1(VALU_DEP_3)
	v_or_b32_e32 v7, 1, v7
	v_cvt_i32_f32_e32 v11, v11
	v_cmp_ge_f32_e64 vcc_lo, |v12|, |v9|
	s_delay_alu instid0(VALU_DEP_3) | instskip(NEXT) | instid1(VALU_DEP_1)
	v_cndmask_b32_e32 v7, 0, v7, vcc_lo
	v_add_nc_u32_e32 v7, v11, v7
	s_delay_alu instid0(VALU_DEP_1) | instskip(NEXT) | instid1(VALU_DEP_1)
	v_bfe_i32 v7, v7, 0, 8
	v_mul_i32_i24_e32 v5, v7, v5
	s_delay_alu instid0(VALU_DEP_1) | instskip(NEXT) | instid1(VALU_DEP_1)
	v_sub_nc_u32_e32 v7, 0, v5
	v_max_i32_e32 v15, v5, v7
.LBB55_2403:
	s_or_b32 exec_lo, exec_lo, s13
	v_mov_b32_e32 v11, 0
	s_cmp_lt_i32 s11, 11
	s_delay_alu instid0(VALU_DEP_1)
	v_add_nc_u64_e32 v[12:13], s[6:7], v[10:11]
	s_cbranch_scc1 .LBB55_2410
; %bb.2404:
	s_cmp_gt_i32 s11, 25
	s_mov_b32 s7, 0
	s_cbranch_scc0 .LBB55_2411
; %bb.2405:
	s_cmp_gt_i32 s11, 28
	s_cbranch_scc0 .LBB55_2412
; %bb.2406:
	s_cmp_gt_i32 s11, 43
	;; [unrolled: 3-line block ×3, first 2 shown]
	s_cbranch_scc0 .LBB55_2415
; %bb.2408:
	s_cmp_eq_u32 s11, 46
	s_mov_b32 s14, 0
	s_cbranch_scc0 .LBB55_2416
; %bb.2409:
	global_load_b32 v5, v[12:13], off
	s_mov_b32 s6, 0
	s_mov_b32 s13, -1
	s_wait_loadcnt 0x0
	v_lshlrev_b32_e32 v5, 16, v5
	s_delay_alu instid0(VALU_DEP_1)
	v_cvt_i32_f32_e32 v10, v5
	s_branch .LBB55_2418
.LBB55_2410:
	s_mov_b32 s6, -1
	s_mov_b32 s13, 0
                                        ; implicit-def: $vgpr10
	s_branch .LBB55_2480
.LBB55_2411:
	s_mov_b32 s14, -1
	s_mov_b32 s13, 0
	s_mov_b32 s6, 0
                                        ; implicit-def: $vgpr10
	s_branch .LBB55_2445
.LBB55_2412:
	s_mov_b32 s14, -1
	s_mov_b32 s13, 0
	s_mov_b32 s6, 0
                                        ; implicit-def: $vgpr10
	s_branch .LBB55_2428
.LBB55_2413:
	s_mov_b32 s14, -1
	s_mov_b32 s13, 0
	s_mov_b32 s6, 0
                                        ; implicit-def: $vgpr10
	s_branch .LBB55_2423
.LBB55_2414:
	s_or_b32 s10, s10, exec_lo
	s_trap 2
	s_cbranch_execz .LBB55_2345
	s_branch .LBB55_2346
.LBB55_2415:
	s_mov_b32 s14, -1
	s_mov_b32 s13, 0
	s_mov_b32 s6, 0
	s_branch .LBB55_2417
.LBB55_2416:
	s_mov_b32 s6, -1
	s_mov_b32 s13, 0
.LBB55_2417:
                                        ; implicit-def: $vgpr10
.LBB55_2418:
	s_and_b32 vcc_lo, exec_lo, s14
	s_cbranch_vccz .LBB55_2422
; %bb.2419:
	s_cmp_eq_u32 s11, 44
	s_cbranch_scc0 .LBB55_2421
; %bb.2420:
	global_load_u8 v5, v[12:13], off
	s_mov_b32 s6, 0
	s_mov_b32 s13, -1
	s_wait_loadcnt 0x0
	v_lshlrev_b32_e32 v7, 23, v5
	v_cmp_ne_u32_e32 vcc_lo, 0, v5
	s_delay_alu instid0(VALU_DEP_2) | instskip(NEXT) | instid1(VALU_DEP_1)
	v_cvt_i32_f32_e32 v7, v7
	v_cndmask_b32_e32 v10, 0, v7, vcc_lo
	s_branch .LBB55_2422
.LBB55_2421:
	s_mov_b32 s6, -1
                                        ; implicit-def: $vgpr10
.LBB55_2422:
	s_mov_b32 s14, 0
.LBB55_2423:
	s_delay_alu instid0(SALU_CYCLE_1)
	s_and_b32 vcc_lo, exec_lo, s14
	s_cbranch_vccz .LBB55_2427
; %bb.2424:
	s_cmp_eq_u32 s11, 29
	s_cbranch_scc0 .LBB55_2426
; %bb.2425:
	global_load_b64 v[10:11], v[12:13], off
	s_mov_b32 s6, 0
	s_mov_b32 s13, -1
	s_branch .LBB55_2427
.LBB55_2426:
	s_mov_b32 s6, -1
                                        ; implicit-def: $vgpr10
.LBB55_2427:
	s_mov_b32 s14, 0
.LBB55_2428:
	s_delay_alu instid0(SALU_CYCLE_1)
	s_and_b32 vcc_lo, exec_lo, s14
	s_cbranch_vccz .LBB55_2444
; %bb.2429:
	s_cmp_lt_i32 s11, 27
	s_cbranch_scc1 .LBB55_2432
; %bb.2430:
	s_cmp_gt_i32 s11, 27
	s_cbranch_scc0 .LBB55_2433
; %bb.2431:
	s_wait_loadcnt 0x0
	global_load_b32 v10, v[12:13], off
	s_mov_b32 s13, 0
	s_branch .LBB55_2434
.LBB55_2432:
	s_mov_b32 s13, -1
                                        ; implicit-def: $vgpr10
	s_branch .LBB55_2437
.LBB55_2433:
	s_mov_b32 s13, -1
                                        ; implicit-def: $vgpr10
.LBB55_2434:
	s_delay_alu instid0(SALU_CYCLE_1)
	s_and_not1_b32 vcc_lo, exec_lo, s13
	s_cbranch_vccnz .LBB55_2436
; %bb.2435:
	s_wait_loadcnt 0x0
	global_load_u16 v10, v[12:13], off
.LBB55_2436:
	s_mov_b32 s13, 0
.LBB55_2437:
	s_delay_alu instid0(SALU_CYCLE_1)
	s_and_not1_b32 vcc_lo, exec_lo, s13
	s_cbranch_vccnz .LBB55_2443
; %bb.2438:
	global_load_u8 v5, v[12:13], off
	s_mov_b32 s14, 0
	s_mov_b32 s13, exec_lo
	s_wait_loadcnt 0x0
	v_cmpx_lt_i16_e32 0x7f, v5
	s_xor_b32 s13, exec_lo, s13
	s_cbranch_execz .LBB55_2455
; %bb.2439:
	v_cmp_ne_u16_e32 vcc_lo, 0x80, v5
	s_and_b32 s14, vcc_lo, exec_lo
	s_and_not1_saveexec_b32 s13, s13
	s_cbranch_execnz .LBB55_2456
.LBB55_2440:
	s_or_b32 exec_lo, exec_lo, s13
	v_mov_b32_e32 v10, 0
	s_and_saveexec_b32 s13, s14
	s_cbranch_execz .LBB55_2442
.LBB55_2441:
	v_and_b32_e32 v7, 0xffff, v5
	s_delay_alu instid0(VALU_DEP_1) | instskip(SKIP_1) | instid1(VALU_DEP_2)
	v_and_b32_e32 v9, 7, v7
	v_bfe_u32 v14, v7, 3, 4
	v_clz_i32_u32_e32 v10, v9
	s_delay_alu instid0(VALU_DEP_2) | instskip(NEXT) | instid1(VALU_DEP_2)
	v_cmp_eq_u32_e32 vcc_lo, 0, v14
	v_min_u32_e32 v10, 32, v10
	s_delay_alu instid0(VALU_DEP_1) | instskip(NEXT) | instid1(VALU_DEP_1)
	v_subrev_nc_u32_e32 v11, 28, v10
	v_dual_lshlrev_b32 v7, v11, v7 :: v_dual_sub_nc_u32 v10, 29, v10
	s_delay_alu instid0(VALU_DEP_1) | instskip(NEXT) | instid1(VALU_DEP_1)
	v_dual_lshlrev_b32 v5, 24, v5 :: v_dual_bitop2_b32 v7, 7, v7 bitop3:0x40
	v_dual_cndmask_b32 v10, v14, v10 :: v_dual_cndmask_b32 v7, v9, v7
	s_delay_alu instid0(VALU_DEP_2) | instskip(NEXT) | instid1(VALU_DEP_2)
	v_and_b32_e32 v5, 0x80000000, v5
	v_lshl_add_u32 v9, v10, 23, 0x3b800000
	s_delay_alu instid0(VALU_DEP_3) | instskip(NEXT) | instid1(VALU_DEP_1)
	v_lshlrev_b32_e32 v7, 20, v7
	v_or3_b32 v5, v5, v9, v7
	s_delay_alu instid0(VALU_DEP_1)
	v_cvt_i32_f32_e32 v10, v5
.LBB55_2442:
	s_or_b32 exec_lo, exec_lo, s13
.LBB55_2443:
	s_mov_b32 s13, -1
.LBB55_2444:
	s_mov_b32 s14, 0
.LBB55_2445:
	s_delay_alu instid0(SALU_CYCLE_1)
	s_and_b32 vcc_lo, exec_lo, s14
	s_cbranch_vccz .LBB55_2476
; %bb.2446:
	s_cmp_gt_i32 s11, 22
	s_cbranch_scc0 .LBB55_2454
; %bb.2447:
	s_cmp_lt_i32 s11, 24
	s_cbranch_scc1 .LBB55_2457
; %bb.2448:
	s_cmp_gt_i32 s11, 24
	s_cbranch_scc0 .LBB55_2458
; %bb.2449:
	global_load_u8 v5, v[12:13], off
	s_mov_b32 s13, 0
	s_mov_b32 s7, exec_lo
	s_wait_loadcnt 0x0
	v_cmpx_lt_i16_e32 0x7f, v5
	s_xor_b32 s7, exec_lo, s7
	s_cbranch_execz .LBB55_2470
; %bb.2450:
	v_cmp_ne_u16_e32 vcc_lo, 0x80, v5
	s_and_b32 s13, vcc_lo, exec_lo
	s_and_not1_saveexec_b32 s7, s7
	s_cbranch_execnz .LBB55_2471
.LBB55_2451:
	s_or_b32 exec_lo, exec_lo, s7
	v_mov_b32_e32 v10, 0
	s_and_saveexec_b32 s7, s13
	s_cbranch_execz .LBB55_2453
.LBB55_2452:
	v_and_b32_e32 v7, 0xffff, v5
	s_delay_alu instid0(VALU_DEP_1) | instskip(SKIP_1) | instid1(VALU_DEP_2)
	v_and_b32_e32 v9, 3, v7
	v_bfe_u32 v14, v7, 2, 5
	v_clz_i32_u32_e32 v10, v9
	s_delay_alu instid0(VALU_DEP_2) | instskip(NEXT) | instid1(VALU_DEP_2)
	v_cmp_eq_u32_e32 vcc_lo, 0, v14
	v_min_u32_e32 v10, 32, v10
	s_delay_alu instid0(VALU_DEP_1) | instskip(NEXT) | instid1(VALU_DEP_1)
	v_subrev_nc_u32_e32 v11, 29, v10
	v_dual_lshlrev_b32 v7, v11, v7 :: v_dual_sub_nc_u32 v10, 30, v10
	s_delay_alu instid0(VALU_DEP_1) | instskip(NEXT) | instid1(VALU_DEP_1)
	v_dual_lshlrev_b32 v5, 24, v5 :: v_dual_bitop2_b32 v7, 3, v7 bitop3:0x40
	v_dual_cndmask_b32 v10, v14, v10 :: v_dual_cndmask_b32 v7, v9, v7
	s_delay_alu instid0(VALU_DEP_2) | instskip(NEXT) | instid1(VALU_DEP_2)
	v_and_b32_e32 v5, 0x80000000, v5
	v_lshl_add_u32 v9, v10, 23, 0x37800000
	s_delay_alu instid0(VALU_DEP_3) | instskip(NEXT) | instid1(VALU_DEP_1)
	v_lshlrev_b32_e32 v7, 21, v7
	v_or3_b32 v5, v5, v9, v7
	s_delay_alu instid0(VALU_DEP_1)
	v_cvt_i32_f32_e32 v10, v5
.LBB55_2453:
	s_or_b32 exec_lo, exec_lo, s7
	s_mov_b32 s7, 0
	s_branch .LBB55_2459
.LBB55_2454:
	s_mov_b32 s7, -1
                                        ; implicit-def: $vgpr10
	s_branch .LBB55_2465
.LBB55_2455:
	s_and_not1_saveexec_b32 s13, s13
	s_cbranch_execz .LBB55_2440
.LBB55_2456:
	v_cmp_ne_u16_e32 vcc_lo, 0, v5
	s_and_not1_b32 s14, s14, exec_lo
	s_and_b32 s15, vcc_lo, exec_lo
	s_delay_alu instid0(SALU_CYCLE_1)
	s_or_b32 s14, s14, s15
	s_or_b32 exec_lo, exec_lo, s13
	v_mov_b32_e32 v10, 0
	s_and_saveexec_b32 s13, s14
	s_cbranch_execnz .LBB55_2441
	s_branch .LBB55_2442
.LBB55_2457:
	s_mov_b32 s7, -1
                                        ; implicit-def: $vgpr10
	s_branch .LBB55_2462
.LBB55_2458:
	s_mov_b32 s7, -1
                                        ; implicit-def: $vgpr10
.LBB55_2459:
	s_delay_alu instid0(SALU_CYCLE_1)
	s_and_b32 vcc_lo, exec_lo, s7
	s_cbranch_vccz .LBB55_2461
; %bb.2460:
	global_load_u8 v5, v[12:13], off
	s_wait_loadcnt 0x0
	v_lshlrev_b32_e32 v5, 24, v5
	s_delay_alu instid0(VALU_DEP_1) | instskip(NEXT) | instid1(VALU_DEP_1)
	v_and_b32_e32 v7, 0x7f000000, v5
	v_clz_i32_u32_e32 v9, v7
	v_add_nc_u32_e32 v11, 0x1000000, v7
	v_cmp_ne_u32_e32 vcc_lo, 0, v7
	s_delay_alu instid0(VALU_DEP_3) | instskip(NEXT) | instid1(VALU_DEP_1)
	v_min_u32_e32 v9, 32, v9
	v_sub_nc_u32_e64 v9, v9, 4 clamp
	s_delay_alu instid0(VALU_DEP_1) | instskip(NEXT) | instid1(VALU_DEP_1)
	v_dual_lshlrev_b32 v10, v9, v7 :: v_dual_lshlrev_b32 v9, 23, v9
	v_lshrrev_b32_e32 v10, 4, v10
	s_delay_alu instid0(VALU_DEP_1) | instskip(NEXT) | instid1(VALU_DEP_1)
	v_dual_sub_nc_u32 v9, v10, v9 :: v_dual_ashrrev_i32 v10, 8, v11
	v_add_nc_u32_e32 v9, 0x3c000000, v9
	s_delay_alu instid0(VALU_DEP_1) | instskip(NEXT) | instid1(VALU_DEP_1)
	v_and_or_b32 v9, 0x7f800000, v10, v9
	v_cndmask_b32_e32 v7, 0, v9, vcc_lo
	s_delay_alu instid0(VALU_DEP_1) | instskip(NEXT) | instid1(VALU_DEP_1)
	v_and_or_b32 v5, 0x80000000, v5, v7
	v_cvt_i32_f32_e32 v10, v5
.LBB55_2461:
	s_mov_b32 s7, 0
.LBB55_2462:
	s_delay_alu instid0(SALU_CYCLE_1)
	s_and_not1_b32 vcc_lo, exec_lo, s7
	s_cbranch_vccnz .LBB55_2464
; %bb.2463:
	global_load_u8 v5, v[12:13], off
	s_wait_loadcnt 0x0
	v_lshlrev_b32_e32 v7, 25, v5
	v_lshlrev_b16 v5, 8, v5
	s_delay_alu instid0(VALU_DEP_1) | instskip(SKIP_1) | instid1(VALU_DEP_2)
	v_and_or_b32 v10, 0x7f00, v5, 0.5
	v_bfe_i32 v5, v5, 0, 16
	v_dual_add_f32 v10, -0.5, v10 :: v_dual_lshrrev_b32 v9, 4, v7
	v_cmp_gt_u32_e32 vcc_lo, 0x8000000, v7
	s_delay_alu instid0(VALU_DEP_2) | instskip(NEXT) | instid1(VALU_DEP_1)
	v_or_b32_e32 v9, 0x70000000, v9
	v_mul_f32_e32 v9, 0x7800000, v9
	s_delay_alu instid0(VALU_DEP_1) | instskip(NEXT) | instid1(VALU_DEP_1)
	v_cndmask_b32_e32 v7, v9, v10, vcc_lo
	v_and_or_b32 v5, 0x80000000, v5, v7
	s_delay_alu instid0(VALU_DEP_1)
	v_cvt_i32_f32_e32 v10, v5
.LBB55_2464:
	s_mov_b32 s7, 0
	s_mov_b32 s13, -1
.LBB55_2465:
	s_and_not1_b32 vcc_lo, exec_lo, s7
	s_mov_b32 s7, 0
	s_cbranch_vccnz .LBB55_2476
; %bb.2466:
	s_cmp_gt_i32 s11, 14
	s_cbranch_scc0 .LBB55_2469
; %bb.2467:
	s_cmp_eq_u32 s11, 15
	s_cbranch_scc0 .LBB55_2472
; %bb.2468:
	global_load_u16 v5, v[12:13], off
	s_mov_b32 s6, 0
	s_mov_b32 s13, -1
	s_wait_loadcnt 0x0
	v_lshlrev_b32_e32 v5, 16, v5
	s_delay_alu instid0(VALU_DEP_1)
	v_cvt_i32_f32_e32 v10, v5
	s_branch .LBB55_2474
.LBB55_2469:
	s_mov_b32 s7, -1
	s_branch .LBB55_2473
.LBB55_2470:
	s_and_not1_saveexec_b32 s7, s7
	s_cbranch_execz .LBB55_2451
.LBB55_2471:
	v_cmp_ne_u16_e32 vcc_lo, 0, v5
	s_and_not1_b32 s13, s13, exec_lo
	s_and_b32 s14, vcc_lo, exec_lo
	s_delay_alu instid0(SALU_CYCLE_1)
	s_or_b32 s13, s13, s14
	s_or_b32 exec_lo, exec_lo, s7
	v_mov_b32_e32 v10, 0
	s_and_saveexec_b32 s7, s13
	s_cbranch_execnz .LBB55_2452
	s_branch .LBB55_2453
.LBB55_2472:
	s_mov_b32 s6, -1
.LBB55_2473:
                                        ; implicit-def: $vgpr10
.LBB55_2474:
	s_and_b32 vcc_lo, exec_lo, s7
	s_mov_b32 s7, 0
	s_cbranch_vccz .LBB55_2476
; %bb.2475:
	s_cmp_lg_u32 s11, 11
	s_mov_b32 s7, -1
	s_cselect_b32 s6, -1, 0
.LBB55_2476:
	s_delay_alu instid0(SALU_CYCLE_1)
	s_and_b32 vcc_lo, exec_lo, s6
	s_cbranch_vccnz .LBB55_2541
; %bb.2477:
	s_and_not1_b32 vcc_lo, exec_lo, s7
	s_cbranch_vccnz .LBB55_2479
.LBB55_2478:
	global_load_u8 v5, v[12:13], off
	s_mov_b32 s13, -1
	s_wait_loadcnt 0x0
	v_cmp_ne_u16_e32 vcc_lo, 0, v5
	v_cndmask_b32_e64 v10, 0, 1, vcc_lo
.LBB55_2479:
	s_mov_b32 s6, 0
.LBB55_2480:
	s_delay_alu instid0(SALU_CYCLE_1)
	s_and_b32 vcc_lo, exec_lo, s6
	s_cbranch_vccz .LBB55_2529
; %bb.2481:
	s_cmp_lt_i32 s11, 5
	s_cbranch_scc1 .LBB55_2486
; %bb.2482:
	s_cmp_lt_i32 s11, 8
	s_cbranch_scc1 .LBB55_2487
	;; [unrolled: 3-line block ×3, first 2 shown]
; %bb.2484:
	s_cmp_gt_i32 s11, 9
	s_cbranch_scc0 .LBB55_2489
; %bb.2485:
	s_wait_loadcnt 0x0
	global_load_b64 v[10:11], v[12:13], off
	s_mov_b32 s6, 0
	s_wait_loadcnt 0x0
	v_cvt_i32_f64_e32 v10, v[10:11]
	s_branch .LBB55_2490
.LBB55_2486:
	s_mov_b32 s6, -1
                                        ; implicit-def: $vgpr10
	s_branch .LBB55_2508
.LBB55_2487:
	s_mov_b32 s6, -1
                                        ; implicit-def: $vgpr10
	s_branch .LBB55_2496
.LBB55_2488:
	s_mov_b32 s6, -1
                                        ; implicit-def: $vgpr10
	s_branch .LBB55_2493
.LBB55_2489:
	s_mov_b32 s6, -1
                                        ; implicit-def: $vgpr10
.LBB55_2490:
	s_delay_alu instid0(SALU_CYCLE_1)
	s_and_not1_b32 vcc_lo, exec_lo, s6
	s_cbranch_vccnz .LBB55_2492
; %bb.2491:
	global_load_b32 v5, v[12:13], off
	s_wait_loadcnt 0x0
	v_cvt_i32_f32_e32 v10, v5
.LBB55_2492:
	s_mov_b32 s6, 0
.LBB55_2493:
	s_delay_alu instid0(SALU_CYCLE_1)
	s_and_not1_b32 vcc_lo, exec_lo, s6
	s_cbranch_vccnz .LBB55_2495
; %bb.2494:
	global_load_b32 v5, v[12:13], off
	s_wait_loadcnt 0x0
	v_cvt_i16_f16_e32 v10, v5
.LBB55_2495:
	s_mov_b32 s6, 0
.LBB55_2496:
	s_delay_alu instid0(SALU_CYCLE_1)
	s_and_not1_b32 vcc_lo, exec_lo, s6
	s_cbranch_vccnz .LBB55_2507
; %bb.2497:
	s_cmp_lt_i32 s11, 6
	s_cbranch_scc1 .LBB55_2500
; %bb.2498:
	s_cmp_gt_i32 s11, 6
	s_cbranch_scc0 .LBB55_2501
; %bb.2499:
	s_wait_loadcnt 0x0
	global_load_b64 v[10:11], v[12:13], off
	s_mov_b32 s6, 0
	s_wait_loadcnt 0x0
	v_cvt_i32_f64_e32 v10, v[10:11]
	s_branch .LBB55_2502
.LBB55_2500:
	s_mov_b32 s6, -1
                                        ; implicit-def: $vgpr10
	s_branch .LBB55_2505
.LBB55_2501:
	s_mov_b32 s6, -1
                                        ; implicit-def: $vgpr10
.LBB55_2502:
	s_delay_alu instid0(SALU_CYCLE_1)
	s_and_not1_b32 vcc_lo, exec_lo, s6
	s_cbranch_vccnz .LBB55_2504
; %bb.2503:
	global_load_b32 v5, v[12:13], off
	s_wait_loadcnt 0x0
	v_cvt_i32_f32_e32 v10, v5
.LBB55_2504:
	s_mov_b32 s6, 0
.LBB55_2505:
	s_delay_alu instid0(SALU_CYCLE_1)
	s_and_not1_b32 vcc_lo, exec_lo, s6
	s_cbranch_vccnz .LBB55_2507
; %bb.2506:
	global_load_u16 v5, v[12:13], off
	s_wait_loadcnt 0x0
	v_cvt_i16_f16_e32 v10, v5
.LBB55_2507:
	s_mov_b32 s6, 0
.LBB55_2508:
	s_delay_alu instid0(SALU_CYCLE_1)
	s_and_not1_b32 vcc_lo, exec_lo, s6
	s_cbranch_vccnz .LBB55_2528
; %bb.2509:
	s_cmp_lt_i32 s11, 2
	s_cbranch_scc1 .LBB55_2513
; %bb.2510:
	s_cmp_lt_i32 s11, 3
	s_cbranch_scc1 .LBB55_2514
; %bb.2511:
	s_cmp_gt_i32 s11, 3
	s_cbranch_scc0 .LBB55_2515
; %bb.2512:
	s_wait_loadcnt 0x0
	global_load_b64 v[10:11], v[12:13], off
	s_mov_b32 s6, 0
	s_branch .LBB55_2516
.LBB55_2513:
	s_mov_b32 s6, -1
                                        ; implicit-def: $vgpr10
	s_branch .LBB55_2522
.LBB55_2514:
	s_mov_b32 s6, -1
                                        ; implicit-def: $vgpr10
	s_branch .LBB55_2519
.LBB55_2515:
	s_mov_b32 s6, -1
                                        ; implicit-def: $vgpr10
.LBB55_2516:
	s_delay_alu instid0(SALU_CYCLE_1)
	s_and_not1_b32 vcc_lo, exec_lo, s6
	s_cbranch_vccnz .LBB55_2518
; %bb.2517:
	s_wait_loadcnt 0x0
	global_load_b32 v10, v[12:13], off
.LBB55_2518:
	s_mov_b32 s6, 0
.LBB55_2519:
	s_delay_alu instid0(SALU_CYCLE_1)
	s_and_not1_b32 vcc_lo, exec_lo, s6
	s_cbranch_vccnz .LBB55_2521
; %bb.2520:
	s_wait_loadcnt 0x0
	global_load_u16 v10, v[12:13], off
.LBB55_2521:
	s_mov_b32 s6, 0
.LBB55_2522:
	s_delay_alu instid0(SALU_CYCLE_1)
	s_and_not1_b32 vcc_lo, exec_lo, s6
	s_cbranch_vccnz .LBB55_2528
; %bb.2523:
	s_cmp_gt_i32 s11, 0
	s_mov_b32 s6, 0
	s_cbranch_scc0 .LBB55_2525
; %bb.2524:
	s_wait_loadcnt 0x0
	global_load_u8 v10, v[12:13], off
	s_branch .LBB55_2526
.LBB55_2525:
	s_mov_b32 s6, -1
                                        ; implicit-def: $vgpr10
.LBB55_2526:
	s_delay_alu instid0(SALU_CYCLE_1)
	s_and_not1_b32 vcc_lo, exec_lo, s6
	s_cbranch_vccnz .LBB55_2528
; %bb.2527:
	s_wait_loadcnt 0x0
	global_load_u8 v10, v[12:13], off
.LBB55_2528:
	s_mov_b32 s13, -1
.LBB55_2529:
	s_delay_alu instid0(SALU_CYCLE_1)
	s_and_not1_b32 vcc_lo, exec_lo, s13
	s_cbranch_vccnz .LBB55_2741
; %bb.2530:
	v_mov_b32_e32 v9, 0
	s_cmp_lt_i32 s12, 11
	s_delay_alu instid0(VALU_DEP_1)
	v_add_nc_u64_e32 v[8:9], s[0:1], v[8:9]
	s_cbranch_scc1 .LBB55_2537
; %bb.2531:
	s_cmp_gt_i32 s12, 25
	s_mov_b32 s1, 0
	s_cbranch_scc0 .LBB55_2538
; %bb.2532:
	s_cmp_gt_i32 s12, 28
	s_cbranch_scc0 .LBB55_2539
; %bb.2533:
	s_cmp_gt_i32 s12, 43
	;; [unrolled: 3-line block ×3, first 2 shown]
	s_cbranch_scc0 .LBB55_2542
; %bb.2535:
	s_cmp_eq_u32 s12, 46
	s_mov_b32 s7, 0
	s_cbranch_scc0 .LBB55_2543
; %bb.2536:
	global_load_b32 v5, v[8:9], off
	s_mov_b32 s0, 0
	s_mov_b32 s6, -1
	s_wait_loadcnt 0x0
	v_lshlrev_b32_e32 v5, 16, v5
	s_wait_xcnt 0x1
	s_delay_alu instid0(VALU_DEP_1)
	v_cvt_i32_f32_e32 v12, v5
	s_branch .LBB55_2545
.LBB55_2537:
	s_mov_b32 s0, -1
	s_mov_b32 s6, 0
                                        ; implicit-def: $vgpr12
	s_branch .LBB55_2607
.LBB55_2538:
	s_mov_b32 s7, -1
	s_mov_b32 s6, 0
	s_mov_b32 s0, 0
                                        ; implicit-def: $vgpr12
	s_branch .LBB55_2572
.LBB55_2539:
	s_mov_b32 s7, -1
	s_mov_b32 s6, 0
	s_mov_b32 s0, 0
                                        ; implicit-def: $vgpr12
	s_branch .LBB55_2555
.LBB55_2540:
	s_mov_b32 s7, -1
	s_mov_b32 s6, 0
	s_mov_b32 s0, 0
                                        ; implicit-def: $vgpr12
	s_branch .LBB55_2550
.LBB55_2541:
	s_or_b32 s10, s10, exec_lo
	s_trap 2
	s_cbranch_execz .LBB55_2478
	s_branch .LBB55_2479
.LBB55_2542:
	s_mov_b32 s7, -1
	s_mov_b32 s6, 0
	s_mov_b32 s0, 0
	s_branch .LBB55_2544
.LBB55_2543:
	s_mov_b32 s0, -1
	s_mov_b32 s6, 0
.LBB55_2544:
                                        ; implicit-def: $vgpr12
.LBB55_2545:
	s_and_b32 vcc_lo, exec_lo, s7
	s_cbranch_vccz .LBB55_2549
; %bb.2546:
	s_cmp_eq_u32 s12, 44
	s_cbranch_scc0 .LBB55_2548
; %bb.2547:
	global_load_u8 v5, v[8:9], off
	s_mov_b32 s0, 0
	s_mov_b32 s6, -1
	s_wait_loadcnt 0x0
	v_lshlrev_b32_e32 v7, 23, v5
	v_cmp_ne_u32_e32 vcc_lo, 0, v5
	s_delay_alu instid0(VALU_DEP_2) | instskip(SKIP_1) | instid1(VALU_DEP_1)
	v_cvt_i32_f32_e32 v7, v7
	s_wait_xcnt 0x1
	v_cndmask_b32_e32 v12, 0, v7, vcc_lo
	s_branch .LBB55_2549
.LBB55_2548:
	s_mov_b32 s0, -1
                                        ; implicit-def: $vgpr12
.LBB55_2549:
	s_mov_b32 s7, 0
.LBB55_2550:
	s_delay_alu instid0(SALU_CYCLE_1)
	s_and_b32 vcc_lo, exec_lo, s7
	s_cbranch_vccz .LBB55_2554
; %bb.2551:
	s_cmp_eq_u32 s12, 29
	s_cbranch_scc0 .LBB55_2553
; %bb.2552:
	global_load_b64 v[12:13], v[8:9], off
	s_mov_b32 s0, 0
	s_mov_b32 s6, -1
	s_branch .LBB55_2554
.LBB55_2553:
	s_mov_b32 s0, -1
                                        ; implicit-def: $vgpr12
.LBB55_2554:
	s_mov_b32 s7, 0
.LBB55_2555:
	s_delay_alu instid0(SALU_CYCLE_1)
	s_and_b32 vcc_lo, exec_lo, s7
	s_cbranch_vccz .LBB55_2571
; %bb.2556:
	s_cmp_lt_i32 s12, 27
	s_cbranch_scc1 .LBB55_2559
; %bb.2557:
	s_cmp_gt_i32 s12, 27
	s_cbranch_scc0 .LBB55_2560
; %bb.2558:
	s_wait_loadcnt 0x0
	global_load_b32 v12, v[8:9], off
	s_mov_b32 s6, 0
	s_branch .LBB55_2561
.LBB55_2559:
	s_mov_b32 s6, -1
                                        ; implicit-def: $vgpr12
	s_branch .LBB55_2564
.LBB55_2560:
	s_mov_b32 s6, -1
                                        ; implicit-def: $vgpr12
.LBB55_2561:
	s_delay_alu instid0(SALU_CYCLE_1)
	s_and_not1_b32 vcc_lo, exec_lo, s6
	s_cbranch_vccnz .LBB55_2563
; %bb.2562:
	s_wait_loadcnt 0x0
	global_load_u16 v12, v[8:9], off
.LBB55_2563:
	s_mov_b32 s6, 0
.LBB55_2564:
	s_delay_alu instid0(SALU_CYCLE_1)
	s_and_not1_b32 vcc_lo, exec_lo, s6
	s_cbranch_vccnz .LBB55_2570
; %bb.2565:
	global_load_u8 v5, v[8:9], off
	s_mov_b32 s7, 0
	s_mov_b32 s6, exec_lo
	s_wait_loadcnt 0x0
	v_cmpx_lt_i16_e32 0x7f, v5
	s_xor_b32 s6, exec_lo, s6
	s_cbranch_execz .LBB55_2582
; %bb.2566:
	v_cmp_ne_u16_e32 vcc_lo, 0x80, v5
	s_and_b32 s7, vcc_lo, exec_lo
	s_and_not1_saveexec_b32 s6, s6
	s_cbranch_execnz .LBB55_2583
.LBB55_2567:
	s_or_b32 exec_lo, exec_lo, s6
	v_mov_b32_e32 v12, 0
	s_and_saveexec_b32 s6, s7
	s_cbranch_execz .LBB55_2569
.LBB55_2568:
	v_and_b32_e32 v7, 0xffff, v5
	s_delay_alu instid0(VALU_DEP_1) | instskip(SKIP_1) | instid1(VALU_DEP_2)
	v_and_b32_e32 v11, 7, v7
	v_bfe_u32 v14, v7, 3, 4
	v_clz_i32_u32_e32 v12, v11
	s_delay_alu instid0(VALU_DEP_2) | instskip(NEXT) | instid1(VALU_DEP_2)
	v_cmp_eq_u32_e32 vcc_lo, 0, v14
	v_min_u32_e32 v12, 32, v12
	s_delay_alu instid0(VALU_DEP_1) | instskip(NEXT) | instid1(VALU_DEP_1)
	v_subrev_nc_u32_e32 v13, 28, v12
	v_dual_lshlrev_b32 v7, v13, v7 :: v_dual_sub_nc_u32 v12, 29, v12
	s_delay_alu instid0(VALU_DEP_1) | instskip(NEXT) | instid1(VALU_DEP_1)
	v_dual_lshlrev_b32 v5, 24, v5 :: v_dual_bitop2_b32 v7, 7, v7 bitop3:0x40
	v_dual_cndmask_b32 v12, v14, v12 :: v_dual_cndmask_b32 v7, v11, v7
	s_delay_alu instid0(VALU_DEP_2) | instskip(NEXT) | instid1(VALU_DEP_2)
	v_and_b32_e32 v5, 0x80000000, v5
	v_lshl_add_u32 v11, v12, 23, 0x3b800000
	s_delay_alu instid0(VALU_DEP_3) | instskip(NEXT) | instid1(VALU_DEP_1)
	v_lshlrev_b32_e32 v7, 20, v7
	v_or3_b32 v5, v5, v11, v7
	s_delay_alu instid0(VALU_DEP_1)
	v_cvt_i32_f32_e32 v12, v5
.LBB55_2569:
	s_or_b32 exec_lo, exec_lo, s6
.LBB55_2570:
	s_mov_b32 s6, -1
.LBB55_2571:
	s_mov_b32 s7, 0
.LBB55_2572:
	s_delay_alu instid0(SALU_CYCLE_1)
	s_and_b32 vcc_lo, exec_lo, s7
	s_cbranch_vccz .LBB55_2603
; %bb.2573:
	s_cmp_gt_i32 s12, 22
	s_cbranch_scc0 .LBB55_2581
; %bb.2574:
	s_cmp_lt_i32 s12, 24
	s_cbranch_scc1 .LBB55_2584
; %bb.2575:
	s_cmp_gt_i32 s12, 24
	s_cbranch_scc0 .LBB55_2585
; %bb.2576:
	global_load_u8 v5, v[8:9], off
	s_mov_b32 s6, 0
	s_mov_b32 s1, exec_lo
	s_wait_loadcnt 0x0
	v_cmpx_lt_i16_e32 0x7f, v5
	s_xor_b32 s1, exec_lo, s1
	s_cbranch_execz .LBB55_2597
; %bb.2577:
	v_cmp_ne_u16_e32 vcc_lo, 0x80, v5
	s_and_b32 s6, vcc_lo, exec_lo
	s_and_not1_saveexec_b32 s1, s1
	s_cbranch_execnz .LBB55_2598
.LBB55_2578:
	s_or_b32 exec_lo, exec_lo, s1
	v_mov_b32_e32 v12, 0
	s_and_saveexec_b32 s1, s6
	s_cbranch_execz .LBB55_2580
.LBB55_2579:
	v_and_b32_e32 v7, 0xffff, v5
	s_delay_alu instid0(VALU_DEP_1) | instskip(SKIP_1) | instid1(VALU_DEP_2)
	v_and_b32_e32 v11, 3, v7
	v_bfe_u32 v14, v7, 2, 5
	v_clz_i32_u32_e32 v12, v11
	s_delay_alu instid0(VALU_DEP_2) | instskip(NEXT) | instid1(VALU_DEP_2)
	v_cmp_eq_u32_e32 vcc_lo, 0, v14
	v_min_u32_e32 v12, 32, v12
	s_delay_alu instid0(VALU_DEP_1) | instskip(NEXT) | instid1(VALU_DEP_1)
	v_subrev_nc_u32_e32 v13, 29, v12
	v_dual_lshlrev_b32 v7, v13, v7 :: v_dual_sub_nc_u32 v12, 30, v12
	s_delay_alu instid0(VALU_DEP_1) | instskip(NEXT) | instid1(VALU_DEP_1)
	v_dual_lshlrev_b32 v5, 24, v5 :: v_dual_bitop2_b32 v7, 3, v7 bitop3:0x40
	v_dual_cndmask_b32 v12, v14, v12 :: v_dual_cndmask_b32 v7, v11, v7
	s_delay_alu instid0(VALU_DEP_2) | instskip(NEXT) | instid1(VALU_DEP_2)
	v_and_b32_e32 v5, 0x80000000, v5
	v_lshl_add_u32 v11, v12, 23, 0x37800000
	s_delay_alu instid0(VALU_DEP_3) | instskip(NEXT) | instid1(VALU_DEP_1)
	v_lshlrev_b32_e32 v7, 21, v7
	v_or3_b32 v5, v5, v11, v7
	s_delay_alu instid0(VALU_DEP_1)
	v_cvt_i32_f32_e32 v12, v5
.LBB55_2580:
	s_or_b32 exec_lo, exec_lo, s1
	s_mov_b32 s1, 0
	s_branch .LBB55_2586
.LBB55_2581:
	s_mov_b32 s1, -1
                                        ; implicit-def: $vgpr12
	s_branch .LBB55_2592
.LBB55_2582:
	s_and_not1_saveexec_b32 s6, s6
	s_cbranch_execz .LBB55_2567
.LBB55_2583:
	v_cmp_ne_u16_e32 vcc_lo, 0, v5
	s_and_not1_b32 s7, s7, exec_lo
	s_and_b32 s11, vcc_lo, exec_lo
	s_delay_alu instid0(SALU_CYCLE_1)
	s_or_b32 s7, s7, s11
	s_or_b32 exec_lo, exec_lo, s6
	v_mov_b32_e32 v12, 0
	s_and_saveexec_b32 s6, s7
	s_cbranch_execnz .LBB55_2568
	s_branch .LBB55_2569
.LBB55_2584:
	s_mov_b32 s1, -1
                                        ; implicit-def: $vgpr12
	s_branch .LBB55_2589
.LBB55_2585:
	s_mov_b32 s1, -1
                                        ; implicit-def: $vgpr12
.LBB55_2586:
	s_delay_alu instid0(SALU_CYCLE_1)
	s_and_b32 vcc_lo, exec_lo, s1
	s_cbranch_vccz .LBB55_2588
; %bb.2587:
	global_load_u8 v5, v[8:9], off
	s_wait_loadcnt 0x0
	v_lshlrev_b32_e32 v5, 24, v5
	s_delay_alu instid0(VALU_DEP_1) | instskip(NEXT) | instid1(VALU_DEP_1)
	v_and_b32_e32 v7, 0x7f000000, v5
	v_clz_i32_u32_e32 v11, v7
	s_wait_xcnt 0x1
	v_add_nc_u32_e32 v13, 0x1000000, v7
	v_cmp_ne_u32_e32 vcc_lo, 0, v7
	s_delay_alu instid0(VALU_DEP_3) | instskip(NEXT) | instid1(VALU_DEP_1)
	v_min_u32_e32 v11, 32, v11
	v_sub_nc_u32_e64 v11, v11, 4 clamp
	s_delay_alu instid0(VALU_DEP_1) | instskip(NEXT) | instid1(VALU_DEP_1)
	v_lshlrev_b32_e32 v12, v11, v7
	v_dual_lshlrev_b32 v11, 23, v11 :: v_dual_lshrrev_b32 v12, 4, v12
	s_delay_alu instid0(VALU_DEP_1) | instskip(NEXT) | instid1(VALU_DEP_1)
	v_dual_sub_nc_u32 v11, v12, v11 :: v_dual_ashrrev_i32 v12, 8, v13
	v_add_nc_u32_e32 v11, 0x3c000000, v11
	s_delay_alu instid0(VALU_DEP_1) | instskip(NEXT) | instid1(VALU_DEP_1)
	v_and_or_b32 v11, 0x7f800000, v12, v11
	v_cndmask_b32_e32 v7, 0, v11, vcc_lo
	s_delay_alu instid0(VALU_DEP_1) | instskip(NEXT) | instid1(VALU_DEP_1)
	v_and_or_b32 v5, 0x80000000, v5, v7
	v_cvt_i32_f32_e32 v12, v5
.LBB55_2588:
	s_mov_b32 s1, 0
.LBB55_2589:
	s_delay_alu instid0(SALU_CYCLE_1)
	s_and_not1_b32 vcc_lo, exec_lo, s1
	s_cbranch_vccnz .LBB55_2591
; %bb.2590:
	global_load_u8 v5, v[8:9], off
	s_wait_loadcnt 0x0
	v_lshlrev_b32_e32 v7, 25, v5
	v_lshlrev_b16 v5, 8, v5
	s_wait_xcnt 0x1
	s_delay_alu instid0(VALU_DEP_1) | instskip(SKIP_1) | instid1(VALU_DEP_2)
	v_and_or_b32 v12, 0x7f00, v5, 0.5
	v_bfe_i32 v5, v5, 0, 16
	v_dual_add_f32 v12, -0.5, v12 :: v_dual_lshrrev_b32 v11, 4, v7
	v_cmp_gt_u32_e32 vcc_lo, 0x8000000, v7
	s_delay_alu instid0(VALU_DEP_2) | instskip(NEXT) | instid1(VALU_DEP_1)
	v_or_b32_e32 v11, 0x70000000, v11
	v_mul_f32_e32 v11, 0x7800000, v11
	s_delay_alu instid0(VALU_DEP_1) | instskip(NEXT) | instid1(VALU_DEP_1)
	v_cndmask_b32_e32 v7, v11, v12, vcc_lo
	v_and_or_b32 v5, 0x80000000, v5, v7
	s_delay_alu instid0(VALU_DEP_1)
	v_cvt_i32_f32_e32 v12, v5
.LBB55_2591:
	s_mov_b32 s1, 0
	s_mov_b32 s6, -1
.LBB55_2592:
	s_and_not1_b32 vcc_lo, exec_lo, s1
	s_mov_b32 s1, 0
	s_cbranch_vccnz .LBB55_2603
; %bb.2593:
	s_cmp_gt_i32 s12, 14
	s_cbranch_scc0 .LBB55_2596
; %bb.2594:
	s_cmp_eq_u32 s12, 15
	s_cbranch_scc0 .LBB55_2599
; %bb.2595:
	global_load_u16 v5, v[8:9], off
	s_mov_b32 s0, 0
	s_mov_b32 s6, -1
	s_wait_loadcnt 0x0
	v_lshlrev_b32_e32 v5, 16, v5
	s_wait_xcnt 0x1
	s_delay_alu instid0(VALU_DEP_1)
	v_cvt_i32_f32_e32 v12, v5
	s_branch .LBB55_2601
.LBB55_2596:
	s_mov_b32 s1, -1
	s_branch .LBB55_2600
.LBB55_2597:
	s_and_not1_saveexec_b32 s1, s1
	s_cbranch_execz .LBB55_2578
.LBB55_2598:
	v_cmp_ne_u16_e32 vcc_lo, 0, v5
	s_and_not1_b32 s6, s6, exec_lo
	s_and_b32 s7, vcc_lo, exec_lo
	s_delay_alu instid0(SALU_CYCLE_1)
	s_or_b32 s6, s6, s7
	s_or_b32 exec_lo, exec_lo, s1
	v_mov_b32_e32 v12, 0
	s_and_saveexec_b32 s1, s6
	s_cbranch_execnz .LBB55_2579
	s_branch .LBB55_2580
.LBB55_2599:
	s_mov_b32 s0, -1
.LBB55_2600:
                                        ; implicit-def: $vgpr12
.LBB55_2601:
	s_and_b32 vcc_lo, exec_lo, s1
	s_mov_b32 s1, 0
	s_cbranch_vccz .LBB55_2603
; %bb.2602:
	s_cmp_lg_u32 s12, 11
	s_mov_b32 s1, -1
	s_cselect_b32 s0, -1, 0
.LBB55_2603:
	s_delay_alu instid0(SALU_CYCLE_1)
	s_and_b32 vcc_lo, exec_lo, s0
	s_cbranch_vccnz .LBB55_3143
; %bb.2604:
	s_and_not1_b32 vcc_lo, exec_lo, s1
	s_cbranch_vccnz .LBB55_2606
.LBB55_2605:
	global_load_u8 v5, v[8:9], off
	s_mov_b32 s6, -1
	s_wait_loadcnt 0x0
	v_cmp_ne_u16_e32 vcc_lo, 0, v5
	s_wait_xcnt 0x1
	v_cndmask_b32_e64 v12, 0, 1, vcc_lo
.LBB55_2606:
	s_mov_b32 s0, 0
.LBB55_2607:
	s_delay_alu instid0(SALU_CYCLE_1)
	s_and_b32 vcc_lo, exec_lo, s0
	s_cbranch_vccz .LBB55_2656
; %bb.2608:
	s_cmp_lt_i32 s12, 5
	s_cbranch_scc1 .LBB55_2613
; %bb.2609:
	s_cmp_lt_i32 s12, 8
	s_cbranch_scc1 .LBB55_2614
; %bb.2610:
	s_cmp_lt_i32 s12, 9
	s_cbranch_scc1 .LBB55_2615
; %bb.2611:
	s_cmp_gt_i32 s12, 9
	s_cbranch_scc0 .LBB55_2616
; %bb.2612:
	s_wait_loadcnt 0x0
	global_load_b64 v[12:13], v[8:9], off
	s_mov_b32 s0, 0
	s_wait_loadcnt 0x0
	v_cvt_i32_f64_e32 v12, v[12:13]
	s_branch .LBB55_2617
.LBB55_2613:
	s_mov_b32 s0, -1
                                        ; implicit-def: $vgpr12
	s_branch .LBB55_2635
.LBB55_2614:
	s_mov_b32 s0, -1
                                        ; implicit-def: $vgpr12
	s_branch .LBB55_2623
.LBB55_2615:
	s_mov_b32 s0, -1
                                        ; implicit-def: $vgpr12
	s_branch .LBB55_2620
.LBB55_2616:
	s_mov_b32 s0, -1
                                        ; implicit-def: $vgpr12
.LBB55_2617:
	s_delay_alu instid0(SALU_CYCLE_1)
	s_and_not1_b32 vcc_lo, exec_lo, s0
	s_cbranch_vccnz .LBB55_2619
; %bb.2618:
	global_load_b32 v5, v[8:9], off
	s_wait_loadcnt 0x0
	s_wait_xcnt 0x1
	v_cvt_i32_f32_e32 v12, v5
.LBB55_2619:
	s_mov_b32 s0, 0
.LBB55_2620:
	s_delay_alu instid0(SALU_CYCLE_1)
	s_and_not1_b32 vcc_lo, exec_lo, s0
	s_cbranch_vccnz .LBB55_2622
; %bb.2621:
	global_load_b32 v5, v[8:9], off
	s_wait_loadcnt 0x0
	s_wait_xcnt 0x1
	v_cvt_i16_f16_e32 v12, v5
.LBB55_2622:
	s_mov_b32 s0, 0
.LBB55_2623:
	s_delay_alu instid0(SALU_CYCLE_1)
	s_and_not1_b32 vcc_lo, exec_lo, s0
	s_cbranch_vccnz .LBB55_2634
; %bb.2624:
	s_cmp_lt_i32 s12, 6
	s_cbranch_scc1 .LBB55_2627
; %bb.2625:
	s_cmp_gt_i32 s12, 6
	s_cbranch_scc0 .LBB55_2628
; %bb.2626:
	s_wait_loadcnt 0x0
	global_load_b64 v[12:13], v[8:9], off
	s_mov_b32 s0, 0
	s_wait_loadcnt 0x0
	v_cvt_i32_f64_e32 v12, v[12:13]
	s_branch .LBB55_2629
.LBB55_2627:
	s_mov_b32 s0, -1
                                        ; implicit-def: $vgpr12
	s_branch .LBB55_2632
.LBB55_2628:
	s_mov_b32 s0, -1
                                        ; implicit-def: $vgpr12
.LBB55_2629:
	s_delay_alu instid0(SALU_CYCLE_1)
	s_and_not1_b32 vcc_lo, exec_lo, s0
	s_cbranch_vccnz .LBB55_2631
; %bb.2630:
	global_load_b32 v5, v[8:9], off
	s_wait_loadcnt 0x0
	s_wait_xcnt 0x1
	v_cvt_i32_f32_e32 v12, v5
.LBB55_2631:
	s_mov_b32 s0, 0
.LBB55_2632:
	s_delay_alu instid0(SALU_CYCLE_1)
	s_and_not1_b32 vcc_lo, exec_lo, s0
	s_cbranch_vccnz .LBB55_2634
; %bb.2633:
	global_load_u16 v5, v[8:9], off
	s_wait_loadcnt 0x0
	s_wait_xcnt 0x1
	v_cvt_i16_f16_e32 v12, v5
.LBB55_2634:
	s_mov_b32 s0, 0
.LBB55_2635:
	s_delay_alu instid0(SALU_CYCLE_1)
	s_and_not1_b32 vcc_lo, exec_lo, s0
	s_cbranch_vccnz .LBB55_2655
; %bb.2636:
	s_cmp_lt_i32 s12, 2
	s_cbranch_scc1 .LBB55_2640
; %bb.2637:
	s_cmp_lt_i32 s12, 3
	s_cbranch_scc1 .LBB55_2641
; %bb.2638:
	s_cmp_gt_i32 s12, 3
	s_cbranch_scc0 .LBB55_2642
; %bb.2639:
	s_wait_loadcnt 0x0
	global_load_b64 v[12:13], v[8:9], off
	s_mov_b32 s0, 0
	s_branch .LBB55_2643
.LBB55_2640:
	s_mov_b32 s0, -1
                                        ; implicit-def: $vgpr12
	s_branch .LBB55_2649
.LBB55_2641:
	s_mov_b32 s0, -1
                                        ; implicit-def: $vgpr12
	s_branch .LBB55_2646
.LBB55_2642:
	s_mov_b32 s0, -1
                                        ; implicit-def: $vgpr12
.LBB55_2643:
	s_delay_alu instid0(SALU_CYCLE_1)
	s_and_not1_b32 vcc_lo, exec_lo, s0
	s_cbranch_vccnz .LBB55_2645
; %bb.2644:
	s_wait_loadcnt 0x0
	global_load_b32 v12, v[8:9], off
.LBB55_2645:
	s_mov_b32 s0, 0
.LBB55_2646:
	s_delay_alu instid0(SALU_CYCLE_1)
	s_and_not1_b32 vcc_lo, exec_lo, s0
	s_cbranch_vccnz .LBB55_2648
; %bb.2647:
	s_wait_loadcnt 0x0
	global_load_u16 v12, v[8:9], off
.LBB55_2648:
	s_mov_b32 s0, 0
.LBB55_2649:
	s_delay_alu instid0(SALU_CYCLE_1)
	s_and_not1_b32 vcc_lo, exec_lo, s0
	s_cbranch_vccnz .LBB55_2655
; %bb.2650:
	s_cmp_gt_i32 s12, 0
	s_mov_b32 s0, 0
	s_cbranch_scc0 .LBB55_2652
; %bb.2651:
	s_wait_loadcnt 0x0
	global_load_u8 v12, v[8:9], off
	s_branch .LBB55_2653
.LBB55_2652:
	s_mov_b32 s0, -1
                                        ; implicit-def: $vgpr12
.LBB55_2653:
	s_delay_alu instid0(SALU_CYCLE_1)
	s_and_not1_b32 vcc_lo, exec_lo, s0
	s_cbranch_vccnz .LBB55_2655
; %bb.2654:
	s_wait_loadcnt 0x0
	global_load_u8 v12, v[8:9], off
.LBB55_2655:
	s_mov_b32 s6, -1
.LBB55_2656:
	s_delay_alu instid0(SALU_CYCLE_1)
	s_and_not1_b32 vcc_lo, exec_lo, s6
	s_cbranch_vccnz .LBB55_2741
; %bb.2657:
	s_wait_loadcnt 0x0
	s_delay_alu instid0(VALU_DEP_1) | instskip(NEXT) | instid1(VALU_DEP_4)
	v_bfe_i32 v5, v12, 0, 8
	v_and_b32_e32 v7, 0xff, v10
	s_mov_b32 s1, 0
	s_wait_xcnt 0x0
	s_delay_alu instid0(VALU_DEP_2) | instskip(NEXT) | instid1(VALU_DEP_2)
	v_sub_nc_u16 v8, 0, v5
	v_cmp_ne_u16_e32 vcc_lo, 0, v7
	v_bfe_i32 v7, v10, 0, 8
	s_delay_alu instid0(VALU_DEP_3)
	v_max_i16 v9, v5, v8
	s_and_saveexec_b32 s0, vcc_lo
	s_cbranch_execz .LBB55_2661
; %bb.2658:
	s_delay_alu instid0(VALU_DEP_2) | instskip(NEXT) | instid1(VALU_DEP_1)
	v_sub_nc_u16 v8, 0, v7
	v_max_i16 v10, v7, v8
	v_and_b32_e32 v8, 0xff, v9
	s_delay_alu instid0(VALU_DEP_2)
	v_and_b32_e32 v10, 0xffff, v10
.LBB55_2659:                            ; =>This Inner Loop Header: Depth=1
	s_delay_alu instid0(VALU_DEP_2) | instskip(NEXT) | instid1(VALU_DEP_2)
	v_bfe_i32 v12, v8, 0, 8
	v_mov_b32_e32 v9, v10
	s_delay_alu instid0(VALU_DEP_2) | instskip(NEXT) | instid1(VALU_DEP_2)
	v_cvt_f32_i32_e32 v14, v12
	v_bfe_i32 v10, v9, 0, 8
	s_delay_alu instid0(VALU_DEP_1) | instskip(SKIP_1) | instid1(VALU_DEP_2)
	v_cvt_f32_i32_e32 v11, v10
	v_xor_b32_e32 v10, v12, v10
	v_rcp_iflag_f32_e32 v13, v11
	v_nop
	s_delay_alu instid0(TRANS32_DEP_1) | instskip(NEXT) | instid1(VALU_DEP_1)
	v_dual_ashrrev_i32 v10, 30, v10 :: v_dual_mul_f32 v12, v14, v13
	v_trunc_f32_e32 v12, v12
	s_delay_alu instid0(VALU_DEP_1) | instskip(SKIP_1) | instid1(VALU_DEP_2)
	v_dual_fma_f32 v13, -v12, v11, v14 :: v_dual_bitop2_b32 v10, 1, v10 bitop3:0x54
	v_cvt_i32_f32_e32 v12, v12
	v_cmp_ge_f32_e64 vcc_lo, |v13|, |v11|
	s_delay_alu instid0(VALU_DEP_3) | instskip(NEXT) | instid1(VALU_DEP_1)
	v_cndmask_b32_e32 v10, 0, v10, vcc_lo
	v_add_nc_u32_e32 v10, v12, v10
	s_delay_alu instid0(VALU_DEP_1) | instskip(NEXT) | instid1(VALU_DEP_1)
	v_mul_lo_u32 v10, v10, v9
	v_sub_nc_u32_e32 v8, v8, v10
	s_delay_alu instid0(VALU_DEP_1) | instskip(SKIP_1) | instid1(VALU_DEP_2)
	v_bfe_i32 v10, v8, 0, 8
	v_mov_b32_e32 v8, v9
	v_cmp_eq_u16_e32 vcc_lo, 0, v10
	v_and_b32_e32 v10, 0xffff, v10
	s_or_b32 s1, vcc_lo, s1
	s_delay_alu instid0(SALU_CYCLE_1)
	s_and_not1_b32 exec_lo, exec_lo, s1
	s_cbranch_execnz .LBB55_2659
; %bb.2660:
	s_or_b32 exec_lo, exec_lo, s1
.LBB55_2661:
	s_delay_alu instid0(SALU_CYCLE_1) | instskip(NEXT) | instid1(VALU_DEP_1)
	s_or_b32 exec_lo, exec_lo, s0
	v_and_b32_e32 v10, 0xff, v9
	v_mov_b32_e32 v8, 0
	s_mov_b32 s0, exec_lo
	s_delay_alu instid0(VALU_DEP_2)
	v_cmpx_ne_u16_e32 0, v10
	s_cbranch_execz .LBB55_2663
; %bb.2662:
	v_bfe_i32 v8, v9, 0, 8
	v_cvt_f32_i32_e32 v11, v7
	s_delay_alu instid0(VALU_DEP_2) | instskip(SKIP_1) | instid1(VALU_DEP_2)
	v_cvt_f32_i32_e32 v9, v8
	v_xor_b32_e32 v7, v7, v8
	v_rcp_iflag_f32_e32 v10, v9
	s_delay_alu instid0(VALU_DEP_1)
	v_ashrrev_i32_e32 v7, 30, v7
	s_delay_alu instid0(TRANS32_DEP_1) | instid1(VALU_DEP_1)
	v_dual_mul_f32 v10, v11, v10 :: v_dual_bitop2_b32 v7, 1, v7 bitop3:0x54
	s_delay_alu instid0(VALU_DEP_1) | instskip(NEXT) | instid1(VALU_DEP_1)
	v_trunc_f32_e32 v8, v10
	v_fma_f32 v10, -v8, v9, v11
	v_cvt_i32_f32_e32 v8, v8
	s_delay_alu instid0(VALU_DEP_2) | instskip(SKIP_1) | instid1(VALU_DEP_1)
	v_cmp_ge_f32_e64 vcc_lo, |v10|, |v9|
	v_cndmask_b32_e32 v7, 0, v7, vcc_lo
	v_add_nc_u32_e32 v7, v8, v7
	s_delay_alu instid0(VALU_DEP_1) | instskip(NEXT) | instid1(VALU_DEP_1)
	v_bfe_i32 v7, v7, 0, 8
	v_mul_i32_i24_e32 v5, v7, v5
	s_delay_alu instid0(VALU_DEP_1) | instskip(NEXT) | instid1(VALU_DEP_1)
	v_sub_nc_u32_e32 v7, 0, v5
	v_max_i32_e32 v8, v5, v7
.LBB55_2663:
	s_or_b32 exec_lo, exec_lo, s0
	v_mov_b32_e32 v7, 0
	global_load_u8 v5, v7, s[2:3] offset:417
	s_wait_xcnt 0x0
	v_add_nc_u64_e32 v[6:7], s[4:5], v[6:7]
	s_wait_loadcnt 0x0
	v_and_b32_e32 v9, 0xffff, v5
	v_readfirstlane_b32 s1, v5
	s_delay_alu instid0(VALU_DEP_2)
	v_cmp_gt_i32_e32 vcc_lo, 11, v9
	s_cbranch_vccnz .LBB55_2786
; %bb.2664:
	s_and_b32 s2, 0xffff, s1
	s_mov_b32 s7, -1
	s_mov_b32 s3, 0
	s_cmp_gt_i32 s2, 25
	s_mov_b32 s6, 0
	s_mov_b32 s0, 0
	s_cbranch_scc0 .LBB55_2697
; %bb.2665:
	s_cmp_gt_i32 s2, 28
	s_cbranch_scc0 .LBB55_2680
; %bb.2666:
	s_cmp_gt_i32 s2, 43
	s_cbranch_scc0 .LBB55_2676
; %bb.2667:
	s_cmp_gt_i32 s2, 45
	s_cbranch_scc0 .LBB55_2670
; %bb.2668:
	s_mov_b32 s0, -1
	s_mov_b32 s7, 0
	s_cmp_eq_u32 s2, 46
	s_cbranch_scc0 .LBB55_2670
; %bb.2669:
	v_bfe_i32 v5, v1, 0, 8
	s_mov_b32 s0, 0
	s_mov_b32 s6, -1
	s_delay_alu instid0(VALU_DEP_1) | instskip(NEXT) | instid1(VALU_DEP_1)
	v_bfe_i32 v5, v5, 0, 16
	v_cvt_f32_i32_e32 v5, v5
	s_delay_alu instid0(VALU_DEP_1) | instskip(NEXT) | instid1(VALU_DEP_1)
	v_bfe_u32 v9, v5, 16, 1
	v_add3_u32 v5, v5, v9, 0x7fff
	s_delay_alu instid0(VALU_DEP_1)
	v_lshrrev_b32_e32 v5, 16, v5
	global_store_b32 v[6:7], v5, off
.LBB55_2670:
	s_and_b32 vcc_lo, exec_lo, s7
	s_cbranch_vccz .LBB55_2675
; %bb.2671:
	s_cmp_eq_u32 s2, 44
	s_mov_b32 s0, -1
	s_cbranch_scc0 .LBB55_2675
; %bb.2672:
	s_wait_xcnt 0x0
	v_bfe_i32 v5, v1, 0, 8
	v_mov_b32_e32 v9, 0xff
	s_mov_b32 s6, exec_lo
	s_delay_alu instid0(VALU_DEP_2) | instskip(NEXT) | instid1(VALU_DEP_1)
	v_bfe_i32 v5, v5, 0, 16
	v_cvt_f32_i32_e32 v5, v5
	s_delay_alu instid0(VALU_DEP_1) | instskip(NEXT) | instid1(VALU_DEP_1)
	v_bfe_u32 v10, v5, 23, 8
	v_cmpx_ne_u32_e32 0xff, v10
	s_cbranch_execz .LBB55_2674
; %bb.2673:
	v_and_b32_e32 v9, 0x400000, v5
	v_and_or_b32 v10, 0x3fffff, v5, v10
	v_lshrrev_b32_e32 v5, 23, v5
	s_delay_alu instid0(VALU_DEP_3) | instskip(NEXT) | instid1(VALU_DEP_3)
	v_cmp_ne_u32_e32 vcc_lo, 0, v9
	v_cmp_ne_u32_e64 s0, 0, v10
	s_and_b32 s0, vcc_lo, s0
	s_delay_alu instid0(SALU_CYCLE_1) | instskip(NEXT) | instid1(VALU_DEP_1)
	v_cndmask_b32_e64 v9, 0, 1, s0
	v_add_nc_u32_e32 v9, v5, v9
.LBB55_2674:
	s_or_b32 exec_lo, exec_lo, s6
	s_mov_b32 s0, 0
	s_mov_b32 s6, -1
	global_store_b8 v[6:7], v9, off
.LBB55_2675:
	s_mov_b32 s7, 0
.LBB55_2676:
	s_delay_alu instid0(SALU_CYCLE_1)
	s_and_b32 vcc_lo, exec_lo, s7
	s_cbranch_vccz .LBB55_2679
; %bb.2677:
	s_cmp_eq_u32 s2, 29
	s_mov_b32 s0, -1
	s_cbranch_scc0 .LBB55_2679
; %bb.2678:
	v_bfe_i32 v10, v1, 0, 8
	s_mov_b32 s0, 0
	s_mov_b32 s6, -1
	s_delay_alu instid0(VALU_DEP_1)
	v_ashrrev_i32_e32 v11, 31, v10
	global_store_b64 v[6:7], v[10:11], off
.LBB55_2679:
	s_mov_b32 s7, 0
.LBB55_2680:
	s_delay_alu instid0(SALU_CYCLE_1)
	s_and_b32 vcc_lo, exec_lo, s7
	s_cbranch_vccz .LBB55_2696
; %bb.2681:
	s_cmp_lt_i32 s2, 27
	s_mov_b32 s6, -1
	s_cbranch_scc1 .LBB55_2687
; %bb.2682:
	s_cmp_gt_i32 s2, 27
	s_cbranch_scc0 .LBB55_2684
; %bb.2683:
	s_wait_xcnt 0x0
	v_bfe_i32 v5, v1, 0, 8
	s_mov_b32 s6, 0
	global_store_b32 v[6:7], v5, off
.LBB55_2684:
	s_and_not1_b32 vcc_lo, exec_lo, s6
	s_cbranch_vccnz .LBB55_2686
; %bb.2685:
	s_wait_xcnt 0x0
	v_bfe_i32 v5, v1, 0, 8
	global_store_b16 v[6:7], v5, off
.LBB55_2686:
	s_mov_b32 s6, 0
.LBB55_2687:
	s_delay_alu instid0(SALU_CYCLE_1)
	s_and_not1_b32 vcc_lo, exec_lo, s6
	s_cbranch_vccnz .LBB55_2695
; %bb.2688:
	s_wait_xcnt 0x0
	v_bfe_i32 v5, v1, 0, 8
	v_mov_b32_e32 v10, 0x80
	s_mov_b32 s6, exec_lo
	s_delay_alu instid0(VALU_DEP_2) | instskip(NEXT) | instid1(VALU_DEP_1)
	v_bfe_i32 v5, v5, 0, 16
	v_cvt_f32_i32_e32 v5, v5
	s_delay_alu instid0(VALU_DEP_1) | instskip(NEXT) | instid1(VALU_DEP_1)
	v_and_b32_e32 v9, 0x7fffffff, v5
	v_cmpx_gt_u32_e32 0x43800000, v9
	s_cbranch_execz .LBB55_2694
; %bb.2689:
	v_cmp_lt_u32_e32 vcc_lo, 0x3bffffff, v9
	s_mov_b32 s7, 0
                                        ; implicit-def: $vgpr9
	s_and_saveexec_b32 s11, vcc_lo
	s_delay_alu instid0(SALU_CYCLE_1)
	s_xor_b32 s11, exec_lo, s11
	s_cbranch_execz .LBB55_3144
; %bb.2690:
	v_bfe_u32 v9, v5, 20, 1
	s_mov_b32 s7, exec_lo
	s_delay_alu instid0(VALU_DEP_1) | instskip(NEXT) | instid1(VALU_DEP_1)
	v_add3_u32 v9, v5, v9, 0x487ffff
	v_lshrrev_b32_e32 v9, 20, v9
	s_and_not1_saveexec_b32 s11, s11
	s_cbranch_execnz .LBB55_3145
.LBB55_2691:
	s_or_b32 exec_lo, exec_lo, s11
	v_mov_b32_e32 v10, 0
	s_and_saveexec_b32 s11, s7
.LBB55_2692:
	v_lshrrev_b32_e32 v5, 24, v5
	s_delay_alu instid0(VALU_DEP_1)
	v_and_or_b32 v10, 0x80, v5, v9
.LBB55_2693:
	s_or_b32 exec_lo, exec_lo, s11
.LBB55_2694:
	s_delay_alu instid0(SALU_CYCLE_1)
	s_or_b32 exec_lo, exec_lo, s6
	global_store_b8 v[6:7], v10, off
.LBB55_2695:
	s_mov_b32 s6, -1
.LBB55_2696:
	s_mov_b32 s7, 0
.LBB55_2697:
	s_delay_alu instid0(SALU_CYCLE_1)
	s_and_b32 vcc_lo, exec_lo, s7
	s_cbranch_vccz .LBB55_2737
; %bb.2698:
	s_cmp_gt_i32 s2, 22
	s_mov_b32 s3, -1
	s_cbranch_scc0 .LBB55_2730
; %bb.2699:
	s_cmp_lt_i32 s2, 24
	s_cbranch_scc1 .LBB55_2719
; %bb.2700:
	s_cmp_gt_i32 s2, 24
	s_cbranch_scc0 .LBB55_2708
; %bb.2701:
	s_wait_xcnt 0x0
	v_bfe_i32 v5, v1, 0, 8
	v_mov_b32_e32 v10, 0x80
	s_mov_b32 s3, exec_lo
	s_delay_alu instid0(VALU_DEP_2) | instskip(NEXT) | instid1(VALU_DEP_1)
	v_bfe_i32 v5, v5, 0, 16
	v_cvt_f32_i32_e32 v5, v5
	s_delay_alu instid0(VALU_DEP_1) | instskip(NEXT) | instid1(VALU_DEP_1)
	v_and_b32_e32 v9, 0x7fffffff, v5
	v_cmpx_gt_u32_e32 0x47800000, v9
	s_cbranch_execz .LBB55_2707
; %bb.2702:
	v_cmp_lt_u32_e32 vcc_lo, 0x37ffffff, v9
	s_mov_b32 s6, 0
                                        ; implicit-def: $vgpr9
	s_and_saveexec_b32 s7, vcc_lo
	s_delay_alu instid0(SALU_CYCLE_1)
	s_xor_b32 s7, exec_lo, s7
	s_cbranch_execz .LBB55_3147
; %bb.2703:
	v_bfe_u32 v9, v5, 21, 1
	s_mov_b32 s6, exec_lo
	s_delay_alu instid0(VALU_DEP_1) | instskip(NEXT) | instid1(VALU_DEP_1)
	v_add3_u32 v9, v5, v9, 0x88fffff
	v_lshrrev_b32_e32 v9, 21, v9
	s_and_not1_saveexec_b32 s7, s7
	s_cbranch_execnz .LBB55_3148
.LBB55_2704:
	s_or_b32 exec_lo, exec_lo, s7
	v_mov_b32_e32 v10, 0
	s_and_saveexec_b32 s7, s6
.LBB55_2705:
	v_lshrrev_b32_e32 v5, 24, v5
	s_delay_alu instid0(VALU_DEP_1)
	v_and_or_b32 v10, 0x80, v5, v9
.LBB55_2706:
	s_or_b32 exec_lo, exec_lo, s7
.LBB55_2707:
	s_delay_alu instid0(SALU_CYCLE_1)
	s_or_b32 exec_lo, exec_lo, s3
	s_mov_b32 s3, 0
	global_store_b8 v[6:7], v10, off
.LBB55_2708:
	s_and_b32 vcc_lo, exec_lo, s3
	s_cbranch_vccz .LBB55_2718
; %bb.2709:
	s_wait_xcnt 0x0
	v_bfe_i32 v5, v1, 0, 8
	s_mov_b32 s3, exec_lo
                                        ; implicit-def: $vgpr9
	s_delay_alu instid0(VALU_DEP_1) | instskip(NEXT) | instid1(VALU_DEP_1)
	v_bfe_i32 v5, v5, 0, 16
	v_cvt_f32_i32_e32 v5, v5
	s_delay_alu instid0(VALU_DEP_1) | instskip(NEXT) | instid1(VALU_DEP_1)
	v_and_b32_e32 v10, 0x7fffffff, v5
	v_cmpx_gt_u32_e32 0x43f00000, v10
	s_xor_b32 s3, exec_lo, s3
	s_cbranch_execz .LBB55_2715
; %bb.2710:
	s_mov_b32 s6, exec_lo
                                        ; implicit-def: $vgpr9
	v_cmpx_lt_u32_e32 0x3c7fffff, v10
	s_xor_b32 s6, exec_lo, s6
; %bb.2711:
	v_bfe_u32 v9, v5, 20, 1
	s_delay_alu instid0(VALU_DEP_1) | instskip(NEXT) | instid1(VALU_DEP_1)
	v_add3_u32 v9, v5, v9, 0x407ffff
	v_and_b32_e32 v10, 0xff00000, v9
	v_lshrrev_b32_e32 v9, 20, v9
	s_delay_alu instid0(VALU_DEP_2) | instskip(NEXT) | instid1(VALU_DEP_2)
	v_cmp_ne_u32_e32 vcc_lo, 0x7f00000, v10
	v_cndmask_b32_e32 v9, 0x7e, v9, vcc_lo
; %bb.2712:
	s_and_not1_saveexec_b32 s6, s6
; %bb.2713:
	v_add_f32_e64 v9, 0x46800000, |v5|
; %bb.2714:
	s_or_b32 exec_lo, exec_lo, s6
                                        ; implicit-def: $vgpr10
.LBB55_2715:
	s_and_not1_saveexec_b32 s3, s3
; %bb.2716:
	v_mov_b32_e32 v9, 0x7f
	v_cmp_lt_u32_e32 vcc_lo, 0x7f800000, v10
	s_delay_alu instid0(VALU_DEP_2)
	v_cndmask_b32_e32 v9, 0x7e, v9, vcc_lo
; %bb.2717:
	s_or_b32 exec_lo, exec_lo, s3
	v_lshrrev_b32_e32 v5, 24, v5
	s_delay_alu instid0(VALU_DEP_1)
	v_and_or_b32 v5, 0x80, v5, v9
	global_store_b8 v[6:7], v5, off
.LBB55_2718:
	s_mov_b32 s3, 0
.LBB55_2719:
	s_delay_alu instid0(SALU_CYCLE_1)
	s_and_not1_b32 vcc_lo, exec_lo, s3
	s_cbranch_vccnz .LBB55_2729
; %bb.2720:
	s_wait_xcnt 0x0
	v_bfe_i32 v5, v1, 0, 8
	s_mov_b32 s3, exec_lo
                                        ; implicit-def: $vgpr9
	s_delay_alu instid0(VALU_DEP_1) | instskip(NEXT) | instid1(VALU_DEP_1)
	v_bfe_i32 v5, v5, 0, 16
	v_cvt_f32_i32_e32 v5, v5
	s_delay_alu instid0(VALU_DEP_1) | instskip(NEXT) | instid1(VALU_DEP_1)
	v_and_b32_e32 v10, 0x7fffffff, v5
	v_cmpx_gt_u32_e32 0x47800000, v10
	s_xor_b32 s3, exec_lo, s3
	s_cbranch_execz .LBB55_2726
; %bb.2721:
	s_mov_b32 s6, exec_lo
                                        ; implicit-def: $vgpr9
	v_cmpx_lt_u32_e32 0x387fffff, v10
	s_xor_b32 s6, exec_lo, s6
; %bb.2722:
	v_bfe_u32 v9, v5, 21, 1
	s_delay_alu instid0(VALU_DEP_1) | instskip(NEXT) | instid1(VALU_DEP_1)
	v_add3_u32 v9, v5, v9, 0x80fffff
	v_lshrrev_b32_e32 v9, 21, v9
; %bb.2723:
	s_and_not1_saveexec_b32 s6, s6
; %bb.2724:
	v_add_f32_e64 v9, 0x43000000, |v5|
; %bb.2725:
	s_or_b32 exec_lo, exec_lo, s6
                                        ; implicit-def: $vgpr10
.LBB55_2726:
	s_and_not1_saveexec_b32 s3, s3
; %bb.2727:
	v_mov_b32_e32 v9, 0x7f
	v_cmp_lt_u32_e32 vcc_lo, 0x7f800000, v10
	s_delay_alu instid0(VALU_DEP_2)
	v_cndmask_b32_e32 v9, 0x7c, v9, vcc_lo
; %bb.2728:
	s_or_b32 exec_lo, exec_lo, s3
	v_lshrrev_b32_e32 v5, 24, v5
	s_delay_alu instid0(VALU_DEP_1)
	v_and_or_b32 v5, 0x80, v5, v9
	global_store_b8 v[6:7], v5, off
.LBB55_2729:
	s_mov_b32 s3, 0
	s_mov_b32 s6, -1
.LBB55_2730:
	s_and_not1_b32 vcc_lo, exec_lo, s3
	s_mov_b32 s3, 0
	s_cbranch_vccnz .LBB55_2737
; %bb.2731:
	s_cmp_gt_i32 s2, 14
	s_mov_b32 s3, -1
	s_cbranch_scc0 .LBB55_2735
; %bb.2732:
	s_cmp_eq_u32 s2, 15
	s_mov_b32 s0, -1
	s_cbranch_scc0 .LBB55_2734
; %bb.2733:
	s_wait_xcnt 0x0
	v_bfe_i32 v5, v1, 0, 8
	s_mov_b32 s0, 0
	s_mov_b32 s6, -1
	s_delay_alu instid0(VALU_DEP_1) | instskip(NEXT) | instid1(VALU_DEP_1)
	v_bfe_i32 v5, v5, 0, 16
	v_cvt_f32_i32_e32 v5, v5
	s_delay_alu instid0(VALU_DEP_1) | instskip(NEXT) | instid1(VALU_DEP_1)
	v_bfe_u32 v9, v5, 16, 1
	v_add3_u32 v5, v5, v9, 0x7fff
	global_store_d16_hi_b16 v[6:7], v5, off
.LBB55_2734:
	s_mov_b32 s3, 0
.LBB55_2735:
	s_delay_alu instid0(SALU_CYCLE_1)
	s_and_b32 vcc_lo, exec_lo, s3
	s_mov_b32 s3, 0
	s_cbranch_vccz .LBB55_2737
; %bb.2736:
	s_cmp_lg_u32 s2, 11
	s_mov_b32 s3, -1
	s_cselect_b32 s0, -1, 0
.LBB55_2737:
	s_delay_alu instid0(SALU_CYCLE_1)
	s_and_b32 vcc_lo, exec_lo, s0
	s_cbranch_vccnz .LBB55_3146
; %bb.2738:
	s_and_not1_b32 vcc_lo, exec_lo, s3
	s_cbranch_vccnz .LBB55_2740
.LBB55_2739:
	s_wait_xcnt 0x0
	v_and_b32_e32 v5, 0xff, v1
	s_mov_b32 s6, -1
	s_delay_alu instid0(VALU_DEP_1)
	v_cmp_ne_u16_e32 vcc_lo, 0, v5
	v_cndmask_b32_e64 v5, 0, 1, vcc_lo
	global_store_b8 v[6:7], v5, off
.LBB55_2740:
	s_mov_b32 s0, 0
	s_branch .LBB55_2787
.LBB55_2741:
	s_mov_b32 s0, 0
	s_wait_xcnt 0x0
	s_mov_b32 s3, 0
                                        ; implicit-def: $vgpr2_vgpr3
                                        ; implicit-def: $sgpr1
                                        ; implicit-def: $vgpr8
.LBB55_2742:
	s_and_not1_b32 s2, s8, exec_lo
	s_and_b32 s4, s10, exec_lo
	s_and_b32 s0, s0, exec_lo
	;; [unrolled: 1-line block ×3, first 2 shown]
	s_or_b32 s8, s2, s4
.LBB55_2743:
	s_wait_xcnt 0x0
	s_or_b32 exec_lo, exec_lo, s9
	s_and_saveexec_b32 s2, s8
	s_cbranch_execz .LBB55_2746
; %bb.2744:
	; divergent unreachable
	s_or_b32 exec_lo, exec_lo, s2
	s_and_saveexec_b32 s2, s28
	s_delay_alu instid0(SALU_CYCLE_1)
	s_xor_b32 s2, exec_lo, s2
	s_cbranch_execnz .LBB55_2747
.LBB55_2745:
	s_or_b32 exec_lo, exec_lo, s2
	s_and_saveexec_b32 s2, s0
	s_cbranch_execnz .LBB55_2748
	s_branch .LBB55_2785
.LBB55_2746:
	s_or_b32 exec_lo, exec_lo, s2
	s_and_saveexec_b32 s2, s28
	s_delay_alu instid0(SALU_CYCLE_1)
	s_xor_b32 s2, exec_lo, s2
	s_cbranch_execz .LBB55_2745
.LBB55_2747:
	s_wait_loadcnt 0x0
	v_and_b32_e32 v0, 0xff, v8
	s_delay_alu instid0(VALU_DEP_1)
	v_cmp_ne_u16_e32 vcc_lo, 0, v0
	v_cndmask_b32_e64 v0, 0, 1, vcc_lo
	global_store_b8 v[2:3], v0, off
	s_wait_xcnt 0x0
	s_or_b32 exec_lo, exec_lo, s2
	s_and_saveexec_b32 s2, s0
	s_cbranch_execz .LBB55_2785
.LBB55_2748:
	s_sext_i32_i16 s2, s1
	s_mov_b32 s0, -1
	s_cmp_lt_i32 s2, 5
	s_cbranch_scc1 .LBB55_2769
; %bb.2749:
	s_cmp_lt_i32 s2, 8
	s_cbranch_scc1 .LBB55_2759
; %bb.2750:
	s_cmp_lt_i32 s2, 9
	s_cbranch_scc1 .LBB55_2756
; %bb.2751:
	s_cmp_gt_i32 s2, 9
	s_cbranch_scc0 .LBB55_2753
; %bb.2752:
	s_wait_loadcnt 0x0
	v_bfe_i32 v0, v8, 0, 8
	v_mov_b32_e32 v6, 0
	s_mov_b32 s0, 0
	s_delay_alu instid0(VALU_DEP_2) | instskip(NEXT) | instid1(VALU_DEP_2)
	v_bfe_i32 v0, v0, 0, 16
	v_mov_b32_e32 v7, v6
	s_delay_alu instid0(VALU_DEP_2)
	v_cvt_f64_i32_e32 v[4:5], v0
	global_store_b128 v[2:3], v[4:7], off
.LBB55_2753:
	s_and_not1_b32 vcc_lo, exec_lo, s0
	s_cbranch_vccnz .LBB55_2755
; %bb.2754:
	s_wait_loadcnt 0x0
	v_bfe_i32 v0, v8, 0, 8
	v_mov_b32_e32 v1, 0
	s_delay_alu instid0(VALU_DEP_2) | instskip(NEXT) | instid1(VALU_DEP_1)
	v_bfe_i32 v0, v0, 0, 16
	v_cvt_f32_i32_e32 v0, v0
	global_store_b64 v[2:3], v[0:1], off
.LBB55_2755:
	s_mov_b32 s0, 0
.LBB55_2756:
	s_delay_alu instid0(SALU_CYCLE_1)
	s_and_not1_b32 vcc_lo, exec_lo, s0
	s_cbranch_vccnz .LBB55_2758
; %bb.2757:
	s_wait_loadcnt 0x0
	v_bfe_i32 v0, v8, 0, 8
	s_delay_alu instid0(VALU_DEP_1) | instskip(NEXT) | instid1(VALU_DEP_1)
	v_cvt_f16_i16_e32 v0, v0
	v_and_b32_e32 v0, 0xffff, v0
	global_store_b32 v[2:3], v0, off
.LBB55_2758:
	s_mov_b32 s0, 0
.LBB55_2759:
	s_delay_alu instid0(SALU_CYCLE_1)
	s_and_not1_b32 vcc_lo, exec_lo, s0
	s_cbranch_vccnz .LBB55_2768
; %bb.2760:
	s_sext_i32_i16 s2, s1
	s_mov_b32 s0, -1
	s_cmp_lt_i32 s2, 6
	s_cbranch_scc1 .LBB55_2766
; %bb.2761:
	s_cmp_gt_i32 s2, 6
	s_cbranch_scc0 .LBB55_2763
; %bb.2762:
	s_wait_loadcnt 0x0
	v_bfe_i32 v0, v8, 0, 8
	s_mov_b32 s0, 0
	s_delay_alu instid0(VALU_DEP_1) | instskip(NEXT) | instid1(VALU_DEP_1)
	v_bfe_i32 v0, v0, 0, 16
	v_cvt_f64_i32_e32 v[0:1], v0
	global_store_b64 v[2:3], v[0:1], off
.LBB55_2763:
	s_and_not1_b32 vcc_lo, exec_lo, s0
	s_cbranch_vccnz .LBB55_2765
; %bb.2764:
	s_wait_loadcnt 0x0
	v_bfe_i32 v0, v8, 0, 8
	s_delay_alu instid0(VALU_DEP_1) | instskip(NEXT) | instid1(VALU_DEP_1)
	v_bfe_i32 v0, v0, 0, 16
	v_cvt_f32_i32_e32 v0, v0
	global_store_b32 v[2:3], v0, off
.LBB55_2765:
	s_mov_b32 s0, 0
.LBB55_2766:
	s_delay_alu instid0(SALU_CYCLE_1)
	s_and_not1_b32 vcc_lo, exec_lo, s0
	s_cbranch_vccnz .LBB55_2768
; %bb.2767:
	s_wait_loadcnt 0x0
	v_bfe_i32 v0, v8, 0, 8
	s_delay_alu instid0(VALU_DEP_1)
	v_cvt_f16_i16_e32 v0, v0
	global_store_b16 v[2:3], v0, off
.LBB55_2768:
	s_mov_b32 s0, 0
.LBB55_2769:
	s_delay_alu instid0(SALU_CYCLE_1)
	s_and_not1_b32 vcc_lo, exec_lo, s0
	s_cbranch_vccnz .LBB55_2785
; %bb.2770:
	s_sext_i32_i16 s2, s1
	s_mov_b32 s0, -1
	s_cmp_lt_i32 s2, 2
	s_cbranch_scc1 .LBB55_2780
; %bb.2771:
	s_cmp_lt_i32 s2, 3
	s_cbranch_scc1 .LBB55_2777
; %bb.2772:
	s_cmp_gt_i32 s2, 3
	s_cbranch_scc0 .LBB55_2774
; %bb.2773:
	s_wait_loadcnt 0x0
	v_bfe_i32 v0, v8, 0, 8
	s_mov_b32 s0, 0
	s_delay_alu instid0(VALU_DEP_1)
	v_ashrrev_i32_e32 v1, 31, v0
	global_store_b64 v[2:3], v[0:1], off
.LBB55_2774:
	s_and_not1_b32 vcc_lo, exec_lo, s0
	s_cbranch_vccnz .LBB55_2776
; %bb.2775:
	s_wait_loadcnt 0x0
	v_bfe_i32 v0, v8, 0, 8
	global_store_b32 v[2:3], v0, off
.LBB55_2776:
	s_mov_b32 s0, 0
.LBB55_2777:
	s_delay_alu instid0(SALU_CYCLE_1)
	s_and_not1_b32 vcc_lo, exec_lo, s0
	s_cbranch_vccnz .LBB55_2779
; %bb.2778:
	s_wait_loadcnt 0x0
	v_bfe_i32 v0, v8, 0, 8
	global_store_b16 v[2:3], v0, off
.LBB55_2779:
	s_mov_b32 s0, 0
.LBB55_2780:
	s_delay_alu instid0(SALU_CYCLE_1)
	s_and_not1_b32 vcc_lo, exec_lo, s0
	s_cbranch_vccnz .LBB55_2785
; %bb.2781:
	s_sext_i32_i16 s0, s1
	s_delay_alu instid0(SALU_CYCLE_1)
	s_cmp_gt_i32 s0, 0
	s_mov_b32 s0, -1
	s_cbranch_scc0 .LBB55_2783
; %bb.2782:
	s_mov_b32 s0, 0
	s_wait_loadcnt 0x0
	global_store_b8 v[2:3], v8, off
.LBB55_2783:
	s_and_not1_b32 vcc_lo, exec_lo, s0
	s_cbranch_vccnz .LBB55_2785
; %bb.2784:
	s_wait_loadcnt 0x0
	global_store_b8 v[2:3], v8, off
	s_endpgm
.LBB55_2785:
	s_endpgm
.LBB55_2786:
	s_mov_b32 s0, -1
	s_mov_b32 s6, 0
.LBB55_2787:
	s_and_b32 vcc_lo, exec_lo, s0
	s_cbranch_vccz .LBB55_2826
; %bb.2788:
	s_and_b32 s0, 0xffff, s1
	s_mov_b32 s2, -1
	s_cmp_lt_i32 s0, 5
	s_cbranch_scc1 .LBB55_2809
; %bb.2789:
	s_cmp_lt_i32 s0, 8
	s_cbranch_scc1 .LBB55_2799
; %bb.2790:
	;; [unrolled: 3-line block ×3, first 2 shown]
	s_cmp_gt_i32 s0, 9
	s_cbranch_scc0 .LBB55_2793
; %bb.2792:
	s_wait_xcnt 0x0
	v_bfe_i32 v5, v1, 0, 8
	v_mov_b32_e32 v12, 0
	s_mov_b32 s2, 0
	s_delay_alu instid0(VALU_DEP_2) | instskip(NEXT) | instid1(VALU_DEP_2)
	v_bfe_i32 v5, v5, 0, 16
	v_mov_b32_e32 v13, v12
	s_delay_alu instid0(VALU_DEP_2)
	v_cvt_f64_i32_e32 v[10:11], v5
	global_store_b128 v[6:7], v[10:13], off
.LBB55_2793:
	s_and_not1_b32 vcc_lo, exec_lo, s2
	s_cbranch_vccnz .LBB55_2795
; %bb.2794:
	s_wait_xcnt 0x0
	v_bfe_i32 v5, v1, 0, 8
	v_mov_b32_e32 v11, 0
	s_delay_alu instid0(VALU_DEP_2) | instskip(NEXT) | instid1(VALU_DEP_1)
	v_bfe_i32 v5, v5, 0, 16
	v_cvt_f32_i32_e32 v10, v5
	global_store_b64 v[6:7], v[10:11], off
.LBB55_2795:
	s_mov_b32 s2, 0
.LBB55_2796:
	s_delay_alu instid0(SALU_CYCLE_1)
	s_and_not1_b32 vcc_lo, exec_lo, s2
	s_cbranch_vccnz .LBB55_2798
; %bb.2797:
	s_wait_xcnt 0x0
	v_bfe_i32 v5, v1, 0, 8
	s_delay_alu instid0(VALU_DEP_1) | instskip(NEXT) | instid1(VALU_DEP_1)
	v_cvt_f16_i16_e32 v5, v5
	v_and_b32_e32 v5, 0xffff, v5
	global_store_b32 v[6:7], v5, off
.LBB55_2798:
	s_mov_b32 s2, 0
.LBB55_2799:
	s_delay_alu instid0(SALU_CYCLE_1)
	s_and_not1_b32 vcc_lo, exec_lo, s2
	s_cbranch_vccnz .LBB55_2808
; %bb.2800:
	s_cmp_lt_i32 s0, 6
	s_mov_b32 s2, -1
	s_cbranch_scc1 .LBB55_2806
; %bb.2801:
	s_cmp_gt_i32 s0, 6
	s_cbranch_scc0 .LBB55_2803
; %bb.2802:
	s_wait_xcnt 0x0
	v_bfe_i32 v5, v1, 0, 8
	s_mov_b32 s2, 0
	s_delay_alu instid0(VALU_DEP_1) | instskip(NEXT) | instid1(VALU_DEP_1)
	v_bfe_i32 v5, v5, 0, 16
	v_cvt_f64_i32_e32 v[10:11], v5
	global_store_b64 v[6:7], v[10:11], off
.LBB55_2803:
	s_and_not1_b32 vcc_lo, exec_lo, s2
	s_cbranch_vccnz .LBB55_2805
; %bb.2804:
	s_wait_xcnt 0x0
	v_bfe_i32 v5, v1, 0, 8
	s_delay_alu instid0(VALU_DEP_1) | instskip(NEXT) | instid1(VALU_DEP_1)
	v_bfe_i32 v5, v5, 0, 16
	v_cvt_f32_i32_e32 v5, v5
	global_store_b32 v[6:7], v5, off
.LBB55_2805:
	s_mov_b32 s2, 0
.LBB55_2806:
	s_delay_alu instid0(SALU_CYCLE_1)
	s_and_not1_b32 vcc_lo, exec_lo, s2
	s_cbranch_vccnz .LBB55_2808
; %bb.2807:
	s_wait_xcnt 0x0
	v_bfe_i32 v5, v1, 0, 8
	s_delay_alu instid0(VALU_DEP_1)
	v_cvt_f16_i16_e32 v5, v5
	global_store_b16 v[6:7], v5, off
.LBB55_2808:
	s_mov_b32 s2, 0
.LBB55_2809:
	s_delay_alu instid0(SALU_CYCLE_1)
	s_and_not1_b32 vcc_lo, exec_lo, s2
	s_cbranch_vccnz .LBB55_2825
; %bb.2810:
	s_cmp_lt_i32 s0, 2
	s_mov_b32 s2, -1
	s_cbranch_scc1 .LBB55_2820
; %bb.2811:
	s_cmp_lt_i32 s0, 3
	s_cbranch_scc1 .LBB55_2817
; %bb.2812:
	s_cmp_gt_i32 s0, 3
	s_cbranch_scc0 .LBB55_2814
; %bb.2813:
	s_wait_xcnt 0x0
	v_bfe_i32 v10, v1, 0, 8
	s_mov_b32 s2, 0
	s_delay_alu instid0(VALU_DEP_1)
	v_ashrrev_i32_e32 v11, 31, v10
	global_store_b64 v[6:7], v[10:11], off
.LBB55_2814:
	s_and_not1_b32 vcc_lo, exec_lo, s2
	s_cbranch_vccnz .LBB55_2816
; %bb.2815:
	s_wait_xcnt 0x0
	v_bfe_i32 v5, v1, 0, 8
	global_store_b32 v[6:7], v5, off
.LBB55_2816:
	s_mov_b32 s2, 0
.LBB55_2817:
	s_delay_alu instid0(SALU_CYCLE_1)
	s_and_not1_b32 vcc_lo, exec_lo, s2
	s_cbranch_vccnz .LBB55_2819
; %bb.2818:
	s_wait_xcnt 0x0
	v_bfe_i32 v5, v1, 0, 8
	global_store_b16 v[6:7], v5, off
.LBB55_2819:
	s_mov_b32 s2, 0
.LBB55_2820:
	s_delay_alu instid0(SALU_CYCLE_1)
	s_and_not1_b32 vcc_lo, exec_lo, s2
	s_cbranch_vccnz .LBB55_2825
; %bb.2821:
	s_cmp_gt_i32 s0, 0
	s_mov_b32 s0, -1
	s_cbranch_scc0 .LBB55_2823
; %bb.2822:
	s_mov_b32 s0, 0
	global_store_b8 v[6:7], v1, off
.LBB55_2823:
	s_and_not1_b32 vcc_lo, exec_lo, s0
	s_cbranch_vccnz .LBB55_2825
; %bb.2824:
	global_store_b8 v[6:7], v1, off
.LBB55_2825:
	s_mov_b32 s6, -1
.LBB55_2826:
	s_delay_alu instid0(SALU_CYCLE_1)
	s_and_not1_b32 vcc_lo, exec_lo, s6
	s_cbranch_vccnz .LBB55_3141
; %bb.2827:
	s_wait_xcnt 0x0
	v_mov_b32_e32 v5, 0
	s_and_b32 s2, 0xffff, s1
	s_delay_alu instid0(SALU_CYCLE_1) | instskip(NEXT) | instid1(VALU_DEP_1)
	s_cmp_lt_i32 s2, 11
	v_add_nc_u64_e32 v[4:5], s[4:5], v[4:5]
	s_cbranch_scc1 .LBB55_2905
; %bb.2828:
	s_mov_b32 s7, -1
	s_mov_b32 s3, 0
	s_cmp_gt_i32 s2, 25
	s_mov_b32 s6, 0
	s_mov_b32 s0, 0
	s_cbranch_scc0 .LBB55_2861
; %bb.2829:
	s_cmp_gt_i32 s2, 28
	s_cbranch_scc0 .LBB55_2844
; %bb.2830:
	s_cmp_gt_i32 s2, 43
	;; [unrolled: 3-line block ×3, first 2 shown]
	s_cbranch_scc0 .LBB55_2834
; %bb.2832:
	s_mov_b32 s0, -1
	s_mov_b32 s7, 0
	s_cmp_eq_u32 s2, 46
	s_cbranch_scc0 .LBB55_2834
; %bb.2833:
	v_bfe_i32 v1, v3, 0, 8
	s_mov_b32 s0, 0
	s_mov_b32 s6, -1
	s_delay_alu instid0(VALU_DEP_1) | instskip(NEXT) | instid1(VALU_DEP_1)
	v_bfe_i32 v1, v1, 0, 16
	v_cvt_f32_i32_e32 v1, v1
	s_delay_alu instid0(VALU_DEP_1) | instskip(NEXT) | instid1(VALU_DEP_1)
	v_bfe_u32 v6, v1, 16, 1
	v_add3_u32 v1, v1, v6, 0x7fff
	s_delay_alu instid0(VALU_DEP_1)
	v_lshrrev_b32_e32 v1, 16, v1
	global_store_b32 v[4:5], v1, off
.LBB55_2834:
	s_and_b32 vcc_lo, exec_lo, s7
	s_cbranch_vccz .LBB55_2839
; %bb.2835:
	s_cmp_eq_u32 s2, 44
	s_mov_b32 s0, -1
	s_cbranch_scc0 .LBB55_2839
; %bb.2836:
	s_wait_xcnt 0x0
	v_bfe_i32 v1, v3, 0, 8
	v_mov_b32_e32 v6, 0xff
	s_mov_b32 s6, exec_lo
	s_delay_alu instid0(VALU_DEP_2) | instskip(NEXT) | instid1(VALU_DEP_1)
	v_bfe_i32 v1, v1, 0, 16
	v_cvt_f32_i32_e32 v1, v1
	s_delay_alu instid0(VALU_DEP_1) | instskip(NEXT) | instid1(VALU_DEP_1)
	v_bfe_u32 v7, v1, 23, 8
	v_cmpx_ne_u32_e32 0xff, v7
	s_cbranch_execz .LBB55_2838
; %bb.2837:
	v_and_b32_e32 v6, 0x400000, v1
	v_and_or_b32 v7, 0x3fffff, v1, v7
	v_lshrrev_b32_e32 v1, 23, v1
	s_delay_alu instid0(VALU_DEP_3) | instskip(NEXT) | instid1(VALU_DEP_3)
	v_cmp_ne_u32_e32 vcc_lo, 0, v6
	v_cmp_ne_u32_e64 s0, 0, v7
	s_and_b32 s0, vcc_lo, s0
	s_delay_alu instid0(SALU_CYCLE_1) | instskip(NEXT) | instid1(VALU_DEP_1)
	v_cndmask_b32_e64 v6, 0, 1, s0
	v_add_nc_u32_e32 v6, v1, v6
.LBB55_2838:
	s_or_b32 exec_lo, exec_lo, s6
	s_mov_b32 s0, 0
	s_mov_b32 s6, -1
	global_store_b8 v[4:5], v6, off
.LBB55_2839:
	s_mov_b32 s7, 0
.LBB55_2840:
	s_delay_alu instid0(SALU_CYCLE_1)
	s_and_b32 vcc_lo, exec_lo, s7
	s_cbranch_vccz .LBB55_2843
; %bb.2841:
	s_cmp_eq_u32 s2, 29
	s_mov_b32 s0, -1
	s_cbranch_scc0 .LBB55_2843
; %bb.2842:
	s_wait_xcnt 0x0
	v_bfe_i32 v6, v3, 0, 8
	s_mov_b32 s0, 0
	s_mov_b32 s6, -1
	s_delay_alu instid0(VALU_DEP_1)
	v_ashrrev_i32_e32 v7, 31, v6
	global_store_b64 v[4:5], v[6:7], off
.LBB55_2843:
	s_mov_b32 s7, 0
.LBB55_2844:
	s_delay_alu instid0(SALU_CYCLE_1)
	s_and_b32 vcc_lo, exec_lo, s7
	s_cbranch_vccz .LBB55_2860
; %bb.2845:
	s_cmp_lt_i32 s2, 27
	s_mov_b32 s6, -1
	s_cbranch_scc1 .LBB55_2851
; %bb.2846:
	s_cmp_gt_i32 s2, 27
	s_cbranch_scc0 .LBB55_2848
; %bb.2847:
	s_wait_xcnt 0x0
	v_bfe_i32 v1, v3, 0, 8
	s_mov_b32 s6, 0
	global_store_b32 v[4:5], v1, off
.LBB55_2848:
	s_and_not1_b32 vcc_lo, exec_lo, s6
	s_cbranch_vccnz .LBB55_2850
; %bb.2849:
	s_wait_xcnt 0x0
	v_bfe_i32 v1, v3, 0, 8
	global_store_b16 v[4:5], v1, off
.LBB55_2850:
	s_mov_b32 s6, 0
.LBB55_2851:
	s_delay_alu instid0(SALU_CYCLE_1)
	s_and_not1_b32 vcc_lo, exec_lo, s6
	s_cbranch_vccnz .LBB55_2859
; %bb.2852:
	s_wait_xcnt 0x0
	v_bfe_i32 v1, v3, 0, 8
	v_mov_b32_e32 v7, 0x80
	s_mov_b32 s6, exec_lo
	s_delay_alu instid0(VALU_DEP_2) | instskip(NEXT) | instid1(VALU_DEP_1)
	v_bfe_i32 v1, v1, 0, 16
	v_cvt_f32_i32_e32 v1, v1
	s_delay_alu instid0(VALU_DEP_1) | instskip(NEXT) | instid1(VALU_DEP_1)
	v_and_b32_e32 v6, 0x7fffffff, v1
	v_cmpx_gt_u32_e32 0x43800000, v6
	s_cbranch_execz .LBB55_2858
; %bb.2853:
	v_cmp_lt_u32_e32 vcc_lo, 0x3bffffff, v6
	s_mov_b32 s7, 0
                                        ; implicit-def: $vgpr6
	s_and_saveexec_b32 s11, vcc_lo
	s_delay_alu instid0(SALU_CYCLE_1)
	s_xor_b32 s11, exec_lo, s11
	s_cbranch_execz .LBB55_3149
; %bb.2854:
	v_bfe_u32 v6, v1, 20, 1
	s_mov_b32 s7, exec_lo
	s_delay_alu instid0(VALU_DEP_1) | instskip(NEXT) | instid1(VALU_DEP_1)
	v_add3_u32 v6, v1, v6, 0x487ffff
	v_lshrrev_b32_e32 v6, 20, v6
	s_and_not1_saveexec_b32 s11, s11
	s_cbranch_execnz .LBB55_3150
.LBB55_2855:
	s_or_b32 exec_lo, exec_lo, s11
	v_mov_b32_e32 v7, 0
	s_and_saveexec_b32 s11, s7
.LBB55_2856:
	v_lshrrev_b32_e32 v1, 24, v1
	s_delay_alu instid0(VALU_DEP_1)
	v_and_or_b32 v7, 0x80, v1, v6
.LBB55_2857:
	s_or_b32 exec_lo, exec_lo, s11
.LBB55_2858:
	s_delay_alu instid0(SALU_CYCLE_1)
	s_or_b32 exec_lo, exec_lo, s6
	global_store_b8 v[4:5], v7, off
.LBB55_2859:
	s_mov_b32 s6, -1
.LBB55_2860:
	s_mov_b32 s7, 0
.LBB55_2861:
	s_delay_alu instid0(SALU_CYCLE_1)
	s_and_b32 vcc_lo, exec_lo, s7
	s_cbranch_vccz .LBB55_2901
; %bb.2862:
	s_cmp_gt_i32 s2, 22
	s_mov_b32 s3, -1
	s_cbranch_scc0 .LBB55_2894
; %bb.2863:
	s_cmp_lt_i32 s2, 24
	s_cbranch_scc1 .LBB55_2883
; %bb.2864:
	s_cmp_gt_i32 s2, 24
	s_cbranch_scc0 .LBB55_2872
; %bb.2865:
	s_wait_xcnt 0x0
	v_bfe_i32 v1, v3, 0, 8
	v_mov_b32_e32 v7, 0x80
	s_mov_b32 s3, exec_lo
	s_delay_alu instid0(VALU_DEP_2) | instskip(NEXT) | instid1(VALU_DEP_1)
	v_bfe_i32 v1, v1, 0, 16
	v_cvt_f32_i32_e32 v1, v1
	s_delay_alu instid0(VALU_DEP_1) | instskip(NEXT) | instid1(VALU_DEP_1)
	v_and_b32_e32 v6, 0x7fffffff, v1
	v_cmpx_gt_u32_e32 0x47800000, v6
	s_cbranch_execz .LBB55_2871
; %bb.2866:
	v_cmp_lt_u32_e32 vcc_lo, 0x37ffffff, v6
	s_mov_b32 s6, 0
                                        ; implicit-def: $vgpr6
	s_and_saveexec_b32 s7, vcc_lo
	s_delay_alu instid0(SALU_CYCLE_1)
	s_xor_b32 s7, exec_lo, s7
	s_cbranch_execz .LBB55_3152
; %bb.2867:
	v_bfe_u32 v6, v1, 21, 1
	s_mov_b32 s6, exec_lo
	s_delay_alu instid0(VALU_DEP_1) | instskip(NEXT) | instid1(VALU_DEP_1)
	v_add3_u32 v6, v1, v6, 0x88fffff
	v_lshrrev_b32_e32 v6, 21, v6
	s_and_not1_saveexec_b32 s7, s7
	s_cbranch_execnz .LBB55_3153
.LBB55_2868:
	s_or_b32 exec_lo, exec_lo, s7
	v_mov_b32_e32 v7, 0
	s_and_saveexec_b32 s7, s6
.LBB55_2869:
	v_lshrrev_b32_e32 v1, 24, v1
	s_delay_alu instid0(VALU_DEP_1)
	v_and_or_b32 v7, 0x80, v1, v6
.LBB55_2870:
	s_or_b32 exec_lo, exec_lo, s7
.LBB55_2871:
	s_delay_alu instid0(SALU_CYCLE_1)
	s_or_b32 exec_lo, exec_lo, s3
	s_mov_b32 s3, 0
	global_store_b8 v[4:5], v7, off
.LBB55_2872:
	s_and_b32 vcc_lo, exec_lo, s3
	s_cbranch_vccz .LBB55_2882
; %bb.2873:
	s_wait_xcnt 0x0
	v_bfe_i32 v1, v3, 0, 8
	s_mov_b32 s3, exec_lo
                                        ; implicit-def: $vgpr6
	s_delay_alu instid0(VALU_DEP_1) | instskip(NEXT) | instid1(VALU_DEP_1)
	v_bfe_i32 v1, v1, 0, 16
	v_cvt_f32_i32_e32 v1, v1
	s_delay_alu instid0(VALU_DEP_1) | instskip(NEXT) | instid1(VALU_DEP_1)
	v_and_b32_e32 v7, 0x7fffffff, v1
	v_cmpx_gt_u32_e32 0x43f00000, v7
	s_xor_b32 s3, exec_lo, s3
	s_cbranch_execz .LBB55_2879
; %bb.2874:
	s_mov_b32 s6, exec_lo
                                        ; implicit-def: $vgpr6
	v_cmpx_lt_u32_e32 0x3c7fffff, v7
	s_xor_b32 s6, exec_lo, s6
; %bb.2875:
	v_bfe_u32 v6, v1, 20, 1
	s_delay_alu instid0(VALU_DEP_1) | instskip(NEXT) | instid1(VALU_DEP_1)
	v_add3_u32 v6, v1, v6, 0x407ffff
	v_and_b32_e32 v7, 0xff00000, v6
	v_lshrrev_b32_e32 v6, 20, v6
	s_delay_alu instid0(VALU_DEP_2) | instskip(NEXT) | instid1(VALU_DEP_2)
	v_cmp_ne_u32_e32 vcc_lo, 0x7f00000, v7
	v_cndmask_b32_e32 v6, 0x7e, v6, vcc_lo
; %bb.2876:
	s_and_not1_saveexec_b32 s6, s6
; %bb.2877:
	v_add_f32_e64 v6, 0x46800000, |v1|
; %bb.2878:
	s_or_b32 exec_lo, exec_lo, s6
                                        ; implicit-def: $vgpr7
.LBB55_2879:
	s_and_not1_saveexec_b32 s3, s3
; %bb.2880:
	v_mov_b32_e32 v6, 0x7f
	v_cmp_lt_u32_e32 vcc_lo, 0x7f800000, v7
	s_delay_alu instid0(VALU_DEP_2)
	v_cndmask_b32_e32 v6, 0x7e, v6, vcc_lo
; %bb.2881:
	s_or_b32 exec_lo, exec_lo, s3
	v_lshrrev_b32_e32 v1, 24, v1
	s_delay_alu instid0(VALU_DEP_1)
	v_and_or_b32 v1, 0x80, v1, v6
	global_store_b8 v[4:5], v1, off
.LBB55_2882:
	s_mov_b32 s3, 0
.LBB55_2883:
	s_delay_alu instid0(SALU_CYCLE_1)
	s_and_not1_b32 vcc_lo, exec_lo, s3
	s_cbranch_vccnz .LBB55_2893
; %bb.2884:
	s_wait_xcnt 0x0
	v_bfe_i32 v1, v3, 0, 8
	s_mov_b32 s3, exec_lo
                                        ; implicit-def: $vgpr6
	s_delay_alu instid0(VALU_DEP_1) | instskip(NEXT) | instid1(VALU_DEP_1)
	v_bfe_i32 v1, v1, 0, 16
	v_cvt_f32_i32_e32 v1, v1
	s_delay_alu instid0(VALU_DEP_1) | instskip(NEXT) | instid1(VALU_DEP_1)
	v_and_b32_e32 v7, 0x7fffffff, v1
	v_cmpx_gt_u32_e32 0x47800000, v7
	s_xor_b32 s3, exec_lo, s3
	s_cbranch_execz .LBB55_2890
; %bb.2885:
	s_mov_b32 s6, exec_lo
                                        ; implicit-def: $vgpr6
	v_cmpx_lt_u32_e32 0x387fffff, v7
	s_xor_b32 s6, exec_lo, s6
; %bb.2886:
	v_bfe_u32 v6, v1, 21, 1
	s_delay_alu instid0(VALU_DEP_1) | instskip(NEXT) | instid1(VALU_DEP_1)
	v_add3_u32 v6, v1, v6, 0x80fffff
	v_lshrrev_b32_e32 v6, 21, v6
; %bb.2887:
	s_and_not1_saveexec_b32 s6, s6
; %bb.2888:
	v_add_f32_e64 v6, 0x43000000, |v1|
; %bb.2889:
	s_or_b32 exec_lo, exec_lo, s6
                                        ; implicit-def: $vgpr7
.LBB55_2890:
	s_and_not1_saveexec_b32 s3, s3
; %bb.2891:
	v_mov_b32_e32 v6, 0x7f
	v_cmp_lt_u32_e32 vcc_lo, 0x7f800000, v7
	s_delay_alu instid0(VALU_DEP_2)
	v_cndmask_b32_e32 v6, 0x7c, v6, vcc_lo
; %bb.2892:
	s_or_b32 exec_lo, exec_lo, s3
	v_lshrrev_b32_e32 v1, 24, v1
	s_delay_alu instid0(VALU_DEP_1)
	v_and_or_b32 v1, 0x80, v1, v6
	global_store_b8 v[4:5], v1, off
.LBB55_2893:
	s_mov_b32 s3, 0
	s_mov_b32 s6, -1
.LBB55_2894:
	s_and_not1_b32 vcc_lo, exec_lo, s3
	s_mov_b32 s3, 0
	s_cbranch_vccnz .LBB55_2901
; %bb.2895:
	s_cmp_gt_i32 s2, 14
	s_mov_b32 s3, -1
	s_cbranch_scc0 .LBB55_2899
; %bb.2896:
	s_cmp_eq_u32 s2, 15
	s_mov_b32 s0, -1
	s_cbranch_scc0 .LBB55_2898
; %bb.2897:
	s_wait_xcnt 0x0
	v_bfe_i32 v1, v3, 0, 8
	s_mov_b32 s0, 0
	s_mov_b32 s6, -1
	s_delay_alu instid0(VALU_DEP_1) | instskip(NEXT) | instid1(VALU_DEP_1)
	v_bfe_i32 v1, v1, 0, 16
	v_cvt_f32_i32_e32 v1, v1
	s_delay_alu instid0(VALU_DEP_1) | instskip(NEXT) | instid1(VALU_DEP_1)
	v_bfe_u32 v6, v1, 16, 1
	v_add3_u32 v1, v1, v6, 0x7fff
	global_store_d16_hi_b16 v[4:5], v1, off
.LBB55_2898:
	s_mov_b32 s3, 0
.LBB55_2899:
	s_delay_alu instid0(SALU_CYCLE_1)
	s_and_b32 vcc_lo, exec_lo, s3
	s_mov_b32 s3, 0
	s_cbranch_vccz .LBB55_2901
; %bb.2900:
	s_cmp_lg_u32 s2, 11
	s_mov_b32 s3, -1
	s_cselect_b32 s0, -1, 0
.LBB55_2901:
	s_delay_alu instid0(SALU_CYCLE_1)
	s_and_b32 vcc_lo, exec_lo, s0
	s_cbranch_vccnz .LBB55_3151
; %bb.2902:
	s_and_not1_b32 vcc_lo, exec_lo, s3
	s_cbranch_vccnz .LBB55_2904
.LBB55_2903:
	s_wait_xcnt 0x0
	v_and_b32_e32 v1, 0xff, v3
	s_mov_b32 s6, -1
	s_delay_alu instid0(VALU_DEP_1)
	v_cmp_ne_u16_e32 vcc_lo, 0, v1
	v_cndmask_b32_e64 v1, 0, 1, vcc_lo
	global_store_b8 v[4:5], v1, off
.LBB55_2904:
	s_mov_b32 s0, 0
	s_branch .LBB55_2906
.LBB55_2905:
	s_mov_b32 s0, -1
	s_mov_b32 s6, 0
.LBB55_2906:
	s_and_b32 vcc_lo, exec_lo, s0
	s_cbranch_vccz .LBB55_2945
; %bb.2907:
	s_cmp_lt_i32 s2, 5
	s_mov_b32 s0, -1
	s_cbranch_scc1 .LBB55_2928
; %bb.2908:
	s_cmp_lt_i32 s2, 8
	s_cbranch_scc1 .LBB55_2918
; %bb.2909:
	s_cmp_lt_i32 s2, 9
	s_cbranch_scc1 .LBB55_2915
; %bb.2910:
	s_cmp_gt_i32 s2, 9
	s_cbranch_scc0 .LBB55_2912
; %bb.2911:
	s_wait_xcnt 0x0
	v_bfe_i32 v1, v3, 0, 8
	v_mov_b32_e32 v12, 0
	s_mov_b32 s0, 0
	s_delay_alu instid0(VALU_DEP_2) | instskip(NEXT) | instid1(VALU_DEP_2)
	v_bfe_i32 v1, v1, 0, 16
	v_mov_b32_e32 v13, v12
	s_delay_alu instid0(VALU_DEP_2)
	v_cvt_f64_i32_e32 v[10:11], v1
	global_store_b128 v[4:5], v[10:13], off
.LBB55_2912:
	s_and_not1_b32 vcc_lo, exec_lo, s0
	s_cbranch_vccnz .LBB55_2914
; %bb.2913:
	s_wait_xcnt 0x0
	v_bfe_i32 v1, v3, 0, 8
	v_mov_b32_e32 v7, 0
	s_delay_alu instid0(VALU_DEP_2) | instskip(NEXT) | instid1(VALU_DEP_1)
	v_bfe_i32 v1, v1, 0, 16
	v_cvt_f32_i32_e32 v6, v1
	global_store_b64 v[4:5], v[6:7], off
.LBB55_2914:
	s_mov_b32 s0, 0
.LBB55_2915:
	s_delay_alu instid0(SALU_CYCLE_1)
	s_and_not1_b32 vcc_lo, exec_lo, s0
	s_cbranch_vccnz .LBB55_2917
; %bb.2916:
	s_wait_xcnt 0x0
	v_bfe_i32 v1, v3, 0, 8
	s_delay_alu instid0(VALU_DEP_1) | instskip(NEXT) | instid1(VALU_DEP_1)
	v_cvt_f16_i16_e32 v1, v1
	v_and_b32_e32 v1, 0xffff, v1
	global_store_b32 v[4:5], v1, off
.LBB55_2917:
	s_mov_b32 s0, 0
.LBB55_2918:
	s_delay_alu instid0(SALU_CYCLE_1)
	s_and_not1_b32 vcc_lo, exec_lo, s0
	s_cbranch_vccnz .LBB55_2927
; %bb.2919:
	s_cmp_lt_i32 s2, 6
	s_mov_b32 s0, -1
	s_cbranch_scc1 .LBB55_2925
; %bb.2920:
	s_cmp_gt_i32 s2, 6
	s_cbranch_scc0 .LBB55_2922
; %bb.2921:
	s_wait_xcnt 0x0
	v_bfe_i32 v1, v3, 0, 8
	s_mov_b32 s0, 0
	s_delay_alu instid0(VALU_DEP_1) | instskip(NEXT) | instid1(VALU_DEP_1)
	v_bfe_i32 v1, v1, 0, 16
	v_cvt_f64_i32_e32 v[6:7], v1
	global_store_b64 v[4:5], v[6:7], off
.LBB55_2922:
	s_and_not1_b32 vcc_lo, exec_lo, s0
	s_cbranch_vccnz .LBB55_2924
; %bb.2923:
	s_wait_xcnt 0x0
	v_bfe_i32 v1, v3, 0, 8
	s_delay_alu instid0(VALU_DEP_1) | instskip(NEXT) | instid1(VALU_DEP_1)
	v_bfe_i32 v1, v1, 0, 16
	v_cvt_f32_i32_e32 v1, v1
	global_store_b32 v[4:5], v1, off
.LBB55_2924:
	s_mov_b32 s0, 0
.LBB55_2925:
	s_delay_alu instid0(SALU_CYCLE_1)
	s_and_not1_b32 vcc_lo, exec_lo, s0
	s_cbranch_vccnz .LBB55_2927
; %bb.2926:
	s_wait_xcnt 0x0
	v_bfe_i32 v1, v3, 0, 8
	s_delay_alu instid0(VALU_DEP_1)
	v_cvt_f16_i16_e32 v1, v1
	global_store_b16 v[4:5], v1, off
.LBB55_2927:
	s_mov_b32 s0, 0
.LBB55_2928:
	s_delay_alu instid0(SALU_CYCLE_1)
	s_and_not1_b32 vcc_lo, exec_lo, s0
	s_cbranch_vccnz .LBB55_2944
; %bb.2929:
	s_cmp_lt_i32 s2, 2
	s_mov_b32 s0, -1
	s_cbranch_scc1 .LBB55_2939
; %bb.2930:
	s_cmp_lt_i32 s2, 3
	s_cbranch_scc1 .LBB55_2936
; %bb.2931:
	s_cmp_gt_i32 s2, 3
	s_cbranch_scc0 .LBB55_2933
; %bb.2932:
	s_wait_xcnt 0x0
	v_bfe_i32 v6, v3, 0, 8
	s_mov_b32 s0, 0
	s_delay_alu instid0(VALU_DEP_1)
	v_ashrrev_i32_e32 v7, 31, v6
	global_store_b64 v[4:5], v[6:7], off
.LBB55_2933:
	s_and_not1_b32 vcc_lo, exec_lo, s0
	s_cbranch_vccnz .LBB55_2935
; %bb.2934:
	s_wait_xcnt 0x0
	v_bfe_i32 v1, v3, 0, 8
	global_store_b32 v[4:5], v1, off
.LBB55_2935:
	s_mov_b32 s0, 0
.LBB55_2936:
	s_delay_alu instid0(SALU_CYCLE_1)
	s_and_not1_b32 vcc_lo, exec_lo, s0
	s_cbranch_vccnz .LBB55_2938
; %bb.2937:
	s_wait_xcnt 0x0
	v_bfe_i32 v1, v3, 0, 8
	global_store_b16 v[4:5], v1, off
.LBB55_2938:
	s_mov_b32 s0, 0
.LBB55_2939:
	s_delay_alu instid0(SALU_CYCLE_1)
	s_and_not1_b32 vcc_lo, exec_lo, s0
	s_cbranch_vccnz .LBB55_2944
; %bb.2940:
	s_cmp_gt_i32 s2, 0
	s_mov_b32 s0, -1
	s_cbranch_scc0 .LBB55_2942
; %bb.2941:
	s_mov_b32 s0, 0
	global_store_b8 v[4:5], v3, off
.LBB55_2942:
	s_and_not1_b32 vcc_lo, exec_lo, s0
	s_cbranch_vccnz .LBB55_2944
; %bb.2943:
	global_store_b8 v[4:5], v3, off
.LBB55_2944:
	s_mov_b32 s6, -1
.LBB55_2945:
	s_delay_alu instid0(SALU_CYCLE_1)
	s_and_not1_b32 vcc_lo, exec_lo, s6
	s_cbranch_vccnz .LBB55_3141
; %bb.2946:
	s_wait_xcnt 0x0
	v_mov_b32_e32 v3, 0
	s_cmp_lt_i32 s2, 11
	s_delay_alu instid0(VALU_DEP_1)
	v_add_nc_u64_e32 v[2:3], s[4:5], v[2:3]
	s_cbranch_scc1 .LBB55_3024
; %bb.2947:
	s_mov_b32 s7, -1
	s_mov_b32 s3, 0
	s_cmp_gt_i32 s2, 25
	s_mov_b32 s6, 0
	s_mov_b32 s0, 0
	s_cbranch_scc0 .LBB55_2980
; %bb.2948:
	s_cmp_gt_i32 s2, 28
	s_cbranch_scc0 .LBB55_2963
; %bb.2949:
	s_cmp_gt_i32 s2, 43
	;; [unrolled: 3-line block ×3, first 2 shown]
	s_cbranch_scc0 .LBB55_2953
; %bb.2951:
	s_mov_b32 s0, -1
	s_mov_b32 s7, 0
	s_cmp_eq_u32 s2, 46
	s_cbranch_scc0 .LBB55_2953
; %bb.2952:
	v_bfe_i32 v1, v15, 0, 8
	s_mov_b32 s0, 0
	s_mov_b32 s6, -1
	s_delay_alu instid0(VALU_DEP_1) | instskip(NEXT) | instid1(VALU_DEP_1)
	v_bfe_i32 v1, v1, 0, 16
	v_cvt_f32_i32_e32 v1, v1
	s_delay_alu instid0(VALU_DEP_1) | instskip(NEXT) | instid1(VALU_DEP_1)
	v_bfe_u32 v4, v1, 16, 1
	v_add3_u32 v1, v1, v4, 0x7fff
	s_delay_alu instid0(VALU_DEP_1)
	v_lshrrev_b32_e32 v1, 16, v1
	global_store_b32 v[2:3], v1, off
.LBB55_2953:
	s_and_b32 vcc_lo, exec_lo, s7
	s_cbranch_vccz .LBB55_2958
; %bb.2954:
	s_cmp_eq_u32 s2, 44
	s_mov_b32 s0, -1
	s_cbranch_scc0 .LBB55_2958
; %bb.2955:
	s_wait_xcnt 0x0
	v_bfe_i32 v1, v15, 0, 8
	v_mov_b32_e32 v4, 0xff
	s_mov_b32 s6, exec_lo
	s_delay_alu instid0(VALU_DEP_2) | instskip(NEXT) | instid1(VALU_DEP_1)
	v_bfe_i32 v1, v1, 0, 16
	v_cvt_f32_i32_e32 v1, v1
	s_delay_alu instid0(VALU_DEP_1) | instskip(NEXT) | instid1(VALU_DEP_1)
	v_bfe_u32 v5, v1, 23, 8
	v_cmpx_ne_u32_e32 0xff, v5
	s_cbranch_execz .LBB55_2957
; %bb.2956:
	v_and_b32_e32 v4, 0x400000, v1
	v_and_or_b32 v5, 0x3fffff, v1, v5
	v_lshrrev_b32_e32 v1, 23, v1
	s_delay_alu instid0(VALU_DEP_3) | instskip(NEXT) | instid1(VALU_DEP_3)
	v_cmp_ne_u32_e32 vcc_lo, 0, v4
	v_cmp_ne_u32_e64 s0, 0, v5
	s_and_b32 s0, vcc_lo, s0
	s_delay_alu instid0(SALU_CYCLE_1) | instskip(NEXT) | instid1(VALU_DEP_1)
	v_cndmask_b32_e64 v4, 0, 1, s0
	v_add_nc_u32_e32 v4, v1, v4
.LBB55_2957:
	s_or_b32 exec_lo, exec_lo, s6
	s_mov_b32 s0, 0
	s_mov_b32 s6, -1
	global_store_b8 v[2:3], v4, off
.LBB55_2958:
	s_mov_b32 s7, 0
.LBB55_2959:
	s_delay_alu instid0(SALU_CYCLE_1)
	s_and_b32 vcc_lo, exec_lo, s7
	s_cbranch_vccz .LBB55_2962
; %bb.2960:
	s_cmp_eq_u32 s2, 29
	s_mov_b32 s0, -1
	s_cbranch_scc0 .LBB55_2962
; %bb.2961:
	s_wait_xcnt 0x0
	v_bfe_i32 v4, v15, 0, 8
	s_mov_b32 s0, 0
	s_mov_b32 s6, -1
	s_delay_alu instid0(VALU_DEP_1)
	v_ashrrev_i32_e32 v5, 31, v4
	global_store_b64 v[2:3], v[4:5], off
.LBB55_2962:
	s_mov_b32 s7, 0
.LBB55_2963:
	s_delay_alu instid0(SALU_CYCLE_1)
	s_and_b32 vcc_lo, exec_lo, s7
	s_cbranch_vccz .LBB55_2979
; %bb.2964:
	s_cmp_lt_i32 s2, 27
	s_mov_b32 s6, -1
	s_cbranch_scc1 .LBB55_2970
; %bb.2965:
	s_cmp_gt_i32 s2, 27
	s_cbranch_scc0 .LBB55_2967
; %bb.2966:
	s_wait_xcnt 0x0
	v_bfe_i32 v1, v15, 0, 8
	s_mov_b32 s6, 0
	global_store_b32 v[2:3], v1, off
.LBB55_2967:
	s_and_not1_b32 vcc_lo, exec_lo, s6
	s_cbranch_vccnz .LBB55_2969
; %bb.2968:
	s_wait_xcnt 0x0
	v_bfe_i32 v1, v15, 0, 8
	global_store_b16 v[2:3], v1, off
.LBB55_2969:
	s_mov_b32 s6, 0
.LBB55_2970:
	s_delay_alu instid0(SALU_CYCLE_1)
	s_and_not1_b32 vcc_lo, exec_lo, s6
	s_cbranch_vccnz .LBB55_2978
; %bb.2971:
	s_wait_xcnt 0x0
	v_bfe_i32 v1, v15, 0, 8
	v_mov_b32_e32 v5, 0x80
	s_mov_b32 s6, exec_lo
	s_delay_alu instid0(VALU_DEP_2) | instskip(NEXT) | instid1(VALU_DEP_1)
	v_bfe_i32 v1, v1, 0, 16
	v_cvt_f32_i32_e32 v1, v1
	s_delay_alu instid0(VALU_DEP_1) | instskip(NEXT) | instid1(VALU_DEP_1)
	v_and_b32_e32 v4, 0x7fffffff, v1
	v_cmpx_gt_u32_e32 0x43800000, v4
	s_cbranch_execz .LBB55_2977
; %bb.2972:
	v_cmp_lt_u32_e32 vcc_lo, 0x3bffffff, v4
	s_mov_b32 s7, 0
                                        ; implicit-def: $vgpr4
	s_and_saveexec_b32 s11, vcc_lo
	s_delay_alu instid0(SALU_CYCLE_1)
	s_xor_b32 s11, exec_lo, s11
	s_cbranch_execz .LBB55_3154
; %bb.2973:
	v_bfe_u32 v4, v1, 20, 1
	s_mov_b32 s7, exec_lo
	s_delay_alu instid0(VALU_DEP_1) | instskip(NEXT) | instid1(VALU_DEP_1)
	v_add3_u32 v4, v1, v4, 0x487ffff
	v_lshrrev_b32_e32 v4, 20, v4
	s_and_not1_saveexec_b32 s11, s11
	s_cbranch_execnz .LBB55_3155
.LBB55_2974:
	s_or_b32 exec_lo, exec_lo, s11
	v_mov_b32_e32 v5, 0
	s_and_saveexec_b32 s11, s7
.LBB55_2975:
	v_lshrrev_b32_e32 v1, 24, v1
	s_delay_alu instid0(VALU_DEP_1)
	v_and_or_b32 v5, 0x80, v1, v4
.LBB55_2976:
	s_or_b32 exec_lo, exec_lo, s11
.LBB55_2977:
	s_delay_alu instid0(SALU_CYCLE_1)
	s_or_b32 exec_lo, exec_lo, s6
	global_store_b8 v[2:3], v5, off
.LBB55_2978:
	s_mov_b32 s6, -1
.LBB55_2979:
	s_mov_b32 s7, 0
.LBB55_2980:
	s_delay_alu instid0(SALU_CYCLE_1)
	s_and_b32 vcc_lo, exec_lo, s7
	s_cbranch_vccz .LBB55_3020
; %bb.2981:
	s_cmp_gt_i32 s2, 22
	s_mov_b32 s3, -1
	s_cbranch_scc0 .LBB55_3013
; %bb.2982:
	s_cmp_lt_i32 s2, 24
	s_cbranch_scc1 .LBB55_3002
; %bb.2983:
	s_cmp_gt_i32 s2, 24
	s_cbranch_scc0 .LBB55_2991
; %bb.2984:
	s_wait_xcnt 0x0
	v_bfe_i32 v1, v15, 0, 8
	v_mov_b32_e32 v5, 0x80
	s_mov_b32 s3, exec_lo
	s_delay_alu instid0(VALU_DEP_2) | instskip(NEXT) | instid1(VALU_DEP_1)
	v_bfe_i32 v1, v1, 0, 16
	v_cvt_f32_i32_e32 v1, v1
	s_delay_alu instid0(VALU_DEP_1) | instskip(NEXT) | instid1(VALU_DEP_1)
	v_and_b32_e32 v4, 0x7fffffff, v1
	v_cmpx_gt_u32_e32 0x47800000, v4
	s_cbranch_execz .LBB55_2990
; %bb.2985:
	v_cmp_lt_u32_e32 vcc_lo, 0x37ffffff, v4
	s_mov_b32 s6, 0
                                        ; implicit-def: $vgpr4
	s_and_saveexec_b32 s7, vcc_lo
	s_delay_alu instid0(SALU_CYCLE_1)
	s_xor_b32 s7, exec_lo, s7
	s_cbranch_execz .LBB55_3157
; %bb.2986:
	v_bfe_u32 v4, v1, 21, 1
	s_mov_b32 s6, exec_lo
	s_delay_alu instid0(VALU_DEP_1) | instskip(NEXT) | instid1(VALU_DEP_1)
	v_add3_u32 v4, v1, v4, 0x88fffff
	v_lshrrev_b32_e32 v4, 21, v4
	s_and_not1_saveexec_b32 s7, s7
	s_cbranch_execnz .LBB55_3158
.LBB55_2987:
	s_or_b32 exec_lo, exec_lo, s7
	v_mov_b32_e32 v5, 0
	s_and_saveexec_b32 s7, s6
.LBB55_2988:
	v_lshrrev_b32_e32 v1, 24, v1
	s_delay_alu instid0(VALU_DEP_1)
	v_and_or_b32 v5, 0x80, v1, v4
.LBB55_2989:
	s_or_b32 exec_lo, exec_lo, s7
.LBB55_2990:
	s_delay_alu instid0(SALU_CYCLE_1)
	s_or_b32 exec_lo, exec_lo, s3
	s_mov_b32 s3, 0
	global_store_b8 v[2:3], v5, off
.LBB55_2991:
	s_and_b32 vcc_lo, exec_lo, s3
	s_cbranch_vccz .LBB55_3001
; %bb.2992:
	s_wait_xcnt 0x0
	v_bfe_i32 v1, v15, 0, 8
	s_mov_b32 s3, exec_lo
                                        ; implicit-def: $vgpr4
	s_delay_alu instid0(VALU_DEP_1) | instskip(NEXT) | instid1(VALU_DEP_1)
	v_bfe_i32 v1, v1, 0, 16
	v_cvt_f32_i32_e32 v1, v1
	s_delay_alu instid0(VALU_DEP_1) | instskip(NEXT) | instid1(VALU_DEP_1)
	v_and_b32_e32 v5, 0x7fffffff, v1
	v_cmpx_gt_u32_e32 0x43f00000, v5
	s_xor_b32 s3, exec_lo, s3
	s_cbranch_execz .LBB55_2998
; %bb.2993:
	s_mov_b32 s6, exec_lo
                                        ; implicit-def: $vgpr4
	v_cmpx_lt_u32_e32 0x3c7fffff, v5
	s_xor_b32 s6, exec_lo, s6
; %bb.2994:
	v_bfe_u32 v4, v1, 20, 1
	s_delay_alu instid0(VALU_DEP_1) | instskip(NEXT) | instid1(VALU_DEP_1)
	v_add3_u32 v4, v1, v4, 0x407ffff
	v_and_b32_e32 v5, 0xff00000, v4
	v_lshrrev_b32_e32 v4, 20, v4
	s_delay_alu instid0(VALU_DEP_2) | instskip(NEXT) | instid1(VALU_DEP_2)
	v_cmp_ne_u32_e32 vcc_lo, 0x7f00000, v5
	v_cndmask_b32_e32 v4, 0x7e, v4, vcc_lo
; %bb.2995:
	s_and_not1_saveexec_b32 s6, s6
; %bb.2996:
	v_add_f32_e64 v4, 0x46800000, |v1|
; %bb.2997:
	s_or_b32 exec_lo, exec_lo, s6
                                        ; implicit-def: $vgpr5
.LBB55_2998:
	s_and_not1_saveexec_b32 s3, s3
; %bb.2999:
	v_mov_b32_e32 v4, 0x7f
	v_cmp_lt_u32_e32 vcc_lo, 0x7f800000, v5
	s_delay_alu instid0(VALU_DEP_2)
	v_cndmask_b32_e32 v4, 0x7e, v4, vcc_lo
; %bb.3000:
	s_or_b32 exec_lo, exec_lo, s3
	v_lshrrev_b32_e32 v1, 24, v1
	s_delay_alu instid0(VALU_DEP_1)
	v_and_or_b32 v1, 0x80, v1, v4
	global_store_b8 v[2:3], v1, off
.LBB55_3001:
	s_mov_b32 s3, 0
.LBB55_3002:
	s_delay_alu instid0(SALU_CYCLE_1)
	s_and_not1_b32 vcc_lo, exec_lo, s3
	s_cbranch_vccnz .LBB55_3012
; %bb.3003:
	s_wait_xcnt 0x0
	v_bfe_i32 v1, v15, 0, 8
	s_mov_b32 s3, exec_lo
                                        ; implicit-def: $vgpr4
	s_delay_alu instid0(VALU_DEP_1) | instskip(NEXT) | instid1(VALU_DEP_1)
	v_bfe_i32 v1, v1, 0, 16
	v_cvt_f32_i32_e32 v1, v1
	s_delay_alu instid0(VALU_DEP_1) | instskip(NEXT) | instid1(VALU_DEP_1)
	v_and_b32_e32 v5, 0x7fffffff, v1
	v_cmpx_gt_u32_e32 0x47800000, v5
	s_xor_b32 s3, exec_lo, s3
	s_cbranch_execz .LBB55_3009
; %bb.3004:
	s_mov_b32 s6, exec_lo
                                        ; implicit-def: $vgpr4
	v_cmpx_lt_u32_e32 0x387fffff, v5
	s_xor_b32 s6, exec_lo, s6
; %bb.3005:
	v_bfe_u32 v4, v1, 21, 1
	s_delay_alu instid0(VALU_DEP_1) | instskip(NEXT) | instid1(VALU_DEP_1)
	v_add3_u32 v4, v1, v4, 0x80fffff
	v_lshrrev_b32_e32 v4, 21, v4
; %bb.3006:
	s_and_not1_saveexec_b32 s6, s6
; %bb.3007:
	v_add_f32_e64 v4, 0x43000000, |v1|
; %bb.3008:
	s_or_b32 exec_lo, exec_lo, s6
                                        ; implicit-def: $vgpr5
.LBB55_3009:
	s_and_not1_saveexec_b32 s3, s3
; %bb.3010:
	v_mov_b32_e32 v4, 0x7f
	v_cmp_lt_u32_e32 vcc_lo, 0x7f800000, v5
	s_delay_alu instid0(VALU_DEP_2)
	v_cndmask_b32_e32 v4, 0x7c, v4, vcc_lo
; %bb.3011:
	s_or_b32 exec_lo, exec_lo, s3
	v_lshrrev_b32_e32 v1, 24, v1
	s_delay_alu instid0(VALU_DEP_1)
	v_and_or_b32 v1, 0x80, v1, v4
	global_store_b8 v[2:3], v1, off
.LBB55_3012:
	s_mov_b32 s3, 0
	s_mov_b32 s6, -1
.LBB55_3013:
	s_and_not1_b32 vcc_lo, exec_lo, s3
	s_mov_b32 s3, 0
	s_cbranch_vccnz .LBB55_3020
; %bb.3014:
	s_cmp_gt_i32 s2, 14
	s_mov_b32 s3, -1
	s_cbranch_scc0 .LBB55_3018
; %bb.3015:
	s_cmp_eq_u32 s2, 15
	s_mov_b32 s0, -1
	s_cbranch_scc0 .LBB55_3017
; %bb.3016:
	s_wait_xcnt 0x0
	v_bfe_i32 v1, v15, 0, 8
	s_mov_b32 s0, 0
	s_mov_b32 s6, -1
	s_delay_alu instid0(VALU_DEP_1) | instskip(NEXT) | instid1(VALU_DEP_1)
	v_bfe_i32 v1, v1, 0, 16
	v_cvt_f32_i32_e32 v1, v1
	s_delay_alu instid0(VALU_DEP_1) | instskip(NEXT) | instid1(VALU_DEP_1)
	v_bfe_u32 v4, v1, 16, 1
	v_add3_u32 v1, v1, v4, 0x7fff
	global_store_d16_hi_b16 v[2:3], v1, off
.LBB55_3017:
	s_mov_b32 s3, 0
.LBB55_3018:
	s_delay_alu instid0(SALU_CYCLE_1)
	s_and_b32 vcc_lo, exec_lo, s3
	s_mov_b32 s3, 0
	s_cbranch_vccz .LBB55_3020
; %bb.3019:
	s_cmp_lg_u32 s2, 11
	s_mov_b32 s3, -1
	s_cselect_b32 s0, -1, 0
.LBB55_3020:
	s_delay_alu instid0(SALU_CYCLE_1)
	s_and_b32 vcc_lo, exec_lo, s0
	s_cbranch_vccnz .LBB55_3156
; %bb.3021:
	s_and_not1_b32 vcc_lo, exec_lo, s3
	s_cbranch_vccnz .LBB55_3023
.LBB55_3022:
	s_wait_xcnt 0x0
	v_and_b32_e32 v1, 0xff, v15
	s_mov_b32 s6, -1
	s_delay_alu instid0(VALU_DEP_1)
	v_cmp_ne_u16_e32 vcc_lo, 0, v1
	v_cndmask_b32_e64 v1, 0, 1, vcc_lo
	global_store_b8 v[2:3], v1, off
.LBB55_3023:
	s_mov_b32 s0, 0
	s_branch .LBB55_3025
.LBB55_3024:
	s_mov_b32 s0, -1
	s_mov_b32 s6, 0
.LBB55_3025:
	s_and_b32 vcc_lo, exec_lo, s0
	s_cbranch_vccz .LBB55_3064
; %bb.3026:
	s_cmp_lt_i32 s2, 5
	s_mov_b32 s0, -1
	s_cbranch_scc1 .LBB55_3047
; %bb.3027:
	s_cmp_lt_i32 s2, 8
	s_cbranch_scc1 .LBB55_3037
; %bb.3028:
	s_cmp_lt_i32 s2, 9
	s_cbranch_scc1 .LBB55_3034
; %bb.3029:
	s_cmp_gt_i32 s2, 9
	s_cbranch_scc0 .LBB55_3031
; %bb.3030:
	s_wait_xcnt 0x0
	v_bfe_i32 v1, v15, 0, 8
	v_mov_b32_e32 v6, 0
	s_mov_b32 s0, 0
	s_delay_alu instid0(VALU_DEP_2) | instskip(NEXT) | instid1(VALU_DEP_2)
	v_bfe_i32 v1, v1, 0, 16
	v_mov_b32_e32 v7, v6
	s_delay_alu instid0(VALU_DEP_2)
	v_cvt_f64_i32_e32 v[4:5], v1
	global_store_b128 v[2:3], v[4:7], off
.LBB55_3031:
	s_and_not1_b32 vcc_lo, exec_lo, s0
	s_cbranch_vccnz .LBB55_3033
; %bb.3032:
	s_wait_xcnt 0x0
	v_bfe_i32 v1, v15, 0, 8
	v_mov_b32_e32 v5, 0
	s_delay_alu instid0(VALU_DEP_2) | instskip(NEXT) | instid1(VALU_DEP_1)
	v_bfe_i32 v1, v1, 0, 16
	v_cvt_f32_i32_e32 v4, v1
	global_store_b64 v[2:3], v[4:5], off
.LBB55_3033:
	s_mov_b32 s0, 0
.LBB55_3034:
	s_delay_alu instid0(SALU_CYCLE_1)
	s_and_not1_b32 vcc_lo, exec_lo, s0
	s_cbranch_vccnz .LBB55_3036
; %bb.3035:
	s_wait_xcnt 0x0
	v_bfe_i32 v1, v15, 0, 8
	s_delay_alu instid0(VALU_DEP_1) | instskip(NEXT) | instid1(VALU_DEP_1)
	v_cvt_f16_i16_e32 v1, v1
	v_and_b32_e32 v1, 0xffff, v1
	global_store_b32 v[2:3], v1, off
.LBB55_3036:
	s_mov_b32 s0, 0
.LBB55_3037:
	s_delay_alu instid0(SALU_CYCLE_1)
	s_and_not1_b32 vcc_lo, exec_lo, s0
	s_cbranch_vccnz .LBB55_3046
; %bb.3038:
	s_cmp_lt_i32 s2, 6
	s_mov_b32 s0, -1
	s_cbranch_scc1 .LBB55_3044
; %bb.3039:
	s_cmp_gt_i32 s2, 6
	s_cbranch_scc0 .LBB55_3041
; %bb.3040:
	s_wait_xcnt 0x0
	v_bfe_i32 v1, v15, 0, 8
	s_mov_b32 s0, 0
	s_delay_alu instid0(VALU_DEP_1) | instskip(NEXT) | instid1(VALU_DEP_1)
	v_bfe_i32 v1, v1, 0, 16
	v_cvt_f64_i32_e32 v[4:5], v1
	global_store_b64 v[2:3], v[4:5], off
.LBB55_3041:
	s_and_not1_b32 vcc_lo, exec_lo, s0
	s_cbranch_vccnz .LBB55_3043
; %bb.3042:
	s_wait_xcnt 0x0
	v_bfe_i32 v1, v15, 0, 8
	s_delay_alu instid0(VALU_DEP_1) | instskip(NEXT) | instid1(VALU_DEP_1)
	v_bfe_i32 v1, v1, 0, 16
	v_cvt_f32_i32_e32 v1, v1
	global_store_b32 v[2:3], v1, off
.LBB55_3043:
	s_mov_b32 s0, 0
.LBB55_3044:
	s_delay_alu instid0(SALU_CYCLE_1)
	s_and_not1_b32 vcc_lo, exec_lo, s0
	s_cbranch_vccnz .LBB55_3046
; %bb.3045:
	s_wait_xcnt 0x0
	v_bfe_i32 v1, v15, 0, 8
	s_delay_alu instid0(VALU_DEP_1)
	v_cvt_f16_i16_e32 v1, v1
	global_store_b16 v[2:3], v1, off
.LBB55_3046:
	s_mov_b32 s0, 0
.LBB55_3047:
	s_delay_alu instid0(SALU_CYCLE_1)
	s_and_not1_b32 vcc_lo, exec_lo, s0
	s_cbranch_vccnz .LBB55_3063
; %bb.3048:
	s_cmp_lt_i32 s2, 2
	s_mov_b32 s0, -1
	s_cbranch_scc1 .LBB55_3058
; %bb.3049:
	s_cmp_lt_i32 s2, 3
	s_cbranch_scc1 .LBB55_3055
; %bb.3050:
	s_cmp_gt_i32 s2, 3
	s_cbranch_scc0 .LBB55_3052
; %bb.3051:
	s_wait_xcnt 0x0
	v_bfe_i32 v4, v15, 0, 8
	s_mov_b32 s0, 0
	s_delay_alu instid0(VALU_DEP_1)
	v_ashrrev_i32_e32 v5, 31, v4
	global_store_b64 v[2:3], v[4:5], off
.LBB55_3052:
	s_and_not1_b32 vcc_lo, exec_lo, s0
	s_cbranch_vccnz .LBB55_3054
; %bb.3053:
	s_wait_xcnt 0x0
	v_bfe_i32 v1, v15, 0, 8
	global_store_b32 v[2:3], v1, off
.LBB55_3054:
	s_mov_b32 s0, 0
.LBB55_3055:
	s_delay_alu instid0(SALU_CYCLE_1)
	s_and_not1_b32 vcc_lo, exec_lo, s0
	s_cbranch_vccnz .LBB55_3057
; %bb.3056:
	s_wait_xcnt 0x0
	v_bfe_i32 v1, v15, 0, 8
	global_store_b16 v[2:3], v1, off
.LBB55_3057:
	s_mov_b32 s0, 0
.LBB55_3058:
	s_delay_alu instid0(SALU_CYCLE_1)
	s_and_not1_b32 vcc_lo, exec_lo, s0
	s_cbranch_vccnz .LBB55_3063
; %bb.3059:
	s_cmp_gt_i32 s2, 0
	s_mov_b32 s0, -1
	s_cbranch_scc0 .LBB55_3061
; %bb.3060:
	s_mov_b32 s0, 0
	global_store_b8 v[2:3], v15, off
.LBB55_3061:
	s_and_not1_b32 vcc_lo, exec_lo, s0
	s_cbranch_vccnz .LBB55_3063
; %bb.3062:
	global_store_b8 v[2:3], v15, off
.LBB55_3063:
	s_mov_b32 s6, -1
.LBB55_3064:
	s_delay_alu instid0(SALU_CYCLE_1)
	s_and_not1_b32 vcc_lo, exec_lo, s6
	s_cbranch_vccnz .LBB55_3141
; %bb.3065:
	s_wait_xcnt 0x0
	v_mov_b32_e32 v1, 0
	s_cmp_lt_i32 s2, 11
	s_delay_alu instid0(VALU_DEP_1)
	v_add_nc_u64_e32 v[2:3], s[4:5], v[0:1]
	s_cbranch_scc1 .LBB55_3142
; %bb.3066:
	s_mov_b32 s4, -1
	s_mov_b32 s3, 0
	s_cmp_gt_i32 s2, 25
	s_mov_b32 s0, 0
	s_cbranch_scc0 .LBB55_3099
; %bb.3067:
	s_cmp_gt_i32 s2, 28
	s_cbranch_scc0 .LBB55_3083
; %bb.3068:
	s_cmp_gt_i32 s2, 43
	;; [unrolled: 3-line block ×3, first 2 shown]
	s_cbranch_scc0 .LBB55_3073
; %bb.3070:
	s_cmp_eq_u32 s2, 46
	s_mov_b32 s0, -1
	s_cbranch_scc0 .LBB55_3072
; %bb.3071:
	v_bfe_i32 v0, v8, 0, 8
	s_mov_b32 s0, 0
	s_delay_alu instid0(VALU_DEP_1) | instskip(NEXT) | instid1(VALU_DEP_1)
	v_bfe_i32 v0, v0, 0, 16
	v_cvt_f32_i32_e32 v0, v0
	s_delay_alu instid0(VALU_DEP_1) | instskip(NEXT) | instid1(VALU_DEP_1)
	v_bfe_u32 v1, v0, 16, 1
	v_add3_u32 v0, v0, v1, 0x7fff
	s_delay_alu instid0(VALU_DEP_1)
	v_lshrrev_b32_e32 v0, 16, v0
	global_store_b32 v[2:3], v0, off
.LBB55_3072:
	s_mov_b32 s4, 0
.LBB55_3073:
	s_delay_alu instid0(SALU_CYCLE_1)
	s_and_b32 vcc_lo, exec_lo, s4
	s_cbranch_vccz .LBB55_3078
; %bb.3074:
	s_cmp_eq_u32 s2, 44
	s_mov_b32 s0, -1
	s_cbranch_scc0 .LBB55_3078
; %bb.3075:
	s_wait_xcnt 0x0
	v_bfe_i32 v0, v8, 0, 8
	v_mov_b32_e32 v1, 0xff
	s_mov_b32 s4, exec_lo
	s_delay_alu instid0(VALU_DEP_2) | instskip(NEXT) | instid1(VALU_DEP_1)
	v_bfe_i32 v0, v0, 0, 16
	v_cvt_f32_i32_e32 v0, v0
	s_delay_alu instid0(VALU_DEP_1) | instskip(NEXT) | instid1(VALU_DEP_1)
	v_bfe_u32 v4, v0, 23, 8
	v_cmpx_ne_u32_e32 0xff, v4
	s_cbranch_execz .LBB55_3077
; %bb.3076:
	v_and_b32_e32 v1, 0x400000, v0
	v_and_or_b32 v4, 0x3fffff, v0, v4
	v_lshrrev_b32_e32 v0, 23, v0
	s_delay_alu instid0(VALU_DEP_3) | instskip(NEXT) | instid1(VALU_DEP_3)
	v_cmp_ne_u32_e32 vcc_lo, 0, v1
	v_cmp_ne_u32_e64 s0, 0, v4
	s_and_b32 s0, vcc_lo, s0
	s_delay_alu instid0(SALU_CYCLE_1) | instskip(NEXT) | instid1(VALU_DEP_1)
	v_cndmask_b32_e64 v1, 0, 1, s0
	v_add_nc_u32_e32 v1, v0, v1
.LBB55_3077:
	s_or_b32 exec_lo, exec_lo, s4
	s_mov_b32 s0, 0
	global_store_b8 v[2:3], v1, off
.LBB55_3078:
	s_mov_b32 s4, 0
.LBB55_3079:
	s_delay_alu instid0(SALU_CYCLE_1)
	s_and_b32 vcc_lo, exec_lo, s4
	s_cbranch_vccz .LBB55_3082
; %bb.3080:
	s_cmp_eq_u32 s2, 29
	s_mov_b32 s0, -1
	s_cbranch_scc0 .LBB55_3082
; %bb.3081:
	s_wait_xcnt 0x0
	v_bfe_i32 v0, v8, 0, 8
	s_mov_b32 s0, 0
	s_delay_alu instid0(VALU_DEP_1)
	v_ashrrev_i32_e32 v1, 31, v0
	global_store_b64 v[2:3], v[0:1], off
.LBB55_3082:
	s_mov_b32 s4, 0
.LBB55_3083:
	s_delay_alu instid0(SALU_CYCLE_1)
	s_and_b32 vcc_lo, exec_lo, s4
	s_cbranch_vccz .LBB55_3098
; %bb.3084:
	s_cmp_lt_i32 s2, 27
	s_mov_b32 s4, -1
	s_cbranch_scc1 .LBB55_3090
; %bb.3085:
	s_cmp_gt_i32 s2, 27
	s_cbranch_scc0 .LBB55_3087
; %bb.3086:
	s_wait_xcnt 0x0
	v_bfe_i32 v0, v8, 0, 8
	s_mov_b32 s4, 0
	global_store_b32 v[2:3], v0, off
.LBB55_3087:
	s_and_not1_b32 vcc_lo, exec_lo, s4
	s_cbranch_vccnz .LBB55_3089
; %bb.3088:
	s_wait_xcnt 0x0
	v_bfe_i32 v0, v8, 0, 8
	global_store_b16 v[2:3], v0, off
.LBB55_3089:
	s_mov_b32 s4, 0
.LBB55_3090:
	s_delay_alu instid0(SALU_CYCLE_1)
	s_and_not1_b32 vcc_lo, exec_lo, s4
	s_cbranch_vccnz .LBB55_3098
; %bb.3091:
	s_wait_xcnt 0x0
	v_bfe_i32 v0, v8, 0, 8
	v_mov_b32_e32 v4, 0x80
	s_mov_b32 s4, exec_lo
	s_delay_alu instid0(VALU_DEP_2) | instskip(NEXT) | instid1(VALU_DEP_1)
	v_bfe_i32 v0, v0, 0, 16
	v_cvt_f32_i32_e32 v0, v0
	s_delay_alu instid0(VALU_DEP_1) | instskip(NEXT) | instid1(VALU_DEP_1)
	v_and_b32_e32 v1, 0x7fffffff, v0
	v_cmpx_gt_u32_e32 0x43800000, v1
	s_cbranch_execz .LBB55_3097
; %bb.3092:
	v_cmp_lt_u32_e32 vcc_lo, 0x3bffffff, v1
	s_mov_b32 s5, 0
                                        ; implicit-def: $vgpr1
	s_and_saveexec_b32 s6, vcc_lo
	s_delay_alu instid0(SALU_CYCLE_1)
	s_xor_b32 s6, exec_lo, s6
	s_cbranch_execz .LBB55_3159
; %bb.3093:
	v_bfe_u32 v1, v0, 20, 1
	s_mov_b32 s5, exec_lo
	s_delay_alu instid0(VALU_DEP_1) | instskip(NEXT) | instid1(VALU_DEP_1)
	v_add3_u32 v1, v0, v1, 0x487ffff
	v_lshrrev_b32_e32 v1, 20, v1
	s_and_not1_saveexec_b32 s6, s6
	s_cbranch_execnz .LBB55_3160
.LBB55_3094:
	s_or_b32 exec_lo, exec_lo, s6
	v_mov_b32_e32 v4, 0
	s_and_saveexec_b32 s6, s5
.LBB55_3095:
	v_lshrrev_b32_e32 v0, 24, v0
	s_delay_alu instid0(VALU_DEP_1)
	v_and_or_b32 v4, 0x80, v0, v1
.LBB55_3096:
	s_or_b32 exec_lo, exec_lo, s6
.LBB55_3097:
	s_delay_alu instid0(SALU_CYCLE_1)
	s_or_b32 exec_lo, exec_lo, s4
	global_store_b8 v[2:3], v4, off
.LBB55_3098:
	s_mov_b32 s4, 0
.LBB55_3099:
	s_delay_alu instid0(SALU_CYCLE_1)
	s_and_b32 vcc_lo, exec_lo, s4
	s_cbranch_vccz .LBB55_3139
; %bb.3100:
	s_cmp_gt_i32 s2, 22
	s_mov_b32 s3, -1
	s_cbranch_scc0 .LBB55_3132
; %bb.3101:
	s_cmp_lt_i32 s2, 24
	s_cbranch_scc1 .LBB55_3121
; %bb.3102:
	s_cmp_gt_i32 s2, 24
	s_cbranch_scc0 .LBB55_3110
; %bb.3103:
	s_wait_xcnt 0x0
	v_bfe_i32 v0, v8, 0, 8
	v_mov_b32_e32 v4, 0x80
	s_mov_b32 s3, exec_lo
	s_delay_alu instid0(VALU_DEP_2) | instskip(NEXT) | instid1(VALU_DEP_1)
	v_bfe_i32 v0, v0, 0, 16
	v_cvt_f32_i32_e32 v0, v0
	s_delay_alu instid0(VALU_DEP_1) | instskip(NEXT) | instid1(VALU_DEP_1)
	v_and_b32_e32 v1, 0x7fffffff, v0
	v_cmpx_gt_u32_e32 0x47800000, v1
	s_cbranch_execz .LBB55_3109
; %bb.3104:
	v_cmp_lt_u32_e32 vcc_lo, 0x37ffffff, v1
	s_mov_b32 s4, 0
                                        ; implicit-def: $vgpr1
	s_and_saveexec_b32 s5, vcc_lo
	s_delay_alu instid0(SALU_CYCLE_1)
	s_xor_b32 s5, exec_lo, s5
	s_cbranch_execz .LBB55_3162
; %bb.3105:
	v_bfe_u32 v1, v0, 21, 1
	s_mov_b32 s4, exec_lo
	s_delay_alu instid0(VALU_DEP_1) | instskip(NEXT) | instid1(VALU_DEP_1)
	v_add3_u32 v1, v0, v1, 0x88fffff
	v_lshrrev_b32_e32 v1, 21, v1
	s_and_not1_saveexec_b32 s5, s5
	s_cbranch_execnz .LBB55_3163
.LBB55_3106:
	s_or_b32 exec_lo, exec_lo, s5
	v_mov_b32_e32 v4, 0
	s_and_saveexec_b32 s5, s4
.LBB55_3107:
	v_lshrrev_b32_e32 v0, 24, v0
	s_delay_alu instid0(VALU_DEP_1)
	v_and_or_b32 v4, 0x80, v0, v1
.LBB55_3108:
	s_or_b32 exec_lo, exec_lo, s5
.LBB55_3109:
	s_delay_alu instid0(SALU_CYCLE_1)
	s_or_b32 exec_lo, exec_lo, s3
	s_mov_b32 s3, 0
	global_store_b8 v[2:3], v4, off
.LBB55_3110:
	s_and_b32 vcc_lo, exec_lo, s3
	s_cbranch_vccz .LBB55_3120
; %bb.3111:
	s_wait_xcnt 0x0
	v_bfe_i32 v0, v8, 0, 8
	s_mov_b32 s3, exec_lo
                                        ; implicit-def: $vgpr1
	s_delay_alu instid0(VALU_DEP_1) | instskip(NEXT) | instid1(VALU_DEP_1)
	v_bfe_i32 v0, v0, 0, 16
	v_cvt_f32_i32_e32 v0, v0
	s_delay_alu instid0(VALU_DEP_1) | instskip(NEXT) | instid1(VALU_DEP_1)
	v_and_b32_e32 v4, 0x7fffffff, v0
	v_cmpx_gt_u32_e32 0x43f00000, v4
	s_xor_b32 s3, exec_lo, s3
	s_cbranch_execz .LBB55_3117
; %bb.3112:
	s_mov_b32 s4, exec_lo
                                        ; implicit-def: $vgpr1
	v_cmpx_lt_u32_e32 0x3c7fffff, v4
	s_xor_b32 s4, exec_lo, s4
; %bb.3113:
	v_bfe_u32 v1, v0, 20, 1
	s_delay_alu instid0(VALU_DEP_1) | instskip(NEXT) | instid1(VALU_DEP_1)
	v_add3_u32 v1, v0, v1, 0x407ffff
	v_and_b32_e32 v4, 0xff00000, v1
	v_lshrrev_b32_e32 v1, 20, v1
	s_delay_alu instid0(VALU_DEP_2) | instskip(NEXT) | instid1(VALU_DEP_2)
	v_cmp_ne_u32_e32 vcc_lo, 0x7f00000, v4
	v_cndmask_b32_e32 v1, 0x7e, v1, vcc_lo
; %bb.3114:
	s_and_not1_saveexec_b32 s4, s4
; %bb.3115:
	v_add_f32_e64 v1, 0x46800000, |v0|
; %bb.3116:
	s_or_b32 exec_lo, exec_lo, s4
                                        ; implicit-def: $vgpr4
.LBB55_3117:
	s_and_not1_saveexec_b32 s3, s3
; %bb.3118:
	v_mov_b32_e32 v1, 0x7f
	v_cmp_lt_u32_e32 vcc_lo, 0x7f800000, v4
	s_delay_alu instid0(VALU_DEP_2)
	v_cndmask_b32_e32 v1, 0x7e, v1, vcc_lo
; %bb.3119:
	s_or_b32 exec_lo, exec_lo, s3
	v_lshrrev_b32_e32 v0, 24, v0
	s_delay_alu instid0(VALU_DEP_1)
	v_and_or_b32 v0, 0x80, v0, v1
	global_store_b8 v[2:3], v0, off
.LBB55_3120:
	s_mov_b32 s3, 0
.LBB55_3121:
	s_delay_alu instid0(SALU_CYCLE_1)
	s_and_not1_b32 vcc_lo, exec_lo, s3
	s_cbranch_vccnz .LBB55_3131
; %bb.3122:
	s_wait_xcnt 0x0
	v_bfe_i32 v0, v8, 0, 8
	s_mov_b32 s3, exec_lo
                                        ; implicit-def: $vgpr1
	s_delay_alu instid0(VALU_DEP_1) | instskip(NEXT) | instid1(VALU_DEP_1)
	v_bfe_i32 v0, v0, 0, 16
	v_cvt_f32_i32_e32 v0, v0
	s_delay_alu instid0(VALU_DEP_1) | instskip(NEXT) | instid1(VALU_DEP_1)
	v_and_b32_e32 v4, 0x7fffffff, v0
	v_cmpx_gt_u32_e32 0x47800000, v4
	s_xor_b32 s3, exec_lo, s3
	s_cbranch_execz .LBB55_3128
; %bb.3123:
	s_mov_b32 s4, exec_lo
                                        ; implicit-def: $vgpr1
	v_cmpx_lt_u32_e32 0x387fffff, v4
	s_xor_b32 s4, exec_lo, s4
; %bb.3124:
	v_bfe_u32 v1, v0, 21, 1
	s_delay_alu instid0(VALU_DEP_1) | instskip(NEXT) | instid1(VALU_DEP_1)
	v_add3_u32 v1, v0, v1, 0x80fffff
	v_lshrrev_b32_e32 v1, 21, v1
; %bb.3125:
	s_and_not1_saveexec_b32 s4, s4
; %bb.3126:
	v_add_f32_e64 v1, 0x43000000, |v0|
; %bb.3127:
	s_or_b32 exec_lo, exec_lo, s4
                                        ; implicit-def: $vgpr4
.LBB55_3128:
	s_and_not1_saveexec_b32 s3, s3
; %bb.3129:
	v_mov_b32_e32 v1, 0x7f
	v_cmp_lt_u32_e32 vcc_lo, 0x7f800000, v4
	s_delay_alu instid0(VALU_DEP_2)
	v_cndmask_b32_e32 v1, 0x7c, v1, vcc_lo
; %bb.3130:
	s_or_b32 exec_lo, exec_lo, s3
	v_lshrrev_b32_e32 v0, 24, v0
	s_delay_alu instid0(VALU_DEP_1)
	v_and_or_b32 v0, 0x80, v0, v1
	global_store_b8 v[2:3], v0, off
.LBB55_3131:
	s_mov_b32 s3, 0
.LBB55_3132:
	s_delay_alu instid0(SALU_CYCLE_1)
	s_and_not1_b32 vcc_lo, exec_lo, s3
	s_mov_b32 s3, 0
	s_cbranch_vccnz .LBB55_3139
; %bb.3133:
	s_cmp_gt_i32 s2, 14
	s_mov_b32 s3, -1
	s_cbranch_scc0 .LBB55_3137
; %bb.3134:
	s_cmp_eq_u32 s2, 15
	s_mov_b32 s0, -1
	s_cbranch_scc0 .LBB55_3136
; %bb.3135:
	s_wait_xcnt 0x0
	v_bfe_i32 v0, v8, 0, 8
	s_mov_b32 s0, 0
	s_delay_alu instid0(VALU_DEP_1) | instskip(NEXT) | instid1(VALU_DEP_1)
	v_bfe_i32 v0, v0, 0, 16
	v_cvt_f32_i32_e32 v0, v0
	s_delay_alu instid0(VALU_DEP_1) | instskip(NEXT) | instid1(VALU_DEP_1)
	v_bfe_u32 v1, v0, 16, 1
	v_add3_u32 v0, v0, v1, 0x7fff
	global_store_d16_hi_b16 v[2:3], v0, off
.LBB55_3136:
	s_mov_b32 s3, 0
.LBB55_3137:
	s_delay_alu instid0(SALU_CYCLE_1)
	s_and_b32 vcc_lo, exec_lo, s3
	s_mov_b32 s3, 0
	s_cbranch_vccz .LBB55_3139
; %bb.3138:
	s_cmp_lg_u32 s2, 11
	s_mov_b32 s3, -1
	s_cselect_b32 s0, -1, 0
.LBB55_3139:
	s_delay_alu instid0(SALU_CYCLE_1)
	s_and_b32 vcc_lo, exec_lo, s0
	s_cbranch_vccnz .LBB55_3161
.LBB55_3140:
	s_mov_b32 s0, 0
	s_branch .LBB55_2742
.LBB55_3141:
	s_mov_b32 s0, 0
	s_mov_b32 s3, 0
                                        ; implicit-def: $vgpr2_vgpr3
                                        ; implicit-def: $sgpr1
	s_branch .LBB55_2742
.LBB55_3142:
	s_mov_b32 s3, 0
	s_mov_b32 s0, -1
	s_branch .LBB55_2742
.LBB55_3143:
	s_or_b32 s10, s10, exec_lo
	s_trap 2
	s_cbranch_execz .LBB55_2605
	s_branch .LBB55_2606
.LBB55_3144:
	s_and_not1_saveexec_b32 s11, s11
	s_cbranch_execz .LBB55_2691
.LBB55_3145:
	v_add_f32_e64 v9, 0x46000000, |v5|
	s_and_not1_b32 s7, s7, exec_lo
	s_delay_alu instid0(VALU_DEP_1) | instskip(NEXT) | instid1(VALU_DEP_1)
	v_and_b32_e32 v9, 0xff, v9
	v_cmp_ne_u32_e32 vcc_lo, 0, v9
	s_and_b32 s12, vcc_lo, exec_lo
	s_delay_alu instid0(SALU_CYCLE_1)
	s_or_b32 s7, s7, s12
	s_or_b32 exec_lo, exec_lo, s11
	v_mov_b32_e32 v10, 0
	s_and_saveexec_b32 s11, s7
	s_cbranch_execnz .LBB55_2692
	s_branch .LBB55_2693
.LBB55_3146:
	s_or_b32 s10, s10, exec_lo
	s_trap 2
	s_cbranch_execz .LBB55_2739
	s_branch .LBB55_2740
.LBB55_3147:
	s_and_not1_saveexec_b32 s7, s7
	s_cbranch_execz .LBB55_2704
.LBB55_3148:
	v_add_f32_e64 v9, 0x42800000, |v5|
	s_and_not1_b32 s6, s6, exec_lo
	s_delay_alu instid0(VALU_DEP_1) | instskip(NEXT) | instid1(VALU_DEP_1)
	v_and_b32_e32 v9, 0xff, v9
	v_cmp_ne_u32_e32 vcc_lo, 0, v9
	s_and_b32 s11, vcc_lo, exec_lo
	s_delay_alu instid0(SALU_CYCLE_1)
	s_or_b32 s6, s6, s11
	s_or_b32 exec_lo, exec_lo, s7
	v_mov_b32_e32 v10, 0
	s_and_saveexec_b32 s7, s6
	s_cbranch_execnz .LBB55_2705
	s_branch .LBB55_2706
.LBB55_3149:
	s_and_not1_saveexec_b32 s11, s11
	s_cbranch_execz .LBB55_2855
.LBB55_3150:
	v_add_f32_e64 v6, 0x46000000, |v1|
	s_and_not1_b32 s7, s7, exec_lo
	s_delay_alu instid0(VALU_DEP_1) | instskip(NEXT) | instid1(VALU_DEP_1)
	v_and_b32_e32 v6, 0xff, v6
	v_cmp_ne_u32_e32 vcc_lo, 0, v6
	s_and_b32 s12, vcc_lo, exec_lo
	s_delay_alu instid0(SALU_CYCLE_1)
	s_or_b32 s7, s7, s12
	s_or_b32 exec_lo, exec_lo, s11
	v_mov_b32_e32 v7, 0
	s_and_saveexec_b32 s11, s7
	s_cbranch_execnz .LBB55_2856
	s_branch .LBB55_2857
.LBB55_3151:
	s_or_b32 s10, s10, exec_lo
	s_trap 2
	s_cbranch_execz .LBB55_2903
	s_branch .LBB55_2904
.LBB55_3152:
	s_and_not1_saveexec_b32 s7, s7
	s_cbranch_execz .LBB55_2868
.LBB55_3153:
	v_add_f32_e64 v6, 0x42800000, |v1|
	s_and_not1_b32 s6, s6, exec_lo
	s_delay_alu instid0(VALU_DEP_1) | instskip(NEXT) | instid1(VALU_DEP_1)
	v_and_b32_e32 v6, 0xff, v6
	v_cmp_ne_u32_e32 vcc_lo, 0, v6
	s_and_b32 s11, vcc_lo, exec_lo
	s_delay_alu instid0(SALU_CYCLE_1)
	s_or_b32 s6, s6, s11
	s_or_b32 exec_lo, exec_lo, s7
	v_mov_b32_e32 v7, 0
	s_and_saveexec_b32 s7, s6
	s_cbranch_execnz .LBB55_2869
	s_branch .LBB55_2870
.LBB55_3154:
	s_and_not1_saveexec_b32 s11, s11
	s_cbranch_execz .LBB55_2974
.LBB55_3155:
	v_add_f32_e64 v4, 0x46000000, |v1|
	s_and_not1_b32 s7, s7, exec_lo
	s_delay_alu instid0(VALU_DEP_1) | instskip(NEXT) | instid1(VALU_DEP_1)
	v_and_b32_e32 v4, 0xff, v4
	v_cmp_ne_u32_e32 vcc_lo, 0, v4
	s_and_b32 s12, vcc_lo, exec_lo
	s_delay_alu instid0(SALU_CYCLE_1)
	s_or_b32 s7, s7, s12
	s_or_b32 exec_lo, exec_lo, s11
	v_mov_b32_e32 v5, 0
	s_and_saveexec_b32 s11, s7
	s_cbranch_execnz .LBB55_2975
	s_branch .LBB55_2976
.LBB55_3156:
	s_or_b32 s10, s10, exec_lo
	s_trap 2
	s_cbranch_execz .LBB55_3022
	s_branch .LBB55_3023
.LBB55_3157:
	s_and_not1_saveexec_b32 s7, s7
	s_cbranch_execz .LBB55_2987
.LBB55_3158:
	v_add_f32_e64 v4, 0x42800000, |v1|
	s_and_not1_b32 s6, s6, exec_lo
	s_delay_alu instid0(VALU_DEP_1) | instskip(NEXT) | instid1(VALU_DEP_1)
	v_and_b32_e32 v4, 0xff, v4
	v_cmp_ne_u32_e32 vcc_lo, 0, v4
	s_and_b32 s11, vcc_lo, exec_lo
	s_delay_alu instid0(SALU_CYCLE_1)
	s_or_b32 s6, s6, s11
	s_or_b32 exec_lo, exec_lo, s7
	v_mov_b32_e32 v5, 0
	s_and_saveexec_b32 s7, s6
	s_cbranch_execnz .LBB55_2988
	s_branch .LBB55_2989
.LBB55_3159:
	s_and_not1_saveexec_b32 s6, s6
	s_cbranch_execz .LBB55_3094
.LBB55_3160:
	v_add_f32_e64 v1, 0x46000000, |v0|
	s_and_not1_b32 s5, s5, exec_lo
	s_delay_alu instid0(VALU_DEP_1) | instskip(NEXT) | instid1(VALU_DEP_1)
	v_and_b32_e32 v1, 0xff, v1
	v_cmp_ne_u32_e32 vcc_lo, 0, v1
	s_and_b32 s7, vcc_lo, exec_lo
	s_delay_alu instid0(SALU_CYCLE_1)
	s_or_b32 s5, s5, s7
	s_or_b32 exec_lo, exec_lo, s6
	v_mov_b32_e32 v4, 0
	s_and_saveexec_b32 s6, s5
	s_cbranch_execnz .LBB55_3095
	s_branch .LBB55_3096
.LBB55_3161:
	s_mov_b32 s3, 0
	s_or_b32 s10, s10, exec_lo
	s_trap 2
	s_branch .LBB55_3140
.LBB55_3162:
	s_and_not1_saveexec_b32 s5, s5
	s_cbranch_execz .LBB55_3106
.LBB55_3163:
	v_add_f32_e64 v1, 0x42800000, |v0|
	s_and_not1_b32 s4, s4, exec_lo
	s_delay_alu instid0(VALU_DEP_1) | instskip(NEXT) | instid1(VALU_DEP_1)
	v_and_b32_e32 v1, 0xff, v1
	v_cmp_ne_u32_e32 vcc_lo, 0, v1
	s_and_b32 s6, vcc_lo, exec_lo
	s_delay_alu instid0(SALU_CYCLE_1)
	s_or_b32 s4, s4, s6
	s_or_b32 exec_lo, exec_lo, s5
	v_mov_b32_e32 v4, 0
	s_and_saveexec_b32 s5, s4
	s_cbranch_execnz .LBB55_3107
	s_branch .LBB55_3108
	.section	.rodata,"a",@progbits
	.p2align	6, 0x0
	.amdhsa_kernel _ZN2at6native32elementwise_kernel_manual_unrollILi128ELi4EZNS0_15gpu_kernel_implIZZZNS0_15lcm_kernel_cudaERNS_18TensorIteratorBaseEENKUlvE_clEvENKUlvE0_clEvEUlaaE_EEvS4_RKT_EUlibE0_EEviT1_
		.amdhsa_group_segment_fixed_size 0
		.amdhsa_private_segment_fixed_size 0
		.amdhsa_kernarg_size 432
		.amdhsa_user_sgpr_count 2
		.amdhsa_user_sgpr_dispatch_ptr 0
		.amdhsa_user_sgpr_queue_ptr 0
		.amdhsa_user_sgpr_kernarg_segment_ptr 1
		.amdhsa_user_sgpr_dispatch_id 0
		.amdhsa_user_sgpr_kernarg_preload_length 0
		.amdhsa_user_sgpr_kernarg_preload_offset 0
		.amdhsa_user_sgpr_private_segment_size 0
		.amdhsa_wavefront_size32 1
		.amdhsa_uses_dynamic_stack 0
		.amdhsa_enable_private_segment 0
		.amdhsa_system_sgpr_workgroup_id_x 1
		.amdhsa_system_sgpr_workgroup_id_y 0
		.amdhsa_system_sgpr_workgroup_id_z 0
		.amdhsa_system_sgpr_workgroup_info 0
		.amdhsa_system_vgpr_workitem_id 0
		.amdhsa_next_free_vgpr 26
		.amdhsa_next_free_sgpr 60
		.amdhsa_named_barrier_count 0
		.amdhsa_reserve_vcc 1
		.amdhsa_float_round_mode_32 0
		.amdhsa_float_round_mode_16_64 0
		.amdhsa_float_denorm_mode_32 3
		.amdhsa_float_denorm_mode_16_64 3
		.amdhsa_fp16_overflow 0
		.amdhsa_memory_ordered 1
		.amdhsa_forward_progress 1
		.amdhsa_inst_pref_size 255
		.amdhsa_round_robin_scheduling 0
		.amdhsa_exception_fp_ieee_invalid_op 0
		.amdhsa_exception_fp_denorm_src 0
		.amdhsa_exception_fp_ieee_div_zero 0
		.amdhsa_exception_fp_ieee_overflow 0
		.amdhsa_exception_fp_ieee_underflow 0
		.amdhsa_exception_fp_ieee_inexact 0
		.amdhsa_exception_int_div_zero 0
	.end_amdhsa_kernel
	.section	.text._ZN2at6native32elementwise_kernel_manual_unrollILi128ELi4EZNS0_15gpu_kernel_implIZZZNS0_15lcm_kernel_cudaERNS_18TensorIteratorBaseEENKUlvE_clEvENKUlvE0_clEvEUlaaE_EEvS4_RKT_EUlibE0_EEviT1_,"axG",@progbits,_ZN2at6native32elementwise_kernel_manual_unrollILi128ELi4EZNS0_15gpu_kernel_implIZZZNS0_15lcm_kernel_cudaERNS_18TensorIteratorBaseEENKUlvE_clEvENKUlvE0_clEvEUlaaE_EEvS4_RKT_EUlibE0_EEviT1_,comdat
.Lfunc_end55:
	.size	_ZN2at6native32elementwise_kernel_manual_unrollILi128ELi4EZNS0_15gpu_kernel_implIZZZNS0_15lcm_kernel_cudaERNS_18TensorIteratorBaseEENKUlvE_clEvENKUlvE0_clEvEUlaaE_EEvS4_RKT_EUlibE0_EEviT1_, .Lfunc_end55-_ZN2at6native32elementwise_kernel_manual_unrollILi128ELi4EZNS0_15gpu_kernel_implIZZZNS0_15lcm_kernel_cudaERNS_18TensorIteratorBaseEENKUlvE_clEvENKUlvE0_clEvEUlaaE_EEvS4_RKT_EUlibE0_EEviT1_
                                        ; -- End function
	.set _ZN2at6native32elementwise_kernel_manual_unrollILi128ELi4EZNS0_15gpu_kernel_implIZZZNS0_15lcm_kernel_cudaERNS_18TensorIteratorBaseEENKUlvE_clEvENKUlvE0_clEvEUlaaE_EEvS4_RKT_EUlibE0_EEviT1_.num_vgpr, 26
	.set _ZN2at6native32elementwise_kernel_manual_unrollILi128ELi4EZNS0_15gpu_kernel_implIZZZNS0_15lcm_kernel_cudaERNS_18TensorIteratorBaseEENKUlvE_clEvENKUlvE0_clEvEUlaaE_EEvS4_RKT_EUlibE0_EEviT1_.num_agpr, 0
	.set _ZN2at6native32elementwise_kernel_manual_unrollILi128ELi4EZNS0_15gpu_kernel_implIZZZNS0_15lcm_kernel_cudaERNS_18TensorIteratorBaseEENKUlvE_clEvENKUlvE0_clEvEUlaaE_EEvS4_RKT_EUlibE0_EEviT1_.numbered_sgpr, 60
	.set _ZN2at6native32elementwise_kernel_manual_unrollILi128ELi4EZNS0_15gpu_kernel_implIZZZNS0_15lcm_kernel_cudaERNS_18TensorIteratorBaseEENKUlvE_clEvENKUlvE0_clEvEUlaaE_EEvS4_RKT_EUlibE0_EEviT1_.num_named_barrier, 0
	.set _ZN2at6native32elementwise_kernel_manual_unrollILi128ELi4EZNS0_15gpu_kernel_implIZZZNS0_15lcm_kernel_cudaERNS_18TensorIteratorBaseEENKUlvE_clEvENKUlvE0_clEvEUlaaE_EEvS4_RKT_EUlibE0_EEviT1_.private_seg_size, 0
	.set _ZN2at6native32elementwise_kernel_manual_unrollILi128ELi4EZNS0_15gpu_kernel_implIZZZNS0_15lcm_kernel_cudaERNS_18TensorIteratorBaseEENKUlvE_clEvENKUlvE0_clEvEUlaaE_EEvS4_RKT_EUlibE0_EEviT1_.uses_vcc, 1
	.set _ZN2at6native32elementwise_kernel_manual_unrollILi128ELi4EZNS0_15gpu_kernel_implIZZZNS0_15lcm_kernel_cudaERNS_18TensorIteratorBaseEENKUlvE_clEvENKUlvE0_clEvEUlaaE_EEvS4_RKT_EUlibE0_EEviT1_.uses_flat_scratch, 0
	.set _ZN2at6native32elementwise_kernel_manual_unrollILi128ELi4EZNS0_15gpu_kernel_implIZZZNS0_15lcm_kernel_cudaERNS_18TensorIteratorBaseEENKUlvE_clEvENKUlvE0_clEvEUlaaE_EEvS4_RKT_EUlibE0_EEviT1_.has_dyn_sized_stack, 0
	.set _ZN2at6native32elementwise_kernel_manual_unrollILi128ELi4EZNS0_15gpu_kernel_implIZZZNS0_15lcm_kernel_cudaERNS_18TensorIteratorBaseEENKUlvE_clEvENKUlvE0_clEvEUlaaE_EEvS4_RKT_EUlibE0_EEviT1_.has_recursion, 0
	.set _ZN2at6native32elementwise_kernel_manual_unrollILi128ELi4EZNS0_15gpu_kernel_implIZZZNS0_15lcm_kernel_cudaERNS_18TensorIteratorBaseEENKUlvE_clEvENKUlvE0_clEvEUlaaE_EEvS4_RKT_EUlibE0_EEviT1_.has_indirect_call, 0
	.section	.AMDGPU.csdata,"",@progbits
; Kernel info:
; codeLenInByte = 61704
; TotalNumSgprs: 62
; NumVgprs: 26
; ScratchSize: 0
; MemoryBound: 1
; FloatMode: 240
; IeeeMode: 1
; LDSByteSize: 0 bytes/workgroup (compile time only)
; SGPRBlocks: 0
; VGPRBlocks: 1
; NumSGPRsForWavesPerEU: 62
; NumVGPRsForWavesPerEU: 26
; NamedBarCnt: 0
; Occupancy: 16
; WaveLimiterHint : 1
; COMPUTE_PGM_RSRC2:SCRATCH_EN: 0
; COMPUTE_PGM_RSRC2:USER_SGPR: 2
; COMPUTE_PGM_RSRC2:TRAP_HANDLER: 0
; COMPUTE_PGM_RSRC2:TGID_X_EN: 1
; COMPUTE_PGM_RSRC2:TGID_Y_EN: 0
; COMPUTE_PGM_RSRC2:TGID_Z_EN: 0
; COMPUTE_PGM_RSRC2:TIDIG_COMP_CNT: 0
	.section	.text._ZN2at6native29vectorized_elementwise_kernelILi16EZZZNS0_15lcm_kernel_cudaERNS_18TensorIteratorBaseEENKUlvE_clEvENKUlvE1_clEvEUliiE_St5arrayIPcLm3EEEEviT0_T1_,"axG",@progbits,_ZN2at6native29vectorized_elementwise_kernelILi16EZZZNS0_15lcm_kernel_cudaERNS_18TensorIteratorBaseEENKUlvE_clEvENKUlvE1_clEvEUliiE_St5arrayIPcLm3EEEEviT0_T1_,comdat
	.globl	_ZN2at6native29vectorized_elementwise_kernelILi16EZZZNS0_15lcm_kernel_cudaERNS_18TensorIteratorBaseEENKUlvE_clEvENKUlvE1_clEvEUliiE_St5arrayIPcLm3EEEEviT0_T1_ ; -- Begin function _ZN2at6native29vectorized_elementwise_kernelILi16EZZZNS0_15lcm_kernel_cudaERNS_18TensorIteratorBaseEENKUlvE_clEvENKUlvE1_clEvEUliiE_St5arrayIPcLm3EEEEviT0_T1_
	.p2align	8
	.type	_ZN2at6native29vectorized_elementwise_kernelILi16EZZZNS0_15lcm_kernel_cudaERNS_18TensorIteratorBaseEENKUlvE_clEvENKUlvE1_clEvEUliiE_St5arrayIPcLm3EEEEviT0_T1_,@function
_ZN2at6native29vectorized_elementwise_kernelILi16EZZZNS0_15lcm_kernel_cudaERNS_18TensorIteratorBaseEENKUlvE_clEvENKUlvE1_clEvEUliiE_St5arrayIPcLm3EEEEviT0_T1_: ; @_ZN2at6native29vectorized_elementwise_kernelILi16EZZZNS0_15lcm_kernel_cudaERNS_18TensorIteratorBaseEENKUlvE_clEvENKUlvE1_clEvEUliiE_St5arrayIPcLm3EEEEviT0_T1_
; %bb.0:
	s_clause 0x2
	s_load_b32 s3, s[0:1], 0x0
	s_load_b128 s[4:7], s[0:1], 0x8
	s_load_b64 s[8:9], s[0:1], 0x18
	s_wait_xcnt 0x0
	s_bfe_u32 s0, ttmp6, 0x4000c
	s_and_b32 s1, ttmp6, 15
	s_add_co_i32 s0, s0, 1
	s_getreg_b32 s2, hwreg(HW_REG_IB_STS2, 6, 4)
	s_mul_i32 s0, ttmp9, s0
	s_delay_alu instid0(SALU_CYCLE_1) | instskip(SKIP_2) | instid1(SALU_CYCLE_1)
	s_add_co_i32 s1, s1, s0
	s_cmp_eq_u32 s2, 0
	s_cselect_b32 s0, ttmp9, s1
	s_lshl_b32 s2, s0, 10
	s_mov_b32 s0, -1
	s_wait_kmcnt 0x0
	s_sub_co_i32 s10, s3, s2
	s_delay_alu instid0(SALU_CYCLE_1)
	s_cmp_gt_i32 s10, 0x3ff
	s_cbranch_scc0 .LBB56_26
; %bb.1:
	s_ashr_i32 s3, s2, 31
	s_delay_alu instid0(SALU_CYCLE_1)
	s_lshl_b64 s[0:1], s[2:3], 2
	s_mov_b32 s3, exec_lo
	s_add_nc_u64 s[12:13], s[8:9], s[0:1]
	global_load_b128 v[2:5], v0, s[12:13] scale_offset
	s_wait_xcnt 0x0
	s_add_nc_u64 s[12:13], s[6:7], s[0:1]
	global_load_b128 v[6:9], v0, s[12:13] scale_offset
	s_wait_loadcnt 0x1
	v_sub_nc_u32_e32 v1, 0, v2
	s_wait_loadcnt 0x0
	s_delay_alu instid0(VALU_DEP_1)
	v_dual_sub_nc_u32 v1, 0, v6 :: v_dual_max_i32 v11, v2, v1
	v_cmpx_ne_u32_e32 0, v6
	s_cbranch_execz .LBB56_5
; %bb.2:
	s_delay_alu instid0(VALU_DEP_2)
	v_max_i32_e32 v12, v6, v1
	s_mov_b32 s11, 0
.LBB56_3:                               ; =>This Inner Loop Header: Depth=1
	s_delay_alu instid0(VALU_DEP_1) | instskip(NEXT) | instid1(VALU_DEP_1)
	v_mov_b32_e32 v10, v12
	v_cvt_f32_u32_e32 v12, v10
	v_sub_nc_u32_e32 v13, 0, v10
	s_delay_alu instid0(VALU_DEP_2) | instskip(SKIP_1) | instid1(TRANS32_DEP_1)
	v_rcp_iflag_f32_e32 v12, v12
	v_nop
	v_mul_f32_e32 v12, 0x4f7ffffe, v12
	s_delay_alu instid0(VALU_DEP_1) | instskip(NEXT) | instid1(VALU_DEP_1)
	v_cvt_u32_f32_e32 v12, v12
	v_mul_lo_u32 v13, v13, v12
	s_delay_alu instid0(VALU_DEP_1) | instskip(NEXT) | instid1(VALU_DEP_1)
	v_mul_hi_u32 v13, v12, v13
	v_add_nc_u32_e32 v12, v12, v13
	s_delay_alu instid0(VALU_DEP_1) | instskip(NEXT) | instid1(VALU_DEP_1)
	v_mul_hi_u32 v12, v11, v12
	v_mul_lo_u32 v12, v12, v10
	s_delay_alu instid0(VALU_DEP_1) | instskip(NEXT) | instid1(VALU_DEP_1)
	v_sub_nc_u32_e32 v11, v11, v12
	v_sub_nc_u32_e32 v12, v11, v10
	v_cmp_ge_u32_e32 vcc_lo, v11, v10
	s_delay_alu instid0(VALU_DEP_2) | instskip(NEXT) | instid1(VALU_DEP_1)
	v_cndmask_b32_e32 v11, v11, v12, vcc_lo
	v_sub_nc_u32_e32 v12, v11, v10
	v_cmp_ge_u32_e32 vcc_lo, v11, v10
	s_delay_alu instid0(VALU_DEP_2) | instskip(NEXT) | instid1(VALU_DEP_1)
	v_dual_cndmask_b32 v12, v11, v12 :: v_dual_mov_b32 v11, v10
	v_cmp_eq_u32_e32 vcc_lo, 0, v12
	s_or_b32 s11, vcc_lo, s11
	s_delay_alu instid0(SALU_CYCLE_1)
	s_and_not1_b32 exec_lo, exec_lo, s11
	s_cbranch_execnz .LBB56_3
; %bb.4:
	s_or_b32 exec_lo, exec_lo, s11
	v_mov_b32_e32 v11, v10
.LBB56_5:
	s_or_b32 exec_lo, exec_lo, s3
	v_mov_b32_e32 v10, 0
	s_mov_b32 s3, exec_lo
	s_delay_alu instid0(VALU_DEP_2)
	v_cmpx_ne_u32_e32 0, v11
	s_cbranch_execz .LBB56_7
; %bb.6:
	v_dual_sub_nc_u32 v10, 0, v11 :: v_dual_max_i32 v1, v6, v1
	s_delay_alu instid0(VALU_DEP_1) | instskip(NEXT) | instid1(VALU_DEP_1)
	v_max_i32_e32 v10, v11, v10
	v_cvt_f32_u32_e32 v12, v10
	v_sub_nc_u32_e32 v13, 0, v10
	s_delay_alu instid0(VALU_DEP_2) | instskip(SKIP_1) | instid1(TRANS32_DEP_1)
	v_rcp_iflag_f32_e32 v12, v12
	v_nop
	v_mul_f32_e32 v12, 0x4f7ffffe, v12
	s_delay_alu instid0(VALU_DEP_1) | instskip(NEXT) | instid1(VALU_DEP_1)
	v_cvt_u32_f32_e32 v12, v12
	v_mul_lo_u32 v13, v13, v12
	s_delay_alu instid0(VALU_DEP_1) | instskip(NEXT) | instid1(VALU_DEP_1)
	v_mul_hi_u32 v13, v12, v13
	v_add_nc_u32_e32 v12, v12, v13
	s_delay_alu instid0(VALU_DEP_1) | instskip(NEXT) | instid1(VALU_DEP_1)
	v_mul_hi_u32 v12, v1, v12
	v_mul_lo_u32 v13, v12, v10
	s_delay_alu instid0(VALU_DEP_1) | instskip(NEXT) | instid1(VALU_DEP_1)
	v_dual_sub_nc_u32 v1, v1, v13 :: v_dual_add_nc_u32 v13, 1, v12
	v_cmp_ge_u32_e32 vcc_lo, v1, v10
	s_delay_alu instid0(VALU_DEP_2) | instskip(NEXT) | instid1(VALU_DEP_1)
	v_dual_sub_nc_u32 v14, v1, v10 :: v_dual_cndmask_b32 v12, v12, v13, vcc_lo
	v_dual_cndmask_b32 v1, v1, v14, vcc_lo :: v_dual_bitop2_b32 v6, v6, v11 bitop3:0x14
	s_delay_alu instid0(VALU_DEP_1) | instskip(NEXT) | instid1(VALU_DEP_2)
	v_dual_add_nc_u32 v11, 1, v12 :: v_dual_ashrrev_i32 v6, 31, v6
	v_cmp_ge_u32_e32 vcc_lo, v1, v10
	s_delay_alu instid0(VALU_DEP_2) | instskip(NEXT) | instid1(VALU_DEP_1)
	v_cndmask_b32_e32 v1, v12, v11, vcc_lo
	v_xor_b32_e32 v1, v1, v6
	s_delay_alu instid0(VALU_DEP_1) | instskip(NEXT) | instid1(VALU_DEP_1)
	v_sub_nc_u32_e32 v1, v1, v6
	v_mul_lo_u32 v1, v1, v2
	s_delay_alu instid0(VALU_DEP_1) | instskip(NEXT) | instid1(VALU_DEP_1)
	v_sub_nc_u32_e32 v2, 0, v1
	v_max_i32_e32 v10, v1, v2
.LBB56_7:
	s_or_b32 exec_lo, exec_lo, s3
	v_sub_nc_u32_e32 v1, 0, v3
	s_mov_b32 s11, 0
	s_mov_b32 s3, exec_lo
	s_delay_alu instid0(VALU_DEP_1)
	v_dual_sub_nc_u32 v1, 0, v7 :: v_dual_max_i32 v2, v3, v1
	v_cmpx_ne_u32_e32 0, v7
	s_cbranch_execz .LBB56_11
; %bb.8:
	s_delay_alu instid0(VALU_DEP_2)
	v_max_i32_e32 v11, v7, v1
.LBB56_9:                               ; =>This Inner Loop Header: Depth=1
	s_delay_alu instid0(VALU_DEP_1) | instskip(NEXT) | instid1(VALU_DEP_1)
	v_mov_b32_e32 v6, v11
	v_cvt_f32_u32_e32 v11, v6
	s_delay_alu instid0(VALU_DEP_1) | instskip(SKIP_1) | instid1(TRANS32_DEP_1)
	v_rcp_iflag_f32_e32 v11, v11
	v_nop
	v_dual_mul_f32 v11, 0x4f7ffffe, v11 :: v_dual_sub_nc_u32 v12, 0, v6
	s_delay_alu instid0(VALU_DEP_1) | instskip(NEXT) | instid1(VALU_DEP_1)
	v_cvt_u32_f32_e32 v11, v11
	v_mul_lo_u32 v12, v12, v11
	s_delay_alu instid0(VALU_DEP_1) | instskip(NEXT) | instid1(VALU_DEP_1)
	v_mul_hi_u32 v12, v11, v12
	v_add_nc_u32_e32 v11, v11, v12
	s_delay_alu instid0(VALU_DEP_1) | instskip(NEXT) | instid1(VALU_DEP_1)
	v_mul_hi_u32 v11, v2, v11
	v_mul_lo_u32 v11, v11, v6
	s_delay_alu instid0(VALU_DEP_1) | instskip(NEXT) | instid1(VALU_DEP_1)
	v_sub_nc_u32_e32 v2, v2, v11
	v_sub_nc_u32_e32 v11, v2, v6
	v_cmp_ge_u32_e32 vcc_lo, v2, v6
	s_delay_alu instid0(VALU_DEP_2) | instskip(NEXT) | instid1(VALU_DEP_1)
	v_cndmask_b32_e32 v2, v2, v11, vcc_lo
	v_sub_nc_u32_e32 v11, v2, v6
	v_cmp_ge_u32_e32 vcc_lo, v2, v6
	s_delay_alu instid0(VALU_DEP_2) | instskip(SKIP_1) | instid1(VALU_DEP_2)
	v_cndmask_b32_e32 v11, v2, v11, vcc_lo
	v_mov_b32_e32 v2, v6
	v_cmp_eq_u32_e32 vcc_lo, 0, v11
	s_or_b32 s11, vcc_lo, s11
	s_delay_alu instid0(SALU_CYCLE_1)
	s_and_not1_b32 exec_lo, exec_lo, s11
	s_cbranch_execnz .LBB56_9
; %bb.10:
	s_or_b32 exec_lo, exec_lo, s11
	v_mov_b32_e32 v2, v6
.LBB56_11:
	s_or_b32 exec_lo, exec_lo, s3
	v_mov_b32_e32 v11, 0
	s_mov_b32 s3, exec_lo
	s_delay_alu instid0(VALU_DEP_2)
	v_cmpx_ne_u32_e32 0, v2
	s_cbranch_execz .LBB56_13
; %bb.12:
	v_dual_sub_nc_u32 v6, 0, v2 :: v_dual_max_i32 v1, v7, v1
	s_delay_alu instid0(VALU_DEP_1) | instskip(NEXT) | instid1(VALU_DEP_1)
	v_max_i32_e32 v6, v2, v6
	v_cvt_f32_u32_e32 v11, v6
	v_sub_nc_u32_e32 v12, 0, v6
	s_delay_alu instid0(VALU_DEP_2) | instskip(SKIP_1) | instid1(TRANS32_DEP_1)
	v_rcp_iflag_f32_e32 v11, v11
	v_nop
	v_mul_f32_e32 v11, 0x4f7ffffe, v11
	s_delay_alu instid0(VALU_DEP_1) | instskip(NEXT) | instid1(VALU_DEP_1)
	v_cvt_u32_f32_e32 v11, v11
	v_mul_lo_u32 v12, v12, v11
	s_delay_alu instid0(VALU_DEP_1) | instskip(NEXT) | instid1(VALU_DEP_1)
	v_mul_hi_u32 v12, v11, v12
	v_add_nc_u32_e32 v11, v11, v12
	s_delay_alu instid0(VALU_DEP_1) | instskip(NEXT) | instid1(VALU_DEP_1)
	v_mul_hi_u32 v11, v1, v11
	v_mul_lo_u32 v12, v11, v6
	s_delay_alu instid0(VALU_DEP_1) | instskip(NEXT) | instid1(VALU_DEP_1)
	v_dual_sub_nc_u32 v1, v1, v12 :: v_dual_add_nc_u32 v12, 1, v11
	v_cmp_ge_u32_e32 vcc_lo, v1, v6
	s_delay_alu instid0(VALU_DEP_2) | instskip(NEXT) | instid1(VALU_DEP_1)
	v_dual_sub_nc_u32 v13, v1, v6 :: v_dual_cndmask_b32 v11, v11, v12, vcc_lo
	v_dual_cndmask_b32 v1, v1, v13, vcc_lo :: v_dual_bitop2_b32 v2, v7, v2 bitop3:0x14
	s_delay_alu instid0(VALU_DEP_1) | instskip(NEXT) | instid1(VALU_DEP_2)
	v_dual_add_nc_u32 v7, 1, v11 :: v_dual_ashrrev_i32 v2, 31, v2
	v_cmp_ge_u32_e32 vcc_lo, v1, v6
	s_delay_alu instid0(VALU_DEP_2) | instskip(NEXT) | instid1(VALU_DEP_1)
	v_cndmask_b32_e32 v1, v11, v7, vcc_lo
	v_xor_b32_e32 v1, v1, v2
	s_delay_alu instid0(VALU_DEP_1) | instskip(NEXT) | instid1(VALU_DEP_1)
	v_sub_nc_u32_e32 v1, v1, v2
	v_mul_lo_u32 v1, v1, v3
	s_delay_alu instid0(VALU_DEP_1) | instskip(NEXT) | instid1(VALU_DEP_1)
	v_sub_nc_u32_e32 v2, 0, v1
	v_max_i32_e32 v11, v1, v2
.LBB56_13:
	s_or_b32 exec_lo, exec_lo, s3
	v_sub_nc_u32_e32 v1, 0, v4
	s_mov_b32 s11, 0
	s_mov_b32 s3, exec_lo
	s_delay_alu instid0(VALU_DEP_1)
	v_dual_sub_nc_u32 v1, 0, v8 :: v_dual_max_i32 v2, v4, v1
	v_cmpx_ne_u32_e32 0, v8
	s_cbranch_execz .LBB56_17
; %bb.14:
	s_delay_alu instid0(VALU_DEP_2)
	v_max_i32_e32 v6, v8, v1
.LBB56_15:                              ; =>This Inner Loop Header: Depth=1
	s_delay_alu instid0(VALU_DEP_1) | instskip(NEXT) | instid1(VALU_DEP_1)
	v_mov_b32_e32 v3, v6
	v_cvt_f32_u32_e32 v6, v3
	s_delay_alu instid0(VALU_DEP_1) | instskip(SKIP_1) | instid1(TRANS32_DEP_1)
	v_rcp_iflag_f32_e32 v6, v6
	v_nop
	v_dual_mul_f32 v6, 0x4f7ffffe, v6 :: v_dual_sub_nc_u32 v7, 0, v3
	s_delay_alu instid0(VALU_DEP_1) | instskip(NEXT) | instid1(VALU_DEP_1)
	v_cvt_u32_f32_e32 v6, v6
	v_mul_lo_u32 v7, v7, v6
	s_delay_alu instid0(VALU_DEP_1) | instskip(NEXT) | instid1(VALU_DEP_1)
	v_mul_hi_u32 v7, v6, v7
	v_add_nc_u32_e32 v6, v6, v7
	s_delay_alu instid0(VALU_DEP_1) | instskip(NEXT) | instid1(VALU_DEP_1)
	v_mul_hi_u32 v6, v2, v6
	v_mul_lo_u32 v6, v6, v3
	s_delay_alu instid0(VALU_DEP_1) | instskip(NEXT) | instid1(VALU_DEP_1)
	v_sub_nc_u32_e32 v2, v2, v6
	v_sub_nc_u32_e32 v6, v2, v3
	v_cmp_ge_u32_e32 vcc_lo, v2, v3
	s_delay_alu instid0(VALU_DEP_2) | instskip(NEXT) | instid1(VALU_DEP_1)
	v_cndmask_b32_e32 v2, v2, v6, vcc_lo
	v_sub_nc_u32_e32 v6, v2, v3
	v_cmp_ge_u32_e32 vcc_lo, v2, v3
	s_delay_alu instid0(VALU_DEP_2) | instskip(NEXT) | instid1(VALU_DEP_1)
	v_dual_cndmask_b32 v6, v2, v6, vcc_lo :: v_dual_mov_b32 v2, v3
	v_cmp_eq_u32_e32 vcc_lo, 0, v6
	s_or_b32 s11, vcc_lo, s11
	s_delay_alu instid0(SALU_CYCLE_1)
	s_and_not1_b32 exec_lo, exec_lo, s11
	s_cbranch_execnz .LBB56_15
; %bb.16:
	s_or_b32 exec_lo, exec_lo, s11
	v_mov_b32_e32 v2, v3
.LBB56_17:
	s_or_b32 exec_lo, exec_lo, s3
	v_mov_b32_e32 v12, 0
	s_mov_b32 s3, exec_lo
	s_delay_alu instid0(VALU_DEP_2)
	v_cmpx_ne_u32_e32 0, v2
	s_cbranch_execz .LBB56_19
; %bb.18:
	v_dual_sub_nc_u32 v3, 0, v2 :: v_dual_max_i32 v1, v8, v1
	s_delay_alu instid0(VALU_DEP_1) | instskip(SKIP_1) | instid1(VALU_DEP_2)
	v_max_i32_e32 v3, v2, v3
	v_xor_b32_e32 v2, v8, v2
	v_cvt_f32_u32_e32 v6, v3
	s_delay_alu instid0(VALU_DEP_1) | instskip(SKIP_1) | instid1(TRANS32_DEP_1)
	v_rcp_iflag_f32_e32 v6, v6
	v_nop
	v_dual_mul_f32 v6, 0x4f7ffffe, v6 :: v_dual_sub_nc_u32 v7, 0, v3
	s_delay_alu instid0(VALU_DEP_1) | instskip(NEXT) | instid1(VALU_DEP_1)
	v_cvt_u32_f32_e32 v6, v6
	v_mul_lo_u32 v7, v7, v6
	s_delay_alu instid0(VALU_DEP_1) | instskip(NEXT) | instid1(VALU_DEP_1)
	v_mul_hi_u32 v7, v6, v7
	v_add_nc_u32_e32 v6, v6, v7
	s_delay_alu instid0(VALU_DEP_1) | instskip(NEXT) | instid1(VALU_DEP_1)
	v_mul_hi_u32 v6, v1, v6
	v_mul_lo_u32 v7, v6, v3
	s_delay_alu instid0(VALU_DEP_1) | instskip(NEXT) | instid1(VALU_DEP_1)
	v_sub_nc_u32_e32 v1, v1, v7
	v_sub_nc_u32_e32 v12, v1, v3
	v_cmp_ge_u32_e32 vcc_lo, v1, v3
	s_delay_alu instid0(VALU_DEP_2) | instskip(NEXT) | instid1(VALU_DEP_1)
	v_dual_add_nc_u32 v7, 1, v6 :: v_dual_cndmask_b32 v1, v1, v12, vcc_lo
	v_cndmask_b32_e32 v6, v6, v7, vcc_lo
	s_delay_alu instid0(VALU_DEP_2) | instskip(NEXT) | instid1(VALU_DEP_2)
	v_cmp_ge_u32_e32 vcc_lo, v1, v3
	v_add_nc_u32_e32 v7, 1, v6
	s_delay_alu instid0(VALU_DEP_1) | instskip(NEXT) | instid1(VALU_DEP_1)
	v_dual_cndmask_b32 v1, v6, v7 :: v_dual_ashrrev_i32 v2, 31, v2
	v_xor_b32_e32 v1, v1, v2
	s_delay_alu instid0(VALU_DEP_1) | instskip(NEXT) | instid1(VALU_DEP_1)
	v_sub_nc_u32_e32 v1, v1, v2
	v_mul_lo_u32 v1, v1, v4
	s_delay_alu instid0(VALU_DEP_1) | instskip(NEXT) | instid1(VALU_DEP_1)
	v_sub_nc_u32_e32 v2, 0, v1
	v_max_i32_e32 v12, v1, v2
.LBB56_19:
	s_or_b32 exec_lo, exec_lo, s3
	v_sub_nc_u32_e32 v1, 0, v5
	s_mov_b32 s11, 0
	s_mov_b32 s3, exec_lo
	s_delay_alu instid0(VALU_DEP_1)
	v_max_i32_e32 v2, v5, v1
	v_sub_nc_u32_e32 v1, 0, v9
	v_cmpx_ne_u32_e32 0, v9
	s_cbranch_execz .LBB56_23
; %bb.20:
	s_delay_alu instid0(VALU_DEP_2)
	v_max_i32_e32 v4, v9, v1
.LBB56_21:                              ; =>This Inner Loop Header: Depth=1
	s_delay_alu instid0(VALU_DEP_1) | instskip(NEXT) | instid1(VALU_DEP_1)
	v_mov_b32_e32 v3, v4
	v_cvt_f32_u32_e32 v4, v3
	s_delay_alu instid0(VALU_DEP_1) | instskip(SKIP_1) | instid1(TRANS32_DEP_1)
	v_rcp_iflag_f32_e32 v4, v4
	v_nop
	v_mul_f32_e32 v4, 0x4f7ffffe, v4
	v_sub_nc_u32_e32 v6, 0, v3
	s_delay_alu instid0(VALU_DEP_2) | instskip(NEXT) | instid1(VALU_DEP_1)
	v_cvt_u32_f32_e32 v4, v4
	v_mul_lo_u32 v6, v6, v4
	s_delay_alu instid0(VALU_DEP_1) | instskip(NEXT) | instid1(VALU_DEP_1)
	v_mul_hi_u32 v6, v4, v6
	v_add_nc_u32_e32 v4, v4, v6
	s_delay_alu instid0(VALU_DEP_1) | instskip(NEXT) | instid1(VALU_DEP_1)
	v_mul_hi_u32 v4, v2, v4
	v_mul_lo_u32 v4, v4, v3
	s_delay_alu instid0(VALU_DEP_1) | instskip(NEXT) | instid1(VALU_DEP_1)
	v_sub_nc_u32_e32 v2, v2, v4
	v_sub_nc_u32_e32 v4, v2, v3
	v_cmp_ge_u32_e32 vcc_lo, v2, v3
	s_delay_alu instid0(VALU_DEP_2) | instskip(NEXT) | instid1(VALU_DEP_1)
	v_cndmask_b32_e32 v2, v2, v4, vcc_lo
	v_sub_nc_u32_e32 v4, v2, v3
	v_cmp_ge_u32_e32 vcc_lo, v2, v3
	s_delay_alu instid0(VALU_DEP_2) | instskip(NEXT) | instid1(VALU_DEP_1)
	v_dual_cndmask_b32 v4, v2, v4, vcc_lo :: v_dual_mov_b32 v2, v3
	v_cmp_eq_u32_e32 vcc_lo, 0, v4
	s_or_b32 s11, vcc_lo, s11
	s_delay_alu instid0(SALU_CYCLE_1)
	s_and_not1_b32 exec_lo, exec_lo, s11
	s_cbranch_execnz .LBB56_21
; %bb.22:
	s_or_b32 exec_lo, exec_lo, s11
	v_mov_b32_e32 v2, v3
.LBB56_23:
	s_or_b32 exec_lo, exec_lo, s3
	v_mov_b32_e32 v13, 0
	s_mov_b32 s3, exec_lo
	s_delay_alu instid0(VALU_DEP_2)
	v_cmpx_ne_u32_e32 0, v2
	s_cbranch_execz .LBB56_25
; %bb.24:
	v_dual_sub_nc_u32 v3, 0, v2 :: v_dual_max_i32 v1, v9, v1
	s_delay_alu instid0(VALU_DEP_1) | instskip(NEXT) | instid1(VALU_DEP_1)
	v_max_i32_e32 v3, v2, v3
	v_cvt_f32_u32_e32 v4, v3
	v_sub_nc_u32_e32 v6, 0, v3
	s_delay_alu instid0(VALU_DEP_2) | instskip(SKIP_1) | instid1(TRANS32_DEP_1)
	v_rcp_iflag_f32_e32 v4, v4
	v_nop
	v_mul_f32_e32 v4, 0x4f7ffffe, v4
	s_delay_alu instid0(VALU_DEP_1) | instskip(NEXT) | instid1(VALU_DEP_1)
	v_cvt_u32_f32_e32 v4, v4
	v_mul_lo_u32 v6, v6, v4
	s_delay_alu instid0(VALU_DEP_1) | instskip(NEXT) | instid1(VALU_DEP_1)
	v_mul_hi_u32 v6, v4, v6
	v_add_nc_u32_e32 v4, v4, v6
	s_delay_alu instid0(VALU_DEP_1) | instskip(NEXT) | instid1(VALU_DEP_1)
	v_mul_hi_u32 v4, v1, v4
	v_mul_lo_u32 v6, v4, v3
	s_delay_alu instid0(VALU_DEP_1) | instskip(NEXT) | instid1(VALU_DEP_1)
	v_dual_sub_nc_u32 v1, v1, v6 :: v_dual_add_nc_u32 v6, 1, v4
	v_cmp_ge_u32_e32 vcc_lo, v1, v3
	s_delay_alu instid0(VALU_DEP_2) | instskip(NEXT) | instid1(VALU_DEP_1)
	v_dual_cndmask_b32 v4, v4, v6 :: v_dual_sub_nc_u32 v7, v1, v3
	v_dual_add_nc_u32 v6, 1, v4 :: v_dual_bitop2_b32 v2, v9, v2 bitop3:0x14
	s_delay_alu instid0(VALU_DEP_1) | instskip(NEXT) | instid1(VALU_DEP_1)
	v_dual_cndmask_b32 v1, v1, v7 :: v_dual_ashrrev_i32 v2, 31, v2
	v_cmp_ge_u32_e32 vcc_lo, v1, v3
	s_delay_alu instid0(VALU_DEP_3) | instskip(NEXT) | instid1(VALU_DEP_1)
	v_cndmask_b32_e32 v1, v4, v6, vcc_lo
	v_xor_b32_e32 v1, v1, v2
	s_delay_alu instid0(VALU_DEP_1) | instskip(NEXT) | instid1(VALU_DEP_1)
	v_sub_nc_u32_e32 v1, v1, v2
	v_mul_lo_u32 v1, v1, v5
	s_delay_alu instid0(VALU_DEP_1) | instskip(NEXT) | instid1(VALU_DEP_1)
	v_sub_nc_u32_e32 v2, 0, v1
	v_max_i32_e32 v13, v1, v2
.LBB56_25:
	s_or_b32 exec_lo, exec_lo, s3
	s_add_nc_u64 s[12:13], s[4:5], s[0:1]
	s_mov_b32 s0, 0
	global_store_b128 v0, v[10:13], s[12:13] scale_offset
.LBB56_26:
	s_and_b32 vcc_lo, exec_lo, s0
	s_cbranch_vccz .LBB56_65
; %bb.27:
	v_cmp_gt_i32_e32 vcc_lo, s10, v0
	s_wait_xcnt 0x0
	v_dual_mov_b32 v2, 0 :: v_dual_bitop2_b32 v10, s2, v0 bitop3:0x54
	v_or_b32_e32 v11, 0x100, v0
	v_dual_mov_b32 v12, 0 :: v_dual_mov_b32 v6, 0
	v_dual_mov_b32 v13, 0 :: v_dual_mov_b32 v5, 0
	;; [unrolled: 1-line block ×4, first 2 shown]
	s_and_saveexec_b32 s1, vcc_lo
	s_cbranch_execz .LBB56_35
; %bb.28:
	s_clause 0x1
	global_load_b32 v17, v10, s[6:7] scale_offset
	global_load_b32 v16, v10, s[8:9] scale_offset
	v_or_b32_e32 v1, 0x100, v0
	v_dual_mov_b32 v14, 0 :: v_dual_mov_b32 v15, 0
	v_dual_mov_b32 v5, 0 :: v_dual_mov_b32 v13, 0
	;; [unrolled: 1-line block ×3, first 2 shown]
	s_mov_b32 s3, exec_lo
	s_wait_xcnt 0x0
	v_cmpx_gt_u32_e64 s10, v1
	s_cbranch_execz .LBB56_34
; %bb.29:
	v_dual_mov_b32 v5, 0 :: v_dual_add_nc_u32 v4, s2, v0
	v_or_b32_e32 v1, 0x200, v0
	v_dual_mov_b32 v13, 0 :: v_dual_mov_b32 v6, 0
	s_clause 0x1
	global_load_b32 v15, v4, s[6:7] offset:1024 scale_offset
	global_load_b32 v14, v4, s[8:9] offset:1024 scale_offset
	v_mov_b32_e32 v12, 0
	s_mov_b32 s11, exec_lo
	s_wait_xcnt 0x0
	v_cmpx_gt_u32_e64 s10, v1
	s_cbranch_execz .LBB56_33
; %bb.30:
	v_lshlrev_b64_e32 v[8:9], 2, v[4:5]
	v_or_b32_e32 v3, 0x300, v0
	v_mov_b32_e32 v12, 0
	s_delay_alu instid0(VALU_DEP_3)
	v_add_nc_u64_e32 v[6:7], s[6:7], v[8:9]
	v_add_nc_u64_e32 v[8:9], s[8:9], v[8:9]
	s_mov_b32 s6, exec_lo
	global_load_b32 v13, v[6:7], off offset:2048
	global_load_b32 v1, v[8:9], off offset:2048
	s_wait_xcnt 0x0
	v_cmpx_gt_u32_e64 s10, v3
	s_cbranch_execz .LBB56_32
; %bb.31:
	global_load_b32 v12, v[6:7], off offset:3072
	global_load_b32 v5, v[8:9], off offset:3072
.LBB56_32:
	s_wait_xcnt 0x0
	s_or_b32 exec_lo, exec_lo, s6
	s_wait_loadcnt 0x0
	v_dual_mov_b32 v6, v5 :: v_dual_mov_b32 v5, v1
.LBB56_33:
	s_or_b32 exec_lo, exec_lo, s11
.LBB56_34:
	s_delay_alu instid0(SALU_CYCLE_1)
	s_or_b32 exec_lo, exec_lo, s3
.LBB56_35:
	s_delay_alu instid0(SALU_CYCLE_1)
	s_or_b32 exec_lo, exec_lo, s1
	v_dual_mov_b32 v1, v2 :: v_dual_mov_b32 v4, v2
	v_mov_b32_e32 v3, v2
	s_and_saveexec_b32 s1, vcc_lo
	s_cbranch_execz .LBB56_43
; %bb.36:
	s_wait_loadcnt 0x0
	v_dual_sub_nc_u32 v1, 0, v16 :: v_dual_sub_nc_u32 v3, 0, v17
	s_mov_b32 s3, exec_lo
	s_delay_alu instid0(VALU_DEP_1)
	v_max_i32_e32 v4, v16, v1
	v_cmpx_ne_u32_e32 0, v17
	s_cbranch_execz .LBB56_40
; %bb.37:
	v_max_i32_e32 v2, v17, v3
	s_mov_b32 s6, 0
.LBB56_38:                              ; =>This Inner Loop Header: Depth=1
	s_delay_alu instid0(VALU_DEP_1) | instskip(NEXT) | instid1(VALU_DEP_1)
	v_mov_b32_e32 v1, v2
	v_cvt_f32_u32_e32 v2, v1
	s_delay_alu instid0(VALU_DEP_1) | instskip(SKIP_1) | instid1(TRANS32_DEP_1)
	v_rcp_iflag_f32_e32 v2, v2
	v_nop
	v_dual_mul_f32 v2, 0x4f7ffffe, v2 :: v_dual_sub_nc_u32 v7, 0, v1
	s_delay_alu instid0(VALU_DEP_1) | instskip(NEXT) | instid1(VALU_DEP_1)
	v_cvt_u32_f32_e32 v2, v2
	v_mul_lo_u32 v7, v7, v2
	s_delay_alu instid0(VALU_DEP_1) | instskip(NEXT) | instid1(VALU_DEP_1)
	v_mul_hi_u32 v7, v2, v7
	v_add_nc_u32_e32 v2, v2, v7
	s_delay_alu instid0(VALU_DEP_1) | instskip(NEXT) | instid1(VALU_DEP_1)
	v_mul_hi_u32 v2, v4, v2
	v_mul_lo_u32 v2, v2, v1
	s_delay_alu instid0(VALU_DEP_1) | instskip(NEXT) | instid1(VALU_DEP_1)
	v_sub_nc_u32_e32 v2, v4, v2
	v_sub_nc_u32_e32 v4, v2, v1
	v_cmp_ge_u32_e64 s0, v2, v1
	s_delay_alu instid0(VALU_DEP_1) | instskip(NEXT) | instid1(VALU_DEP_1)
	v_cndmask_b32_e64 v2, v2, v4, s0
	v_sub_nc_u32_e32 v4, v2, v1
	v_cmp_ge_u32_e64 s0, v2, v1
	s_delay_alu instid0(VALU_DEP_1) | instskip(NEXT) | instid1(VALU_DEP_1)
	v_dual_cndmask_b32 v2, v2, v4, s0 :: v_dual_mov_b32 v4, v1
	v_cmp_eq_u32_e64 s0, 0, v2
	s_or_b32 s6, s0, s6
	s_delay_alu instid0(SALU_CYCLE_1)
	s_and_not1_b32 exec_lo, exec_lo, s6
	s_cbranch_execnz .LBB56_38
; %bb.39:
	s_or_b32 exec_lo, exec_lo, s6
	v_mov_b32_e32 v4, v1
.LBB56_40:
	s_or_b32 exec_lo, exec_lo, s3
	v_dual_mov_b32 v1, 0 :: v_dual_mov_b32 v2, 0
	s_mov_b32 s3, exec_lo
	s_delay_alu instid0(VALU_DEP_2)
	v_cmpx_ne_u32_e32 0, v4
	s_cbranch_execz .LBB56_42
; %bb.41:
	v_dual_sub_nc_u32 v2, 0, v4 :: v_dual_max_i32 v3, v17, v3
	s_delay_alu instid0(VALU_DEP_1) | instskip(SKIP_1) | instid1(VALU_DEP_2)
	v_max_i32_e32 v2, v4, v2
	v_xor_b32_e32 v4, v17, v4
	v_cvt_f32_u32_e32 v7, v2
	s_delay_alu instid0(VALU_DEP_2) | instskip(NEXT) | instid1(VALU_DEP_2)
	v_dual_sub_nc_u32 v8, 0, v2 :: v_dual_ashrrev_i32 v4, 31, v4
	v_rcp_iflag_f32_e32 v7, v7
	v_nop
	s_delay_alu instid0(TRANS32_DEP_1) | instskip(NEXT) | instid1(VALU_DEP_1)
	v_mul_f32_e32 v7, 0x4f7ffffe, v7
	v_cvt_u32_f32_e32 v7, v7
	s_delay_alu instid0(VALU_DEP_1) | instskip(NEXT) | instid1(VALU_DEP_1)
	v_mul_lo_u32 v8, v8, v7
	v_mul_hi_u32 v8, v7, v8
	s_delay_alu instid0(VALU_DEP_1) | instskip(NEXT) | instid1(VALU_DEP_1)
	v_add_nc_u32_e32 v7, v7, v8
	v_mul_hi_u32 v7, v3, v7
	s_delay_alu instid0(VALU_DEP_1) | instskip(NEXT) | instid1(VALU_DEP_1)
	v_mul_lo_u32 v8, v7, v2
	v_dual_sub_nc_u32 v3, v3, v8 :: v_dual_add_nc_u32 v8, 1, v7
	s_delay_alu instid0(VALU_DEP_1) | instskip(SKIP_1) | instid1(VALU_DEP_1)
	v_sub_nc_u32_e32 v9, v3, v2
	v_cmp_ge_u32_e64 s0, v3, v2
	v_cndmask_b32_e64 v7, v7, v8, s0
	s_delay_alu instid0(VALU_DEP_1) | instskip(NEXT) | instid1(VALU_DEP_1)
	v_dual_cndmask_b32 v3, v3, v9, s0 :: v_dual_add_nc_u32 v8, 1, v7
	v_cmp_ge_u32_e64 s0, v3, v2
	s_delay_alu instid0(VALU_DEP_1) | instskip(NEXT) | instid1(VALU_DEP_1)
	v_cndmask_b32_e64 v2, v7, v8, s0
	v_xor_b32_e32 v2, v2, v4
	s_delay_alu instid0(VALU_DEP_1) | instskip(NEXT) | instid1(VALU_DEP_1)
	v_sub_nc_u32_e32 v2, v2, v4
	v_mul_lo_u32 v2, v2, v16
	s_delay_alu instid0(VALU_DEP_1) | instskip(NEXT) | instid1(VALU_DEP_1)
	v_sub_nc_u32_e32 v3, 0, v2
	v_max_i32_e32 v2, v2, v3
.LBB56_42:
	s_or_b32 exec_lo, exec_lo, s3
	v_dual_mov_b32 v4, v1 :: v_dual_mov_b32 v3, v1
.LBB56_43:
	s_or_b32 exec_lo, exec_lo, s1
	s_delay_alu instid0(SALU_CYCLE_1)
	s_mov_b32 s1, exec_lo
	v_cmpx_gt_i32_e64 s10, v11
	s_cbranch_execz .LBB56_51
; %bb.44:
	s_wait_loadcnt 0x0
	v_dual_sub_nc_u32 v1, 0, v14 :: v_dual_sub_nc_u32 v7, 0, v15
	s_mov_b32 s6, 0
	s_mov_b32 s3, exec_lo
	s_delay_alu instid0(VALU_DEP_1)
	v_max_i32_e32 v8, v14, v1
	v_cmpx_ne_u32_e32 0, v15
	s_cbranch_execz .LBB56_48
; %bb.45:
	v_max_i32_e32 v9, v15, v7
.LBB56_46:                              ; =>This Inner Loop Header: Depth=1
	s_delay_alu instid0(VALU_DEP_1) | instskip(NEXT) | instid1(VALU_DEP_1)
	v_mov_b32_e32 v1, v9
	v_cvt_f32_u32_e32 v9, v1
	v_sub_nc_u32_e32 v16, 0, v1
	s_delay_alu instid0(VALU_DEP_2) | instskip(SKIP_1) | instid1(TRANS32_DEP_1)
	v_rcp_iflag_f32_e32 v9, v9
	v_nop
	v_mul_f32_e32 v9, 0x4f7ffffe, v9
	s_delay_alu instid0(VALU_DEP_1) | instskip(NEXT) | instid1(VALU_DEP_1)
	v_cvt_u32_f32_e32 v9, v9
	v_mul_lo_u32 v16, v16, v9
	s_delay_alu instid0(VALU_DEP_1) | instskip(NEXT) | instid1(VALU_DEP_1)
	v_mul_hi_u32 v16, v9, v16
	v_add_nc_u32_e32 v9, v9, v16
	s_delay_alu instid0(VALU_DEP_1) | instskip(NEXT) | instid1(VALU_DEP_1)
	v_mul_hi_u32 v9, v8, v9
	v_mul_lo_u32 v9, v9, v1
	s_delay_alu instid0(VALU_DEP_1) | instskip(NEXT) | instid1(VALU_DEP_1)
	v_sub_nc_u32_e32 v8, v8, v9
	v_sub_nc_u32_e32 v9, v8, v1
	v_cmp_ge_u32_e64 s0, v8, v1
	s_delay_alu instid0(VALU_DEP_1) | instskip(NEXT) | instid1(VALU_DEP_1)
	v_cndmask_b32_e64 v8, v8, v9, s0
	v_sub_nc_u32_e32 v9, v8, v1
	v_cmp_ge_u32_e64 s0, v8, v1
	s_delay_alu instid0(VALU_DEP_1) | instskip(NEXT) | instid1(VALU_DEP_1)
	v_dual_cndmask_b32 v9, v8, v9, s0 :: v_dual_mov_b32 v8, v1
	v_cmp_eq_u32_e64 s0, 0, v9
	s_or_b32 s6, s0, s6
	s_delay_alu instid0(SALU_CYCLE_1)
	s_and_not1_b32 exec_lo, exec_lo, s6
	s_cbranch_execnz .LBB56_46
; %bb.47:
	s_or_b32 exec_lo, exec_lo, s6
	v_mov_b32_e32 v8, v1
.LBB56_48:
	s_or_b32 exec_lo, exec_lo, s3
	v_mov_b32_e32 v1, 0
	s_mov_b32 s3, exec_lo
	s_delay_alu instid0(VALU_DEP_2)
	v_cmpx_ne_u32_e32 0, v8
	s_cbranch_execz .LBB56_50
; %bb.49:
	v_dual_sub_nc_u32 v1, 0, v8 :: v_dual_max_i32 v7, v15, v7
	s_delay_alu instid0(VALU_DEP_1) | instskip(SKIP_1) | instid1(VALU_DEP_2)
	v_max_i32_e32 v1, v8, v1
	v_xor_b32_e32 v8, v15, v8
	v_cvt_f32_u32_e32 v9, v1
	s_delay_alu instid0(VALU_DEP_2) | instskip(NEXT) | instid1(VALU_DEP_2)
	v_dual_sub_nc_u32 v16, 0, v1 :: v_dual_ashrrev_i32 v8, 31, v8
	v_rcp_iflag_f32_e32 v9, v9
	v_nop
	s_delay_alu instid0(TRANS32_DEP_1) | instskip(NEXT) | instid1(VALU_DEP_1)
	v_mul_f32_e32 v9, 0x4f7ffffe, v9
	v_cvt_u32_f32_e32 v9, v9
	s_delay_alu instid0(VALU_DEP_1) | instskip(NEXT) | instid1(VALU_DEP_1)
	v_mul_lo_u32 v16, v16, v9
	v_mul_hi_u32 v16, v9, v16
	s_delay_alu instid0(VALU_DEP_1) | instskip(NEXT) | instid1(VALU_DEP_1)
	v_add_nc_u32_e32 v9, v9, v16
	v_mul_hi_u32 v9, v7, v9
	s_delay_alu instid0(VALU_DEP_1) | instskip(NEXT) | instid1(VALU_DEP_1)
	v_mul_lo_u32 v16, v9, v1
	v_dual_sub_nc_u32 v7, v7, v16 :: v_dual_add_nc_u32 v16, 1, v9
	s_delay_alu instid0(VALU_DEP_1) | instskip(SKIP_1) | instid1(VALU_DEP_1)
	v_sub_nc_u32_e32 v17, v7, v1
	v_cmp_ge_u32_e64 s0, v7, v1
	v_dual_cndmask_b32 v9, v9, v16, s0 :: v_dual_cndmask_b32 v7, v7, v17, s0
	s_delay_alu instid0(VALU_DEP_1) | instskip(NEXT) | instid1(VALU_DEP_2)
	v_add_nc_u32_e32 v15, 1, v9
	v_cmp_ge_u32_e64 s0, v7, v1
	s_delay_alu instid0(VALU_DEP_1) | instskip(NEXT) | instid1(VALU_DEP_1)
	v_cndmask_b32_e64 v1, v9, v15, s0
	v_xor_b32_e32 v1, v1, v8
	s_delay_alu instid0(VALU_DEP_1) | instskip(NEXT) | instid1(VALU_DEP_1)
	v_sub_nc_u32_e32 v1, v1, v8
	v_mul_lo_u32 v1, v1, v14
	s_delay_alu instid0(VALU_DEP_1) | instskip(NEXT) | instid1(VALU_DEP_1)
	v_sub_nc_u32_e32 v7, 0, v1
	v_max_i32_e32 v1, v1, v7
.LBB56_50:
	s_or_b32 exec_lo, exec_lo, s3
.LBB56_51:
	s_delay_alu instid0(SALU_CYCLE_1) | instskip(SKIP_2) | instid1(VALU_DEP_1)
	s_or_b32 exec_lo, exec_lo, s1
	v_or_b32_e32 v7, 0x200, v0
	s_mov_b32 s1, exec_lo
	v_cmpx_gt_i32_e64 s10, v7
	s_cbranch_execz .LBB56_59
; %bb.52:
	v_sub_nc_u32_e32 v4, 0, v5
	s_mov_b32 s6, 0
	s_mov_b32 s3, exec_lo
	s_delay_alu instid0(VALU_DEP_1)
	v_dual_sub_nc_u32 v7, 0, v13 :: v_dual_max_i32 v8, v5, v4
	v_cmpx_ne_u32_e32 0, v13
	s_cbranch_execz .LBB56_56
; %bb.53:
	s_delay_alu instid0(VALU_DEP_2)
	v_max_i32_e32 v9, v13, v7
.LBB56_54:                              ; =>This Inner Loop Header: Depth=1
	s_delay_alu instid0(VALU_DEP_1) | instskip(NEXT) | instid1(VALU_DEP_1)
	v_mov_b32_e32 v4, v9
	v_cvt_f32_u32_e32 v9, v4
	s_delay_alu instid0(VALU_DEP_1) | instskip(SKIP_2) | instid1(TRANS32_DEP_1)
	v_rcp_iflag_f32_e32 v9, v9
	s_wait_loadcnt 0x0
	v_nop
	v_dual_mul_f32 v9, 0x4f7ffffe, v9 :: v_dual_sub_nc_u32 v14, 0, v4
	s_delay_alu instid0(VALU_DEP_1) | instskip(NEXT) | instid1(VALU_DEP_1)
	v_cvt_u32_f32_e32 v9, v9
	v_mul_lo_u32 v14, v14, v9
	s_delay_alu instid0(VALU_DEP_1) | instskip(NEXT) | instid1(VALU_DEP_1)
	v_mul_hi_u32 v14, v9, v14
	v_add_nc_u32_e32 v9, v9, v14
	s_delay_alu instid0(VALU_DEP_1) | instskip(NEXT) | instid1(VALU_DEP_1)
	v_mul_hi_u32 v9, v8, v9
	v_mul_lo_u32 v9, v9, v4
	s_delay_alu instid0(VALU_DEP_1) | instskip(NEXT) | instid1(VALU_DEP_1)
	v_sub_nc_u32_e32 v8, v8, v9
	v_sub_nc_u32_e32 v9, v8, v4
	v_cmp_ge_u32_e64 s0, v8, v4
	s_delay_alu instid0(VALU_DEP_1) | instskip(NEXT) | instid1(VALU_DEP_1)
	v_cndmask_b32_e64 v8, v8, v9, s0
	v_sub_nc_u32_e32 v9, v8, v4
	v_cmp_ge_u32_e64 s0, v8, v4
	s_delay_alu instid0(VALU_DEP_1) | instskip(SKIP_1) | instid1(VALU_DEP_2)
	v_cndmask_b32_e64 v9, v8, v9, s0
	v_mov_b32_e32 v8, v4
	v_cmp_eq_u32_e64 s0, 0, v9
	s_or_b32 s6, s0, s6
	s_delay_alu instid0(SALU_CYCLE_1)
	s_and_not1_b32 exec_lo, exec_lo, s6
	s_cbranch_execnz .LBB56_54
; %bb.55:
	s_or_b32 exec_lo, exec_lo, s6
	v_mov_b32_e32 v8, v4
.LBB56_56:
	s_or_b32 exec_lo, exec_lo, s3
	v_mov_b32_e32 v4, 0
	s_mov_b32 s3, exec_lo
	s_delay_alu instid0(VALU_DEP_2)
	v_cmpx_ne_u32_e32 0, v8
	s_cbranch_execz .LBB56_58
; %bb.57:
	v_dual_sub_nc_u32 v4, 0, v8 :: v_dual_max_i32 v7, v13, v7
	s_delay_alu instid0(VALU_DEP_1) | instskip(NEXT) | instid1(VALU_DEP_1)
	v_max_i32_e32 v4, v8, v4
	v_cvt_f32_u32_e32 v9, v4
	s_wait_loadcnt 0x0
	v_sub_nc_u32_e32 v14, 0, v4
	s_delay_alu instid0(VALU_DEP_2) | instskip(SKIP_1) | instid1(TRANS32_DEP_1)
	v_rcp_iflag_f32_e32 v9, v9
	v_nop
	v_mul_f32_e32 v9, 0x4f7ffffe, v9
	s_delay_alu instid0(VALU_DEP_1) | instskip(NEXT) | instid1(VALU_DEP_1)
	v_cvt_u32_f32_e32 v9, v9
	v_mul_lo_u32 v14, v14, v9
	s_delay_alu instid0(VALU_DEP_1) | instskip(NEXT) | instid1(VALU_DEP_1)
	v_mul_hi_u32 v14, v9, v14
	v_add_nc_u32_e32 v9, v9, v14
	s_delay_alu instid0(VALU_DEP_1) | instskip(NEXT) | instid1(VALU_DEP_1)
	v_mul_hi_u32 v9, v7, v9
	v_mul_lo_u32 v14, v9, v4
	s_delay_alu instid0(VALU_DEP_1) | instskip(NEXT) | instid1(VALU_DEP_1)
	v_dual_sub_nc_u32 v7, v7, v14 :: v_dual_add_nc_u32 v14, 1, v9
	v_cmp_ge_u32_e64 s0, v7, v4
	s_delay_alu instid0(VALU_DEP_1) | instskip(NEXT) | instid1(VALU_DEP_1)
	v_dual_sub_nc_u32 v15, v7, v4 :: v_dual_cndmask_b32 v9, v9, v14, s0
	v_dual_cndmask_b32 v7, v7, v15, s0 :: v_dual_bitop2_b32 v8, v13, v8 bitop3:0x14
	s_delay_alu instid0(VALU_DEP_1) | instskip(NEXT) | instid1(VALU_DEP_2)
	v_dual_add_nc_u32 v13, 1, v9 :: v_dual_ashrrev_i32 v8, 31, v8
	v_cmp_ge_u32_e64 s0, v7, v4
	s_delay_alu instid0(VALU_DEP_1) | instskip(NEXT) | instid1(VALU_DEP_1)
	v_cndmask_b32_e64 v4, v9, v13, s0
	v_xor_b32_e32 v4, v4, v8
	s_delay_alu instid0(VALU_DEP_1) | instskip(NEXT) | instid1(VALU_DEP_1)
	v_sub_nc_u32_e32 v4, v4, v8
	v_mul_lo_u32 v4, v4, v5
	s_delay_alu instid0(VALU_DEP_1) | instskip(NEXT) | instid1(VALU_DEP_1)
	v_sub_nc_u32_e32 v5, 0, v4
	v_max_i32_e32 v4, v4, v5
.LBB56_58:
	s_or_b32 exec_lo, exec_lo, s3
.LBB56_59:
	s_delay_alu instid0(SALU_CYCLE_1) | instskip(SKIP_2) | instid1(VALU_DEP_1)
	s_or_b32 exec_lo, exec_lo, s1
	v_or_b32_e32 v5, 0x300, v0
	s_mov_b32 s1, exec_lo
	v_cmpx_gt_i32_e64 s10, v5
	s_cbranch_execnz .LBB56_66
; %bb.60:
	s_or_b32 exec_lo, exec_lo, s1
	s_and_saveexec_b32 s0, vcc_lo
	s_delay_alu instid0(SALU_CYCLE_1)
	s_xor_b32 s0, exec_lo, s0
	s_cbranch_execnz .LBB56_73
.LBB56_61:
	s_or_b32 exec_lo, exec_lo, s0
	s_delay_alu instid0(SALU_CYCLE_1)
	s_mov_b32 s0, exec_lo
	v_cmpx_gt_i32_e64 s10, v0
	s_cbranch_execnz .LBB56_74
.LBB56_62:
	s_or_b32 exec_lo, exec_lo, s0
	s_delay_alu instid0(SALU_CYCLE_1)
	s_mov_b32 s0, exec_lo
	v_cmpx_gt_i32_e64 s10, v0
	s_cbranch_execnz .LBB56_75
.LBB56_63:
	s_or_b32 exec_lo, exec_lo, s0
	s_delay_alu instid0(SALU_CYCLE_1)
	s_mov_b32 s0, exec_lo
	v_cmpx_gt_i32_e64 s10, v0
	s_cbranch_execz .LBB56_65
.LBB56_64:
	v_add_nc_u32_e32 v0, s2, v0
	global_store_b32 v0, v3, s[4:5] scale_offset
.LBB56_65:
	s_endpgm
.LBB56_66:
	v_dual_sub_nc_u32 v3, 0, v6 :: v_dual_sub_nc_u32 v5, 0, v12
	s_mov_b32 s6, 0
	s_mov_b32 s3, exec_lo
	s_delay_alu instid0(VALU_DEP_1)
	v_max_i32_e32 v7, v6, v3
	v_cmpx_ne_u32_e32 0, v12
	s_cbranch_execz .LBB56_70
; %bb.67:
	v_max_i32_e32 v8, v12, v5
.LBB56_68:                              ; =>This Inner Loop Header: Depth=1
	s_delay_alu instid0(VALU_DEP_1) | instskip(NEXT) | instid1(VALU_DEP_1)
	v_mov_b32_e32 v3, v8
	v_cvt_f32_u32_e32 v8, v3
	s_delay_alu instid0(VALU_DEP_1) | instskip(SKIP_1) | instid1(TRANS32_DEP_1)
	v_rcp_iflag_f32_e32 v8, v8
	v_nop
	v_dual_mul_f32 v8, 0x4f7ffffe, v8 :: v_dual_sub_nc_u32 v9, 0, v3
	s_delay_alu instid0(VALU_DEP_1) | instskip(NEXT) | instid1(VALU_DEP_1)
	v_cvt_u32_f32_e32 v8, v8
	v_mul_lo_u32 v9, v9, v8
	s_delay_alu instid0(VALU_DEP_1) | instskip(NEXT) | instid1(VALU_DEP_1)
	v_mul_hi_u32 v9, v8, v9
	v_add_nc_u32_e32 v8, v8, v9
	s_delay_alu instid0(VALU_DEP_1) | instskip(NEXT) | instid1(VALU_DEP_1)
	v_mul_hi_u32 v8, v7, v8
	v_mul_lo_u32 v8, v8, v3
	s_delay_alu instid0(VALU_DEP_1) | instskip(NEXT) | instid1(VALU_DEP_1)
	v_sub_nc_u32_e32 v7, v7, v8
	v_sub_nc_u32_e32 v8, v7, v3
	v_cmp_ge_u32_e64 s0, v7, v3
	s_delay_alu instid0(VALU_DEP_1) | instskip(NEXT) | instid1(VALU_DEP_1)
	v_cndmask_b32_e64 v7, v7, v8, s0
	v_sub_nc_u32_e32 v8, v7, v3
	v_cmp_ge_u32_e64 s0, v7, v3
	s_delay_alu instid0(VALU_DEP_1) | instskip(SKIP_1) | instid1(VALU_DEP_2)
	v_cndmask_b32_e64 v8, v7, v8, s0
	v_mov_b32_e32 v7, v3
	v_cmp_eq_u32_e64 s0, 0, v8
	s_or_b32 s6, s0, s6
	s_delay_alu instid0(SALU_CYCLE_1)
	s_and_not1_b32 exec_lo, exec_lo, s6
	s_cbranch_execnz .LBB56_68
; %bb.69:
	s_or_b32 exec_lo, exec_lo, s6
	v_mov_b32_e32 v7, v3
.LBB56_70:
	s_or_b32 exec_lo, exec_lo, s3
	v_mov_b32_e32 v3, 0
	s_mov_b32 s3, exec_lo
	s_delay_alu instid0(VALU_DEP_2)
	v_cmpx_ne_u32_e32 0, v7
	s_cbranch_execz .LBB56_72
; %bb.71:
	v_dual_sub_nc_u32 v3, 0, v7 :: v_dual_max_i32 v5, v12, v5
	s_delay_alu instid0(VALU_DEP_1) | instskip(NEXT) | instid1(VALU_DEP_1)
	v_max_i32_e32 v3, v7, v3
	v_cvt_f32_u32_e32 v8, v3
	v_sub_nc_u32_e32 v9, 0, v3
	s_delay_alu instid0(VALU_DEP_2) | instskip(SKIP_1) | instid1(TRANS32_DEP_1)
	v_rcp_iflag_f32_e32 v8, v8
	v_nop
	v_mul_f32_e32 v8, 0x4f7ffffe, v8
	s_delay_alu instid0(VALU_DEP_1) | instskip(NEXT) | instid1(VALU_DEP_1)
	v_cvt_u32_f32_e32 v8, v8
	v_mul_lo_u32 v9, v9, v8
	s_delay_alu instid0(VALU_DEP_1) | instskip(NEXT) | instid1(VALU_DEP_1)
	v_mul_hi_u32 v9, v8, v9
	v_add_nc_u32_e32 v8, v8, v9
	s_delay_alu instid0(VALU_DEP_1) | instskip(NEXT) | instid1(VALU_DEP_1)
	v_mul_hi_u32 v8, v5, v8
	v_mul_lo_u32 v9, v8, v3
	s_delay_alu instid0(VALU_DEP_1) | instskip(NEXT) | instid1(VALU_DEP_1)
	v_dual_sub_nc_u32 v5, v5, v9 :: v_dual_add_nc_u32 v9, 1, v8
	v_cmp_ge_u32_e64 s0, v5, v3
	s_delay_alu instid0(VALU_DEP_1) | instskip(NEXT) | instid1(VALU_DEP_1)
	v_dual_sub_nc_u32 v13, v5, v3 :: v_dual_cndmask_b32 v8, v8, v9, s0
	v_dual_cndmask_b32 v5, v5, v13, s0 :: v_dual_bitop2_b32 v7, v12, v7 bitop3:0x14
	s_delay_alu instid0(VALU_DEP_1) | instskip(NEXT) | instid1(VALU_DEP_2)
	v_dual_add_nc_u32 v9, 1, v8 :: v_dual_ashrrev_i32 v7, 31, v7
	v_cmp_ge_u32_e64 s0, v5, v3
	s_delay_alu instid0(VALU_DEP_1) | instskip(NEXT) | instid1(VALU_DEP_1)
	v_cndmask_b32_e64 v3, v8, v9, s0
	v_xor_b32_e32 v3, v3, v7
	s_delay_alu instid0(VALU_DEP_1) | instskip(NEXT) | instid1(VALU_DEP_1)
	v_sub_nc_u32_e32 v3, v3, v7
	v_mul_lo_u32 v3, v3, v6
	s_delay_alu instid0(VALU_DEP_1) | instskip(NEXT) | instid1(VALU_DEP_1)
	v_sub_nc_u32_e32 v5, 0, v3
	v_max_i32_e32 v3, v3, v5
.LBB56_72:
	s_or_b32 exec_lo, exec_lo, s3
	s_delay_alu instid0(SALU_CYCLE_1) | instskip(SKIP_1) | instid1(SALU_CYCLE_1)
	s_or_b32 exec_lo, exec_lo, s1
	s_and_saveexec_b32 s0, vcc_lo
	s_xor_b32 s0, exec_lo, s0
	s_cbranch_execz .LBB56_61
.LBB56_73:
	v_mov_b32_e32 v0, v11
	global_store_b32 v10, v2, s[4:5] scale_offset
	s_wait_xcnt 0x0
	s_or_b32 exec_lo, exec_lo, s0
	s_delay_alu instid0(SALU_CYCLE_1)
	s_mov_b32 s0, exec_lo
	v_cmpx_gt_i32_e64 s10, v0
	s_cbranch_execz .LBB56_62
.LBB56_74:
	v_add_nc_u32_e32 v2, s2, v0
	v_add_nc_u32_e32 v0, 0x100, v0
	global_store_b32 v2, v1, s[4:5] scale_offset
	s_wait_xcnt 0x0
	s_or_b32 exec_lo, exec_lo, s0
	s_delay_alu instid0(SALU_CYCLE_1)
	s_mov_b32 s0, exec_lo
	v_cmpx_gt_i32_e64 s10, v0
	s_cbranch_execz .LBB56_63
.LBB56_75:
	v_add_nc_u32_e32 v1, s2, v0
	v_add_nc_u32_e32 v0, 0x100, v0
	global_store_b32 v1, v4, s[4:5] scale_offset
	s_wait_xcnt 0x0
	s_or_b32 exec_lo, exec_lo, s0
	s_delay_alu instid0(SALU_CYCLE_1)
	s_mov_b32 s0, exec_lo
	v_cmpx_gt_i32_e64 s10, v0
	s_cbranch_execnz .LBB56_64
	s_branch .LBB56_65
	.section	.rodata,"a",@progbits
	.p2align	6, 0x0
	.amdhsa_kernel _ZN2at6native29vectorized_elementwise_kernelILi16EZZZNS0_15lcm_kernel_cudaERNS_18TensorIteratorBaseEENKUlvE_clEvENKUlvE1_clEvEUliiE_St5arrayIPcLm3EEEEviT0_T1_
		.amdhsa_group_segment_fixed_size 0
		.amdhsa_private_segment_fixed_size 0
		.amdhsa_kernarg_size 32
		.amdhsa_user_sgpr_count 2
		.amdhsa_user_sgpr_dispatch_ptr 0
		.amdhsa_user_sgpr_queue_ptr 0
		.amdhsa_user_sgpr_kernarg_segment_ptr 1
		.amdhsa_user_sgpr_dispatch_id 0
		.amdhsa_user_sgpr_kernarg_preload_length 0
		.amdhsa_user_sgpr_kernarg_preload_offset 0
		.amdhsa_user_sgpr_private_segment_size 0
		.amdhsa_wavefront_size32 1
		.amdhsa_uses_dynamic_stack 0
		.amdhsa_enable_private_segment 0
		.amdhsa_system_sgpr_workgroup_id_x 1
		.amdhsa_system_sgpr_workgroup_id_y 0
		.amdhsa_system_sgpr_workgroup_id_z 0
		.amdhsa_system_sgpr_workgroup_info 0
		.amdhsa_system_vgpr_workitem_id 0
		.amdhsa_next_free_vgpr 18
		.amdhsa_next_free_sgpr 14
		.amdhsa_named_barrier_count 0
		.amdhsa_reserve_vcc 1
		.amdhsa_float_round_mode_32 0
		.amdhsa_float_round_mode_16_64 0
		.amdhsa_float_denorm_mode_32 3
		.amdhsa_float_denorm_mode_16_64 3
		.amdhsa_fp16_overflow 0
		.amdhsa_memory_ordered 1
		.amdhsa_forward_progress 1
		.amdhsa_inst_pref_size 36
		.amdhsa_round_robin_scheduling 0
		.amdhsa_exception_fp_ieee_invalid_op 0
		.amdhsa_exception_fp_denorm_src 0
		.amdhsa_exception_fp_ieee_div_zero 0
		.amdhsa_exception_fp_ieee_overflow 0
		.amdhsa_exception_fp_ieee_underflow 0
		.amdhsa_exception_fp_ieee_inexact 0
		.amdhsa_exception_int_div_zero 0
	.end_amdhsa_kernel
	.section	.text._ZN2at6native29vectorized_elementwise_kernelILi16EZZZNS0_15lcm_kernel_cudaERNS_18TensorIteratorBaseEENKUlvE_clEvENKUlvE1_clEvEUliiE_St5arrayIPcLm3EEEEviT0_T1_,"axG",@progbits,_ZN2at6native29vectorized_elementwise_kernelILi16EZZZNS0_15lcm_kernel_cudaERNS_18TensorIteratorBaseEENKUlvE_clEvENKUlvE1_clEvEUliiE_St5arrayIPcLm3EEEEviT0_T1_,comdat
.Lfunc_end56:
	.size	_ZN2at6native29vectorized_elementwise_kernelILi16EZZZNS0_15lcm_kernel_cudaERNS_18TensorIteratorBaseEENKUlvE_clEvENKUlvE1_clEvEUliiE_St5arrayIPcLm3EEEEviT0_T1_, .Lfunc_end56-_ZN2at6native29vectorized_elementwise_kernelILi16EZZZNS0_15lcm_kernel_cudaERNS_18TensorIteratorBaseEENKUlvE_clEvENKUlvE1_clEvEUliiE_St5arrayIPcLm3EEEEviT0_T1_
                                        ; -- End function
	.set _ZN2at6native29vectorized_elementwise_kernelILi16EZZZNS0_15lcm_kernel_cudaERNS_18TensorIteratorBaseEENKUlvE_clEvENKUlvE1_clEvEUliiE_St5arrayIPcLm3EEEEviT0_T1_.num_vgpr, 18
	.set _ZN2at6native29vectorized_elementwise_kernelILi16EZZZNS0_15lcm_kernel_cudaERNS_18TensorIteratorBaseEENKUlvE_clEvENKUlvE1_clEvEUliiE_St5arrayIPcLm3EEEEviT0_T1_.num_agpr, 0
	.set _ZN2at6native29vectorized_elementwise_kernelILi16EZZZNS0_15lcm_kernel_cudaERNS_18TensorIteratorBaseEENKUlvE_clEvENKUlvE1_clEvEUliiE_St5arrayIPcLm3EEEEviT0_T1_.numbered_sgpr, 14
	.set _ZN2at6native29vectorized_elementwise_kernelILi16EZZZNS0_15lcm_kernel_cudaERNS_18TensorIteratorBaseEENKUlvE_clEvENKUlvE1_clEvEUliiE_St5arrayIPcLm3EEEEviT0_T1_.num_named_barrier, 0
	.set _ZN2at6native29vectorized_elementwise_kernelILi16EZZZNS0_15lcm_kernel_cudaERNS_18TensorIteratorBaseEENKUlvE_clEvENKUlvE1_clEvEUliiE_St5arrayIPcLm3EEEEviT0_T1_.private_seg_size, 0
	.set _ZN2at6native29vectorized_elementwise_kernelILi16EZZZNS0_15lcm_kernel_cudaERNS_18TensorIteratorBaseEENKUlvE_clEvENKUlvE1_clEvEUliiE_St5arrayIPcLm3EEEEviT0_T1_.uses_vcc, 1
	.set _ZN2at6native29vectorized_elementwise_kernelILi16EZZZNS0_15lcm_kernel_cudaERNS_18TensorIteratorBaseEENKUlvE_clEvENKUlvE1_clEvEUliiE_St5arrayIPcLm3EEEEviT0_T1_.uses_flat_scratch, 0
	.set _ZN2at6native29vectorized_elementwise_kernelILi16EZZZNS0_15lcm_kernel_cudaERNS_18TensorIteratorBaseEENKUlvE_clEvENKUlvE1_clEvEUliiE_St5arrayIPcLm3EEEEviT0_T1_.has_dyn_sized_stack, 0
	.set _ZN2at6native29vectorized_elementwise_kernelILi16EZZZNS0_15lcm_kernel_cudaERNS_18TensorIteratorBaseEENKUlvE_clEvENKUlvE1_clEvEUliiE_St5arrayIPcLm3EEEEviT0_T1_.has_recursion, 0
	.set _ZN2at6native29vectorized_elementwise_kernelILi16EZZZNS0_15lcm_kernel_cudaERNS_18TensorIteratorBaseEENKUlvE_clEvENKUlvE1_clEvEUliiE_St5arrayIPcLm3EEEEviT0_T1_.has_indirect_call, 0
	.section	.AMDGPU.csdata,"",@progbits
; Kernel info:
; codeLenInByte = 4600
; TotalNumSgprs: 16
; NumVgprs: 18
; ScratchSize: 0
; MemoryBound: 0
; FloatMode: 240
; IeeeMode: 1
; LDSByteSize: 0 bytes/workgroup (compile time only)
; SGPRBlocks: 0
; VGPRBlocks: 1
; NumSGPRsForWavesPerEU: 16
; NumVGPRsForWavesPerEU: 18
; NamedBarCnt: 0
; Occupancy: 16
; WaveLimiterHint : 0
; COMPUTE_PGM_RSRC2:SCRATCH_EN: 0
; COMPUTE_PGM_RSRC2:USER_SGPR: 2
; COMPUTE_PGM_RSRC2:TRAP_HANDLER: 0
; COMPUTE_PGM_RSRC2:TGID_X_EN: 1
; COMPUTE_PGM_RSRC2:TGID_Y_EN: 0
; COMPUTE_PGM_RSRC2:TGID_Z_EN: 0
; COMPUTE_PGM_RSRC2:TIDIG_COMP_CNT: 0
	.section	.text._ZN2at6native29vectorized_elementwise_kernelILi8EZZZNS0_15lcm_kernel_cudaERNS_18TensorIteratorBaseEENKUlvE_clEvENKUlvE1_clEvEUliiE_St5arrayIPcLm3EEEEviT0_T1_,"axG",@progbits,_ZN2at6native29vectorized_elementwise_kernelILi8EZZZNS0_15lcm_kernel_cudaERNS_18TensorIteratorBaseEENKUlvE_clEvENKUlvE1_clEvEUliiE_St5arrayIPcLm3EEEEviT0_T1_,comdat
	.globl	_ZN2at6native29vectorized_elementwise_kernelILi8EZZZNS0_15lcm_kernel_cudaERNS_18TensorIteratorBaseEENKUlvE_clEvENKUlvE1_clEvEUliiE_St5arrayIPcLm3EEEEviT0_T1_ ; -- Begin function _ZN2at6native29vectorized_elementwise_kernelILi8EZZZNS0_15lcm_kernel_cudaERNS_18TensorIteratorBaseEENKUlvE_clEvENKUlvE1_clEvEUliiE_St5arrayIPcLm3EEEEviT0_T1_
	.p2align	8
	.type	_ZN2at6native29vectorized_elementwise_kernelILi8EZZZNS0_15lcm_kernel_cudaERNS_18TensorIteratorBaseEENKUlvE_clEvENKUlvE1_clEvEUliiE_St5arrayIPcLm3EEEEviT0_T1_,@function
_ZN2at6native29vectorized_elementwise_kernelILi8EZZZNS0_15lcm_kernel_cudaERNS_18TensorIteratorBaseEENKUlvE_clEvENKUlvE1_clEvEUliiE_St5arrayIPcLm3EEEEviT0_T1_: ; @_ZN2at6native29vectorized_elementwise_kernelILi8EZZZNS0_15lcm_kernel_cudaERNS_18TensorIteratorBaseEENKUlvE_clEvENKUlvE1_clEvEUliiE_St5arrayIPcLm3EEEEviT0_T1_
; %bb.0:
	s_clause 0x2
	s_load_b32 s3, s[0:1], 0x0
	s_load_b128 s[4:7], s[0:1], 0x8
	s_load_b64 s[8:9], s[0:1], 0x18
	s_wait_xcnt 0x0
	s_bfe_u32 s0, ttmp6, 0x4000c
	s_and_b32 s1, ttmp6, 15
	s_add_co_i32 s0, s0, 1
	s_getreg_b32 s2, hwreg(HW_REG_IB_STS2, 6, 4)
	s_mul_i32 s0, ttmp9, s0
	s_delay_alu instid0(SALU_CYCLE_1) | instskip(SKIP_2) | instid1(SALU_CYCLE_1)
	s_add_co_i32 s1, s1, s0
	s_cmp_eq_u32 s2, 0
	s_cselect_b32 s0, ttmp9, s1
	s_lshl_b32 s2, s0, 10
	s_mov_b32 s0, -1
	s_wait_kmcnt 0x0
	s_sub_co_i32 s10, s3, s2
	s_delay_alu instid0(SALU_CYCLE_1)
	s_cmp_gt_i32 s10, 0x3ff
	s_cbranch_scc0 .LBB57_26
; %bb.1:
	s_ashr_i32 s3, s2, 31
	s_delay_alu instid0(SALU_CYCLE_1)
	s_lshl_b64 s[0:1], s[2:3], 2
	s_mov_b32 s3, exec_lo
	s_add_nc_u64 s[12:13], s[8:9], s[0:1]
	global_load_b128 v[2:5], v0, s[12:13] scale_offset
	s_wait_xcnt 0x0
	s_add_nc_u64 s[12:13], s[6:7], s[0:1]
	global_load_b128 v[6:9], v0, s[12:13] scale_offset
	s_wait_loadcnt 0x1
	v_sub_nc_u32_e32 v1, 0, v2
	s_wait_loadcnt 0x0
	s_delay_alu instid0(VALU_DEP_1)
	v_dual_sub_nc_u32 v1, 0, v6 :: v_dual_max_i32 v11, v2, v1
	v_cmpx_ne_u32_e32 0, v6
	s_cbranch_execz .LBB57_5
; %bb.2:
	s_delay_alu instid0(VALU_DEP_2)
	v_max_i32_e32 v12, v6, v1
	s_mov_b32 s11, 0
.LBB57_3:                               ; =>This Inner Loop Header: Depth=1
	s_delay_alu instid0(VALU_DEP_1) | instskip(NEXT) | instid1(VALU_DEP_1)
	v_mov_b32_e32 v10, v12
	v_cvt_f32_u32_e32 v12, v10
	v_sub_nc_u32_e32 v13, 0, v10
	s_delay_alu instid0(VALU_DEP_2) | instskip(SKIP_1) | instid1(TRANS32_DEP_1)
	v_rcp_iflag_f32_e32 v12, v12
	v_nop
	v_mul_f32_e32 v12, 0x4f7ffffe, v12
	s_delay_alu instid0(VALU_DEP_1) | instskip(NEXT) | instid1(VALU_DEP_1)
	v_cvt_u32_f32_e32 v12, v12
	v_mul_lo_u32 v13, v13, v12
	s_delay_alu instid0(VALU_DEP_1) | instskip(NEXT) | instid1(VALU_DEP_1)
	v_mul_hi_u32 v13, v12, v13
	v_add_nc_u32_e32 v12, v12, v13
	s_delay_alu instid0(VALU_DEP_1) | instskip(NEXT) | instid1(VALU_DEP_1)
	v_mul_hi_u32 v12, v11, v12
	v_mul_lo_u32 v12, v12, v10
	s_delay_alu instid0(VALU_DEP_1) | instskip(NEXT) | instid1(VALU_DEP_1)
	v_sub_nc_u32_e32 v11, v11, v12
	v_sub_nc_u32_e32 v12, v11, v10
	v_cmp_ge_u32_e32 vcc_lo, v11, v10
	s_delay_alu instid0(VALU_DEP_2) | instskip(NEXT) | instid1(VALU_DEP_1)
	v_cndmask_b32_e32 v11, v11, v12, vcc_lo
	v_sub_nc_u32_e32 v12, v11, v10
	v_cmp_ge_u32_e32 vcc_lo, v11, v10
	s_delay_alu instid0(VALU_DEP_2) | instskip(NEXT) | instid1(VALU_DEP_1)
	v_dual_cndmask_b32 v12, v11, v12 :: v_dual_mov_b32 v11, v10
	v_cmp_eq_u32_e32 vcc_lo, 0, v12
	s_or_b32 s11, vcc_lo, s11
	s_delay_alu instid0(SALU_CYCLE_1)
	s_and_not1_b32 exec_lo, exec_lo, s11
	s_cbranch_execnz .LBB57_3
; %bb.4:
	s_or_b32 exec_lo, exec_lo, s11
	v_mov_b32_e32 v11, v10
.LBB57_5:
	s_or_b32 exec_lo, exec_lo, s3
	v_mov_b32_e32 v10, 0
	s_mov_b32 s3, exec_lo
	s_delay_alu instid0(VALU_DEP_2)
	v_cmpx_ne_u32_e32 0, v11
	s_cbranch_execz .LBB57_7
; %bb.6:
	v_dual_sub_nc_u32 v10, 0, v11 :: v_dual_max_i32 v1, v6, v1
	s_delay_alu instid0(VALU_DEP_1) | instskip(NEXT) | instid1(VALU_DEP_1)
	v_max_i32_e32 v10, v11, v10
	v_cvt_f32_u32_e32 v12, v10
	v_sub_nc_u32_e32 v13, 0, v10
	s_delay_alu instid0(VALU_DEP_2) | instskip(SKIP_1) | instid1(TRANS32_DEP_1)
	v_rcp_iflag_f32_e32 v12, v12
	v_nop
	v_mul_f32_e32 v12, 0x4f7ffffe, v12
	s_delay_alu instid0(VALU_DEP_1) | instskip(NEXT) | instid1(VALU_DEP_1)
	v_cvt_u32_f32_e32 v12, v12
	v_mul_lo_u32 v13, v13, v12
	s_delay_alu instid0(VALU_DEP_1) | instskip(NEXT) | instid1(VALU_DEP_1)
	v_mul_hi_u32 v13, v12, v13
	v_add_nc_u32_e32 v12, v12, v13
	s_delay_alu instid0(VALU_DEP_1) | instskip(NEXT) | instid1(VALU_DEP_1)
	v_mul_hi_u32 v12, v1, v12
	v_mul_lo_u32 v13, v12, v10
	s_delay_alu instid0(VALU_DEP_1) | instskip(NEXT) | instid1(VALU_DEP_1)
	v_dual_sub_nc_u32 v1, v1, v13 :: v_dual_add_nc_u32 v13, 1, v12
	v_cmp_ge_u32_e32 vcc_lo, v1, v10
	s_delay_alu instid0(VALU_DEP_2) | instskip(NEXT) | instid1(VALU_DEP_1)
	v_dual_sub_nc_u32 v14, v1, v10 :: v_dual_cndmask_b32 v12, v12, v13, vcc_lo
	v_dual_cndmask_b32 v1, v1, v14, vcc_lo :: v_dual_bitop2_b32 v6, v6, v11 bitop3:0x14
	s_delay_alu instid0(VALU_DEP_1) | instskip(NEXT) | instid1(VALU_DEP_2)
	v_dual_add_nc_u32 v11, 1, v12 :: v_dual_ashrrev_i32 v6, 31, v6
	v_cmp_ge_u32_e32 vcc_lo, v1, v10
	s_delay_alu instid0(VALU_DEP_2) | instskip(NEXT) | instid1(VALU_DEP_1)
	v_cndmask_b32_e32 v1, v12, v11, vcc_lo
	v_xor_b32_e32 v1, v1, v6
	s_delay_alu instid0(VALU_DEP_1) | instskip(NEXT) | instid1(VALU_DEP_1)
	v_sub_nc_u32_e32 v1, v1, v6
	v_mul_lo_u32 v1, v1, v2
	s_delay_alu instid0(VALU_DEP_1) | instskip(NEXT) | instid1(VALU_DEP_1)
	v_sub_nc_u32_e32 v2, 0, v1
	v_max_i32_e32 v10, v1, v2
.LBB57_7:
	s_or_b32 exec_lo, exec_lo, s3
	v_sub_nc_u32_e32 v1, 0, v3
	s_mov_b32 s11, 0
	s_mov_b32 s3, exec_lo
	s_delay_alu instid0(VALU_DEP_1)
	v_dual_sub_nc_u32 v1, 0, v7 :: v_dual_max_i32 v2, v3, v1
	v_cmpx_ne_u32_e32 0, v7
	s_cbranch_execz .LBB57_11
; %bb.8:
	s_delay_alu instid0(VALU_DEP_2)
	v_max_i32_e32 v11, v7, v1
.LBB57_9:                               ; =>This Inner Loop Header: Depth=1
	s_delay_alu instid0(VALU_DEP_1) | instskip(NEXT) | instid1(VALU_DEP_1)
	v_mov_b32_e32 v6, v11
	v_cvt_f32_u32_e32 v11, v6
	s_delay_alu instid0(VALU_DEP_1) | instskip(SKIP_1) | instid1(TRANS32_DEP_1)
	v_rcp_iflag_f32_e32 v11, v11
	v_nop
	v_dual_mul_f32 v11, 0x4f7ffffe, v11 :: v_dual_sub_nc_u32 v12, 0, v6
	s_delay_alu instid0(VALU_DEP_1) | instskip(NEXT) | instid1(VALU_DEP_1)
	v_cvt_u32_f32_e32 v11, v11
	v_mul_lo_u32 v12, v12, v11
	s_delay_alu instid0(VALU_DEP_1) | instskip(NEXT) | instid1(VALU_DEP_1)
	v_mul_hi_u32 v12, v11, v12
	v_add_nc_u32_e32 v11, v11, v12
	s_delay_alu instid0(VALU_DEP_1) | instskip(NEXT) | instid1(VALU_DEP_1)
	v_mul_hi_u32 v11, v2, v11
	v_mul_lo_u32 v11, v11, v6
	s_delay_alu instid0(VALU_DEP_1) | instskip(NEXT) | instid1(VALU_DEP_1)
	v_sub_nc_u32_e32 v2, v2, v11
	v_sub_nc_u32_e32 v11, v2, v6
	v_cmp_ge_u32_e32 vcc_lo, v2, v6
	s_delay_alu instid0(VALU_DEP_2) | instskip(NEXT) | instid1(VALU_DEP_1)
	v_cndmask_b32_e32 v2, v2, v11, vcc_lo
	v_sub_nc_u32_e32 v11, v2, v6
	v_cmp_ge_u32_e32 vcc_lo, v2, v6
	s_delay_alu instid0(VALU_DEP_2) | instskip(SKIP_1) | instid1(VALU_DEP_2)
	v_cndmask_b32_e32 v11, v2, v11, vcc_lo
	v_mov_b32_e32 v2, v6
	v_cmp_eq_u32_e32 vcc_lo, 0, v11
	s_or_b32 s11, vcc_lo, s11
	s_delay_alu instid0(SALU_CYCLE_1)
	s_and_not1_b32 exec_lo, exec_lo, s11
	s_cbranch_execnz .LBB57_9
; %bb.10:
	s_or_b32 exec_lo, exec_lo, s11
	v_mov_b32_e32 v2, v6
.LBB57_11:
	s_or_b32 exec_lo, exec_lo, s3
	v_mov_b32_e32 v11, 0
	s_mov_b32 s3, exec_lo
	s_delay_alu instid0(VALU_DEP_2)
	v_cmpx_ne_u32_e32 0, v2
	s_cbranch_execz .LBB57_13
; %bb.12:
	v_dual_sub_nc_u32 v6, 0, v2 :: v_dual_max_i32 v1, v7, v1
	s_delay_alu instid0(VALU_DEP_1) | instskip(NEXT) | instid1(VALU_DEP_1)
	v_max_i32_e32 v6, v2, v6
	v_cvt_f32_u32_e32 v11, v6
	v_sub_nc_u32_e32 v12, 0, v6
	s_delay_alu instid0(VALU_DEP_2) | instskip(SKIP_1) | instid1(TRANS32_DEP_1)
	v_rcp_iflag_f32_e32 v11, v11
	v_nop
	v_mul_f32_e32 v11, 0x4f7ffffe, v11
	s_delay_alu instid0(VALU_DEP_1) | instskip(NEXT) | instid1(VALU_DEP_1)
	v_cvt_u32_f32_e32 v11, v11
	v_mul_lo_u32 v12, v12, v11
	s_delay_alu instid0(VALU_DEP_1) | instskip(NEXT) | instid1(VALU_DEP_1)
	v_mul_hi_u32 v12, v11, v12
	v_add_nc_u32_e32 v11, v11, v12
	s_delay_alu instid0(VALU_DEP_1) | instskip(NEXT) | instid1(VALU_DEP_1)
	v_mul_hi_u32 v11, v1, v11
	v_mul_lo_u32 v12, v11, v6
	s_delay_alu instid0(VALU_DEP_1) | instskip(NEXT) | instid1(VALU_DEP_1)
	v_dual_sub_nc_u32 v1, v1, v12 :: v_dual_add_nc_u32 v12, 1, v11
	v_cmp_ge_u32_e32 vcc_lo, v1, v6
	s_delay_alu instid0(VALU_DEP_2) | instskip(NEXT) | instid1(VALU_DEP_1)
	v_dual_sub_nc_u32 v13, v1, v6 :: v_dual_cndmask_b32 v11, v11, v12, vcc_lo
	v_dual_cndmask_b32 v1, v1, v13, vcc_lo :: v_dual_bitop2_b32 v2, v7, v2 bitop3:0x14
	s_delay_alu instid0(VALU_DEP_1) | instskip(NEXT) | instid1(VALU_DEP_2)
	v_dual_add_nc_u32 v7, 1, v11 :: v_dual_ashrrev_i32 v2, 31, v2
	v_cmp_ge_u32_e32 vcc_lo, v1, v6
	s_delay_alu instid0(VALU_DEP_2) | instskip(NEXT) | instid1(VALU_DEP_1)
	v_cndmask_b32_e32 v1, v11, v7, vcc_lo
	v_xor_b32_e32 v1, v1, v2
	s_delay_alu instid0(VALU_DEP_1) | instskip(NEXT) | instid1(VALU_DEP_1)
	v_sub_nc_u32_e32 v1, v1, v2
	v_mul_lo_u32 v1, v1, v3
	s_delay_alu instid0(VALU_DEP_1) | instskip(NEXT) | instid1(VALU_DEP_1)
	v_sub_nc_u32_e32 v2, 0, v1
	v_max_i32_e32 v11, v1, v2
.LBB57_13:
	s_or_b32 exec_lo, exec_lo, s3
	v_sub_nc_u32_e32 v1, 0, v4
	s_mov_b32 s11, 0
	s_mov_b32 s3, exec_lo
	s_delay_alu instid0(VALU_DEP_1)
	v_dual_sub_nc_u32 v1, 0, v8 :: v_dual_max_i32 v2, v4, v1
	v_cmpx_ne_u32_e32 0, v8
	s_cbranch_execz .LBB57_17
; %bb.14:
	s_delay_alu instid0(VALU_DEP_2)
	v_max_i32_e32 v6, v8, v1
.LBB57_15:                              ; =>This Inner Loop Header: Depth=1
	s_delay_alu instid0(VALU_DEP_1) | instskip(NEXT) | instid1(VALU_DEP_1)
	v_mov_b32_e32 v3, v6
	v_cvt_f32_u32_e32 v6, v3
	s_delay_alu instid0(VALU_DEP_1) | instskip(SKIP_1) | instid1(TRANS32_DEP_1)
	v_rcp_iflag_f32_e32 v6, v6
	v_nop
	v_dual_mul_f32 v6, 0x4f7ffffe, v6 :: v_dual_sub_nc_u32 v7, 0, v3
	s_delay_alu instid0(VALU_DEP_1) | instskip(NEXT) | instid1(VALU_DEP_1)
	v_cvt_u32_f32_e32 v6, v6
	v_mul_lo_u32 v7, v7, v6
	s_delay_alu instid0(VALU_DEP_1) | instskip(NEXT) | instid1(VALU_DEP_1)
	v_mul_hi_u32 v7, v6, v7
	v_add_nc_u32_e32 v6, v6, v7
	s_delay_alu instid0(VALU_DEP_1) | instskip(NEXT) | instid1(VALU_DEP_1)
	v_mul_hi_u32 v6, v2, v6
	v_mul_lo_u32 v6, v6, v3
	s_delay_alu instid0(VALU_DEP_1) | instskip(NEXT) | instid1(VALU_DEP_1)
	v_sub_nc_u32_e32 v2, v2, v6
	v_sub_nc_u32_e32 v6, v2, v3
	v_cmp_ge_u32_e32 vcc_lo, v2, v3
	s_delay_alu instid0(VALU_DEP_2) | instskip(NEXT) | instid1(VALU_DEP_1)
	v_cndmask_b32_e32 v2, v2, v6, vcc_lo
	v_sub_nc_u32_e32 v6, v2, v3
	v_cmp_ge_u32_e32 vcc_lo, v2, v3
	s_delay_alu instid0(VALU_DEP_2) | instskip(NEXT) | instid1(VALU_DEP_1)
	v_dual_cndmask_b32 v6, v2, v6, vcc_lo :: v_dual_mov_b32 v2, v3
	v_cmp_eq_u32_e32 vcc_lo, 0, v6
	s_or_b32 s11, vcc_lo, s11
	s_delay_alu instid0(SALU_CYCLE_1)
	s_and_not1_b32 exec_lo, exec_lo, s11
	s_cbranch_execnz .LBB57_15
; %bb.16:
	s_or_b32 exec_lo, exec_lo, s11
	v_mov_b32_e32 v2, v3
.LBB57_17:
	s_or_b32 exec_lo, exec_lo, s3
	v_mov_b32_e32 v12, 0
	s_mov_b32 s3, exec_lo
	s_delay_alu instid0(VALU_DEP_2)
	v_cmpx_ne_u32_e32 0, v2
	s_cbranch_execz .LBB57_19
; %bb.18:
	v_dual_sub_nc_u32 v3, 0, v2 :: v_dual_max_i32 v1, v8, v1
	s_delay_alu instid0(VALU_DEP_1) | instskip(SKIP_1) | instid1(VALU_DEP_2)
	v_max_i32_e32 v3, v2, v3
	v_xor_b32_e32 v2, v8, v2
	v_cvt_f32_u32_e32 v6, v3
	s_delay_alu instid0(VALU_DEP_1) | instskip(SKIP_1) | instid1(TRANS32_DEP_1)
	v_rcp_iflag_f32_e32 v6, v6
	v_nop
	v_dual_mul_f32 v6, 0x4f7ffffe, v6 :: v_dual_sub_nc_u32 v7, 0, v3
	s_delay_alu instid0(VALU_DEP_1) | instskip(NEXT) | instid1(VALU_DEP_1)
	v_cvt_u32_f32_e32 v6, v6
	v_mul_lo_u32 v7, v7, v6
	s_delay_alu instid0(VALU_DEP_1) | instskip(NEXT) | instid1(VALU_DEP_1)
	v_mul_hi_u32 v7, v6, v7
	v_add_nc_u32_e32 v6, v6, v7
	s_delay_alu instid0(VALU_DEP_1) | instskip(NEXT) | instid1(VALU_DEP_1)
	v_mul_hi_u32 v6, v1, v6
	v_mul_lo_u32 v7, v6, v3
	s_delay_alu instid0(VALU_DEP_1) | instskip(NEXT) | instid1(VALU_DEP_1)
	v_sub_nc_u32_e32 v1, v1, v7
	v_sub_nc_u32_e32 v12, v1, v3
	v_cmp_ge_u32_e32 vcc_lo, v1, v3
	s_delay_alu instid0(VALU_DEP_2) | instskip(NEXT) | instid1(VALU_DEP_1)
	v_dual_add_nc_u32 v7, 1, v6 :: v_dual_cndmask_b32 v1, v1, v12, vcc_lo
	v_cndmask_b32_e32 v6, v6, v7, vcc_lo
	s_delay_alu instid0(VALU_DEP_2) | instskip(NEXT) | instid1(VALU_DEP_2)
	v_cmp_ge_u32_e32 vcc_lo, v1, v3
	v_add_nc_u32_e32 v7, 1, v6
	s_delay_alu instid0(VALU_DEP_1) | instskip(NEXT) | instid1(VALU_DEP_1)
	v_dual_cndmask_b32 v1, v6, v7 :: v_dual_ashrrev_i32 v2, 31, v2
	v_xor_b32_e32 v1, v1, v2
	s_delay_alu instid0(VALU_DEP_1) | instskip(NEXT) | instid1(VALU_DEP_1)
	v_sub_nc_u32_e32 v1, v1, v2
	v_mul_lo_u32 v1, v1, v4
	s_delay_alu instid0(VALU_DEP_1) | instskip(NEXT) | instid1(VALU_DEP_1)
	v_sub_nc_u32_e32 v2, 0, v1
	v_max_i32_e32 v12, v1, v2
.LBB57_19:
	s_or_b32 exec_lo, exec_lo, s3
	v_sub_nc_u32_e32 v1, 0, v5
	s_mov_b32 s11, 0
	s_mov_b32 s3, exec_lo
	s_delay_alu instid0(VALU_DEP_1)
	v_max_i32_e32 v2, v5, v1
	v_sub_nc_u32_e32 v1, 0, v9
	v_cmpx_ne_u32_e32 0, v9
	s_cbranch_execz .LBB57_23
; %bb.20:
	s_delay_alu instid0(VALU_DEP_2)
	v_max_i32_e32 v4, v9, v1
.LBB57_21:                              ; =>This Inner Loop Header: Depth=1
	s_delay_alu instid0(VALU_DEP_1) | instskip(NEXT) | instid1(VALU_DEP_1)
	v_mov_b32_e32 v3, v4
	v_cvt_f32_u32_e32 v4, v3
	s_delay_alu instid0(VALU_DEP_1) | instskip(SKIP_1) | instid1(TRANS32_DEP_1)
	v_rcp_iflag_f32_e32 v4, v4
	v_nop
	v_mul_f32_e32 v4, 0x4f7ffffe, v4
	v_sub_nc_u32_e32 v6, 0, v3
	s_delay_alu instid0(VALU_DEP_2) | instskip(NEXT) | instid1(VALU_DEP_1)
	v_cvt_u32_f32_e32 v4, v4
	v_mul_lo_u32 v6, v6, v4
	s_delay_alu instid0(VALU_DEP_1) | instskip(NEXT) | instid1(VALU_DEP_1)
	v_mul_hi_u32 v6, v4, v6
	v_add_nc_u32_e32 v4, v4, v6
	s_delay_alu instid0(VALU_DEP_1) | instskip(NEXT) | instid1(VALU_DEP_1)
	v_mul_hi_u32 v4, v2, v4
	v_mul_lo_u32 v4, v4, v3
	s_delay_alu instid0(VALU_DEP_1) | instskip(NEXT) | instid1(VALU_DEP_1)
	v_sub_nc_u32_e32 v2, v2, v4
	v_sub_nc_u32_e32 v4, v2, v3
	v_cmp_ge_u32_e32 vcc_lo, v2, v3
	s_delay_alu instid0(VALU_DEP_2) | instskip(NEXT) | instid1(VALU_DEP_1)
	v_cndmask_b32_e32 v2, v2, v4, vcc_lo
	v_sub_nc_u32_e32 v4, v2, v3
	v_cmp_ge_u32_e32 vcc_lo, v2, v3
	s_delay_alu instid0(VALU_DEP_2) | instskip(NEXT) | instid1(VALU_DEP_1)
	v_dual_cndmask_b32 v4, v2, v4, vcc_lo :: v_dual_mov_b32 v2, v3
	v_cmp_eq_u32_e32 vcc_lo, 0, v4
	s_or_b32 s11, vcc_lo, s11
	s_delay_alu instid0(SALU_CYCLE_1)
	s_and_not1_b32 exec_lo, exec_lo, s11
	s_cbranch_execnz .LBB57_21
; %bb.22:
	s_or_b32 exec_lo, exec_lo, s11
	v_mov_b32_e32 v2, v3
.LBB57_23:
	s_or_b32 exec_lo, exec_lo, s3
	v_mov_b32_e32 v13, 0
	s_mov_b32 s3, exec_lo
	s_delay_alu instid0(VALU_DEP_2)
	v_cmpx_ne_u32_e32 0, v2
	s_cbranch_execz .LBB57_25
; %bb.24:
	v_dual_sub_nc_u32 v3, 0, v2 :: v_dual_max_i32 v1, v9, v1
	s_delay_alu instid0(VALU_DEP_1) | instskip(NEXT) | instid1(VALU_DEP_1)
	v_max_i32_e32 v3, v2, v3
	v_cvt_f32_u32_e32 v4, v3
	v_sub_nc_u32_e32 v6, 0, v3
	s_delay_alu instid0(VALU_DEP_2) | instskip(SKIP_1) | instid1(TRANS32_DEP_1)
	v_rcp_iflag_f32_e32 v4, v4
	v_nop
	v_mul_f32_e32 v4, 0x4f7ffffe, v4
	s_delay_alu instid0(VALU_DEP_1) | instskip(NEXT) | instid1(VALU_DEP_1)
	v_cvt_u32_f32_e32 v4, v4
	v_mul_lo_u32 v6, v6, v4
	s_delay_alu instid0(VALU_DEP_1) | instskip(NEXT) | instid1(VALU_DEP_1)
	v_mul_hi_u32 v6, v4, v6
	v_add_nc_u32_e32 v4, v4, v6
	s_delay_alu instid0(VALU_DEP_1) | instskip(NEXT) | instid1(VALU_DEP_1)
	v_mul_hi_u32 v4, v1, v4
	v_mul_lo_u32 v6, v4, v3
	s_delay_alu instid0(VALU_DEP_1) | instskip(NEXT) | instid1(VALU_DEP_1)
	v_dual_sub_nc_u32 v1, v1, v6 :: v_dual_add_nc_u32 v6, 1, v4
	v_cmp_ge_u32_e32 vcc_lo, v1, v3
	s_delay_alu instid0(VALU_DEP_2) | instskip(NEXT) | instid1(VALU_DEP_1)
	v_dual_cndmask_b32 v4, v4, v6 :: v_dual_sub_nc_u32 v7, v1, v3
	v_dual_add_nc_u32 v6, 1, v4 :: v_dual_bitop2_b32 v2, v9, v2 bitop3:0x14
	s_delay_alu instid0(VALU_DEP_1) | instskip(NEXT) | instid1(VALU_DEP_1)
	v_dual_cndmask_b32 v1, v1, v7 :: v_dual_ashrrev_i32 v2, 31, v2
	v_cmp_ge_u32_e32 vcc_lo, v1, v3
	s_delay_alu instid0(VALU_DEP_3) | instskip(NEXT) | instid1(VALU_DEP_1)
	v_cndmask_b32_e32 v1, v4, v6, vcc_lo
	v_xor_b32_e32 v1, v1, v2
	s_delay_alu instid0(VALU_DEP_1) | instskip(NEXT) | instid1(VALU_DEP_1)
	v_sub_nc_u32_e32 v1, v1, v2
	v_mul_lo_u32 v1, v1, v5
	s_delay_alu instid0(VALU_DEP_1) | instskip(NEXT) | instid1(VALU_DEP_1)
	v_sub_nc_u32_e32 v2, 0, v1
	v_max_i32_e32 v13, v1, v2
.LBB57_25:
	s_or_b32 exec_lo, exec_lo, s3
	s_add_nc_u64 s[12:13], s[4:5], s[0:1]
	s_mov_b32 s0, 0
	global_store_b128 v0, v[10:13], s[12:13] scale_offset
.LBB57_26:
	s_and_b32 vcc_lo, exec_lo, s0
	s_cbranch_vccz .LBB57_65
; %bb.27:
	v_cmp_gt_i32_e32 vcc_lo, s10, v0
	s_wait_xcnt 0x0
	v_dual_mov_b32 v2, 0 :: v_dual_bitop2_b32 v10, s2, v0 bitop3:0x54
	v_or_b32_e32 v11, 0x100, v0
	v_dual_mov_b32 v12, 0 :: v_dual_mov_b32 v6, 0
	v_dual_mov_b32 v13, 0 :: v_dual_mov_b32 v5, 0
	;; [unrolled: 1-line block ×4, first 2 shown]
	s_and_saveexec_b32 s1, vcc_lo
	s_cbranch_execz .LBB57_35
; %bb.28:
	s_clause 0x1
	global_load_b32 v17, v10, s[6:7] scale_offset
	global_load_b32 v16, v10, s[8:9] scale_offset
	v_or_b32_e32 v1, 0x100, v0
	v_dual_mov_b32 v14, 0 :: v_dual_mov_b32 v15, 0
	v_dual_mov_b32 v5, 0 :: v_dual_mov_b32 v13, 0
	v_dual_mov_b32 v6, 0 :: v_dual_mov_b32 v12, 0
	s_mov_b32 s3, exec_lo
	s_wait_xcnt 0x0
	v_cmpx_gt_u32_e64 s10, v1
	s_cbranch_execz .LBB57_34
; %bb.29:
	v_dual_mov_b32 v5, 0 :: v_dual_add_nc_u32 v4, s2, v0
	v_or_b32_e32 v1, 0x200, v0
	v_dual_mov_b32 v13, 0 :: v_dual_mov_b32 v6, 0
	s_clause 0x1
	global_load_b32 v15, v4, s[6:7] offset:1024 scale_offset
	global_load_b32 v14, v4, s[8:9] offset:1024 scale_offset
	v_mov_b32_e32 v12, 0
	s_mov_b32 s11, exec_lo
	s_wait_xcnt 0x0
	v_cmpx_gt_u32_e64 s10, v1
	s_cbranch_execz .LBB57_33
; %bb.30:
	v_lshlrev_b64_e32 v[8:9], 2, v[4:5]
	v_or_b32_e32 v3, 0x300, v0
	v_mov_b32_e32 v12, 0
	s_delay_alu instid0(VALU_DEP_3)
	v_add_nc_u64_e32 v[6:7], s[6:7], v[8:9]
	v_add_nc_u64_e32 v[8:9], s[8:9], v[8:9]
	s_mov_b32 s6, exec_lo
	global_load_b32 v13, v[6:7], off offset:2048
	global_load_b32 v1, v[8:9], off offset:2048
	s_wait_xcnt 0x0
	v_cmpx_gt_u32_e64 s10, v3
	s_cbranch_execz .LBB57_32
; %bb.31:
	global_load_b32 v12, v[6:7], off offset:3072
	global_load_b32 v5, v[8:9], off offset:3072
.LBB57_32:
	s_wait_xcnt 0x0
	s_or_b32 exec_lo, exec_lo, s6
	s_wait_loadcnt 0x0
	v_dual_mov_b32 v6, v5 :: v_dual_mov_b32 v5, v1
.LBB57_33:
	s_or_b32 exec_lo, exec_lo, s11
.LBB57_34:
	s_delay_alu instid0(SALU_CYCLE_1)
	s_or_b32 exec_lo, exec_lo, s3
.LBB57_35:
	s_delay_alu instid0(SALU_CYCLE_1)
	s_or_b32 exec_lo, exec_lo, s1
	v_dual_mov_b32 v1, v2 :: v_dual_mov_b32 v4, v2
	v_mov_b32_e32 v3, v2
	s_and_saveexec_b32 s1, vcc_lo
	s_cbranch_execz .LBB57_43
; %bb.36:
	s_wait_loadcnt 0x0
	v_dual_sub_nc_u32 v1, 0, v16 :: v_dual_sub_nc_u32 v3, 0, v17
	s_mov_b32 s3, exec_lo
	s_delay_alu instid0(VALU_DEP_1)
	v_max_i32_e32 v4, v16, v1
	v_cmpx_ne_u32_e32 0, v17
	s_cbranch_execz .LBB57_40
; %bb.37:
	v_max_i32_e32 v2, v17, v3
	s_mov_b32 s6, 0
.LBB57_38:                              ; =>This Inner Loop Header: Depth=1
	s_delay_alu instid0(VALU_DEP_1) | instskip(NEXT) | instid1(VALU_DEP_1)
	v_mov_b32_e32 v1, v2
	v_cvt_f32_u32_e32 v2, v1
	s_delay_alu instid0(VALU_DEP_1) | instskip(SKIP_1) | instid1(TRANS32_DEP_1)
	v_rcp_iflag_f32_e32 v2, v2
	v_nop
	v_dual_mul_f32 v2, 0x4f7ffffe, v2 :: v_dual_sub_nc_u32 v7, 0, v1
	s_delay_alu instid0(VALU_DEP_1) | instskip(NEXT) | instid1(VALU_DEP_1)
	v_cvt_u32_f32_e32 v2, v2
	v_mul_lo_u32 v7, v7, v2
	s_delay_alu instid0(VALU_DEP_1) | instskip(NEXT) | instid1(VALU_DEP_1)
	v_mul_hi_u32 v7, v2, v7
	v_add_nc_u32_e32 v2, v2, v7
	s_delay_alu instid0(VALU_DEP_1) | instskip(NEXT) | instid1(VALU_DEP_1)
	v_mul_hi_u32 v2, v4, v2
	v_mul_lo_u32 v2, v2, v1
	s_delay_alu instid0(VALU_DEP_1) | instskip(NEXT) | instid1(VALU_DEP_1)
	v_sub_nc_u32_e32 v2, v4, v2
	v_sub_nc_u32_e32 v4, v2, v1
	v_cmp_ge_u32_e64 s0, v2, v1
	s_delay_alu instid0(VALU_DEP_1) | instskip(NEXT) | instid1(VALU_DEP_1)
	v_cndmask_b32_e64 v2, v2, v4, s0
	v_sub_nc_u32_e32 v4, v2, v1
	v_cmp_ge_u32_e64 s0, v2, v1
	s_delay_alu instid0(VALU_DEP_1) | instskip(NEXT) | instid1(VALU_DEP_1)
	v_dual_cndmask_b32 v2, v2, v4, s0 :: v_dual_mov_b32 v4, v1
	v_cmp_eq_u32_e64 s0, 0, v2
	s_or_b32 s6, s0, s6
	s_delay_alu instid0(SALU_CYCLE_1)
	s_and_not1_b32 exec_lo, exec_lo, s6
	s_cbranch_execnz .LBB57_38
; %bb.39:
	s_or_b32 exec_lo, exec_lo, s6
	v_mov_b32_e32 v4, v1
.LBB57_40:
	s_or_b32 exec_lo, exec_lo, s3
	v_dual_mov_b32 v1, 0 :: v_dual_mov_b32 v2, 0
	s_mov_b32 s3, exec_lo
	s_delay_alu instid0(VALU_DEP_2)
	v_cmpx_ne_u32_e32 0, v4
	s_cbranch_execz .LBB57_42
; %bb.41:
	v_dual_sub_nc_u32 v2, 0, v4 :: v_dual_max_i32 v3, v17, v3
	s_delay_alu instid0(VALU_DEP_1) | instskip(SKIP_1) | instid1(VALU_DEP_2)
	v_max_i32_e32 v2, v4, v2
	v_xor_b32_e32 v4, v17, v4
	v_cvt_f32_u32_e32 v7, v2
	s_delay_alu instid0(VALU_DEP_2) | instskip(NEXT) | instid1(VALU_DEP_2)
	v_dual_sub_nc_u32 v8, 0, v2 :: v_dual_ashrrev_i32 v4, 31, v4
	v_rcp_iflag_f32_e32 v7, v7
	v_nop
	s_delay_alu instid0(TRANS32_DEP_1) | instskip(NEXT) | instid1(VALU_DEP_1)
	v_mul_f32_e32 v7, 0x4f7ffffe, v7
	v_cvt_u32_f32_e32 v7, v7
	s_delay_alu instid0(VALU_DEP_1) | instskip(NEXT) | instid1(VALU_DEP_1)
	v_mul_lo_u32 v8, v8, v7
	v_mul_hi_u32 v8, v7, v8
	s_delay_alu instid0(VALU_DEP_1) | instskip(NEXT) | instid1(VALU_DEP_1)
	v_add_nc_u32_e32 v7, v7, v8
	v_mul_hi_u32 v7, v3, v7
	s_delay_alu instid0(VALU_DEP_1) | instskip(NEXT) | instid1(VALU_DEP_1)
	v_mul_lo_u32 v8, v7, v2
	v_dual_sub_nc_u32 v3, v3, v8 :: v_dual_add_nc_u32 v8, 1, v7
	s_delay_alu instid0(VALU_DEP_1) | instskip(SKIP_1) | instid1(VALU_DEP_1)
	v_sub_nc_u32_e32 v9, v3, v2
	v_cmp_ge_u32_e64 s0, v3, v2
	v_cndmask_b32_e64 v7, v7, v8, s0
	s_delay_alu instid0(VALU_DEP_1) | instskip(NEXT) | instid1(VALU_DEP_1)
	v_dual_cndmask_b32 v3, v3, v9, s0 :: v_dual_add_nc_u32 v8, 1, v7
	v_cmp_ge_u32_e64 s0, v3, v2
	s_delay_alu instid0(VALU_DEP_1) | instskip(NEXT) | instid1(VALU_DEP_1)
	v_cndmask_b32_e64 v2, v7, v8, s0
	v_xor_b32_e32 v2, v2, v4
	s_delay_alu instid0(VALU_DEP_1) | instskip(NEXT) | instid1(VALU_DEP_1)
	v_sub_nc_u32_e32 v2, v2, v4
	v_mul_lo_u32 v2, v2, v16
	s_delay_alu instid0(VALU_DEP_1) | instskip(NEXT) | instid1(VALU_DEP_1)
	v_sub_nc_u32_e32 v3, 0, v2
	v_max_i32_e32 v2, v2, v3
.LBB57_42:
	s_or_b32 exec_lo, exec_lo, s3
	v_dual_mov_b32 v4, v1 :: v_dual_mov_b32 v3, v1
.LBB57_43:
	s_or_b32 exec_lo, exec_lo, s1
	s_delay_alu instid0(SALU_CYCLE_1)
	s_mov_b32 s1, exec_lo
	v_cmpx_gt_i32_e64 s10, v11
	s_cbranch_execz .LBB57_51
; %bb.44:
	s_wait_loadcnt 0x0
	v_dual_sub_nc_u32 v1, 0, v14 :: v_dual_sub_nc_u32 v7, 0, v15
	s_mov_b32 s6, 0
	s_mov_b32 s3, exec_lo
	s_delay_alu instid0(VALU_DEP_1)
	v_max_i32_e32 v8, v14, v1
	v_cmpx_ne_u32_e32 0, v15
	s_cbranch_execz .LBB57_48
; %bb.45:
	v_max_i32_e32 v9, v15, v7
.LBB57_46:                              ; =>This Inner Loop Header: Depth=1
	s_delay_alu instid0(VALU_DEP_1) | instskip(NEXT) | instid1(VALU_DEP_1)
	v_mov_b32_e32 v1, v9
	v_cvt_f32_u32_e32 v9, v1
	v_sub_nc_u32_e32 v16, 0, v1
	s_delay_alu instid0(VALU_DEP_2) | instskip(SKIP_1) | instid1(TRANS32_DEP_1)
	v_rcp_iflag_f32_e32 v9, v9
	v_nop
	v_mul_f32_e32 v9, 0x4f7ffffe, v9
	s_delay_alu instid0(VALU_DEP_1) | instskip(NEXT) | instid1(VALU_DEP_1)
	v_cvt_u32_f32_e32 v9, v9
	v_mul_lo_u32 v16, v16, v9
	s_delay_alu instid0(VALU_DEP_1) | instskip(NEXT) | instid1(VALU_DEP_1)
	v_mul_hi_u32 v16, v9, v16
	v_add_nc_u32_e32 v9, v9, v16
	s_delay_alu instid0(VALU_DEP_1) | instskip(NEXT) | instid1(VALU_DEP_1)
	v_mul_hi_u32 v9, v8, v9
	v_mul_lo_u32 v9, v9, v1
	s_delay_alu instid0(VALU_DEP_1) | instskip(NEXT) | instid1(VALU_DEP_1)
	v_sub_nc_u32_e32 v8, v8, v9
	v_sub_nc_u32_e32 v9, v8, v1
	v_cmp_ge_u32_e64 s0, v8, v1
	s_delay_alu instid0(VALU_DEP_1) | instskip(NEXT) | instid1(VALU_DEP_1)
	v_cndmask_b32_e64 v8, v8, v9, s0
	v_sub_nc_u32_e32 v9, v8, v1
	v_cmp_ge_u32_e64 s0, v8, v1
	s_delay_alu instid0(VALU_DEP_1) | instskip(NEXT) | instid1(VALU_DEP_1)
	v_dual_cndmask_b32 v9, v8, v9, s0 :: v_dual_mov_b32 v8, v1
	v_cmp_eq_u32_e64 s0, 0, v9
	s_or_b32 s6, s0, s6
	s_delay_alu instid0(SALU_CYCLE_1)
	s_and_not1_b32 exec_lo, exec_lo, s6
	s_cbranch_execnz .LBB57_46
; %bb.47:
	s_or_b32 exec_lo, exec_lo, s6
	v_mov_b32_e32 v8, v1
.LBB57_48:
	s_or_b32 exec_lo, exec_lo, s3
	v_mov_b32_e32 v1, 0
	s_mov_b32 s3, exec_lo
	s_delay_alu instid0(VALU_DEP_2)
	v_cmpx_ne_u32_e32 0, v8
	s_cbranch_execz .LBB57_50
; %bb.49:
	v_dual_sub_nc_u32 v1, 0, v8 :: v_dual_max_i32 v7, v15, v7
	s_delay_alu instid0(VALU_DEP_1) | instskip(SKIP_1) | instid1(VALU_DEP_2)
	v_max_i32_e32 v1, v8, v1
	v_xor_b32_e32 v8, v15, v8
	v_cvt_f32_u32_e32 v9, v1
	s_delay_alu instid0(VALU_DEP_2) | instskip(NEXT) | instid1(VALU_DEP_2)
	v_dual_sub_nc_u32 v16, 0, v1 :: v_dual_ashrrev_i32 v8, 31, v8
	v_rcp_iflag_f32_e32 v9, v9
	v_nop
	s_delay_alu instid0(TRANS32_DEP_1) | instskip(NEXT) | instid1(VALU_DEP_1)
	v_mul_f32_e32 v9, 0x4f7ffffe, v9
	v_cvt_u32_f32_e32 v9, v9
	s_delay_alu instid0(VALU_DEP_1) | instskip(NEXT) | instid1(VALU_DEP_1)
	v_mul_lo_u32 v16, v16, v9
	v_mul_hi_u32 v16, v9, v16
	s_delay_alu instid0(VALU_DEP_1) | instskip(NEXT) | instid1(VALU_DEP_1)
	v_add_nc_u32_e32 v9, v9, v16
	v_mul_hi_u32 v9, v7, v9
	s_delay_alu instid0(VALU_DEP_1) | instskip(NEXT) | instid1(VALU_DEP_1)
	v_mul_lo_u32 v16, v9, v1
	v_dual_sub_nc_u32 v7, v7, v16 :: v_dual_add_nc_u32 v16, 1, v9
	s_delay_alu instid0(VALU_DEP_1) | instskip(SKIP_1) | instid1(VALU_DEP_1)
	v_sub_nc_u32_e32 v17, v7, v1
	v_cmp_ge_u32_e64 s0, v7, v1
	v_dual_cndmask_b32 v9, v9, v16, s0 :: v_dual_cndmask_b32 v7, v7, v17, s0
	s_delay_alu instid0(VALU_DEP_1) | instskip(NEXT) | instid1(VALU_DEP_2)
	v_add_nc_u32_e32 v15, 1, v9
	v_cmp_ge_u32_e64 s0, v7, v1
	s_delay_alu instid0(VALU_DEP_1) | instskip(NEXT) | instid1(VALU_DEP_1)
	v_cndmask_b32_e64 v1, v9, v15, s0
	v_xor_b32_e32 v1, v1, v8
	s_delay_alu instid0(VALU_DEP_1) | instskip(NEXT) | instid1(VALU_DEP_1)
	v_sub_nc_u32_e32 v1, v1, v8
	v_mul_lo_u32 v1, v1, v14
	s_delay_alu instid0(VALU_DEP_1) | instskip(NEXT) | instid1(VALU_DEP_1)
	v_sub_nc_u32_e32 v7, 0, v1
	v_max_i32_e32 v1, v1, v7
.LBB57_50:
	s_or_b32 exec_lo, exec_lo, s3
.LBB57_51:
	s_delay_alu instid0(SALU_CYCLE_1) | instskip(SKIP_2) | instid1(VALU_DEP_1)
	s_or_b32 exec_lo, exec_lo, s1
	v_or_b32_e32 v7, 0x200, v0
	s_mov_b32 s1, exec_lo
	v_cmpx_gt_i32_e64 s10, v7
	s_cbranch_execz .LBB57_59
; %bb.52:
	v_sub_nc_u32_e32 v4, 0, v5
	s_mov_b32 s6, 0
	s_mov_b32 s3, exec_lo
	s_delay_alu instid0(VALU_DEP_1)
	v_dual_sub_nc_u32 v7, 0, v13 :: v_dual_max_i32 v8, v5, v4
	v_cmpx_ne_u32_e32 0, v13
	s_cbranch_execz .LBB57_56
; %bb.53:
	s_delay_alu instid0(VALU_DEP_2)
	v_max_i32_e32 v9, v13, v7
.LBB57_54:                              ; =>This Inner Loop Header: Depth=1
	s_delay_alu instid0(VALU_DEP_1) | instskip(NEXT) | instid1(VALU_DEP_1)
	v_mov_b32_e32 v4, v9
	v_cvt_f32_u32_e32 v9, v4
	s_delay_alu instid0(VALU_DEP_1) | instskip(SKIP_2) | instid1(TRANS32_DEP_1)
	v_rcp_iflag_f32_e32 v9, v9
	s_wait_loadcnt 0x0
	v_nop
	v_dual_mul_f32 v9, 0x4f7ffffe, v9 :: v_dual_sub_nc_u32 v14, 0, v4
	s_delay_alu instid0(VALU_DEP_1) | instskip(NEXT) | instid1(VALU_DEP_1)
	v_cvt_u32_f32_e32 v9, v9
	v_mul_lo_u32 v14, v14, v9
	s_delay_alu instid0(VALU_DEP_1) | instskip(NEXT) | instid1(VALU_DEP_1)
	v_mul_hi_u32 v14, v9, v14
	v_add_nc_u32_e32 v9, v9, v14
	s_delay_alu instid0(VALU_DEP_1) | instskip(NEXT) | instid1(VALU_DEP_1)
	v_mul_hi_u32 v9, v8, v9
	v_mul_lo_u32 v9, v9, v4
	s_delay_alu instid0(VALU_DEP_1) | instskip(NEXT) | instid1(VALU_DEP_1)
	v_sub_nc_u32_e32 v8, v8, v9
	v_sub_nc_u32_e32 v9, v8, v4
	v_cmp_ge_u32_e64 s0, v8, v4
	s_delay_alu instid0(VALU_DEP_1) | instskip(NEXT) | instid1(VALU_DEP_1)
	v_cndmask_b32_e64 v8, v8, v9, s0
	v_sub_nc_u32_e32 v9, v8, v4
	v_cmp_ge_u32_e64 s0, v8, v4
	s_delay_alu instid0(VALU_DEP_1) | instskip(SKIP_1) | instid1(VALU_DEP_2)
	v_cndmask_b32_e64 v9, v8, v9, s0
	v_mov_b32_e32 v8, v4
	v_cmp_eq_u32_e64 s0, 0, v9
	s_or_b32 s6, s0, s6
	s_delay_alu instid0(SALU_CYCLE_1)
	s_and_not1_b32 exec_lo, exec_lo, s6
	s_cbranch_execnz .LBB57_54
; %bb.55:
	s_or_b32 exec_lo, exec_lo, s6
	v_mov_b32_e32 v8, v4
.LBB57_56:
	s_or_b32 exec_lo, exec_lo, s3
	v_mov_b32_e32 v4, 0
	s_mov_b32 s3, exec_lo
	s_delay_alu instid0(VALU_DEP_2)
	v_cmpx_ne_u32_e32 0, v8
	s_cbranch_execz .LBB57_58
; %bb.57:
	v_dual_sub_nc_u32 v4, 0, v8 :: v_dual_max_i32 v7, v13, v7
	s_delay_alu instid0(VALU_DEP_1) | instskip(NEXT) | instid1(VALU_DEP_1)
	v_max_i32_e32 v4, v8, v4
	v_cvt_f32_u32_e32 v9, v4
	s_wait_loadcnt 0x0
	v_sub_nc_u32_e32 v14, 0, v4
	s_delay_alu instid0(VALU_DEP_2) | instskip(SKIP_1) | instid1(TRANS32_DEP_1)
	v_rcp_iflag_f32_e32 v9, v9
	v_nop
	v_mul_f32_e32 v9, 0x4f7ffffe, v9
	s_delay_alu instid0(VALU_DEP_1) | instskip(NEXT) | instid1(VALU_DEP_1)
	v_cvt_u32_f32_e32 v9, v9
	v_mul_lo_u32 v14, v14, v9
	s_delay_alu instid0(VALU_DEP_1) | instskip(NEXT) | instid1(VALU_DEP_1)
	v_mul_hi_u32 v14, v9, v14
	v_add_nc_u32_e32 v9, v9, v14
	s_delay_alu instid0(VALU_DEP_1) | instskip(NEXT) | instid1(VALU_DEP_1)
	v_mul_hi_u32 v9, v7, v9
	v_mul_lo_u32 v14, v9, v4
	s_delay_alu instid0(VALU_DEP_1) | instskip(NEXT) | instid1(VALU_DEP_1)
	v_dual_sub_nc_u32 v7, v7, v14 :: v_dual_add_nc_u32 v14, 1, v9
	v_cmp_ge_u32_e64 s0, v7, v4
	s_delay_alu instid0(VALU_DEP_1) | instskip(NEXT) | instid1(VALU_DEP_1)
	v_dual_sub_nc_u32 v15, v7, v4 :: v_dual_cndmask_b32 v9, v9, v14, s0
	v_dual_cndmask_b32 v7, v7, v15, s0 :: v_dual_bitop2_b32 v8, v13, v8 bitop3:0x14
	s_delay_alu instid0(VALU_DEP_1) | instskip(NEXT) | instid1(VALU_DEP_2)
	v_dual_add_nc_u32 v13, 1, v9 :: v_dual_ashrrev_i32 v8, 31, v8
	v_cmp_ge_u32_e64 s0, v7, v4
	s_delay_alu instid0(VALU_DEP_1) | instskip(NEXT) | instid1(VALU_DEP_1)
	v_cndmask_b32_e64 v4, v9, v13, s0
	v_xor_b32_e32 v4, v4, v8
	s_delay_alu instid0(VALU_DEP_1) | instskip(NEXT) | instid1(VALU_DEP_1)
	v_sub_nc_u32_e32 v4, v4, v8
	v_mul_lo_u32 v4, v4, v5
	s_delay_alu instid0(VALU_DEP_1) | instskip(NEXT) | instid1(VALU_DEP_1)
	v_sub_nc_u32_e32 v5, 0, v4
	v_max_i32_e32 v4, v4, v5
.LBB57_58:
	s_or_b32 exec_lo, exec_lo, s3
.LBB57_59:
	s_delay_alu instid0(SALU_CYCLE_1) | instskip(SKIP_2) | instid1(VALU_DEP_1)
	s_or_b32 exec_lo, exec_lo, s1
	v_or_b32_e32 v5, 0x300, v0
	s_mov_b32 s1, exec_lo
	v_cmpx_gt_i32_e64 s10, v5
	s_cbranch_execnz .LBB57_66
; %bb.60:
	s_or_b32 exec_lo, exec_lo, s1
	s_and_saveexec_b32 s0, vcc_lo
	s_delay_alu instid0(SALU_CYCLE_1)
	s_xor_b32 s0, exec_lo, s0
	s_cbranch_execnz .LBB57_73
.LBB57_61:
	s_or_b32 exec_lo, exec_lo, s0
	s_delay_alu instid0(SALU_CYCLE_1)
	s_mov_b32 s0, exec_lo
	v_cmpx_gt_i32_e64 s10, v0
	s_cbranch_execnz .LBB57_74
.LBB57_62:
	s_or_b32 exec_lo, exec_lo, s0
	s_delay_alu instid0(SALU_CYCLE_1)
	s_mov_b32 s0, exec_lo
	v_cmpx_gt_i32_e64 s10, v0
	s_cbranch_execnz .LBB57_75
.LBB57_63:
	s_or_b32 exec_lo, exec_lo, s0
	s_delay_alu instid0(SALU_CYCLE_1)
	s_mov_b32 s0, exec_lo
	v_cmpx_gt_i32_e64 s10, v0
	s_cbranch_execz .LBB57_65
.LBB57_64:
	v_add_nc_u32_e32 v0, s2, v0
	global_store_b32 v0, v3, s[4:5] scale_offset
.LBB57_65:
	s_endpgm
.LBB57_66:
	v_dual_sub_nc_u32 v3, 0, v6 :: v_dual_sub_nc_u32 v5, 0, v12
	s_mov_b32 s6, 0
	s_mov_b32 s3, exec_lo
	s_delay_alu instid0(VALU_DEP_1)
	v_max_i32_e32 v7, v6, v3
	v_cmpx_ne_u32_e32 0, v12
	s_cbranch_execz .LBB57_70
; %bb.67:
	v_max_i32_e32 v8, v12, v5
.LBB57_68:                              ; =>This Inner Loop Header: Depth=1
	s_delay_alu instid0(VALU_DEP_1) | instskip(NEXT) | instid1(VALU_DEP_1)
	v_mov_b32_e32 v3, v8
	v_cvt_f32_u32_e32 v8, v3
	s_delay_alu instid0(VALU_DEP_1) | instskip(SKIP_1) | instid1(TRANS32_DEP_1)
	v_rcp_iflag_f32_e32 v8, v8
	v_nop
	v_dual_mul_f32 v8, 0x4f7ffffe, v8 :: v_dual_sub_nc_u32 v9, 0, v3
	s_delay_alu instid0(VALU_DEP_1) | instskip(NEXT) | instid1(VALU_DEP_1)
	v_cvt_u32_f32_e32 v8, v8
	v_mul_lo_u32 v9, v9, v8
	s_delay_alu instid0(VALU_DEP_1) | instskip(NEXT) | instid1(VALU_DEP_1)
	v_mul_hi_u32 v9, v8, v9
	v_add_nc_u32_e32 v8, v8, v9
	s_delay_alu instid0(VALU_DEP_1) | instskip(NEXT) | instid1(VALU_DEP_1)
	v_mul_hi_u32 v8, v7, v8
	v_mul_lo_u32 v8, v8, v3
	s_delay_alu instid0(VALU_DEP_1) | instskip(NEXT) | instid1(VALU_DEP_1)
	v_sub_nc_u32_e32 v7, v7, v8
	v_sub_nc_u32_e32 v8, v7, v3
	v_cmp_ge_u32_e64 s0, v7, v3
	s_delay_alu instid0(VALU_DEP_1) | instskip(NEXT) | instid1(VALU_DEP_1)
	v_cndmask_b32_e64 v7, v7, v8, s0
	v_sub_nc_u32_e32 v8, v7, v3
	v_cmp_ge_u32_e64 s0, v7, v3
	s_delay_alu instid0(VALU_DEP_1) | instskip(SKIP_1) | instid1(VALU_DEP_2)
	v_cndmask_b32_e64 v8, v7, v8, s0
	v_mov_b32_e32 v7, v3
	v_cmp_eq_u32_e64 s0, 0, v8
	s_or_b32 s6, s0, s6
	s_delay_alu instid0(SALU_CYCLE_1)
	s_and_not1_b32 exec_lo, exec_lo, s6
	s_cbranch_execnz .LBB57_68
; %bb.69:
	s_or_b32 exec_lo, exec_lo, s6
	v_mov_b32_e32 v7, v3
.LBB57_70:
	s_or_b32 exec_lo, exec_lo, s3
	v_mov_b32_e32 v3, 0
	s_mov_b32 s3, exec_lo
	s_delay_alu instid0(VALU_DEP_2)
	v_cmpx_ne_u32_e32 0, v7
	s_cbranch_execz .LBB57_72
; %bb.71:
	v_dual_sub_nc_u32 v3, 0, v7 :: v_dual_max_i32 v5, v12, v5
	s_delay_alu instid0(VALU_DEP_1) | instskip(NEXT) | instid1(VALU_DEP_1)
	v_max_i32_e32 v3, v7, v3
	v_cvt_f32_u32_e32 v8, v3
	v_sub_nc_u32_e32 v9, 0, v3
	s_delay_alu instid0(VALU_DEP_2) | instskip(SKIP_1) | instid1(TRANS32_DEP_1)
	v_rcp_iflag_f32_e32 v8, v8
	v_nop
	v_mul_f32_e32 v8, 0x4f7ffffe, v8
	s_delay_alu instid0(VALU_DEP_1) | instskip(NEXT) | instid1(VALU_DEP_1)
	v_cvt_u32_f32_e32 v8, v8
	v_mul_lo_u32 v9, v9, v8
	s_delay_alu instid0(VALU_DEP_1) | instskip(NEXT) | instid1(VALU_DEP_1)
	v_mul_hi_u32 v9, v8, v9
	v_add_nc_u32_e32 v8, v8, v9
	s_delay_alu instid0(VALU_DEP_1) | instskip(NEXT) | instid1(VALU_DEP_1)
	v_mul_hi_u32 v8, v5, v8
	v_mul_lo_u32 v9, v8, v3
	s_delay_alu instid0(VALU_DEP_1) | instskip(NEXT) | instid1(VALU_DEP_1)
	v_dual_sub_nc_u32 v5, v5, v9 :: v_dual_add_nc_u32 v9, 1, v8
	v_cmp_ge_u32_e64 s0, v5, v3
	s_delay_alu instid0(VALU_DEP_1) | instskip(NEXT) | instid1(VALU_DEP_1)
	v_dual_sub_nc_u32 v13, v5, v3 :: v_dual_cndmask_b32 v8, v8, v9, s0
	v_dual_cndmask_b32 v5, v5, v13, s0 :: v_dual_bitop2_b32 v7, v12, v7 bitop3:0x14
	s_delay_alu instid0(VALU_DEP_1) | instskip(NEXT) | instid1(VALU_DEP_2)
	v_dual_add_nc_u32 v9, 1, v8 :: v_dual_ashrrev_i32 v7, 31, v7
	v_cmp_ge_u32_e64 s0, v5, v3
	s_delay_alu instid0(VALU_DEP_1) | instskip(NEXT) | instid1(VALU_DEP_1)
	v_cndmask_b32_e64 v3, v8, v9, s0
	v_xor_b32_e32 v3, v3, v7
	s_delay_alu instid0(VALU_DEP_1) | instskip(NEXT) | instid1(VALU_DEP_1)
	v_sub_nc_u32_e32 v3, v3, v7
	v_mul_lo_u32 v3, v3, v6
	s_delay_alu instid0(VALU_DEP_1) | instskip(NEXT) | instid1(VALU_DEP_1)
	v_sub_nc_u32_e32 v5, 0, v3
	v_max_i32_e32 v3, v3, v5
.LBB57_72:
	s_or_b32 exec_lo, exec_lo, s3
	s_delay_alu instid0(SALU_CYCLE_1) | instskip(SKIP_1) | instid1(SALU_CYCLE_1)
	s_or_b32 exec_lo, exec_lo, s1
	s_and_saveexec_b32 s0, vcc_lo
	s_xor_b32 s0, exec_lo, s0
	s_cbranch_execz .LBB57_61
.LBB57_73:
	v_mov_b32_e32 v0, v11
	global_store_b32 v10, v2, s[4:5] scale_offset
	s_wait_xcnt 0x0
	s_or_b32 exec_lo, exec_lo, s0
	s_delay_alu instid0(SALU_CYCLE_1)
	s_mov_b32 s0, exec_lo
	v_cmpx_gt_i32_e64 s10, v0
	s_cbranch_execz .LBB57_62
.LBB57_74:
	v_add_nc_u32_e32 v2, s2, v0
	v_add_nc_u32_e32 v0, 0x100, v0
	global_store_b32 v2, v1, s[4:5] scale_offset
	s_wait_xcnt 0x0
	s_or_b32 exec_lo, exec_lo, s0
	s_delay_alu instid0(SALU_CYCLE_1)
	s_mov_b32 s0, exec_lo
	v_cmpx_gt_i32_e64 s10, v0
	s_cbranch_execz .LBB57_63
.LBB57_75:
	v_add_nc_u32_e32 v1, s2, v0
	v_add_nc_u32_e32 v0, 0x100, v0
	global_store_b32 v1, v4, s[4:5] scale_offset
	s_wait_xcnt 0x0
	s_or_b32 exec_lo, exec_lo, s0
	s_delay_alu instid0(SALU_CYCLE_1)
	s_mov_b32 s0, exec_lo
	v_cmpx_gt_i32_e64 s10, v0
	s_cbranch_execnz .LBB57_64
	s_branch .LBB57_65
	.section	.rodata,"a",@progbits
	.p2align	6, 0x0
	.amdhsa_kernel _ZN2at6native29vectorized_elementwise_kernelILi8EZZZNS0_15lcm_kernel_cudaERNS_18TensorIteratorBaseEENKUlvE_clEvENKUlvE1_clEvEUliiE_St5arrayIPcLm3EEEEviT0_T1_
		.amdhsa_group_segment_fixed_size 0
		.amdhsa_private_segment_fixed_size 0
		.amdhsa_kernarg_size 32
		.amdhsa_user_sgpr_count 2
		.amdhsa_user_sgpr_dispatch_ptr 0
		.amdhsa_user_sgpr_queue_ptr 0
		.amdhsa_user_sgpr_kernarg_segment_ptr 1
		.amdhsa_user_sgpr_dispatch_id 0
		.amdhsa_user_sgpr_kernarg_preload_length 0
		.amdhsa_user_sgpr_kernarg_preload_offset 0
		.amdhsa_user_sgpr_private_segment_size 0
		.amdhsa_wavefront_size32 1
		.amdhsa_uses_dynamic_stack 0
		.amdhsa_enable_private_segment 0
		.amdhsa_system_sgpr_workgroup_id_x 1
		.amdhsa_system_sgpr_workgroup_id_y 0
		.amdhsa_system_sgpr_workgroup_id_z 0
		.amdhsa_system_sgpr_workgroup_info 0
		.amdhsa_system_vgpr_workitem_id 0
		.amdhsa_next_free_vgpr 18
		.amdhsa_next_free_sgpr 14
		.amdhsa_named_barrier_count 0
		.amdhsa_reserve_vcc 1
		.amdhsa_float_round_mode_32 0
		.amdhsa_float_round_mode_16_64 0
		.amdhsa_float_denorm_mode_32 3
		.amdhsa_float_denorm_mode_16_64 3
		.amdhsa_fp16_overflow 0
		.amdhsa_memory_ordered 1
		.amdhsa_forward_progress 1
		.amdhsa_inst_pref_size 36
		.amdhsa_round_robin_scheduling 0
		.amdhsa_exception_fp_ieee_invalid_op 0
		.amdhsa_exception_fp_denorm_src 0
		.amdhsa_exception_fp_ieee_div_zero 0
		.amdhsa_exception_fp_ieee_overflow 0
		.amdhsa_exception_fp_ieee_underflow 0
		.amdhsa_exception_fp_ieee_inexact 0
		.amdhsa_exception_int_div_zero 0
	.end_amdhsa_kernel
	.section	.text._ZN2at6native29vectorized_elementwise_kernelILi8EZZZNS0_15lcm_kernel_cudaERNS_18TensorIteratorBaseEENKUlvE_clEvENKUlvE1_clEvEUliiE_St5arrayIPcLm3EEEEviT0_T1_,"axG",@progbits,_ZN2at6native29vectorized_elementwise_kernelILi8EZZZNS0_15lcm_kernel_cudaERNS_18TensorIteratorBaseEENKUlvE_clEvENKUlvE1_clEvEUliiE_St5arrayIPcLm3EEEEviT0_T1_,comdat
.Lfunc_end57:
	.size	_ZN2at6native29vectorized_elementwise_kernelILi8EZZZNS0_15lcm_kernel_cudaERNS_18TensorIteratorBaseEENKUlvE_clEvENKUlvE1_clEvEUliiE_St5arrayIPcLm3EEEEviT0_T1_, .Lfunc_end57-_ZN2at6native29vectorized_elementwise_kernelILi8EZZZNS0_15lcm_kernel_cudaERNS_18TensorIteratorBaseEENKUlvE_clEvENKUlvE1_clEvEUliiE_St5arrayIPcLm3EEEEviT0_T1_
                                        ; -- End function
	.set _ZN2at6native29vectorized_elementwise_kernelILi8EZZZNS0_15lcm_kernel_cudaERNS_18TensorIteratorBaseEENKUlvE_clEvENKUlvE1_clEvEUliiE_St5arrayIPcLm3EEEEviT0_T1_.num_vgpr, 18
	.set _ZN2at6native29vectorized_elementwise_kernelILi8EZZZNS0_15lcm_kernel_cudaERNS_18TensorIteratorBaseEENKUlvE_clEvENKUlvE1_clEvEUliiE_St5arrayIPcLm3EEEEviT0_T1_.num_agpr, 0
	.set _ZN2at6native29vectorized_elementwise_kernelILi8EZZZNS0_15lcm_kernel_cudaERNS_18TensorIteratorBaseEENKUlvE_clEvENKUlvE1_clEvEUliiE_St5arrayIPcLm3EEEEviT0_T1_.numbered_sgpr, 14
	.set _ZN2at6native29vectorized_elementwise_kernelILi8EZZZNS0_15lcm_kernel_cudaERNS_18TensorIteratorBaseEENKUlvE_clEvENKUlvE1_clEvEUliiE_St5arrayIPcLm3EEEEviT0_T1_.num_named_barrier, 0
	.set _ZN2at6native29vectorized_elementwise_kernelILi8EZZZNS0_15lcm_kernel_cudaERNS_18TensorIteratorBaseEENKUlvE_clEvENKUlvE1_clEvEUliiE_St5arrayIPcLm3EEEEviT0_T1_.private_seg_size, 0
	.set _ZN2at6native29vectorized_elementwise_kernelILi8EZZZNS0_15lcm_kernel_cudaERNS_18TensorIteratorBaseEENKUlvE_clEvENKUlvE1_clEvEUliiE_St5arrayIPcLm3EEEEviT0_T1_.uses_vcc, 1
	.set _ZN2at6native29vectorized_elementwise_kernelILi8EZZZNS0_15lcm_kernel_cudaERNS_18TensorIteratorBaseEENKUlvE_clEvENKUlvE1_clEvEUliiE_St5arrayIPcLm3EEEEviT0_T1_.uses_flat_scratch, 0
	.set _ZN2at6native29vectorized_elementwise_kernelILi8EZZZNS0_15lcm_kernel_cudaERNS_18TensorIteratorBaseEENKUlvE_clEvENKUlvE1_clEvEUliiE_St5arrayIPcLm3EEEEviT0_T1_.has_dyn_sized_stack, 0
	.set _ZN2at6native29vectorized_elementwise_kernelILi8EZZZNS0_15lcm_kernel_cudaERNS_18TensorIteratorBaseEENKUlvE_clEvENKUlvE1_clEvEUliiE_St5arrayIPcLm3EEEEviT0_T1_.has_recursion, 0
	.set _ZN2at6native29vectorized_elementwise_kernelILi8EZZZNS0_15lcm_kernel_cudaERNS_18TensorIteratorBaseEENKUlvE_clEvENKUlvE1_clEvEUliiE_St5arrayIPcLm3EEEEviT0_T1_.has_indirect_call, 0
	.section	.AMDGPU.csdata,"",@progbits
; Kernel info:
; codeLenInByte = 4600
; TotalNumSgprs: 16
; NumVgprs: 18
; ScratchSize: 0
; MemoryBound: 0
; FloatMode: 240
; IeeeMode: 1
; LDSByteSize: 0 bytes/workgroup (compile time only)
; SGPRBlocks: 0
; VGPRBlocks: 1
; NumSGPRsForWavesPerEU: 16
; NumVGPRsForWavesPerEU: 18
; NamedBarCnt: 0
; Occupancy: 16
; WaveLimiterHint : 0
; COMPUTE_PGM_RSRC2:SCRATCH_EN: 0
; COMPUTE_PGM_RSRC2:USER_SGPR: 2
; COMPUTE_PGM_RSRC2:TRAP_HANDLER: 0
; COMPUTE_PGM_RSRC2:TGID_X_EN: 1
; COMPUTE_PGM_RSRC2:TGID_Y_EN: 0
; COMPUTE_PGM_RSRC2:TGID_Z_EN: 0
; COMPUTE_PGM_RSRC2:TIDIG_COMP_CNT: 0
	.section	.text._ZN2at6native29vectorized_elementwise_kernelILi4EZZZNS0_15lcm_kernel_cudaERNS_18TensorIteratorBaseEENKUlvE_clEvENKUlvE1_clEvEUliiE_St5arrayIPcLm3EEEEviT0_T1_,"axG",@progbits,_ZN2at6native29vectorized_elementwise_kernelILi4EZZZNS0_15lcm_kernel_cudaERNS_18TensorIteratorBaseEENKUlvE_clEvENKUlvE1_clEvEUliiE_St5arrayIPcLm3EEEEviT0_T1_,comdat
	.globl	_ZN2at6native29vectorized_elementwise_kernelILi4EZZZNS0_15lcm_kernel_cudaERNS_18TensorIteratorBaseEENKUlvE_clEvENKUlvE1_clEvEUliiE_St5arrayIPcLm3EEEEviT0_T1_ ; -- Begin function _ZN2at6native29vectorized_elementwise_kernelILi4EZZZNS0_15lcm_kernel_cudaERNS_18TensorIteratorBaseEENKUlvE_clEvENKUlvE1_clEvEUliiE_St5arrayIPcLm3EEEEviT0_T1_
	.p2align	8
	.type	_ZN2at6native29vectorized_elementwise_kernelILi4EZZZNS0_15lcm_kernel_cudaERNS_18TensorIteratorBaseEENKUlvE_clEvENKUlvE1_clEvEUliiE_St5arrayIPcLm3EEEEviT0_T1_,@function
_ZN2at6native29vectorized_elementwise_kernelILi4EZZZNS0_15lcm_kernel_cudaERNS_18TensorIteratorBaseEENKUlvE_clEvENKUlvE1_clEvEUliiE_St5arrayIPcLm3EEEEviT0_T1_: ; @_ZN2at6native29vectorized_elementwise_kernelILi4EZZZNS0_15lcm_kernel_cudaERNS_18TensorIteratorBaseEENKUlvE_clEvENKUlvE1_clEvEUliiE_St5arrayIPcLm3EEEEviT0_T1_
; %bb.0:
	s_clause 0x2
	s_load_b32 s3, s[0:1], 0x0
	s_load_b128 s[4:7], s[0:1], 0x8
	s_load_b64 s[8:9], s[0:1], 0x18
	s_wait_xcnt 0x0
	s_bfe_u32 s0, ttmp6, 0x4000c
	s_and_b32 s1, ttmp6, 15
	s_add_co_i32 s0, s0, 1
	s_getreg_b32 s2, hwreg(HW_REG_IB_STS2, 6, 4)
	s_mul_i32 s0, ttmp9, s0
	s_delay_alu instid0(SALU_CYCLE_1) | instskip(SKIP_2) | instid1(SALU_CYCLE_1)
	s_add_co_i32 s1, s1, s0
	s_cmp_eq_u32 s2, 0
	s_cselect_b32 s0, ttmp9, s1
	s_lshl_b32 s2, s0, 10
	s_mov_b32 s0, -1
	s_wait_kmcnt 0x0
	s_sub_co_i32 s10, s3, s2
	s_delay_alu instid0(SALU_CYCLE_1)
	s_cmp_gt_i32 s10, 0x3ff
	s_cbranch_scc0 .LBB58_26
; %bb.1:
	s_ashr_i32 s3, s2, 31
	s_delay_alu instid0(SALU_CYCLE_1)
	s_lshl_b64 s[0:1], s[2:3], 2
	s_mov_b32 s3, exec_lo
	s_add_nc_u64 s[12:13], s[8:9], s[0:1]
	global_load_b128 v[2:5], v0, s[12:13] scale_offset
	s_wait_xcnt 0x0
	s_add_nc_u64 s[12:13], s[6:7], s[0:1]
	global_load_b128 v[6:9], v0, s[12:13] scale_offset
	s_wait_loadcnt 0x1
	v_sub_nc_u32_e32 v1, 0, v2
	s_wait_loadcnt 0x0
	s_delay_alu instid0(VALU_DEP_1)
	v_dual_sub_nc_u32 v1, 0, v6 :: v_dual_max_i32 v11, v2, v1
	v_cmpx_ne_u32_e32 0, v6
	s_cbranch_execz .LBB58_5
; %bb.2:
	s_delay_alu instid0(VALU_DEP_2)
	v_max_i32_e32 v12, v6, v1
	s_mov_b32 s11, 0
.LBB58_3:                               ; =>This Inner Loop Header: Depth=1
	s_delay_alu instid0(VALU_DEP_1) | instskip(NEXT) | instid1(VALU_DEP_1)
	v_mov_b32_e32 v10, v12
	v_cvt_f32_u32_e32 v12, v10
	v_sub_nc_u32_e32 v13, 0, v10
	s_delay_alu instid0(VALU_DEP_2) | instskip(SKIP_1) | instid1(TRANS32_DEP_1)
	v_rcp_iflag_f32_e32 v12, v12
	v_nop
	v_mul_f32_e32 v12, 0x4f7ffffe, v12
	s_delay_alu instid0(VALU_DEP_1) | instskip(NEXT) | instid1(VALU_DEP_1)
	v_cvt_u32_f32_e32 v12, v12
	v_mul_lo_u32 v13, v13, v12
	s_delay_alu instid0(VALU_DEP_1) | instskip(NEXT) | instid1(VALU_DEP_1)
	v_mul_hi_u32 v13, v12, v13
	v_add_nc_u32_e32 v12, v12, v13
	s_delay_alu instid0(VALU_DEP_1) | instskip(NEXT) | instid1(VALU_DEP_1)
	v_mul_hi_u32 v12, v11, v12
	v_mul_lo_u32 v12, v12, v10
	s_delay_alu instid0(VALU_DEP_1) | instskip(NEXT) | instid1(VALU_DEP_1)
	v_sub_nc_u32_e32 v11, v11, v12
	v_sub_nc_u32_e32 v12, v11, v10
	v_cmp_ge_u32_e32 vcc_lo, v11, v10
	s_delay_alu instid0(VALU_DEP_2) | instskip(NEXT) | instid1(VALU_DEP_1)
	v_cndmask_b32_e32 v11, v11, v12, vcc_lo
	v_sub_nc_u32_e32 v12, v11, v10
	v_cmp_ge_u32_e32 vcc_lo, v11, v10
	s_delay_alu instid0(VALU_DEP_2) | instskip(NEXT) | instid1(VALU_DEP_1)
	v_dual_cndmask_b32 v12, v11, v12 :: v_dual_mov_b32 v11, v10
	v_cmp_eq_u32_e32 vcc_lo, 0, v12
	s_or_b32 s11, vcc_lo, s11
	s_delay_alu instid0(SALU_CYCLE_1)
	s_and_not1_b32 exec_lo, exec_lo, s11
	s_cbranch_execnz .LBB58_3
; %bb.4:
	s_or_b32 exec_lo, exec_lo, s11
	v_mov_b32_e32 v11, v10
.LBB58_5:
	s_or_b32 exec_lo, exec_lo, s3
	v_mov_b32_e32 v10, 0
	s_mov_b32 s3, exec_lo
	s_delay_alu instid0(VALU_DEP_2)
	v_cmpx_ne_u32_e32 0, v11
	s_cbranch_execz .LBB58_7
; %bb.6:
	v_dual_sub_nc_u32 v10, 0, v11 :: v_dual_max_i32 v1, v6, v1
	s_delay_alu instid0(VALU_DEP_1) | instskip(NEXT) | instid1(VALU_DEP_1)
	v_max_i32_e32 v10, v11, v10
	v_cvt_f32_u32_e32 v12, v10
	v_sub_nc_u32_e32 v13, 0, v10
	s_delay_alu instid0(VALU_DEP_2) | instskip(SKIP_1) | instid1(TRANS32_DEP_1)
	v_rcp_iflag_f32_e32 v12, v12
	v_nop
	v_mul_f32_e32 v12, 0x4f7ffffe, v12
	s_delay_alu instid0(VALU_DEP_1) | instskip(NEXT) | instid1(VALU_DEP_1)
	v_cvt_u32_f32_e32 v12, v12
	v_mul_lo_u32 v13, v13, v12
	s_delay_alu instid0(VALU_DEP_1) | instskip(NEXT) | instid1(VALU_DEP_1)
	v_mul_hi_u32 v13, v12, v13
	v_add_nc_u32_e32 v12, v12, v13
	s_delay_alu instid0(VALU_DEP_1) | instskip(NEXT) | instid1(VALU_DEP_1)
	v_mul_hi_u32 v12, v1, v12
	v_mul_lo_u32 v13, v12, v10
	s_delay_alu instid0(VALU_DEP_1) | instskip(NEXT) | instid1(VALU_DEP_1)
	v_dual_sub_nc_u32 v1, v1, v13 :: v_dual_add_nc_u32 v13, 1, v12
	v_cmp_ge_u32_e32 vcc_lo, v1, v10
	s_delay_alu instid0(VALU_DEP_2) | instskip(NEXT) | instid1(VALU_DEP_1)
	v_dual_sub_nc_u32 v14, v1, v10 :: v_dual_cndmask_b32 v12, v12, v13, vcc_lo
	v_dual_cndmask_b32 v1, v1, v14, vcc_lo :: v_dual_bitop2_b32 v6, v6, v11 bitop3:0x14
	s_delay_alu instid0(VALU_DEP_1) | instskip(NEXT) | instid1(VALU_DEP_2)
	v_dual_add_nc_u32 v11, 1, v12 :: v_dual_ashrrev_i32 v6, 31, v6
	v_cmp_ge_u32_e32 vcc_lo, v1, v10
	s_delay_alu instid0(VALU_DEP_2) | instskip(NEXT) | instid1(VALU_DEP_1)
	v_cndmask_b32_e32 v1, v12, v11, vcc_lo
	v_xor_b32_e32 v1, v1, v6
	s_delay_alu instid0(VALU_DEP_1) | instskip(NEXT) | instid1(VALU_DEP_1)
	v_sub_nc_u32_e32 v1, v1, v6
	v_mul_lo_u32 v1, v1, v2
	s_delay_alu instid0(VALU_DEP_1) | instskip(NEXT) | instid1(VALU_DEP_1)
	v_sub_nc_u32_e32 v2, 0, v1
	v_max_i32_e32 v10, v1, v2
.LBB58_7:
	s_or_b32 exec_lo, exec_lo, s3
	v_sub_nc_u32_e32 v1, 0, v3
	s_mov_b32 s11, 0
	s_mov_b32 s3, exec_lo
	s_delay_alu instid0(VALU_DEP_1)
	v_dual_sub_nc_u32 v1, 0, v7 :: v_dual_max_i32 v2, v3, v1
	v_cmpx_ne_u32_e32 0, v7
	s_cbranch_execz .LBB58_11
; %bb.8:
	s_delay_alu instid0(VALU_DEP_2)
	v_max_i32_e32 v11, v7, v1
.LBB58_9:                               ; =>This Inner Loop Header: Depth=1
	s_delay_alu instid0(VALU_DEP_1) | instskip(NEXT) | instid1(VALU_DEP_1)
	v_mov_b32_e32 v6, v11
	v_cvt_f32_u32_e32 v11, v6
	s_delay_alu instid0(VALU_DEP_1) | instskip(SKIP_1) | instid1(TRANS32_DEP_1)
	v_rcp_iflag_f32_e32 v11, v11
	v_nop
	v_dual_mul_f32 v11, 0x4f7ffffe, v11 :: v_dual_sub_nc_u32 v12, 0, v6
	s_delay_alu instid0(VALU_DEP_1) | instskip(NEXT) | instid1(VALU_DEP_1)
	v_cvt_u32_f32_e32 v11, v11
	v_mul_lo_u32 v12, v12, v11
	s_delay_alu instid0(VALU_DEP_1) | instskip(NEXT) | instid1(VALU_DEP_1)
	v_mul_hi_u32 v12, v11, v12
	v_add_nc_u32_e32 v11, v11, v12
	s_delay_alu instid0(VALU_DEP_1) | instskip(NEXT) | instid1(VALU_DEP_1)
	v_mul_hi_u32 v11, v2, v11
	v_mul_lo_u32 v11, v11, v6
	s_delay_alu instid0(VALU_DEP_1) | instskip(NEXT) | instid1(VALU_DEP_1)
	v_sub_nc_u32_e32 v2, v2, v11
	v_sub_nc_u32_e32 v11, v2, v6
	v_cmp_ge_u32_e32 vcc_lo, v2, v6
	s_delay_alu instid0(VALU_DEP_2) | instskip(NEXT) | instid1(VALU_DEP_1)
	v_cndmask_b32_e32 v2, v2, v11, vcc_lo
	v_sub_nc_u32_e32 v11, v2, v6
	v_cmp_ge_u32_e32 vcc_lo, v2, v6
	s_delay_alu instid0(VALU_DEP_2) | instskip(SKIP_1) | instid1(VALU_DEP_2)
	v_cndmask_b32_e32 v11, v2, v11, vcc_lo
	v_mov_b32_e32 v2, v6
	v_cmp_eq_u32_e32 vcc_lo, 0, v11
	s_or_b32 s11, vcc_lo, s11
	s_delay_alu instid0(SALU_CYCLE_1)
	s_and_not1_b32 exec_lo, exec_lo, s11
	s_cbranch_execnz .LBB58_9
; %bb.10:
	s_or_b32 exec_lo, exec_lo, s11
	v_mov_b32_e32 v2, v6
.LBB58_11:
	s_or_b32 exec_lo, exec_lo, s3
	v_mov_b32_e32 v11, 0
	s_mov_b32 s3, exec_lo
	s_delay_alu instid0(VALU_DEP_2)
	v_cmpx_ne_u32_e32 0, v2
	s_cbranch_execz .LBB58_13
; %bb.12:
	v_dual_sub_nc_u32 v6, 0, v2 :: v_dual_max_i32 v1, v7, v1
	s_delay_alu instid0(VALU_DEP_1) | instskip(NEXT) | instid1(VALU_DEP_1)
	v_max_i32_e32 v6, v2, v6
	v_cvt_f32_u32_e32 v11, v6
	v_sub_nc_u32_e32 v12, 0, v6
	s_delay_alu instid0(VALU_DEP_2) | instskip(SKIP_1) | instid1(TRANS32_DEP_1)
	v_rcp_iflag_f32_e32 v11, v11
	v_nop
	v_mul_f32_e32 v11, 0x4f7ffffe, v11
	s_delay_alu instid0(VALU_DEP_1) | instskip(NEXT) | instid1(VALU_DEP_1)
	v_cvt_u32_f32_e32 v11, v11
	v_mul_lo_u32 v12, v12, v11
	s_delay_alu instid0(VALU_DEP_1) | instskip(NEXT) | instid1(VALU_DEP_1)
	v_mul_hi_u32 v12, v11, v12
	v_add_nc_u32_e32 v11, v11, v12
	s_delay_alu instid0(VALU_DEP_1) | instskip(NEXT) | instid1(VALU_DEP_1)
	v_mul_hi_u32 v11, v1, v11
	v_mul_lo_u32 v12, v11, v6
	s_delay_alu instid0(VALU_DEP_1) | instskip(NEXT) | instid1(VALU_DEP_1)
	v_dual_sub_nc_u32 v1, v1, v12 :: v_dual_add_nc_u32 v12, 1, v11
	v_cmp_ge_u32_e32 vcc_lo, v1, v6
	s_delay_alu instid0(VALU_DEP_2) | instskip(NEXT) | instid1(VALU_DEP_1)
	v_dual_sub_nc_u32 v13, v1, v6 :: v_dual_cndmask_b32 v11, v11, v12, vcc_lo
	v_dual_cndmask_b32 v1, v1, v13, vcc_lo :: v_dual_bitop2_b32 v2, v7, v2 bitop3:0x14
	s_delay_alu instid0(VALU_DEP_1) | instskip(NEXT) | instid1(VALU_DEP_2)
	v_dual_add_nc_u32 v7, 1, v11 :: v_dual_ashrrev_i32 v2, 31, v2
	v_cmp_ge_u32_e32 vcc_lo, v1, v6
	s_delay_alu instid0(VALU_DEP_2) | instskip(NEXT) | instid1(VALU_DEP_1)
	v_cndmask_b32_e32 v1, v11, v7, vcc_lo
	v_xor_b32_e32 v1, v1, v2
	s_delay_alu instid0(VALU_DEP_1) | instskip(NEXT) | instid1(VALU_DEP_1)
	v_sub_nc_u32_e32 v1, v1, v2
	v_mul_lo_u32 v1, v1, v3
	s_delay_alu instid0(VALU_DEP_1) | instskip(NEXT) | instid1(VALU_DEP_1)
	v_sub_nc_u32_e32 v2, 0, v1
	v_max_i32_e32 v11, v1, v2
.LBB58_13:
	s_or_b32 exec_lo, exec_lo, s3
	v_sub_nc_u32_e32 v1, 0, v4
	s_mov_b32 s11, 0
	s_mov_b32 s3, exec_lo
	s_delay_alu instid0(VALU_DEP_1)
	v_dual_sub_nc_u32 v1, 0, v8 :: v_dual_max_i32 v2, v4, v1
	v_cmpx_ne_u32_e32 0, v8
	s_cbranch_execz .LBB58_17
; %bb.14:
	s_delay_alu instid0(VALU_DEP_2)
	v_max_i32_e32 v6, v8, v1
.LBB58_15:                              ; =>This Inner Loop Header: Depth=1
	s_delay_alu instid0(VALU_DEP_1) | instskip(NEXT) | instid1(VALU_DEP_1)
	v_mov_b32_e32 v3, v6
	v_cvt_f32_u32_e32 v6, v3
	s_delay_alu instid0(VALU_DEP_1) | instskip(SKIP_1) | instid1(TRANS32_DEP_1)
	v_rcp_iflag_f32_e32 v6, v6
	v_nop
	v_dual_mul_f32 v6, 0x4f7ffffe, v6 :: v_dual_sub_nc_u32 v7, 0, v3
	s_delay_alu instid0(VALU_DEP_1) | instskip(NEXT) | instid1(VALU_DEP_1)
	v_cvt_u32_f32_e32 v6, v6
	v_mul_lo_u32 v7, v7, v6
	s_delay_alu instid0(VALU_DEP_1) | instskip(NEXT) | instid1(VALU_DEP_1)
	v_mul_hi_u32 v7, v6, v7
	v_add_nc_u32_e32 v6, v6, v7
	s_delay_alu instid0(VALU_DEP_1) | instskip(NEXT) | instid1(VALU_DEP_1)
	v_mul_hi_u32 v6, v2, v6
	v_mul_lo_u32 v6, v6, v3
	s_delay_alu instid0(VALU_DEP_1) | instskip(NEXT) | instid1(VALU_DEP_1)
	v_sub_nc_u32_e32 v2, v2, v6
	v_sub_nc_u32_e32 v6, v2, v3
	v_cmp_ge_u32_e32 vcc_lo, v2, v3
	s_delay_alu instid0(VALU_DEP_2) | instskip(NEXT) | instid1(VALU_DEP_1)
	v_cndmask_b32_e32 v2, v2, v6, vcc_lo
	v_sub_nc_u32_e32 v6, v2, v3
	v_cmp_ge_u32_e32 vcc_lo, v2, v3
	s_delay_alu instid0(VALU_DEP_2) | instskip(NEXT) | instid1(VALU_DEP_1)
	v_dual_cndmask_b32 v6, v2, v6, vcc_lo :: v_dual_mov_b32 v2, v3
	v_cmp_eq_u32_e32 vcc_lo, 0, v6
	s_or_b32 s11, vcc_lo, s11
	s_delay_alu instid0(SALU_CYCLE_1)
	s_and_not1_b32 exec_lo, exec_lo, s11
	s_cbranch_execnz .LBB58_15
; %bb.16:
	s_or_b32 exec_lo, exec_lo, s11
	v_mov_b32_e32 v2, v3
.LBB58_17:
	s_or_b32 exec_lo, exec_lo, s3
	v_mov_b32_e32 v12, 0
	s_mov_b32 s3, exec_lo
	s_delay_alu instid0(VALU_DEP_2)
	v_cmpx_ne_u32_e32 0, v2
	s_cbranch_execz .LBB58_19
; %bb.18:
	v_dual_sub_nc_u32 v3, 0, v2 :: v_dual_max_i32 v1, v8, v1
	s_delay_alu instid0(VALU_DEP_1) | instskip(SKIP_1) | instid1(VALU_DEP_2)
	v_max_i32_e32 v3, v2, v3
	v_xor_b32_e32 v2, v8, v2
	v_cvt_f32_u32_e32 v6, v3
	s_delay_alu instid0(VALU_DEP_1) | instskip(SKIP_1) | instid1(TRANS32_DEP_1)
	v_rcp_iflag_f32_e32 v6, v6
	v_nop
	v_dual_mul_f32 v6, 0x4f7ffffe, v6 :: v_dual_sub_nc_u32 v7, 0, v3
	s_delay_alu instid0(VALU_DEP_1) | instskip(NEXT) | instid1(VALU_DEP_1)
	v_cvt_u32_f32_e32 v6, v6
	v_mul_lo_u32 v7, v7, v6
	s_delay_alu instid0(VALU_DEP_1) | instskip(NEXT) | instid1(VALU_DEP_1)
	v_mul_hi_u32 v7, v6, v7
	v_add_nc_u32_e32 v6, v6, v7
	s_delay_alu instid0(VALU_DEP_1) | instskip(NEXT) | instid1(VALU_DEP_1)
	v_mul_hi_u32 v6, v1, v6
	v_mul_lo_u32 v7, v6, v3
	s_delay_alu instid0(VALU_DEP_1) | instskip(NEXT) | instid1(VALU_DEP_1)
	v_sub_nc_u32_e32 v1, v1, v7
	v_sub_nc_u32_e32 v12, v1, v3
	v_cmp_ge_u32_e32 vcc_lo, v1, v3
	s_delay_alu instid0(VALU_DEP_2) | instskip(NEXT) | instid1(VALU_DEP_1)
	v_dual_add_nc_u32 v7, 1, v6 :: v_dual_cndmask_b32 v1, v1, v12, vcc_lo
	v_cndmask_b32_e32 v6, v6, v7, vcc_lo
	s_delay_alu instid0(VALU_DEP_2) | instskip(NEXT) | instid1(VALU_DEP_2)
	v_cmp_ge_u32_e32 vcc_lo, v1, v3
	v_add_nc_u32_e32 v7, 1, v6
	s_delay_alu instid0(VALU_DEP_1) | instskip(NEXT) | instid1(VALU_DEP_1)
	v_dual_cndmask_b32 v1, v6, v7 :: v_dual_ashrrev_i32 v2, 31, v2
	v_xor_b32_e32 v1, v1, v2
	s_delay_alu instid0(VALU_DEP_1) | instskip(NEXT) | instid1(VALU_DEP_1)
	v_sub_nc_u32_e32 v1, v1, v2
	v_mul_lo_u32 v1, v1, v4
	s_delay_alu instid0(VALU_DEP_1) | instskip(NEXT) | instid1(VALU_DEP_1)
	v_sub_nc_u32_e32 v2, 0, v1
	v_max_i32_e32 v12, v1, v2
.LBB58_19:
	s_or_b32 exec_lo, exec_lo, s3
	v_sub_nc_u32_e32 v1, 0, v5
	s_mov_b32 s11, 0
	s_mov_b32 s3, exec_lo
	s_delay_alu instid0(VALU_DEP_1)
	v_max_i32_e32 v2, v5, v1
	v_sub_nc_u32_e32 v1, 0, v9
	v_cmpx_ne_u32_e32 0, v9
	s_cbranch_execz .LBB58_23
; %bb.20:
	s_delay_alu instid0(VALU_DEP_2)
	v_max_i32_e32 v4, v9, v1
.LBB58_21:                              ; =>This Inner Loop Header: Depth=1
	s_delay_alu instid0(VALU_DEP_1) | instskip(NEXT) | instid1(VALU_DEP_1)
	v_mov_b32_e32 v3, v4
	v_cvt_f32_u32_e32 v4, v3
	s_delay_alu instid0(VALU_DEP_1) | instskip(SKIP_1) | instid1(TRANS32_DEP_1)
	v_rcp_iflag_f32_e32 v4, v4
	v_nop
	v_mul_f32_e32 v4, 0x4f7ffffe, v4
	v_sub_nc_u32_e32 v6, 0, v3
	s_delay_alu instid0(VALU_DEP_2) | instskip(NEXT) | instid1(VALU_DEP_1)
	v_cvt_u32_f32_e32 v4, v4
	v_mul_lo_u32 v6, v6, v4
	s_delay_alu instid0(VALU_DEP_1) | instskip(NEXT) | instid1(VALU_DEP_1)
	v_mul_hi_u32 v6, v4, v6
	v_add_nc_u32_e32 v4, v4, v6
	s_delay_alu instid0(VALU_DEP_1) | instskip(NEXT) | instid1(VALU_DEP_1)
	v_mul_hi_u32 v4, v2, v4
	v_mul_lo_u32 v4, v4, v3
	s_delay_alu instid0(VALU_DEP_1) | instskip(NEXT) | instid1(VALU_DEP_1)
	v_sub_nc_u32_e32 v2, v2, v4
	v_sub_nc_u32_e32 v4, v2, v3
	v_cmp_ge_u32_e32 vcc_lo, v2, v3
	s_delay_alu instid0(VALU_DEP_2) | instskip(NEXT) | instid1(VALU_DEP_1)
	v_cndmask_b32_e32 v2, v2, v4, vcc_lo
	v_sub_nc_u32_e32 v4, v2, v3
	v_cmp_ge_u32_e32 vcc_lo, v2, v3
	s_delay_alu instid0(VALU_DEP_2) | instskip(NEXT) | instid1(VALU_DEP_1)
	v_dual_cndmask_b32 v4, v2, v4, vcc_lo :: v_dual_mov_b32 v2, v3
	v_cmp_eq_u32_e32 vcc_lo, 0, v4
	s_or_b32 s11, vcc_lo, s11
	s_delay_alu instid0(SALU_CYCLE_1)
	s_and_not1_b32 exec_lo, exec_lo, s11
	s_cbranch_execnz .LBB58_21
; %bb.22:
	s_or_b32 exec_lo, exec_lo, s11
	v_mov_b32_e32 v2, v3
.LBB58_23:
	s_or_b32 exec_lo, exec_lo, s3
	v_mov_b32_e32 v13, 0
	s_mov_b32 s3, exec_lo
	s_delay_alu instid0(VALU_DEP_2)
	v_cmpx_ne_u32_e32 0, v2
	s_cbranch_execz .LBB58_25
; %bb.24:
	v_dual_sub_nc_u32 v3, 0, v2 :: v_dual_max_i32 v1, v9, v1
	s_delay_alu instid0(VALU_DEP_1) | instskip(NEXT) | instid1(VALU_DEP_1)
	v_max_i32_e32 v3, v2, v3
	v_cvt_f32_u32_e32 v4, v3
	v_sub_nc_u32_e32 v6, 0, v3
	s_delay_alu instid0(VALU_DEP_2) | instskip(SKIP_1) | instid1(TRANS32_DEP_1)
	v_rcp_iflag_f32_e32 v4, v4
	v_nop
	v_mul_f32_e32 v4, 0x4f7ffffe, v4
	s_delay_alu instid0(VALU_DEP_1) | instskip(NEXT) | instid1(VALU_DEP_1)
	v_cvt_u32_f32_e32 v4, v4
	v_mul_lo_u32 v6, v6, v4
	s_delay_alu instid0(VALU_DEP_1) | instskip(NEXT) | instid1(VALU_DEP_1)
	v_mul_hi_u32 v6, v4, v6
	v_add_nc_u32_e32 v4, v4, v6
	s_delay_alu instid0(VALU_DEP_1) | instskip(NEXT) | instid1(VALU_DEP_1)
	v_mul_hi_u32 v4, v1, v4
	v_mul_lo_u32 v6, v4, v3
	s_delay_alu instid0(VALU_DEP_1) | instskip(NEXT) | instid1(VALU_DEP_1)
	v_dual_sub_nc_u32 v1, v1, v6 :: v_dual_add_nc_u32 v6, 1, v4
	v_cmp_ge_u32_e32 vcc_lo, v1, v3
	s_delay_alu instid0(VALU_DEP_2) | instskip(NEXT) | instid1(VALU_DEP_1)
	v_dual_cndmask_b32 v4, v4, v6 :: v_dual_sub_nc_u32 v7, v1, v3
	v_dual_add_nc_u32 v6, 1, v4 :: v_dual_bitop2_b32 v2, v9, v2 bitop3:0x14
	s_delay_alu instid0(VALU_DEP_1) | instskip(NEXT) | instid1(VALU_DEP_1)
	v_dual_cndmask_b32 v1, v1, v7 :: v_dual_ashrrev_i32 v2, 31, v2
	v_cmp_ge_u32_e32 vcc_lo, v1, v3
	s_delay_alu instid0(VALU_DEP_3) | instskip(NEXT) | instid1(VALU_DEP_1)
	v_cndmask_b32_e32 v1, v4, v6, vcc_lo
	v_xor_b32_e32 v1, v1, v2
	s_delay_alu instid0(VALU_DEP_1) | instskip(NEXT) | instid1(VALU_DEP_1)
	v_sub_nc_u32_e32 v1, v1, v2
	v_mul_lo_u32 v1, v1, v5
	s_delay_alu instid0(VALU_DEP_1) | instskip(NEXT) | instid1(VALU_DEP_1)
	v_sub_nc_u32_e32 v2, 0, v1
	v_max_i32_e32 v13, v1, v2
.LBB58_25:
	s_or_b32 exec_lo, exec_lo, s3
	s_add_nc_u64 s[12:13], s[4:5], s[0:1]
	s_mov_b32 s0, 0
	global_store_b128 v0, v[10:13], s[12:13] scale_offset
.LBB58_26:
	s_and_b32 vcc_lo, exec_lo, s0
	s_cbranch_vccz .LBB58_65
; %bb.27:
	v_cmp_gt_i32_e32 vcc_lo, s10, v0
	s_wait_xcnt 0x0
	v_dual_mov_b32 v2, 0 :: v_dual_bitop2_b32 v10, s2, v0 bitop3:0x54
	v_or_b32_e32 v11, 0x100, v0
	v_dual_mov_b32 v12, 0 :: v_dual_mov_b32 v6, 0
	v_dual_mov_b32 v13, 0 :: v_dual_mov_b32 v5, 0
	;; [unrolled: 1-line block ×4, first 2 shown]
	s_and_saveexec_b32 s1, vcc_lo
	s_cbranch_execz .LBB58_35
; %bb.28:
	s_clause 0x1
	global_load_b32 v17, v10, s[6:7] scale_offset
	global_load_b32 v16, v10, s[8:9] scale_offset
	v_or_b32_e32 v1, 0x100, v0
	v_dual_mov_b32 v14, 0 :: v_dual_mov_b32 v15, 0
	v_dual_mov_b32 v5, 0 :: v_dual_mov_b32 v13, 0
	;; [unrolled: 1-line block ×3, first 2 shown]
	s_mov_b32 s3, exec_lo
	s_wait_xcnt 0x0
	v_cmpx_gt_u32_e64 s10, v1
	s_cbranch_execz .LBB58_34
; %bb.29:
	v_dual_mov_b32 v5, 0 :: v_dual_add_nc_u32 v4, s2, v0
	v_or_b32_e32 v1, 0x200, v0
	v_dual_mov_b32 v13, 0 :: v_dual_mov_b32 v6, 0
	s_clause 0x1
	global_load_b32 v15, v4, s[6:7] offset:1024 scale_offset
	global_load_b32 v14, v4, s[8:9] offset:1024 scale_offset
	v_mov_b32_e32 v12, 0
	s_mov_b32 s11, exec_lo
	s_wait_xcnt 0x0
	v_cmpx_gt_u32_e64 s10, v1
	s_cbranch_execz .LBB58_33
; %bb.30:
	v_lshlrev_b64_e32 v[8:9], 2, v[4:5]
	v_or_b32_e32 v3, 0x300, v0
	v_mov_b32_e32 v12, 0
	s_delay_alu instid0(VALU_DEP_3)
	v_add_nc_u64_e32 v[6:7], s[6:7], v[8:9]
	v_add_nc_u64_e32 v[8:9], s[8:9], v[8:9]
	s_mov_b32 s6, exec_lo
	global_load_b32 v13, v[6:7], off offset:2048
	global_load_b32 v1, v[8:9], off offset:2048
	s_wait_xcnt 0x0
	v_cmpx_gt_u32_e64 s10, v3
	s_cbranch_execz .LBB58_32
; %bb.31:
	global_load_b32 v12, v[6:7], off offset:3072
	global_load_b32 v5, v[8:9], off offset:3072
.LBB58_32:
	s_wait_xcnt 0x0
	s_or_b32 exec_lo, exec_lo, s6
	s_wait_loadcnt 0x0
	v_dual_mov_b32 v6, v5 :: v_dual_mov_b32 v5, v1
.LBB58_33:
	s_or_b32 exec_lo, exec_lo, s11
.LBB58_34:
	s_delay_alu instid0(SALU_CYCLE_1)
	s_or_b32 exec_lo, exec_lo, s3
.LBB58_35:
	s_delay_alu instid0(SALU_CYCLE_1)
	s_or_b32 exec_lo, exec_lo, s1
	v_dual_mov_b32 v1, v2 :: v_dual_mov_b32 v4, v2
	v_mov_b32_e32 v3, v2
	s_and_saveexec_b32 s1, vcc_lo
	s_cbranch_execz .LBB58_43
; %bb.36:
	s_wait_loadcnt 0x0
	v_dual_sub_nc_u32 v1, 0, v16 :: v_dual_sub_nc_u32 v3, 0, v17
	s_mov_b32 s3, exec_lo
	s_delay_alu instid0(VALU_DEP_1)
	v_max_i32_e32 v4, v16, v1
	v_cmpx_ne_u32_e32 0, v17
	s_cbranch_execz .LBB58_40
; %bb.37:
	v_max_i32_e32 v2, v17, v3
	s_mov_b32 s6, 0
.LBB58_38:                              ; =>This Inner Loop Header: Depth=1
	s_delay_alu instid0(VALU_DEP_1) | instskip(NEXT) | instid1(VALU_DEP_1)
	v_mov_b32_e32 v1, v2
	v_cvt_f32_u32_e32 v2, v1
	s_delay_alu instid0(VALU_DEP_1) | instskip(SKIP_1) | instid1(TRANS32_DEP_1)
	v_rcp_iflag_f32_e32 v2, v2
	v_nop
	v_dual_mul_f32 v2, 0x4f7ffffe, v2 :: v_dual_sub_nc_u32 v7, 0, v1
	s_delay_alu instid0(VALU_DEP_1) | instskip(NEXT) | instid1(VALU_DEP_1)
	v_cvt_u32_f32_e32 v2, v2
	v_mul_lo_u32 v7, v7, v2
	s_delay_alu instid0(VALU_DEP_1) | instskip(NEXT) | instid1(VALU_DEP_1)
	v_mul_hi_u32 v7, v2, v7
	v_add_nc_u32_e32 v2, v2, v7
	s_delay_alu instid0(VALU_DEP_1) | instskip(NEXT) | instid1(VALU_DEP_1)
	v_mul_hi_u32 v2, v4, v2
	v_mul_lo_u32 v2, v2, v1
	s_delay_alu instid0(VALU_DEP_1) | instskip(NEXT) | instid1(VALU_DEP_1)
	v_sub_nc_u32_e32 v2, v4, v2
	v_sub_nc_u32_e32 v4, v2, v1
	v_cmp_ge_u32_e64 s0, v2, v1
	s_delay_alu instid0(VALU_DEP_1) | instskip(NEXT) | instid1(VALU_DEP_1)
	v_cndmask_b32_e64 v2, v2, v4, s0
	v_sub_nc_u32_e32 v4, v2, v1
	v_cmp_ge_u32_e64 s0, v2, v1
	s_delay_alu instid0(VALU_DEP_1) | instskip(NEXT) | instid1(VALU_DEP_1)
	v_dual_cndmask_b32 v2, v2, v4, s0 :: v_dual_mov_b32 v4, v1
	v_cmp_eq_u32_e64 s0, 0, v2
	s_or_b32 s6, s0, s6
	s_delay_alu instid0(SALU_CYCLE_1)
	s_and_not1_b32 exec_lo, exec_lo, s6
	s_cbranch_execnz .LBB58_38
; %bb.39:
	s_or_b32 exec_lo, exec_lo, s6
	v_mov_b32_e32 v4, v1
.LBB58_40:
	s_or_b32 exec_lo, exec_lo, s3
	v_dual_mov_b32 v1, 0 :: v_dual_mov_b32 v2, 0
	s_mov_b32 s3, exec_lo
	s_delay_alu instid0(VALU_DEP_2)
	v_cmpx_ne_u32_e32 0, v4
	s_cbranch_execz .LBB58_42
; %bb.41:
	v_dual_sub_nc_u32 v2, 0, v4 :: v_dual_max_i32 v3, v17, v3
	s_delay_alu instid0(VALU_DEP_1) | instskip(SKIP_1) | instid1(VALU_DEP_2)
	v_max_i32_e32 v2, v4, v2
	v_xor_b32_e32 v4, v17, v4
	v_cvt_f32_u32_e32 v7, v2
	s_delay_alu instid0(VALU_DEP_2) | instskip(NEXT) | instid1(VALU_DEP_2)
	v_dual_sub_nc_u32 v8, 0, v2 :: v_dual_ashrrev_i32 v4, 31, v4
	v_rcp_iflag_f32_e32 v7, v7
	v_nop
	s_delay_alu instid0(TRANS32_DEP_1) | instskip(NEXT) | instid1(VALU_DEP_1)
	v_mul_f32_e32 v7, 0x4f7ffffe, v7
	v_cvt_u32_f32_e32 v7, v7
	s_delay_alu instid0(VALU_DEP_1) | instskip(NEXT) | instid1(VALU_DEP_1)
	v_mul_lo_u32 v8, v8, v7
	v_mul_hi_u32 v8, v7, v8
	s_delay_alu instid0(VALU_DEP_1) | instskip(NEXT) | instid1(VALU_DEP_1)
	v_add_nc_u32_e32 v7, v7, v8
	v_mul_hi_u32 v7, v3, v7
	s_delay_alu instid0(VALU_DEP_1) | instskip(NEXT) | instid1(VALU_DEP_1)
	v_mul_lo_u32 v8, v7, v2
	v_dual_sub_nc_u32 v3, v3, v8 :: v_dual_add_nc_u32 v8, 1, v7
	s_delay_alu instid0(VALU_DEP_1) | instskip(SKIP_1) | instid1(VALU_DEP_1)
	v_sub_nc_u32_e32 v9, v3, v2
	v_cmp_ge_u32_e64 s0, v3, v2
	v_cndmask_b32_e64 v7, v7, v8, s0
	s_delay_alu instid0(VALU_DEP_1) | instskip(NEXT) | instid1(VALU_DEP_1)
	v_dual_cndmask_b32 v3, v3, v9, s0 :: v_dual_add_nc_u32 v8, 1, v7
	v_cmp_ge_u32_e64 s0, v3, v2
	s_delay_alu instid0(VALU_DEP_1) | instskip(NEXT) | instid1(VALU_DEP_1)
	v_cndmask_b32_e64 v2, v7, v8, s0
	v_xor_b32_e32 v2, v2, v4
	s_delay_alu instid0(VALU_DEP_1) | instskip(NEXT) | instid1(VALU_DEP_1)
	v_sub_nc_u32_e32 v2, v2, v4
	v_mul_lo_u32 v2, v2, v16
	s_delay_alu instid0(VALU_DEP_1) | instskip(NEXT) | instid1(VALU_DEP_1)
	v_sub_nc_u32_e32 v3, 0, v2
	v_max_i32_e32 v2, v2, v3
.LBB58_42:
	s_or_b32 exec_lo, exec_lo, s3
	v_dual_mov_b32 v4, v1 :: v_dual_mov_b32 v3, v1
.LBB58_43:
	s_or_b32 exec_lo, exec_lo, s1
	s_delay_alu instid0(SALU_CYCLE_1)
	s_mov_b32 s1, exec_lo
	v_cmpx_gt_i32_e64 s10, v11
	s_cbranch_execz .LBB58_51
; %bb.44:
	s_wait_loadcnt 0x0
	v_dual_sub_nc_u32 v1, 0, v14 :: v_dual_sub_nc_u32 v7, 0, v15
	s_mov_b32 s6, 0
	s_mov_b32 s3, exec_lo
	s_delay_alu instid0(VALU_DEP_1)
	v_max_i32_e32 v8, v14, v1
	v_cmpx_ne_u32_e32 0, v15
	s_cbranch_execz .LBB58_48
; %bb.45:
	v_max_i32_e32 v9, v15, v7
.LBB58_46:                              ; =>This Inner Loop Header: Depth=1
	s_delay_alu instid0(VALU_DEP_1) | instskip(NEXT) | instid1(VALU_DEP_1)
	v_mov_b32_e32 v1, v9
	v_cvt_f32_u32_e32 v9, v1
	v_sub_nc_u32_e32 v16, 0, v1
	s_delay_alu instid0(VALU_DEP_2) | instskip(SKIP_1) | instid1(TRANS32_DEP_1)
	v_rcp_iflag_f32_e32 v9, v9
	v_nop
	v_mul_f32_e32 v9, 0x4f7ffffe, v9
	s_delay_alu instid0(VALU_DEP_1) | instskip(NEXT) | instid1(VALU_DEP_1)
	v_cvt_u32_f32_e32 v9, v9
	v_mul_lo_u32 v16, v16, v9
	s_delay_alu instid0(VALU_DEP_1) | instskip(NEXT) | instid1(VALU_DEP_1)
	v_mul_hi_u32 v16, v9, v16
	v_add_nc_u32_e32 v9, v9, v16
	s_delay_alu instid0(VALU_DEP_1) | instskip(NEXT) | instid1(VALU_DEP_1)
	v_mul_hi_u32 v9, v8, v9
	v_mul_lo_u32 v9, v9, v1
	s_delay_alu instid0(VALU_DEP_1) | instskip(NEXT) | instid1(VALU_DEP_1)
	v_sub_nc_u32_e32 v8, v8, v9
	v_sub_nc_u32_e32 v9, v8, v1
	v_cmp_ge_u32_e64 s0, v8, v1
	s_delay_alu instid0(VALU_DEP_1) | instskip(NEXT) | instid1(VALU_DEP_1)
	v_cndmask_b32_e64 v8, v8, v9, s0
	v_sub_nc_u32_e32 v9, v8, v1
	v_cmp_ge_u32_e64 s0, v8, v1
	s_delay_alu instid0(VALU_DEP_1) | instskip(NEXT) | instid1(VALU_DEP_1)
	v_dual_cndmask_b32 v9, v8, v9, s0 :: v_dual_mov_b32 v8, v1
	v_cmp_eq_u32_e64 s0, 0, v9
	s_or_b32 s6, s0, s6
	s_delay_alu instid0(SALU_CYCLE_1)
	s_and_not1_b32 exec_lo, exec_lo, s6
	s_cbranch_execnz .LBB58_46
; %bb.47:
	s_or_b32 exec_lo, exec_lo, s6
	v_mov_b32_e32 v8, v1
.LBB58_48:
	s_or_b32 exec_lo, exec_lo, s3
	v_mov_b32_e32 v1, 0
	s_mov_b32 s3, exec_lo
	s_delay_alu instid0(VALU_DEP_2)
	v_cmpx_ne_u32_e32 0, v8
	s_cbranch_execz .LBB58_50
; %bb.49:
	v_dual_sub_nc_u32 v1, 0, v8 :: v_dual_max_i32 v7, v15, v7
	s_delay_alu instid0(VALU_DEP_1) | instskip(SKIP_1) | instid1(VALU_DEP_2)
	v_max_i32_e32 v1, v8, v1
	v_xor_b32_e32 v8, v15, v8
	v_cvt_f32_u32_e32 v9, v1
	s_delay_alu instid0(VALU_DEP_2) | instskip(NEXT) | instid1(VALU_DEP_2)
	v_dual_sub_nc_u32 v16, 0, v1 :: v_dual_ashrrev_i32 v8, 31, v8
	v_rcp_iflag_f32_e32 v9, v9
	v_nop
	s_delay_alu instid0(TRANS32_DEP_1) | instskip(NEXT) | instid1(VALU_DEP_1)
	v_mul_f32_e32 v9, 0x4f7ffffe, v9
	v_cvt_u32_f32_e32 v9, v9
	s_delay_alu instid0(VALU_DEP_1) | instskip(NEXT) | instid1(VALU_DEP_1)
	v_mul_lo_u32 v16, v16, v9
	v_mul_hi_u32 v16, v9, v16
	s_delay_alu instid0(VALU_DEP_1) | instskip(NEXT) | instid1(VALU_DEP_1)
	v_add_nc_u32_e32 v9, v9, v16
	v_mul_hi_u32 v9, v7, v9
	s_delay_alu instid0(VALU_DEP_1) | instskip(NEXT) | instid1(VALU_DEP_1)
	v_mul_lo_u32 v16, v9, v1
	v_dual_sub_nc_u32 v7, v7, v16 :: v_dual_add_nc_u32 v16, 1, v9
	s_delay_alu instid0(VALU_DEP_1) | instskip(SKIP_1) | instid1(VALU_DEP_1)
	v_sub_nc_u32_e32 v17, v7, v1
	v_cmp_ge_u32_e64 s0, v7, v1
	v_dual_cndmask_b32 v9, v9, v16, s0 :: v_dual_cndmask_b32 v7, v7, v17, s0
	s_delay_alu instid0(VALU_DEP_1) | instskip(NEXT) | instid1(VALU_DEP_2)
	v_add_nc_u32_e32 v15, 1, v9
	v_cmp_ge_u32_e64 s0, v7, v1
	s_delay_alu instid0(VALU_DEP_1) | instskip(NEXT) | instid1(VALU_DEP_1)
	v_cndmask_b32_e64 v1, v9, v15, s0
	v_xor_b32_e32 v1, v1, v8
	s_delay_alu instid0(VALU_DEP_1) | instskip(NEXT) | instid1(VALU_DEP_1)
	v_sub_nc_u32_e32 v1, v1, v8
	v_mul_lo_u32 v1, v1, v14
	s_delay_alu instid0(VALU_DEP_1) | instskip(NEXT) | instid1(VALU_DEP_1)
	v_sub_nc_u32_e32 v7, 0, v1
	v_max_i32_e32 v1, v1, v7
.LBB58_50:
	s_or_b32 exec_lo, exec_lo, s3
.LBB58_51:
	s_delay_alu instid0(SALU_CYCLE_1) | instskip(SKIP_2) | instid1(VALU_DEP_1)
	s_or_b32 exec_lo, exec_lo, s1
	v_or_b32_e32 v7, 0x200, v0
	s_mov_b32 s1, exec_lo
	v_cmpx_gt_i32_e64 s10, v7
	s_cbranch_execz .LBB58_59
; %bb.52:
	v_sub_nc_u32_e32 v4, 0, v5
	s_mov_b32 s6, 0
	s_mov_b32 s3, exec_lo
	s_delay_alu instid0(VALU_DEP_1)
	v_dual_sub_nc_u32 v7, 0, v13 :: v_dual_max_i32 v8, v5, v4
	v_cmpx_ne_u32_e32 0, v13
	s_cbranch_execz .LBB58_56
; %bb.53:
	s_delay_alu instid0(VALU_DEP_2)
	v_max_i32_e32 v9, v13, v7
.LBB58_54:                              ; =>This Inner Loop Header: Depth=1
	s_delay_alu instid0(VALU_DEP_1) | instskip(NEXT) | instid1(VALU_DEP_1)
	v_mov_b32_e32 v4, v9
	v_cvt_f32_u32_e32 v9, v4
	s_delay_alu instid0(VALU_DEP_1) | instskip(SKIP_2) | instid1(TRANS32_DEP_1)
	v_rcp_iflag_f32_e32 v9, v9
	s_wait_loadcnt 0x0
	v_nop
	v_dual_mul_f32 v9, 0x4f7ffffe, v9 :: v_dual_sub_nc_u32 v14, 0, v4
	s_delay_alu instid0(VALU_DEP_1) | instskip(NEXT) | instid1(VALU_DEP_1)
	v_cvt_u32_f32_e32 v9, v9
	v_mul_lo_u32 v14, v14, v9
	s_delay_alu instid0(VALU_DEP_1) | instskip(NEXT) | instid1(VALU_DEP_1)
	v_mul_hi_u32 v14, v9, v14
	v_add_nc_u32_e32 v9, v9, v14
	s_delay_alu instid0(VALU_DEP_1) | instskip(NEXT) | instid1(VALU_DEP_1)
	v_mul_hi_u32 v9, v8, v9
	v_mul_lo_u32 v9, v9, v4
	s_delay_alu instid0(VALU_DEP_1) | instskip(NEXT) | instid1(VALU_DEP_1)
	v_sub_nc_u32_e32 v8, v8, v9
	v_sub_nc_u32_e32 v9, v8, v4
	v_cmp_ge_u32_e64 s0, v8, v4
	s_delay_alu instid0(VALU_DEP_1) | instskip(NEXT) | instid1(VALU_DEP_1)
	v_cndmask_b32_e64 v8, v8, v9, s0
	v_sub_nc_u32_e32 v9, v8, v4
	v_cmp_ge_u32_e64 s0, v8, v4
	s_delay_alu instid0(VALU_DEP_1) | instskip(SKIP_1) | instid1(VALU_DEP_2)
	v_cndmask_b32_e64 v9, v8, v9, s0
	v_mov_b32_e32 v8, v4
	v_cmp_eq_u32_e64 s0, 0, v9
	s_or_b32 s6, s0, s6
	s_delay_alu instid0(SALU_CYCLE_1)
	s_and_not1_b32 exec_lo, exec_lo, s6
	s_cbranch_execnz .LBB58_54
; %bb.55:
	s_or_b32 exec_lo, exec_lo, s6
	v_mov_b32_e32 v8, v4
.LBB58_56:
	s_or_b32 exec_lo, exec_lo, s3
	v_mov_b32_e32 v4, 0
	s_mov_b32 s3, exec_lo
	s_delay_alu instid0(VALU_DEP_2)
	v_cmpx_ne_u32_e32 0, v8
	s_cbranch_execz .LBB58_58
; %bb.57:
	v_dual_sub_nc_u32 v4, 0, v8 :: v_dual_max_i32 v7, v13, v7
	s_delay_alu instid0(VALU_DEP_1) | instskip(NEXT) | instid1(VALU_DEP_1)
	v_max_i32_e32 v4, v8, v4
	v_cvt_f32_u32_e32 v9, v4
	s_wait_loadcnt 0x0
	v_sub_nc_u32_e32 v14, 0, v4
	s_delay_alu instid0(VALU_DEP_2) | instskip(SKIP_1) | instid1(TRANS32_DEP_1)
	v_rcp_iflag_f32_e32 v9, v9
	v_nop
	v_mul_f32_e32 v9, 0x4f7ffffe, v9
	s_delay_alu instid0(VALU_DEP_1) | instskip(NEXT) | instid1(VALU_DEP_1)
	v_cvt_u32_f32_e32 v9, v9
	v_mul_lo_u32 v14, v14, v9
	s_delay_alu instid0(VALU_DEP_1) | instskip(NEXT) | instid1(VALU_DEP_1)
	v_mul_hi_u32 v14, v9, v14
	v_add_nc_u32_e32 v9, v9, v14
	s_delay_alu instid0(VALU_DEP_1) | instskip(NEXT) | instid1(VALU_DEP_1)
	v_mul_hi_u32 v9, v7, v9
	v_mul_lo_u32 v14, v9, v4
	s_delay_alu instid0(VALU_DEP_1) | instskip(NEXT) | instid1(VALU_DEP_1)
	v_dual_sub_nc_u32 v7, v7, v14 :: v_dual_add_nc_u32 v14, 1, v9
	v_cmp_ge_u32_e64 s0, v7, v4
	s_delay_alu instid0(VALU_DEP_1) | instskip(NEXT) | instid1(VALU_DEP_1)
	v_dual_sub_nc_u32 v15, v7, v4 :: v_dual_cndmask_b32 v9, v9, v14, s0
	v_dual_cndmask_b32 v7, v7, v15, s0 :: v_dual_bitop2_b32 v8, v13, v8 bitop3:0x14
	s_delay_alu instid0(VALU_DEP_1) | instskip(NEXT) | instid1(VALU_DEP_2)
	v_dual_add_nc_u32 v13, 1, v9 :: v_dual_ashrrev_i32 v8, 31, v8
	v_cmp_ge_u32_e64 s0, v7, v4
	s_delay_alu instid0(VALU_DEP_1) | instskip(NEXT) | instid1(VALU_DEP_1)
	v_cndmask_b32_e64 v4, v9, v13, s0
	v_xor_b32_e32 v4, v4, v8
	s_delay_alu instid0(VALU_DEP_1) | instskip(NEXT) | instid1(VALU_DEP_1)
	v_sub_nc_u32_e32 v4, v4, v8
	v_mul_lo_u32 v4, v4, v5
	s_delay_alu instid0(VALU_DEP_1) | instskip(NEXT) | instid1(VALU_DEP_1)
	v_sub_nc_u32_e32 v5, 0, v4
	v_max_i32_e32 v4, v4, v5
.LBB58_58:
	s_or_b32 exec_lo, exec_lo, s3
.LBB58_59:
	s_delay_alu instid0(SALU_CYCLE_1) | instskip(SKIP_2) | instid1(VALU_DEP_1)
	s_or_b32 exec_lo, exec_lo, s1
	v_or_b32_e32 v5, 0x300, v0
	s_mov_b32 s1, exec_lo
	v_cmpx_gt_i32_e64 s10, v5
	s_cbranch_execnz .LBB58_66
; %bb.60:
	s_or_b32 exec_lo, exec_lo, s1
	s_and_saveexec_b32 s0, vcc_lo
	s_delay_alu instid0(SALU_CYCLE_1)
	s_xor_b32 s0, exec_lo, s0
	s_cbranch_execnz .LBB58_73
.LBB58_61:
	s_or_b32 exec_lo, exec_lo, s0
	s_delay_alu instid0(SALU_CYCLE_1)
	s_mov_b32 s0, exec_lo
	v_cmpx_gt_i32_e64 s10, v0
	s_cbranch_execnz .LBB58_74
.LBB58_62:
	s_or_b32 exec_lo, exec_lo, s0
	s_delay_alu instid0(SALU_CYCLE_1)
	s_mov_b32 s0, exec_lo
	v_cmpx_gt_i32_e64 s10, v0
	s_cbranch_execnz .LBB58_75
.LBB58_63:
	s_or_b32 exec_lo, exec_lo, s0
	s_delay_alu instid0(SALU_CYCLE_1)
	s_mov_b32 s0, exec_lo
	v_cmpx_gt_i32_e64 s10, v0
	s_cbranch_execz .LBB58_65
.LBB58_64:
	v_add_nc_u32_e32 v0, s2, v0
	global_store_b32 v0, v3, s[4:5] scale_offset
.LBB58_65:
	s_endpgm
.LBB58_66:
	v_dual_sub_nc_u32 v3, 0, v6 :: v_dual_sub_nc_u32 v5, 0, v12
	s_mov_b32 s6, 0
	s_mov_b32 s3, exec_lo
	s_delay_alu instid0(VALU_DEP_1)
	v_max_i32_e32 v7, v6, v3
	v_cmpx_ne_u32_e32 0, v12
	s_cbranch_execz .LBB58_70
; %bb.67:
	v_max_i32_e32 v8, v12, v5
.LBB58_68:                              ; =>This Inner Loop Header: Depth=1
	s_delay_alu instid0(VALU_DEP_1) | instskip(NEXT) | instid1(VALU_DEP_1)
	v_mov_b32_e32 v3, v8
	v_cvt_f32_u32_e32 v8, v3
	s_delay_alu instid0(VALU_DEP_1) | instskip(SKIP_1) | instid1(TRANS32_DEP_1)
	v_rcp_iflag_f32_e32 v8, v8
	v_nop
	v_dual_mul_f32 v8, 0x4f7ffffe, v8 :: v_dual_sub_nc_u32 v9, 0, v3
	s_delay_alu instid0(VALU_DEP_1) | instskip(NEXT) | instid1(VALU_DEP_1)
	v_cvt_u32_f32_e32 v8, v8
	v_mul_lo_u32 v9, v9, v8
	s_delay_alu instid0(VALU_DEP_1) | instskip(NEXT) | instid1(VALU_DEP_1)
	v_mul_hi_u32 v9, v8, v9
	v_add_nc_u32_e32 v8, v8, v9
	s_delay_alu instid0(VALU_DEP_1) | instskip(NEXT) | instid1(VALU_DEP_1)
	v_mul_hi_u32 v8, v7, v8
	v_mul_lo_u32 v8, v8, v3
	s_delay_alu instid0(VALU_DEP_1) | instskip(NEXT) | instid1(VALU_DEP_1)
	v_sub_nc_u32_e32 v7, v7, v8
	v_sub_nc_u32_e32 v8, v7, v3
	v_cmp_ge_u32_e64 s0, v7, v3
	s_delay_alu instid0(VALU_DEP_1) | instskip(NEXT) | instid1(VALU_DEP_1)
	v_cndmask_b32_e64 v7, v7, v8, s0
	v_sub_nc_u32_e32 v8, v7, v3
	v_cmp_ge_u32_e64 s0, v7, v3
	s_delay_alu instid0(VALU_DEP_1) | instskip(SKIP_1) | instid1(VALU_DEP_2)
	v_cndmask_b32_e64 v8, v7, v8, s0
	v_mov_b32_e32 v7, v3
	v_cmp_eq_u32_e64 s0, 0, v8
	s_or_b32 s6, s0, s6
	s_delay_alu instid0(SALU_CYCLE_1)
	s_and_not1_b32 exec_lo, exec_lo, s6
	s_cbranch_execnz .LBB58_68
; %bb.69:
	s_or_b32 exec_lo, exec_lo, s6
	v_mov_b32_e32 v7, v3
.LBB58_70:
	s_or_b32 exec_lo, exec_lo, s3
	v_mov_b32_e32 v3, 0
	s_mov_b32 s3, exec_lo
	s_delay_alu instid0(VALU_DEP_2)
	v_cmpx_ne_u32_e32 0, v7
	s_cbranch_execz .LBB58_72
; %bb.71:
	v_dual_sub_nc_u32 v3, 0, v7 :: v_dual_max_i32 v5, v12, v5
	s_delay_alu instid0(VALU_DEP_1) | instskip(NEXT) | instid1(VALU_DEP_1)
	v_max_i32_e32 v3, v7, v3
	v_cvt_f32_u32_e32 v8, v3
	v_sub_nc_u32_e32 v9, 0, v3
	s_delay_alu instid0(VALU_DEP_2) | instskip(SKIP_1) | instid1(TRANS32_DEP_1)
	v_rcp_iflag_f32_e32 v8, v8
	v_nop
	v_mul_f32_e32 v8, 0x4f7ffffe, v8
	s_delay_alu instid0(VALU_DEP_1) | instskip(NEXT) | instid1(VALU_DEP_1)
	v_cvt_u32_f32_e32 v8, v8
	v_mul_lo_u32 v9, v9, v8
	s_delay_alu instid0(VALU_DEP_1) | instskip(NEXT) | instid1(VALU_DEP_1)
	v_mul_hi_u32 v9, v8, v9
	v_add_nc_u32_e32 v8, v8, v9
	s_delay_alu instid0(VALU_DEP_1) | instskip(NEXT) | instid1(VALU_DEP_1)
	v_mul_hi_u32 v8, v5, v8
	v_mul_lo_u32 v9, v8, v3
	s_delay_alu instid0(VALU_DEP_1) | instskip(NEXT) | instid1(VALU_DEP_1)
	v_dual_sub_nc_u32 v5, v5, v9 :: v_dual_add_nc_u32 v9, 1, v8
	v_cmp_ge_u32_e64 s0, v5, v3
	s_delay_alu instid0(VALU_DEP_1) | instskip(NEXT) | instid1(VALU_DEP_1)
	v_dual_sub_nc_u32 v13, v5, v3 :: v_dual_cndmask_b32 v8, v8, v9, s0
	v_dual_cndmask_b32 v5, v5, v13, s0 :: v_dual_bitop2_b32 v7, v12, v7 bitop3:0x14
	s_delay_alu instid0(VALU_DEP_1) | instskip(NEXT) | instid1(VALU_DEP_2)
	v_dual_add_nc_u32 v9, 1, v8 :: v_dual_ashrrev_i32 v7, 31, v7
	v_cmp_ge_u32_e64 s0, v5, v3
	s_delay_alu instid0(VALU_DEP_1) | instskip(NEXT) | instid1(VALU_DEP_1)
	v_cndmask_b32_e64 v3, v8, v9, s0
	v_xor_b32_e32 v3, v3, v7
	s_delay_alu instid0(VALU_DEP_1) | instskip(NEXT) | instid1(VALU_DEP_1)
	v_sub_nc_u32_e32 v3, v3, v7
	v_mul_lo_u32 v3, v3, v6
	s_delay_alu instid0(VALU_DEP_1) | instskip(NEXT) | instid1(VALU_DEP_1)
	v_sub_nc_u32_e32 v5, 0, v3
	v_max_i32_e32 v3, v3, v5
.LBB58_72:
	s_or_b32 exec_lo, exec_lo, s3
	s_delay_alu instid0(SALU_CYCLE_1) | instskip(SKIP_1) | instid1(SALU_CYCLE_1)
	s_or_b32 exec_lo, exec_lo, s1
	s_and_saveexec_b32 s0, vcc_lo
	s_xor_b32 s0, exec_lo, s0
	s_cbranch_execz .LBB58_61
.LBB58_73:
	v_mov_b32_e32 v0, v11
	global_store_b32 v10, v2, s[4:5] scale_offset
	s_wait_xcnt 0x0
	s_or_b32 exec_lo, exec_lo, s0
	s_delay_alu instid0(SALU_CYCLE_1)
	s_mov_b32 s0, exec_lo
	v_cmpx_gt_i32_e64 s10, v0
	s_cbranch_execz .LBB58_62
.LBB58_74:
	v_add_nc_u32_e32 v2, s2, v0
	v_add_nc_u32_e32 v0, 0x100, v0
	global_store_b32 v2, v1, s[4:5] scale_offset
	s_wait_xcnt 0x0
	s_or_b32 exec_lo, exec_lo, s0
	s_delay_alu instid0(SALU_CYCLE_1)
	s_mov_b32 s0, exec_lo
	v_cmpx_gt_i32_e64 s10, v0
	s_cbranch_execz .LBB58_63
.LBB58_75:
	v_add_nc_u32_e32 v1, s2, v0
	v_add_nc_u32_e32 v0, 0x100, v0
	global_store_b32 v1, v4, s[4:5] scale_offset
	s_wait_xcnt 0x0
	s_or_b32 exec_lo, exec_lo, s0
	s_delay_alu instid0(SALU_CYCLE_1)
	s_mov_b32 s0, exec_lo
	v_cmpx_gt_i32_e64 s10, v0
	s_cbranch_execnz .LBB58_64
	s_branch .LBB58_65
	.section	.rodata,"a",@progbits
	.p2align	6, 0x0
	.amdhsa_kernel _ZN2at6native29vectorized_elementwise_kernelILi4EZZZNS0_15lcm_kernel_cudaERNS_18TensorIteratorBaseEENKUlvE_clEvENKUlvE1_clEvEUliiE_St5arrayIPcLm3EEEEviT0_T1_
		.amdhsa_group_segment_fixed_size 0
		.amdhsa_private_segment_fixed_size 0
		.amdhsa_kernarg_size 32
		.amdhsa_user_sgpr_count 2
		.amdhsa_user_sgpr_dispatch_ptr 0
		.amdhsa_user_sgpr_queue_ptr 0
		.amdhsa_user_sgpr_kernarg_segment_ptr 1
		.amdhsa_user_sgpr_dispatch_id 0
		.amdhsa_user_sgpr_kernarg_preload_length 0
		.amdhsa_user_sgpr_kernarg_preload_offset 0
		.amdhsa_user_sgpr_private_segment_size 0
		.amdhsa_wavefront_size32 1
		.amdhsa_uses_dynamic_stack 0
		.amdhsa_enable_private_segment 0
		.amdhsa_system_sgpr_workgroup_id_x 1
		.amdhsa_system_sgpr_workgroup_id_y 0
		.amdhsa_system_sgpr_workgroup_id_z 0
		.amdhsa_system_sgpr_workgroup_info 0
		.amdhsa_system_vgpr_workitem_id 0
		.amdhsa_next_free_vgpr 18
		.amdhsa_next_free_sgpr 14
		.amdhsa_named_barrier_count 0
		.amdhsa_reserve_vcc 1
		.amdhsa_float_round_mode_32 0
		.amdhsa_float_round_mode_16_64 0
		.amdhsa_float_denorm_mode_32 3
		.amdhsa_float_denorm_mode_16_64 3
		.amdhsa_fp16_overflow 0
		.amdhsa_memory_ordered 1
		.amdhsa_forward_progress 1
		.amdhsa_inst_pref_size 36
		.amdhsa_round_robin_scheduling 0
		.amdhsa_exception_fp_ieee_invalid_op 0
		.amdhsa_exception_fp_denorm_src 0
		.amdhsa_exception_fp_ieee_div_zero 0
		.amdhsa_exception_fp_ieee_overflow 0
		.amdhsa_exception_fp_ieee_underflow 0
		.amdhsa_exception_fp_ieee_inexact 0
		.amdhsa_exception_int_div_zero 0
	.end_amdhsa_kernel
	.section	.text._ZN2at6native29vectorized_elementwise_kernelILi4EZZZNS0_15lcm_kernel_cudaERNS_18TensorIteratorBaseEENKUlvE_clEvENKUlvE1_clEvEUliiE_St5arrayIPcLm3EEEEviT0_T1_,"axG",@progbits,_ZN2at6native29vectorized_elementwise_kernelILi4EZZZNS0_15lcm_kernel_cudaERNS_18TensorIteratorBaseEENKUlvE_clEvENKUlvE1_clEvEUliiE_St5arrayIPcLm3EEEEviT0_T1_,comdat
.Lfunc_end58:
	.size	_ZN2at6native29vectorized_elementwise_kernelILi4EZZZNS0_15lcm_kernel_cudaERNS_18TensorIteratorBaseEENKUlvE_clEvENKUlvE1_clEvEUliiE_St5arrayIPcLm3EEEEviT0_T1_, .Lfunc_end58-_ZN2at6native29vectorized_elementwise_kernelILi4EZZZNS0_15lcm_kernel_cudaERNS_18TensorIteratorBaseEENKUlvE_clEvENKUlvE1_clEvEUliiE_St5arrayIPcLm3EEEEviT0_T1_
                                        ; -- End function
	.set _ZN2at6native29vectorized_elementwise_kernelILi4EZZZNS0_15lcm_kernel_cudaERNS_18TensorIteratorBaseEENKUlvE_clEvENKUlvE1_clEvEUliiE_St5arrayIPcLm3EEEEviT0_T1_.num_vgpr, 18
	.set _ZN2at6native29vectorized_elementwise_kernelILi4EZZZNS0_15lcm_kernel_cudaERNS_18TensorIteratorBaseEENKUlvE_clEvENKUlvE1_clEvEUliiE_St5arrayIPcLm3EEEEviT0_T1_.num_agpr, 0
	.set _ZN2at6native29vectorized_elementwise_kernelILi4EZZZNS0_15lcm_kernel_cudaERNS_18TensorIteratorBaseEENKUlvE_clEvENKUlvE1_clEvEUliiE_St5arrayIPcLm3EEEEviT0_T1_.numbered_sgpr, 14
	.set _ZN2at6native29vectorized_elementwise_kernelILi4EZZZNS0_15lcm_kernel_cudaERNS_18TensorIteratorBaseEENKUlvE_clEvENKUlvE1_clEvEUliiE_St5arrayIPcLm3EEEEviT0_T1_.num_named_barrier, 0
	.set _ZN2at6native29vectorized_elementwise_kernelILi4EZZZNS0_15lcm_kernel_cudaERNS_18TensorIteratorBaseEENKUlvE_clEvENKUlvE1_clEvEUliiE_St5arrayIPcLm3EEEEviT0_T1_.private_seg_size, 0
	.set _ZN2at6native29vectorized_elementwise_kernelILi4EZZZNS0_15lcm_kernel_cudaERNS_18TensorIteratorBaseEENKUlvE_clEvENKUlvE1_clEvEUliiE_St5arrayIPcLm3EEEEviT0_T1_.uses_vcc, 1
	.set _ZN2at6native29vectorized_elementwise_kernelILi4EZZZNS0_15lcm_kernel_cudaERNS_18TensorIteratorBaseEENKUlvE_clEvENKUlvE1_clEvEUliiE_St5arrayIPcLm3EEEEviT0_T1_.uses_flat_scratch, 0
	.set _ZN2at6native29vectorized_elementwise_kernelILi4EZZZNS0_15lcm_kernel_cudaERNS_18TensorIteratorBaseEENKUlvE_clEvENKUlvE1_clEvEUliiE_St5arrayIPcLm3EEEEviT0_T1_.has_dyn_sized_stack, 0
	.set _ZN2at6native29vectorized_elementwise_kernelILi4EZZZNS0_15lcm_kernel_cudaERNS_18TensorIteratorBaseEENKUlvE_clEvENKUlvE1_clEvEUliiE_St5arrayIPcLm3EEEEviT0_T1_.has_recursion, 0
	.set _ZN2at6native29vectorized_elementwise_kernelILi4EZZZNS0_15lcm_kernel_cudaERNS_18TensorIteratorBaseEENKUlvE_clEvENKUlvE1_clEvEUliiE_St5arrayIPcLm3EEEEviT0_T1_.has_indirect_call, 0
	.section	.AMDGPU.csdata,"",@progbits
; Kernel info:
; codeLenInByte = 4600
; TotalNumSgprs: 16
; NumVgprs: 18
; ScratchSize: 0
; MemoryBound: 0
; FloatMode: 240
; IeeeMode: 1
; LDSByteSize: 0 bytes/workgroup (compile time only)
; SGPRBlocks: 0
; VGPRBlocks: 1
; NumSGPRsForWavesPerEU: 16
; NumVGPRsForWavesPerEU: 18
; NamedBarCnt: 0
; Occupancy: 16
; WaveLimiterHint : 0
; COMPUTE_PGM_RSRC2:SCRATCH_EN: 0
; COMPUTE_PGM_RSRC2:USER_SGPR: 2
; COMPUTE_PGM_RSRC2:TRAP_HANDLER: 0
; COMPUTE_PGM_RSRC2:TGID_X_EN: 1
; COMPUTE_PGM_RSRC2:TGID_Y_EN: 0
; COMPUTE_PGM_RSRC2:TGID_Z_EN: 0
; COMPUTE_PGM_RSRC2:TIDIG_COMP_CNT: 0
	.section	.text._ZN2at6native29vectorized_elementwise_kernelILi2EZZZNS0_15lcm_kernel_cudaERNS_18TensorIteratorBaseEENKUlvE_clEvENKUlvE1_clEvEUliiE_St5arrayIPcLm3EEEEviT0_T1_,"axG",@progbits,_ZN2at6native29vectorized_elementwise_kernelILi2EZZZNS0_15lcm_kernel_cudaERNS_18TensorIteratorBaseEENKUlvE_clEvENKUlvE1_clEvEUliiE_St5arrayIPcLm3EEEEviT0_T1_,comdat
	.globl	_ZN2at6native29vectorized_elementwise_kernelILi2EZZZNS0_15lcm_kernel_cudaERNS_18TensorIteratorBaseEENKUlvE_clEvENKUlvE1_clEvEUliiE_St5arrayIPcLm3EEEEviT0_T1_ ; -- Begin function _ZN2at6native29vectorized_elementwise_kernelILi2EZZZNS0_15lcm_kernel_cudaERNS_18TensorIteratorBaseEENKUlvE_clEvENKUlvE1_clEvEUliiE_St5arrayIPcLm3EEEEviT0_T1_
	.p2align	8
	.type	_ZN2at6native29vectorized_elementwise_kernelILi2EZZZNS0_15lcm_kernel_cudaERNS_18TensorIteratorBaseEENKUlvE_clEvENKUlvE1_clEvEUliiE_St5arrayIPcLm3EEEEviT0_T1_,@function
_ZN2at6native29vectorized_elementwise_kernelILi2EZZZNS0_15lcm_kernel_cudaERNS_18TensorIteratorBaseEENKUlvE_clEvENKUlvE1_clEvEUliiE_St5arrayIPcLm3EEEEviT0_T1_: ; @_ZN2at6native29vectorized_elementwise_kernelILi2EZZZNS0_15lcm_kernel_cudaERNS_18TensorIteratorBaseEENKUlvE_clEvENKUlvE1_clEvEUliiE_St5arrayIPcLm3EEEEviT0_T1_
; %bb.0:
	s_clause 0x2
	s_load_b32 s3, s[0:1], 0x0
	s_load_b128 s[4:7], s[0:1], 0x8
	s_load_b64 s[8:9], s[0:1], 0x18
	s_wait_xcnt 0x0
	s_bfe_u32 s0, ttmp6, 0x4000c
	s_and_b32 s1, ttmp6, 15
	s_add_co_i32 s0, s0, 1
	s_getreg_b32 s2, hwreg(HW_REG_IB_STS2, 6, 4)
	s_mul_i32 s0, ttmp9, s0
	s_delay_alu instid0(SALU_CYCLE_1) | instskip(SKIP_2) | instid1(SALU_CYCLE_1)
	s_add_co_i32 s1, s1, s0
	s_cmp_eq_u32 s2, 0
	s_cselect_b32 s0, ttmp9, s1
	s_lshl_b32 s2, s0, 10
	s_mov_b32 s0, -1
	s_wait_kmcnt 0x0
	s_sub_co_i32 s10, s3, s2
	s_delay_alu instid0(SALU_CYCLE_1)
	s_cmp_gt_i32 s10, 0x3ff
	s_cbranch_scc0 .LBB59_26
; %bb.1:
	s_ashr_i32 s3, s2, 31
	s_delay_alu instid0(SALU_CYCLE_1)
	s_lshl_b64 s[0:1], s[2:3], 2
	s_mov_b32 s3, exec_lo
	s_add_nc_u64 s[12:13], s[8:9], s[0:1]
	s_add_nc_u64 s[14:15], s[6:7], s[0:1]
	s_clause 0x3
	global_load_b64 v[8:9], v0, s[12:13] scale_offset
	global_load_b64 v[10:11], v0, s[14:15] scale_offset
	global_load_b64 v[4:5], v0, s[14:15] offset:2048 scale_offset
	global_load_b64 v[2:3], v0, s[12:13] offset:2048 scale_offset
	s_wait_loadcnt 0x3
	v_sub_nc_u32_e32 v1, 0, v8
	s_wait_loadcnt 0x2
	s_delay_alu instid0(VALU_DEP_1)
	v_dual_sub_nc_u32 v1, 0, v10 :: v_dual_max_i32 v7, v8, v1
	s_wait_xcnt 0x0
	v_cmpx_ne_u32_e32 0, v10
	s_cbranch_execz .LBB59_5
; %bb.2:
	s_delay_alu instid0(VALU_DEP_2)
	v_max_i32_e32 v12, v10, v1
	s_mov_b32 s11, 0
.LBB59_3:                               ; =>This Inner Loop Header: Depth=1
	s_delay_alu instid0(VALU_DEP_1) | instskip(NEXT) | instid1(VALU_DEP_1)
	v_mov_b32_e32 v6, v12
	v_cvt_f32_u32_e32 v12, v6
	v_sub_nc_u32_e32 v13, 0, v6
	s_delay_alu instid0(VALU_DEP_2) | instskip(SKIP_1) | instid1(TRANS32_DEP_1)
	v_rcp_iflag_f32_e32 v12, v12
	v_nop
	v_mul_f32_e32 v12, 0x4f7ffffe, v12
	s_delay_alu instid0(VALU_DEP_1) | instskip(NEXT) | instid1(VALU_DEP_1)
	v_cvt_u32_f32_e32 v12, v12
	v_mul_lo_u32 v13, v13, v12
	s_delay_alu instid0(VALU_DEP_1) | instskip(NEXT) | instid1(VALU_DEP_1)
	v_mul_hi_u32 v13, v12, v13
	v_add_nc_u32_e32 v12, v12, v13
	s_delay_alu instid0(VALU_DEP_1) | instskip(NEXT) | instid1(VALU_DEP_1)
	v_mul_hi_u32 v12, v7, v12
	v_mul_lo_u32 v12, v12, v6
	s_delay_alu instid0(VALU_DEP_1) | instskip(NEXT) | instid1(VALU_DEP_1)
	v_sub_nc_u32_e32 v7, v7, v12
	v_sub_nc_u32_e32 v12, v7, v6
	v_cmp_ge_u32_e32 vcc_lo, v7, v6
	s_delay_alu instid0(VALU_DEP_2) | instskip(NEXT) | instid1(VALU_DEP_1)
	v_cndmask_b32_e32 v7, v7, v12, vcc_lo
	v_sub_nc_u32_e32 v12, v7, v6
	v_cmp_ge_u32_e32 vcc_lo, v7, v6
	s_delay_alu instid0(VALU_DEP_2) | instskip(NEXT) | instid1(VALU_DEP_1)
	v_dual_cndmask_b32 v12, v7, v12 :: v_dual_mov_b32 v7, v6
	v_cmp_eq_u32_e32 vcc_lo, 0, v12
	s_or_b32 s11, vcc_lo, s11
	s_delay_alu instid0(SALU_CYCLE_1)
	s_and_not1_b32 exec_lo, exec_lo, s11
	s_cbranch_execnz .LBB59_3
; %bb.4:
	s_or_b32 exec_lo, exec_lo, s11
	v_mov_b32_e32 v7, v6
.LBB59_5:
	s_or_b32 exec_lo, exec_lo, s3
	v_mov_b32_e32 v6, 0
	s_mov_b32 s3, exec_lo
	s_delay_alu instid0(VALU_DEP_2)
	v_cmpx_ne_u32_e32 0, v7
	s_cbranch_execz .LBB59_7
; %bb.6:
	v_dual_sub_nc_u32 v6, 0, v7 :: v_dual_max_i32 v1, v10, v1
	s_delay_alu instid0(VALU_DEP_1) | instskip(NEXT) | instid1(VALU_DEP_1)
	v_max_i32_e32 v6, v7, v6
	v_cvt_f32_u32_e32 v12, v6
	v_sub_nc_u32_e32 v13, 0, v6
	s_delay_alu instid0(VALU_DEP_2) | instskip(SKIP_1) | instid1(TRANS32_DEP_1)
	v_rcp_iflag_f32_e32 v12, v12
	v_nop
	v_mul_f32_e32 v12, 0x4f7ffffe, v12
	s_delay_alu instid0(VALU_DEP_1) | instskip(NEXT) | instid1(VALU_DEP_1)
	v_cvt_u32_f32_e32 v12, v12
	v_mul_lo_u32 v13, v13, v12
	s_delay_alu instid0(VALU_DEP_1) | instskip(NEXT) | instid1(VALU_DEP_1)
	v_mul_hi_u32 v13, v12, v13
	v_add_nc_u32_e32 v12, v12, v13
	s_delay_alu instid0(VALU_DEP_1) | instskip(NEXT) | instid1(VALU_DEP_1)
	v_mul_hi_u32 v12, v1, v12
	v_mul_lo_u32 v13, v12, v6
	s_delay_alu instid0(VALU_DEP_1) | instskip(NEXT) | instid1(VALU_DEP_1)
	v_dual_sub_nc_u32 v1, v1, v13 :: v_dual_add_nc_u32 v13, 1, v12
	v_cmp_ge_u32_e32 vcc_lo, v1, v6
	s_delay_alu instid0(VALU_DEP_2) | instskip(NEXT) | instid1(VALU_DEP_1)
	v_dual_sub_nc_u32 v14, v1, v6 :: v_dual_cndmask_b32 v12, v12, v13, vcc_lo
	v_dual_cndmask_b32 v1, v1, v14, vcc_lo :: v_dual_bitop2_b32 v7, v10, v7 bitop3:0x14
	s_delay_alu instid0(VALU_DEP_1) | instskip(NEXT) | instid1(VALU_DEP_2)
	v_dual_add_nc_u32 v10, 1, v12 :: v_dual_ashrrev_i32 v7, 31, v7
	v_cmp_ge_u32_e32 vcc_lo, v1, v6
	s_delay_alu instid0(VALU_DEP_2) | instskip(NEXT) | instid1(VALU_DEP_1)
	v_cndmask_b32_e32 v1, v12, v10, vcc_lo
	v_xor_b32_e32 v1, v1, v7
	s_delay_alu instid0(VALU_DEP_1) | instskip(NEXT) | instid1(VALU_DEP_1)
	v_sub_nc_u32_e32 v1, v1, v7
	v_mul_lo_u32 v1, v1, v8
	s_delay_alu instid0(VALU_DEP_1) | instskip(NEXT) | instid1(VALU_DEP_1)
	v_sub_nc_u32_e32 v6, 0, v1
	v_max_i32_e32 v6, v1, v6
.LBB59_7:
	s_or_b32 exec_lo, exec_lo, s3
	v_sub_nc_u32_e32 v1, 0, v9
	s_mov_b32 s11, 0
	s_mov_b32 s3, exec_lo
	s_delay_alu instid0(VALU_DEP_1)
	v_dual_sub_nc_u32 v1, 0, v11 :: v_dual_max_i32 v8, v9, v1
	v_cmpx_ne_u32_e32 0, v11
	s_cbranch_execz .LBB59_11
; %bb.8:
	s_delay_alu instid0(VALU_DEP_2)
	v_max_i32_e32 v10, v11, v1
.LBB59_9:                               ; =>This Inner Loop Header: Depth=1
	s_delay_alu instid0(VALU_DEP_1) | instskip(NEXT) | instid1(VALU_DEP_1)
	v_mov_b32_e32 v7, v10
	v_cvt_f32_u32_e32 v10, v7
	s_delay_alu instid0(VALU_DEP_1) | instskip(SKIP_1) | instid1(TRANS32_DEP_1)
	v_rcp_iflag_f32_e32 v10, v10
	v_nop
	v_mul_f32_e32 v10, 0x4f7ffffe, v10
	v_sub_nc_u32_e32 v12, 0, v7
	s_delay_alu instid0(VALU_DEP_2) | instskip(NEXT) | instid1(VALU_DEP_1)
	v_cvt_u32_f32_e32 v10, v10
	v_mul_lo_u32 v12, v12, v10
	s_delay_alu instid0(VALU_DEP_1) | instskip(NEXT) | instid1(VALU_DEP_1)
	v_mul_hi_u32 v12, v10, v12
	v_add_nc_u32_e32 v10, v10, v12
	s_delay_alu instid0(VALU_DEP_1) | instskip(NEXT) | instid1(VALU_DEP_1)
	v_mul_hi_u32 v10, v8, v10
	v_mul_lo_u32 v10, v10, v7
	s_delay_alu instid0(VALU_DEP_1) | instskip(NEXT) | instid1(VALU_DEP_1)
	v_sub_nc_u32_e32 v8, v8, v10
	v_sub_nc_u32_e32 v10, v8, v7
	v_cmp_ge_u32_e32 vcc_lo, v8, v7
	s_delay_alu instid0(VALU_DEP_2) | instskip(NEXT) | instid1(VALU_DEP_1)
	v_cndmask_b32_e32 v8, v8, v10, vcc_lo
	v_sub_nc_u32_e32 v10, v8, v7
	v_cmp_ge_u32_e32 vcc_lo, v8, v7
	s_delay_alu instid0(VALU_DEP_2) | instskip(NEXT) | instid1(VALU_DEP_1)
	v_dual_cndmask_b32 v10, v8, v10, vcc_lo :: v_dual_mov_b32 v8, v7
	v_cmp_eq_u32_e32 vcc_lo, 0, v10
	s_or_b32 s11, vcc_lo, s11
	s_delay_alu instid0(SALU_CYCLE_1)
	s_and_not1_b32 exec_lo, exec_lo, s11
	s_cbranch_execnz .LBB59_9
; %bb.10:
	s_or_b32 exec_lo, exec_lo, s11
	v_mov_b32_e32 v8, v7
.LBB59_11:
	s_or_b32 exec_lo, exec_lo, s3
	v_mov_b32_e32 v7, 0
	s_mov_b32 s3, exec_lo
	s_delay_alu instid0(VALU_DEP_2)
	v_cmpx_ne_u32_e32 0, v8
	s_cbranch_execz .LBB59_13
; %bb.12:
	v_dual_sub_nc_u32 v7, 0, v8 :: v_dual_max_i32 v1, v11, v1
	s_delay_alu instid0(VALU_DEP_1) | instskip(NEXT) | instid1(VALU_DEP_1)
	v_max_i32_e32 v7, v8, v7
	v_cvt_f32_u32_e32 v10, v7
	v_sub_nc_u32_e32 v12, 0, v7
	s_delay_alu instid0(VALU_DEP_2) | instskip(SKIP_1) | instid1(TRANS32_DEP_1)
	v_rcp_iflag_f32_e32 v10, v10
	v_nop
	v_mul_f32_e32 v10, 0x4f7ffffe, v10
	s_delay_alu instid0(VALU_DEP_1) | instskip(NEXT) | instid1(VALU_DEP_1)
	v_cvt_u32_f32_e32 v10, v10
	v_mul_lo_u32 v12, v12, v10
	s_delay_alu instid0(VALU_DEP_1) | instskip(NEXT) | instid1(VALU_DEP_1)
	v_mul_hi_u32 v12, v10, v12
	v_add_nc_u32_e32 v10, v10, v12
	s_delay_alu instid0(VALU_DEP_1) | instskip(NEXT) | instid1(VALU_DEP_1)
	v_mul_hi_u32 v10, v1, v10
	v_mul_lo_u32 v12, v10, v7
	s_delay_alu instid0(VALU_DEP_1) | instskip(NEXT) | instid1(VALU_DEP_1)
	v_dual_sub_nc_u32 v1, v1, v12 :: v_dual_add_nc_u32 v12, 1, v10
	v_cmp_ge_u32_e32 vcc_lo, v1, v7
	s_delay_alu instid0(VALU_DEP_2) | instskip(NEXT) | instid1(VALU_DEP_1)
	v_dual_cndmask_b32 v10, v10, v12 :: v_dual_sub_nc_u32 v13, v1, v7
	v_dual_cndmask_b32 v1, v1, v13, vcc_lo :: v_dual_bitop2_b32 v8, v11, v8 bitop3:0x14
	s_delay_alu instid0(VALU_DEP_1) | instskip(NEXT) | instid1(VALU_DEP_2)
	v_dual_add_nc_u32 v11, 1, v10 :: v_dual_ashrrev_i32 v8, 31, v8
	v_cmp_ge_u32_e32 vcc_lo, v1, v7
	s_delay_alu instid0(VALU_DEP_2) | instskip(NEXT) | instid1(VALU_DEP_1)
	v_cndmask_b32_e32 v1, v10, v11, vcc_lo
	v_xor_b32_e32 v1, v1, v8
	s_delay_alu instid0(VALU_DEP_1) | instskip(NEXT) | instid1(VALU_DEP_1)
	v_sub_nc_u32_e32 v1, v1, v8
	v_mul_lo_u32 v1, v1, v9
	s_delay_alu instid0(VALU_DEP_1) | instskip(NEXT) | instid1(VALU_DEP_1)
	v_sub_nc_u32_e32 v7, 0, v1
	v_max_i32_e32 v7, v1, v7
.LBB59_13:
	s_or_b32 exec_lo, exec_lo, s3
	s_wait_loadcnt 0x0
	v_sub_nc_u32_e32 v1, 0, v2
	s_mov_b32 s11, 0
	s_mov_b32 s3, exec_lo
	s_delay_alu instid0(VALU_DEP_1)
	v_dual_sub_nc_u32 v1, 0, v4 :: v_dual_max_i32 v9, v2, v1
	v_cmpx_ne_u32_e32 0, v4
	s_cbranch_execz .LBB59_17
; %bb.14:
	s_delay_alu instid0(VALU_DEP_2)
	v_max_i32_e32 v10, v4, v1
.LBB59_15:                              ; =>This Inner Loop Header: Depth=1
	s_delay_alu instid0(VALU_DEP_1) | instskip(NEXT) | instid1(VALU_DEP_1)
	v_mov_b32_e32 v8, v10
	v_cvt_f32_u32_e32 v10, v8
	v_sub_nc_u32_e32 v11, 0, v8
	s_delay_alu instid0(VALU_DEP_2) | instskip(SKIP_1) | instid1(TRANS32_DEP_1)
	v_rcp_iflag_f32_e32 v10, v10
	v_nop
	v_mul_f32_e32 v10, 0x4f7ffffe, v10
	s_delay_alu instid0(VALU_DEP_1) | instskip(NEXT) | instid1(VALU_DEP_1)
	v_cvt_u32_f32_e32 v10, v10
	v_mul_lo_u32 v11, v11, v10
	s_delay_alu instid0(VALU_DEP_1) | instskip(NEXT) | instid1(VALU_DEP_1)
	v_mul_hi_u32 v11, v10, v11
	v_add_nc_u32_e32 v10, v10, v11
	s_delay_alu instid0(VALU_DEP_1) | instskip(NEXT) | instid1(VALU_DEP_1)
	v_mul_hi_u32 v10, v9, v10
	v_mul_lo_u32 v10, v10, v8
	s_delay_alu instid0(VALU_DEP_1) | instskip(NEXT) | instid1(VALU_DEP_1)
	v_sub_nc_u32_e32 v9, v9, v10
	v_sub_nc_u32_e32 v10, v9, v8
	v_cmp_ge_u32_e32 vcc_lo, v9, v8
	s_delay_alu instid0(VALU_DEP_2) | instskip(NEXT) | instid1(VALU_DEP_1)
	v_cndmask_b32_e32 v9, v9, v10, vcc_lo
	v_sub_nc_u32_e32 v10, v9, v8
	v_cmp_ge_u32_e32 vcc_lo, v9, v8
	s_delay_alu instid0(VALU_DEP_2) | instskip(NEXT) | instid1(VALU_DEP_1)
	v_dual_cndmask_b32 v10, v9, v10 :: v_dual_mov_b32 v9, v8
	v_cmp_eq_u32_e32 vcc_lo, 0, v10
	s_or_b32 s11, vcc_lo, s11
	s_delay_alu instid0(SALU_CYCLE_1)
	s_and_not1_b32 exec_lo, exec_lo, s11
	s_cbranch_execnz .LBB59_15
; %bb.16:
	s_or_b32 exec_lo, exec_lo, s11
	v_mov_b32_e32 v9, v8
.LBB59_17:
	s_or_b32 exec_lo, exec_lo, s3
	v_mov_b32_e32 v8, 0
	s_mov_b32 s3, exec_lo
	s_delay_alu instid0(VALU_DEP_2)
	v_cmpx_ne_u32_e32 0, v9
	s_cbranch_execz .LBB59_19
; %bb.18:
	v_sub_nc_u32_e32 v8, 0, v9
	v_max_i32_e32 v1, v4, v1
	v_xor_b32_e32 v4, v4, v9
	s_delay_alu instid0(VALU_DEP_3) | instskip(NEXT) | instid1(VALU_DEP_1)
	v_max_i32_e32 v8, v9, v8
	v_cvt_f32_u32_e32 v10, v8
	v_sub_nc_u32_e32 v11, 0, v8
	s_delay_alu instid0(VALU_DEP_2) | instskip(SKIP_1) | instid1(TRANS32_DEP_1)
	v_rcp_iflag_f32_e32 v10, v10
	v_nop
	v_mul_f32_e32 v10, 0x4f7ffffe, v10
	s_delay_alu instid0(VALU_DEP_1) | instskip(NEXT) | instid1(VALU_DEP_1)
	v_cvt_u32_f32_e32 v10, v10
	v_mul_lo_u32 v11, v11, v10
	s_delay_alu instid0(VALU_DEP_1) | instskip(NEXT) | instid1(VALU_DEP_1)
	v_mul_hi_u32 v11, v10, v11
	v_add_nc_u32_e32 v10, v10, v11
	s_delay_alu instid0(VALU_DEP_1) | instskip(NEXT) | instid1(VALU_DEP_1)
	v_mul_hi_u32 v10, v1, v10
	v_mul_lo_u32 v11, v10, v8
	s_delay_alu instid0(VALU_DEP_1) | instskip(NEXT) | instid1(VALU_DEP_1)
	v_dual_sub_nc_u32 v1, v1, v11 :: v_dual_add_nc_u32 v11, 1, v10
	v_cmp_ge_u32_e32 vcc_lo, v1, v8
	s_delay_alu instid0(VALU_DEP_2) | instskip(NEXT) | instid1(VALU_DEP_1)
	v_dual_cndmask_b32 v10, v10, v11, vcc_lo :: v_dual_sub_nc_u32 v12, v1, v8
	v_dual_add_nc_u32 v9, 1, v10 :: v_dual_cndmask_b32 v1, v1, v12, vcc_lo
	s_delay_alu instid0(VALU_DEP_1) | instskip(NEXT) | instid1(VALU_DEP_2)
	v_cmp_ge_u32_e32 vcc_lo, v1, v8
	v_dual_cndmask_b32 v1, v10, v9 :: v_dual_ashrrev_i32 v4, 31, v4
	s_delay_alu instid0(VALU_DEP_1) | instskip(NEXT) | instid1(VALU_DEP_1)
	v_xor_b32_e32 v1, v1, v4
	v_sub_nc_u32_e32 v1, v1, v4
	s_delay_alu instid0(VALU_DEP_1) | instskip(NEXT) | instid1(VALU_DEP_1)
	v_mul_lo_u32 v1, v1, v2
	v_sub_nc_u32_e32 v2, 0, v1
	s_delay_alu instid0(VALU_DEP_1)
	v_max_i32_e32 v8, v1, v2
.LBB59_19:
	s_or_b32 exec_lo, exec_lo, s3
	v_sub_nc_u32_e32 v1, 0, v3
	s_mov_b32 s11, 0
	s_mov_b32 s3, exec_lo
	s_delay_alu instid0(VALU_DEP_1)
	v_max_i32_e32 v2, v3, v1
	v_sub_nc_u32_e32 v1, 0, v5
	v_cmpx_ne_u32_e32 0, v5
	s_cbranch_execz .LBB59_23
; %bb.20:
	s_delay_alu instid0(VALU_DEP_2)
	v_max_i32_e32 v9, v5, v1
.LBB59_21:                              ; =>This Inner Loop Header: Depth=1
	s_delay_alu instid0(VALU_DEP_1) | instskip(NEXT) | instid1(VALU_DEP_1)
	v_mov_b32_e32 v4, v9
	v_cvt_f32_u32_e32 v9, v4
	s_delay_alu instid0(VALU_DEP_1) | instskip(SKIP_1) | instid1(TRANS32_DEP_1)
	v_rcp_iflag_f32_e32 v9, v9
	v_nop
	v_dual_mul_f32 v9, 0x4f7ffffe, v9 :: v_dual_sub_nc_u32 v10, 0, v4
	s_delay_alu instid0(VALU_DEP_1) | instskip(NEXT) | instid1(VALU_DEP_1)
	v_cvt_u32_f32_e32 v9, v9
	v_mul_lo_u32 v10, v10, v9
	s_delay_alu instid0(VALU_DEP_1) | instskip(NEXT) | instid1(VALU_DEP_1)
	v_mul_hi_u32 v10, v9, v10
	v_add_nc_u32_e32 v9, v9, v10
	s_delay_alu instid0(VALU_DEP_1) | instskip(NEXT) | instid1(VALU_DEP_1)
	v_mul_hi_u32 v9, v2, v9
	v_mul_lo_u32 v9, v9, v4
	s_delay_alu instid0(VALU_DEP_1) | instskip(NEXT) | instid1(VALU_DEP_1)
	v_sub_nc_u32_e32 v2, v2, v9
	v_sub_nc_u32_e32 v9, v2, v4
	v_cmp_ge_u32_e32 vcc_lo, v2, v4
	s_delay_alu instid0(VALU_DEP_2) | instskip(NEXT) | instid1(VALU_DEP_1)
	v_cndmask_b32_e32 v2, v2, v9, vcc_lo
	v_sub_nc_u32_e32 v9, v2, v4
	v_cmp_ge_u32_e32 vcc_lo, v2, v4
	s_delay_alu instid0(VALU_DEP_2) | instskip(NEXT) | instid1(VALU_DEP_1)
	v_dual_cndmask_b32 v9, v2, v9 :: v_dual_mov_b32 v2, v4
	v_cmp_eq_u32_e32 vcc_lo, 0, v9
	s_or_b32 s11, vcc_lo, s11
	s_delay_alu instid0(SALU_CYCLE_1)
	s_and_not1_b32 exec_lo, exec_lo, s11
	s_cbranch_execnz .LBB59_21
; %bb.22:
	s_or_b32 exec_lo, exec_lo, s11
	v_mov_b32_e32 v2, v4
.LBB59_23:
	s_or_b32 exec_lo, exec_lo, s3
	v_mov_b32_e32 v9, 0
	s_mov_b32 s3, exec_lo
	s_delay_alu instid0(VALU_DEP_2)
	v_cmpx_ne_u32_e32 0, v2
	s_cbranch_execz .LBB59_25
; %bb.24:
	v_dual_sub_nc_u32 v4, 0, v2 :: v_dual_max_i32 v1, v5, v1
	s_delay_alu instid0(VALU_DEP_1) | instskip(SKIP_1) | instid1(VALU_DEP_2)
	v_max_i32_e32 v4, v2, v4
	v_xor_b32_e32 v2, v5, v2
	v_cvt_f32_u32_e32 v9, v4
	s_delay_alu instid0(VALU_DEP_2) | instskip(NEXT) | instid1(VALU_DEP_2)
	v_dual_sub_nc_u32 v10, 0, v4 :: v_dual_ashrrev_i32 v2, 31, v2
	v_rcp_iflag_f32_e32 v9, v9
	v_nop
	s_delay_alu instid0(TRANS32_DEP_1) | instskip(NEXT) | instid1(VALU_DEP_1)
	v_mul_f32_e32 v9, 0x4f7ffffe, v9
	v_cvt_u32_f32_e32 v9, v9
	s_delay_alu instid0(VALU_DEP_1) | instskip(NEXT) | instid1(VALU_DEP_1)
	v_mul_lo_u32 v10, v10, v9
	v_mul_hi_u32 v10, v9, v10
	s_delay_alu instid0(VALU_DEP_1) | instskip(NEXT) | instid1(VALU_DEP_1)
	v_add_nc_u32_e32 v9, v9, v10
	v_mul_hi_u32 v9, v1, v9
	s_delay_alu instid0(VALU_DEP_1) | instskip(NEXT) | instid1(VALU_DEP_1)
	v_mul_lo_u32 v10, v9, v4
	v_dual_sub_nc_u32 v1, v1, v10 :: v_dual_add_nc_u32 v10, 1, v9
	s_delay_alu instid0(VALU_DEP_1) | instskip(NEXT) | instid1(VALU_DEP_2)
	v_cmp_ge_u32_e32 vcc_lo, v1, v4
	v_cndmask_b32_e32 v9, v9, v10, vcc_lo
	s_delay_alu instid0(VALU_DEP_1) | instskip(NEXT) | instid1(VALU_DEP_1)
	v_dual_sub_nc_u32 v11, v1, v4 :: v_dual_add_nc_u32 v5, 1, v9
	v_cndmask_b32_e32 v1, v1, v11, vcc_lo
	s_delay_alu instid0(VALU_DEP_1) | instskip(NEXT) | instid1(VALU_DEP_3)
	v_cmp_ge_u32_e32 vcc_lo, v1, v4
	v_cndmask_b32_e32 v1, v9, v5, vcc_lo
	s_delay_alu instid0(VALU_DEP_1) | instskip(NEXT) | instid1(VALU_DEP_1)
	v_xor_b32_e32 v1, v1, v2
	v_sub_nc_u32_e32 v1, v1, v2
	s_delay_alu instid0(VALU_DEP_1) | instskip(NEXT) | instid1(VALU_DEP_1)
	v_mul_lo_u32 v1, v1, v3
	v_sub_nc_u32_e32 v2, 0, v1
	s_delay_alu instid0(VALU_DEP_1)
	v_max_i32_e32 v9, v1, v2
.LBB59_25:
	s_or_b32 exec_lo, exec_lo, s3
	s_add_nc_u64 s[12:13], s[4:5], s[0:1]
	s_mov_b32 s0, 0
	s_clause 0x1
	global_store_b64 v0, v[6:7], s[12:13] scale_offset
	global_store_b64 v0, v[8:9], s[12:13] offset:2048 scale_offset
.LBB59_26:
	s_and_b32 vcc_lo, exec_lo, s0
	s_cbranch_vccz .LBB59_65
; %bb.27:
	v_cmp_gt_i32_e32 vcc_lo, s10, v0
	v_dual_mov_b32 v2, 0 :: v_dual_bitop2_b32 v10, s2, v0 bitop3:0x54
	v_or_b32_e32 v11, 0x100, v0
	s_wait_xcnt 0x1
	v_dual_mov_b32 v12, 0 :: v_dual_mov_b32 v6, 0
	v_dual_mov_b32 v13, 0 :: v_dual_mov_b32 v5, 0
	;; [unrolled: 1-line block ×4, first 2 shown]
	s_wait_xcnt 0x0
	s_and_saveexec_b32 s1, vcc_lo
	s_cbranch_execz .LBB59_35
; %bb.28:
	s_clause 0x1
	global_load_b32 v17, v10, s[6:7] scale_offset
	global_load_b32 v16, v10, s[8:9] scale_offset
	v_or_b32_e32 v1, 0x100, v0
	v_dual_mov_b32 v14, 0 :: v_dual_mov_b32 v15, 0
	v_dual_mov_b32 v5, 0 :: v_dual_mov_b32 v13, 0
	;; [unrolled: 1-line block ×3, first 2 shown]
	s_mov_b32 s3, exec_lo
	s_wait_xcnt 0x0
	v_cmpx_gt_u32_e64 s10, v1
	s_cbranch_execz .LBB59_34
; %bb.29:
	v_dual_mov_b32 v5, 0 :: v_dual_add_nc_u32 v4, s2, v0
	v_or_b32_e32 v1, 0x200, v0
	v_dual_mov_b32 v13, 0 :: v_dual_mov_b32 v6, 0
	s_clause 0x1
	global_load_b32 v15, v4, s[6:7] offset:1024 scale_offset
	global_load_b32 v14, v4, s[8:9] offset:1024 scale_offset
	v_mov_b32_e32 v12, 0
	s_mov_b32 s11, exec_lo
	s_wait_xcnt 0x0
	v_cmpx_gt_u32_e64 s10, v1
	s_cbranch_execz .LBB59_33
; %bb.30:
	v_lshlrev_b64_e32 v[8:9], 2, v[4:5]
	v_or_b32_e32 v3, 0x300, v0
	v_mov_b32_e32 v12, 0
	s_delay_alu instid0(VALU_DEP_3)
	v_add_nc_u64_e32 v[6:7], s[6:7], v[8:9]
	v_add_nc_u64_e32 v[8:9], s[8:9], v[8:9]
	s_mov_b32 s6, exec_lo
	global_load_b32 v13, v[6:7], off offset:2048
	global_load_b32 v1, v[8:9], off offset:2048
	s_wait_xcnt 0x0
	v_cmpx_gt_u32_e64 s10, v3
	s_cbranch_execz .LBB59_32
; %bb.31:
	global_load_b32 v12, v[6:7], off offset:3072
	global_load_b32 v5, v[8:9], off offset:3072
.LBB59_32:
	s_wait_xcnt 0x0
	s_or_b32 exec_lo, exec_lo, s6
	s_wait_loadcnt 0x0
	v_dual_mov_b32 v6, v5 :: v_dual_mov_b32 v5, v1
.LBB59_33:
	s_or_b32 exec_lo, exec_lo, s11
.LBB59_34:
	s_delay_alu instid0(SALU_CYCLE_1)
	s_or_b32 exec_lo, exec_lo, s3
.LBB59_35:
	s_delay_alu instid0(SALU_CYCLE_1)
	s_or_b32 exec_lo, exec_lo, s1
	v_dual_mov_b32 v1, v2 :: v_dual_mov_b32 v4, v2
	v_mov_b32_e32 v3, v2
	s_and_saveexec_b32 s1, vcc_lo
	s_cbranch_execz .LBB59_43
; %bb.36:
	s_wait_loadcnt 0x0
	v_dual_sub_nc_u32 v1, 0, v16 :: v_dual_sub_nc_u32 v3, 0, v17
	s_mov_b32 s3, exec_lo
	s_delay_alu instid0(VALU_DEP_1)
	v_max_i32_e32 v4, v16, v1
	v_cmpx_ne_u32_e32 0, v17
	s_cbranch_execz .LBB59_40
; %bb.37:
	v_max_i32_e32 v2, v17, v3
	s_mov_b32 s6, 0
.LBB59_38:                              ; =>This Inner Loop Header: Depth=1
	s_delay_alu instid0(VALU_DEP_1) | instskip(NEXT) | instid1(VALU_DEP_1)
	v_mov_b32_e32 v1, v2
	v_cvt_f32_u32_e32 v2, v1
	s_delay_alu instid0(VALU_DEP_1) | instskip(SKIP_1) | instid1(TRANS32_DEP_1)
	v_rcp_iflag_f32_e32 v2, v2
	v_nop
	v_dual_mul_f32 v2, 0x4f7ffffe, v2 :: v_dual_sub_nc_u32 v7, 0, v1
	s_delay_alu instid0(VALU_DEP_1) | instskip(NEXT) | instid1(VALU_DEP_1)
	v_cvt_u32_f32_e32 v2, v2
	v_mul_lo_u32 v7, v7, v2
	s_delay_alu instid0(VALU_DEP_1) | instskip(NEXT) | instid1(VALU_DEP_1)
	v_mul_hi_u32 v7, v2, v7
	v_add_nc_u32_e32 v2, v2, v7
	s_delay_alu instid0(VALU_DEP_1) | instskip(NEXT) | instid1(VALU_DEP_1)
	v_mul_hi_u32 v2, v4, v2
	v_mul_lo_u32 v2, v2, v1
	s_delay_alu instid0(VALU_DEP_1) | instskip(NEXT) | instid1(VALU_DEP_1)
	v_sub_nc_u32_e32 v2, v4, v2
	v_sub_nc_u32_e32 v4, v2, v1
	v_cmp_ge_u32_e64 s0, v2, v1
	s_delay_alu instid0(VALU_DEP_1) | instskip(NEXT) | instid1(VALU_DEP_1)
	v_cndmask_b32_e64 v2, v2, v4, s0
	v_sub_nc_u32_e32 v4, v2, v1
	v_cmp_ge_u32_e64 s0, v2, v1
	s_delay_alu instid0(VALU_DEP_1) | instskip(NEXT) | instid1(VALU_DEP_1)
	v_dual_cndmask_b32 v2, v2, v4, s0 :: v_dual_mov_b32 v4, v1
	v_cmp_eq_u32_e64 s0, 0, v2
	s_or_b32 s6, s0, s6
	s_delay_alu instid0(SALU_CYCLE_1)
	s_and_not1_b32 exec_lo, exec_lo, s6
	s_cbranch_execnz .LBB59_38
; %bb.39:
	s_or_b32 exec_lo, exec_lo, s6
	v_mov_b32_e32 v4, v1
.LBB59_40:
	s_or_b32 exec_lo, exec_lo, s3
	v_dual_mov_b32 v1, 0 :: v_dual_mov_b32 v2, 0
	s_mov_b32 s3, exec_lo
	s_delay_alu instid0(VALU_DEP_2)
	v_cmpx_ne_u32_e32 0, v4
	s_cbranch_execz .LBB59_42
; %bb.41:
	v_dual_sub_nc_u32 v2, 0, v4 :: v_dual_max_i32 v3, v17, v3
	s_delay_alu instid0(VALU_DEP_1) | instskip(SKIP_1) | instid1(VALU_DEP_2)
	v_max_i32_e32 v2, v4, v2
	v_xor_b32_e32 v4, v17, v4
	v_cvt_f32_u32_e32 v7, v2
	s_delay_alu instid0(VALU_DEP_2) | instskip(NEXT) | instid1(VALU_DEP_2)
	v_dual_sub_nc_u32 v8, 0, v2 :: v_dual_ashrrev_i32 v4, 31, v4
	v_rcp_iflag_f32_e32 v7, v7
	v_nop
	s_delay_alu instid0(TRANS32_DEP_1) | instskip(NEXT) | instid1(VALU_DEP_1)
	v_mul_f32_e32 v7, 0x4f7ffffe, v7
	v_cvt_u32_f32_e32 v7, v7
	s_delay_alu instid0(VALU_DEP_1) | instskip(NEXT) | instid1(VALU_DEP_1)
	v_mul_lo_u32 v8, v8, v7
	v_mul_hi_u32 v8, v7, v8
	s_delay_alu instid0(VALU_DEP_1) | instskip(NEXT) | instid1(VALU_DEP_1)
	v_add_nc_u32_e32 v7, v7, v8
	v_mul_hi_u32 v7, v3, v7
	s_delay_alu instid0(VALU_DEP_1) | instskip(NEXT) | instid1(VALU_DEP_1)
	v_mul_lo_u32 v8, v7, v2
	v_dual_sub_nc_u32 v3, v3, v8 :: v_dual_add_nc_u32 v8, 1, v7
	s_delay_alu instid0(VALU_DEP_1) | instskip(SKIP_1) | instid1(VALU_DEP_1)
	v_sub_nc_u32_e32 v9, v3, v2
	v_cmp_ge_u32_e64 s0, v3, v2
	v_cndmask_b32_e64 v7, v7, v8, s0
	s_delay_alu instid0(VALU_DEP_1) | instskip(NEXT) | instid1(VALU_DEP_1)
	v_dual_cndmask_b32 v3, v3, v9, s0 :: v_dual_add_nc_u32 v8, 1, v7
	v_cmp_ge_u32_e64 s0, v3, v2
	s_delay_alu instid0(VALU_DEP_1) | instskip(NEXT) | instid1(VALU_DEP_1)
	v_cndmask_b32_e64 v2, v7, v8, s0
	v_xor_b32_e32 v2, v2, v4
	s_delay_alu instid0(VALU_DEP_1) | instskip(NEXT) | instid1(VALU_DEP_1)
	v_sub_nc_u32_e32 v2, v2, v4
	v_mul_lo_u32 v2, v2, v16
	s_delay_alu instid0(VALU_DEP_1) | instskip(NEXT) | instid1(VALU_DEP_1)
	v_sub_nc_u32_e32 v3, 0, v2
	v_max_i32_e32 v2, v2, v3
.LBB59_42:
	s_or_b32 exec_lo, exec_lo, s3
	v_dual_mov_b32 v4, v1 :: v_dual_mov_b32 v3, v1
.LBB59_43:
	s_or_b32 exec_lo, exec_lo, s1
	s_delay_alu instid0(SALU_CYCLE_1)
	s_mov_b32 s1, exec_lo
	v_cmpx_gt_i32_e64 s10, v11
	s_cbranch_execz .LBB59_51
; %bb.44:
	s_wait_loadcnt 0x0
	v_dual_sub_nc_u32 v1, 0, v14 :: v_dual_sub_nc_u32 v7, 0, v15
	s_mov_b32 s6, 0
	s_mov_b32 s3, exec_lo
	s_delay_alu instid0(VALU_DEP_1)
	v_max_i32_e32 v8, v14, v1
	v_cmpx_ne_u32_e32 0, v15
	s_cbranch_execz .LBB59_48
; %bb.45:
	v_max_i32_e32 v9, v15, v7
.LBB59_46:                              ; =>This Inner Loop Header: Depth=1
	s_delay_alu instid0(VALU_DEP_1) | instskip(NEXT) | instid1(VALU_DEP_1)
	v_mov_b32_e32 v1, v9
	v_cvt_f32_u32_e32 v9, v1
	v_sub_nc_u32_e32 v16, 0, v1
	s_delay_alu instid0(VALU_DEP_2) | instskip(SKIP_1) | instid1(TRANS32_DEP_1)
	v_rcp_iflag_f32_e32 v9, v9
	v_nop
	v_mul_f32_e32 v9, 0x4f7ffffe, v9
	s_delay_alu instid0(VALU_DEP_1) | instskip(NEXT) | instid1(VALU_DEP_1)
	v_cvt_u32_f32_e32 v9, v9
	v_mul_lo_u32 v16, v16, v9
	s_delay_alu instid0(VALU_DEP_1) | instskip(NEXT) | instid1(VALU_DEP_1)
	v_mul_hi_u32 v16, v9, v16
	v_add_nc_u32_e32 v9, v9, v16
	s_delay_alu instid0(VALU_DEP_1) | instskip(NEXT) | instid1(VALU_DEP_1)
	v_mul_hi_u32 v9, v8, v9
	v_mul_lo_u32 v9, v9, v1
	s_delay_alu instid0(VALU_DEP_1) | instskip(NEXT) | instid1(VALU_DEP_1)
	v_sub_nc_u32_e32 v8, v8, v9
	v_sub_nc_u32_e32 v9, v8, v1
	v_cmp_ge_u32_e64 s0, v8, v1
	s_delay_alu instid0(VALU_DEP_1) | instskip(NEXT) | instid1(VALU_DEP_1)
	v_cndmask_b32_e64 v8, v8, v9, s0
	v_sub_nc_u32_e32 v9, v8, v1
	v_cmp_ge_u32_e64 s0, v8, v1
	s_delay_alu instid0(VALU_DEP_1) | instskip(NEXT) | instid1(VALU_DEP_1)
	v_dual_cndmask_b32 v9, v8, v9, s0 :: v_dual_mov_b32 v8, v1
	v_cmp_eq_u32_e64 s0, 0, v9
	s_or_b32 s6, s0, s6
	s_delay_alu instid0(SALU_CYCLE_1)
	s_and_not1_b32 exec_lo, exec_lo, s6
	s_cbranch_execnz .LBB59_46
; %bb.47:
	s_or_b32 exec_lo, exec_lo, s6
	v_mov_b32_e32 v8, v1
.LBB59_48:
	s_or_b32 exec_lo, exec_lo, s3
	v_mov_b32_e32 v1, 0
	s_mov_b32 s3, exec_lo
	s_delay_alu instid0(VALU_DEP_2)
	v_cmpx_ne_u32_e32 0, v8
	s_cbranch_execz .LBB59_50
; %bb.49:
	v_dual_sub_nc_u32 v1, 0, v8 :: v_dual_max_i32 v7, v15, v7
	s_delay_alu instid0(VALU_DEP_1) | instskip(SKIP_1) | instid1(VALU_DEP_2)
	v_max_i32_e32 v1, v8, v1
	v_xor_b32_e32 v8, v15, v8
	v_cvt_f32_u32_e32 v9, v1
	s_delay_alu instid0(VALU_DEP_2) | instskip(NEXT) | instid1(VALU_DEP_2)
	v_dual_sub_nc_u32 v16, 0, v1 :: v_dual_ashrrev_i32 v8, 31, v8
	v_rcp_iflag_f32_e32 v9, v9
	v_nop
	s_delay_alu instid0(TRANS32_DEP_1) | instskip(NEXT) | instid1(VALU_DEP_1)
	v_mul_f32_e32 v9, 0x4f7ffffe, v9
	v_cvt_u32_f32_e32 v9, v9
	s_delay_alu instid0(VALU_DEP_1) | instskip(NEXT) | instid1(VALU_DEP_1)
	v_mul_lo_u32 v16, v16, v9
	v_mul_hi_u32 v16, v9, v16
	s_delay_alu instid0(VALU_DEP_1) | instskip(NEXT) | instid1(VALU_DEP_1)
	v_add_nc_u32_e32 v9, v9, v16
	v_mul_hi_u32 v9, v7, v9
	s_delay_alu instid0(VALU_DEP_1) | instskip(NEXT) | instid1(VALU_DEP_1)
	v_mul_lo_u32 v16, v9, v1
	v_dual_sub_nc_u32 v7, v7, v16 :: v_dual_add_nc_u32 v16, 1, v9
	s_delay_alu instid0(VALU_DEP_1) | instskip(SKIP_1) | instid1(VALU_DEP_1)
	v_sub_nc_u32_e32 v17, v7, v1
	v_cmp_ge_u32_e64 s0, v7, v1
	v_dual_cndmask_b32 v9, v9, v16, s0 :: v_dual_cndmask_b32 v7, v7, v17, s0
	s_delay_alu instid0(VALU_DEP_1) | instskip(NEXT) | instid1(VALU_DEP_2)
	v_add_nc_u32_e32 v15, 1, v9
	v_cmp_ge_u32_e64 s0, v7, v1
	s_delay_alu instid0(VALU_DEP_1) | instskip(NEXT) | instid1(VALU_DEP_1)
	v_cndmask_b32_e64 v1, v9, v15, s0
	v_xor_b32_e32 v1, v1, v8
	s_delay_alu instid0(VALU_DEP_1) | instskip(NEXT) | instid1(VALU_DEP_1)
	v_sub_nc_u32_e32 v1, v1, v8
	v_mul_lo_u32 v1, v1, v14
	s_delay_alu instid0(VALU_DEP_1) | instskip(NEXT) | instid1(VALU_DEP_1)
	v_sub_nc_u32_e32 v7, 0, v1
	v_max_i32_e32 v1, v1, v7
.LBB59_50:
	s_or_b32 exec_lo, exec_lo, s3
.LBB59_51:
	s_delay_alu instid0(SALU_CYCLE_1) | instskip(SKIP_2) | instid1(VALU_DEP_1)
	s_or_b32 exec_lo, exec_lo, s1
	v_or_b32_e32 v7, 0x200, v0
	s_mov_b32 s1, exec_lo
	v_cmpx_gt_i32_e64 s10, v7
	s_cbranch_execz .LBB59_59
; %bb.52:
	v_sub_nc_u32_e32 v4, 0, v5
	s_mov_b32 s6, 0
	s_mov_b32 s3, exec_lo
	s_delay_alu instid0(VALU_DEP_1)
	v_dual_sub_nc_u32 v7, 0, v13 :: v_dual_max_i32 v8, v5, v4
	v_cmpx_ne_u32_e32 0, v13
	s_cbranch_execz .LBB59_56
; %bb.53:
	s_delay_alu instid0(VALU_DEP_2)
	v_max_i32_e32 v9, v13, v7
.LBB59_54:                              ; =>This Inner Loop Header: Depth=1
	s_delay_alu instid0(VALU_DEP_1) | instskip(NEXT) | instid1(VALU_DEP_1)
	v_mov_b32_e32 v4, v9
	v_cvt_f32_u32_e32 v9, v4
	s_delay_alu instid0(VALU_DEP_1) | instskip(SKIP_2) | instid1(TRANS32_DEP_1)
	v_rcp_iflag_f32_e32 v9, v9
	s_wait_loadcnt 0x0
	v_nop
	v_dual_mul_f32 v9, 0x4f7ffffe, v9 :: v_dual_sub_nc_u32 v14, 0, v4
	s_delay_alu instid0(VALU_DEP_1) | instskip(NEXT) | instid1(VALU_DEP_1)
	v_cvt_u32_f32_e32 v9, v9
	v_mul_lo_u32 v14, v14, v9
	s_delay_alu instid0(VALU_DEP_1) | instskip(NEXT) | instid1(VALU_DEP_1)
	v_mul_hi_u32 v14, v9, v14
	v_add_nc_u32_e32 v9, v9, v14
	s_delay_alu instid0(VALU_DEP_1) | instskip(NEXT) | instid1(VALU_DEP_1)
	v_mul_hi_u32 v9, v8, v9
	v_mul_lo_u32 v9, v9, v4
	s_delay_alu instid0(VALU_DEP_1) | instskip(NEXT) | instid1(VALU_DEP_1)
	v_sub_nc_u32_e32 v8, v8, v9
	v_sub_nc_u32_e32 v9, v8, v4
	v_cmp_ge_u32_e64 s0, v8, v4
	s_delay_alu instid0(VALU_DEP_1) | instskip(NEXT) | instid1(VALU_DEP_1)
	v_cndmask_b32_e64 v8, v8, v9, s0
	v_sub_nc_u32_e32 v9, v8, v4
	v_cmp_ge_u32_e64 s0, v8, v4
	s_delay_alu instid0(VALU_DEP_1) | instskip(SKIP_1) | instid1(VALU_DEP_2)
	v_cndmask_b32_e64 v9, v8, v9, s0
	v_mov_b32_e32 v8, v4
	v_cmp_eq_u32_e64 s0, 0, v9
	s_or_b32 s6, s0, s6
	s_delay_alu instid0(SALU_CYCLE_1)
	s_and_not1_b32 exec_lo, exec_lo, s6
	s_cbranch_execnz .LBB59_54
; %bb.55:
	s_or_b32 exec_lo, exec_lo, s6
	v_mov_b32_e32 v8, v4
.LBB59_56:
	s_or_b32 exec_lo, exec_lo, s3
	v_mov_b32_e32 v4, 0
	s_mov_b32 s3, exec_lo
	s_delay_alu instid0(VALU_DEP_2)
	v_cmpx_ne_u32_e32 0, v8
	s_cbranch_execz .LBB59_58
; %bb.57:
	v_dual_sub_nc_u32 v4, 0, v8 :: v_dual_max_i32 v7, v13, v7
	s_delay_alu instid0(VALU_DEP_1) | instskip(NEXT) | instid1(VALU_DEP_1)
	v_max_i32_e32 v4, v8, v4
	v_cvt_f32_u32_e32 v9, v4
	s_wait_loadcnt 0x0
	v_sub_nc_u32_e32 v14, 0, v4
	s_delay_alu instid0(VALU_DEP_2) | instskip(SKIP_1) | instid1(TRANS32_DEP_1)
	v_rcp_iflag_f32_e32 v9, v9
	v_nop
	v_mul_f32_e32 v9, 0x4f7ffffe, v9
	s_delay_alu instid0(VALU_DEP_1) | instskip(NEXT) | instid1(VALU_DEP_1)
	v_cvt_u32_f32_e32 v9, v9
	v_mul_lo_u32 v14, v14, v9
	s_delay_alu instid0(VALU_DEP_1) | instskip(NEXT) | instid1(VALU_DEP_1)
	v_mul_hi_u32 v14, v9, v14
	v_add_nc_u32_e32 v9, v9, v14
	s_delay_alu instid0(VALU_DEP_1) | instskip(NEXT) | instid1(VALU_DEP_1)
	v_mul_hi_u32 v9, v7, v9
	v_mul_lo_u32 v14, v9, v4
	s_delay_alu instid0(VALU_DEP_1) | instskip(NEXT) | instid1(VALU_DEP_1)
	v_dual_sub_nc_u32 v7, v7, v14 :: v_dual_add_nc_u32 v14, 1, v9
	v_cmp_ge_u32_e64 s0, v7, v4
	s_delay_alu instid0(VALU_DEP_1) | instskip(NEXT) | instid1(VALU_DEP_1)
	v_dual_sub_nc_u32 v15, v7, v4 :: v_dual_cndmask_b32 v9, v9, v14, s0
	v_dual_cndmask_b32 v7, v7, v15, s0 :: v_dual_bitop2_b32 v8, v13, v8 bitop3:0x14
	s_delay_alu instid0(VALU_DEP_1) | instskip(NEXT) | instid1(VALU_DEP_2)
	v_dual_add_nc_u32 v13, 1, v9 :: v_dual_ashrrev_i32 v8, 31, v8
	v_cmp_ge_u32_e64 s0, v7, v4
	s_delay_alu instid0(VALU_DEP_1) | instskip(NEXT) | instid1(VALU_DEP_1)
	v_cndmask_b32_e64 v4, v9, v13, s0
	v_xor_b32_e32 v4, v4, v8
	s_delay_alu instid0(VALU_DEP_1) | instskip(NEXT) | instid1(VALU_DEP_1)
	v_sub_nc_u32_e32 v4, v4, v8
	v_mul_lo_u32 v4, v4, v5
	s_delay_alu instid0(VALU_DEP_1) | instskip(NEXT) | instid1(VALU_DEP_1)
	v_sub_nc_u32_e32 v5, 0, v4
	v_max_i32_e32 v4, v4, v5
.LBB59_58:
	s_or_b32 exec_lo, exec_lo, s3
.LBB59_59:
	s_delay_alu instid0(SALU_CYCLE_1) | instskip(SKIP_2) | instid1(VALU_DEP_1)
	s_or_b32 exec_lo, exec_lo, s1
	v_or_b32_e32 v5, 0x300, v0
	s_mov_b32 s1, exec_lo
	v_cmpx_gt_i32_e64 s10, v5
	s_cbranch_execnz .LBB59_66
; %bb.60:
	s_or_b32 exec_lo, exec_lo, s1
	s_and_saveexec_b32 s0, vcc_lo
	s_delay_alu instid0(SALU_CYCLE_1)
	s_xor_b32 s0, exec_lo, s0
	s_cbranch_execnz .LBB59_73
.LBB59_61:
	s_or_b32 exec_lo, exec_lo, s0
	s_delay_alu instid0(SALU_CYCLE_1)
	s_mov_b32 s0, exec_lo
	v_cmpx_gt_i32_e64 s10, v0
	s_cbranch_execnz .LBB59_74
.LBB59_62:
	s_or_b32 exec_lo, exec_lo, s0
	s_delay_alu instid0(SALU_CYCLE_1)
	s_mov_b32 s0, exec_lo
	v_cmpx_gt_i32_e64 s10, v0
	s_cbranch_execnz .LBB59_75
.LBB59_63:
	s_or_b32 exec_lo, exec_lo, s0
	s_delay_alu instid0(SALU_CYCLE_1)
	s_mov_b32 s0, exec_lo
	v_cmpx_gt_i32_e64 s10, v0
	s_cbranch_execz .LBB59_65
.LBB59_64:
	v_add_nc_u32_e32 v0, s2, v0
	global_store_b32 v0, v3, s[4:5] scale_offset
.LBB59_65:
	s_endpgm
.LBB59_66:
	v_dual_sub_nc_u32 v3, 0, v6 :: v_dual_sub_nc_u32 v5, 0, v12
	s_mov_b32 s6, 0
	s_mov_b32 s3, exec_lo
	s_delay_alu instid0(VALU_DEP_1)
	v_max_i32_e32 v7, v6, v3
	v_cmpx_ne_u32_e32 0, v12
	s_cbranch_execz .LBB59_70
; %bb.67:
	v_max_i32_e32 v8, v12, v5
.LBB59_68:                              ; =>This Inner Loop Header: Depth=1
	s_delay_alu instid0(VALU_DEP_1) | instskip(NEXT) | instid1(VALU_DEP_1)
	v_mov_b32_e32 v3, v8
	v_cvt_f32_u32_e32 v8, v3
	s_delay_alu instid0(VALU_DEP_1) | instskip(SKIP_1) | instid1(TRANS32_DEP_1)
	v_rcp_iflag_f32_e32 v8, v8
	v_nop
	v_dual_mul_f32 v8, 0x4f7ffffe, v8 :: v_dual_sub_nc_u32 v9, 0, v3
	s_delay_alu instid0(VALU_DEP_1) | instskip(NEXT) | instid1(VALU_DEP_1)
	v_cvt_u32_f32_e32 v8, v8
	v_mul_lo_u32 v9, v9, v8
	s_delay_alu instid0(VALU_DEP_1) | instskip(NEXT) | instid1(VALU_DEP_1)
	v_mul_hi_u32 v9, v8, v9
	v_add_nc_u32_e32 v8, v8, v9
	s_delay_alu instid0(VALU_DEP_1) | instskip(NEXT) | instid1(VALU_DEP_1)
	v_mul_hi_u32 v8, v7, v8
	v_mul_lo_u32 v8, v8, v3
	s_delay_alu instid0(VALU_DEP_1) | instskip(NEXT) | instid1(VALU_DEP_1)
	v_sub_nc_u32_e32 v7, v7, v8
	v_sub_nc_u32_e32 v8, v7, v3
	v_cmp_ge_u32_e64 s0, v7, v3
	s_delay_alu instid0(VALU_DEP_1) | instskip(NEXT) | instid1(VALU_DEP_1)
	v_cndmask_b32_e64 v7, v7, v8, s0
	v_sub_nc_u32_e32 v8, v7, v3
	v_cmp_ge_u32_e64 s0, v7, v3
	s_delay_alu instid0(VALU_DEP_1) | instskip(SKIP_1) | instid1(VALU_DEP_2)
	v_cndmask_b32_e64 v8, v7, v8, s0
	v_mov_b32_e32 v7, v3
	v_cmp_eq_u32_e64 s0, 0, v8
	s_or_b32 s6, s0, s6
	s_delay_alu instid0(SALU_CYCLE_1)
	s_and_not1_b32 exec_lo, exec_lo, s6
	s_cbranch_execnz .LBB59_68
; %bb.69:
	s_or_b32 exec_lo, exec_lo, s6
	v_mov_b32_e32 v7, v3
.LBB59_70:
	s_or_b32 exec_lo, exec_lo, s3
	v_mov_b32_e32 v3, 0
	s_mov_b32 s3, exec_lo
	s_delay_alu instid0(VALU_DEP_2)
	v_cmpx_ne_u32_e32 0, v7
	s_cbranch_execz .LBB59_72
; %bb.71:
	v_dual_sub_nc_u32 v3, 0, v7 :: v_dual_max_i32 v5, v12, v5
	s_delay_alu instid0(VALU_DEP_1) | instskip(NEXT) | instid1(VALU_DEP_1)
	v_max_i32_e32 v3, v7, v3
	v_cvt_f32_u32_e32 v8, v3
	v_sub_nc_u32_e32 v9, 0, v3
	s_delay_alu instid0(VALU_DEP_2) | instskip(SKIP_1) | instid1(TRANS32_DEP_1)
	v_rcp_iflag_f32_e32 v8, v8
	v_nop
	v_mul_f32_e32 v8, 0x4f7ffffe, v8
	s_delay_alu instid0(VALU_DEP_1) | instskip(NEXT) | instid1(VALU_DEP_1)
	v_cvt_u32_f32_e32 v8, v8
	v_mul_lo_u32 v9, v9, v8
	s_delay_alu instid0(VALU_DEP_1) | instskip(NEXT) | instid1(VALU_DEP_1)
	v_mul_hi_u32 v9, v8, v9
	v_add_nc_u32_e32 v8, v8, v9
	s_delay_alu instid0(VALU_DEP_1) | instskip(NEXT) | instid1(VALU_DEP_1)
	v_mul_hi_u32 v8, v5, v8
	v_mul_lo_u32 v9, v8, v3
	s_delay_alu instid0(VALU_DEP_1) | instskip(NEXT) | instid1(VALU_DEP_1)
	v_dual_sub_nc_u32 v5, v5, v9 :: v_dual_add_nc_u32 v9, 1, v8
	v_cmp_ge_u32_e64 s0, v5, v3
	s_delay_alu instid0(VALU_DEP_1) | instskip(NEXT) | instid1(VALU_DEP_1)
	v_dual_sub_nc_u32 v13, v5, v3 :: v_dual_cndmask_b32 v8, v8, v9, s0
	v_dual_cndmask_b32 v5, v5, v13, s0 :: v_dual_bitop2_b32 v7, v12, v7 bitop3:0x14
	s_delay_alu instid0(VALU_DEP_1) | instskip(NEXT) | instid1(VALU_DEP_2)
	v_dual_add_nc_u32 v9, 1, v8 :: v_dual_ashrrev_i32 v7, 31, v7
	v_cmp_ge_u32_e64 s0, v5, v3
	s_delay_alu instid0(VALU_DEP_1) | instskip(NEXT) | instid1(VALU_DEP_1)
	v_cndmask_b32_e64 v3, v8, v9, s0
	v_xor_b32_e32 v3, v3, v7
	s_delay_alu instid0(VALU_DEP_1) | instskip(NEXT) | instid1(VALU_DEP_1)
	v_sub_nc_u32_e32 v3, v3, v7
	v_mul_lo_u32 v3, v3, v6
	s_delay_alu instid0(VALU_DEP_1) | instskip(NEXT) | instid1(VALU_DEP_1)
	v_sub_nc_u32_e32 v5, 0, v3
	v_max_i32_e32 v3, v3, v5
.LBB59_72:
	s_or_b32 exec_lo, exec_lo, s3
	s_delay_alu instid0(SALU_CYCLE_1) | instskip(SKIP_1) | instid1(SALU_CYCLE_1)
	s_or_b32 exec_lo, exec_lo, s1
	s_and_saveexec_b32 s0, vcc_lo
	s_xor_b32 s0, exec_lo, s0
	s_cbranch_execz .LBB59_61
.LBB59_73:
	v_mov_b32_e32 v0, v11
	global_store_b32 v10, v2, s[4:5] scale_offset
	s_wait_xcnt 0x0
	s_or_b32 exec_lo, exec_lo, s0
	s_delay_alu instid0(SALU_CYCLE_1)
	s_mov_b32 s0, exec_lo
	v_cmpx_gt_i32_e64 s10, v0
	s_cbranch_execz .LBB59_62
.LBB59_74:
	v_add_nc_u32_e32 v2, s2, v0
	v_add_nc_u32_e32 v0, 0x100, v0
	global_store_b32 v2, v1, s[4:5] scale_offset
	s_wait_xcnt 0x0
	s_or_b32 exec_lo, exec_lo, s0
	s_delay_alu instid0(SALU_CYCLE_1)
	s_mov_b32 s0, exec_lo
	v_cmpx_gt_i32_e64 s10, v0
	s_cbranch_execz .LBB59_63
.LBB59_75:
	v_add_nc_u32_e32 v1, s2, v0
	v_add_nc_u32_e32 v0, 0x100, v0
	global_store_b32 v1, v4, s[4:5] scale_offset
	s_wait_xcnt 0x0
	s_or_b32 exec_lo, exec_lo, s0
	s_delay_alu instid0(SALU_CYCLE_1)
	s_mov_b32 s0, exec_lo
	v_cmpx_gt_i32_e64 s10, v0
	s_cbranch_execnz .LBB59_64
	s_branch .LBB59_65
	.section	.rodata,"a",@progbits
	.p2align	6, 0x0
	.amdhsa_kernel _ZN2at6native29vectorized_elementwise_kernelILi2EZZZNS0_15lcm_kernel_cudaERNS_18TensorIteratorBaseEENKUlvE_clEvENKUlvE1_clEvEUliiE_St5arrayIPcLm3EEEEviT0_T1_
		.amdhsa_group_segment_fixed_size 0
		.amdhsa_private_segment_fixed_size 0
		.amdhsa_kernarg_size 32
		.amdhsa_user_sgpr_count 2
		.amdhsa_user_sgpr_dispatch_ptr 0
		.amdhsa_user_sgpr_queue_ptr 0
		.amdhsa_user_sgpr_kernarg_segment_ptr 1
		.amdhsa_user_sgpr_dispatch_id 0
		.amdhsa_user_sgpr_kernarg_preload_length 0
		.amdhsa_user_sgpr_kernarg_preload_offset 0
		.amdhsa_user_sgpr_private_segment_size 0
		.amdhsa_wavefront_size32 1
		.amdhsa_uses_dynamic_stack 0
		.amdhsa_enable_private_segment 0
		.amdhsa_system_sgpr_workgroup_id_x 1
		.amdhsa_system_sgpr_workgroup_id_y 0
		.amdhsa_system_sgpr_workgroup_id_z 0
		.amdhsa_system_sgpr_workgroup_info 0
		.amdhsa_system_vgpr_workitem_id 0
		.amdhsa_next_free_vgpr 18
		.amdhsa_next_free_sgpr 16
		.amdhsa_named_barrier_count 0
		.amdhsa_reserve_vcc 1
		.amdhsa_float_round_mode_32 0
		.amdhsa_float_round_mode_16_64 0
		.amdhsa_float_denorm_mode_32 3
		.amdhsa_float_denorm_mode_16_64 3
		.amdhsa_fp16_overflow 0
		.amdhsa_memory_ordered 1
		.amdhsa_forward_progress 1
		.amdhsa_inst_pref_size 37
		.amdhsa_round_robin_scheduling 0
		.amdhsa_exception_fp_ieee_invalid_op 0
		.amdhsa_exception_fp_denorm_src 0
		.amdhsa_exception_fp_ieee_div_zero 0
		.amdhsa_exception_fp_ieee_overflow 0
		.amdhsa_exception_fp_ieee_underflow 0
		.amdhsa_exception_fp_ieee_inexact 0
		.amdhsa_exception_int_div_zero 0
	.end_amdhsa_kernel
	.section	.text._ZN2at6native29vectorized_elementwise_kernelILi2EZZZNS0_15lcm_kernel_cudaERNS_18TensorIteratorBaseEENKUlvE_clEvENKUlvE1_clEvEUliiE_St5arrayIPcLm3EEEEviT0_T1_,"axG",@progbits,_ZN2at6native29vectorized_elementwise_kernelILi2EZZZNS0_15lcm_kernel_cudaERNS_18TensorIteratorBaseEENKUlvE_clEvENKUlvE1_clEvEUliiE_St5arrayIPcLm3EEEEviT0_T1_,comdat
.Lfunc_end59:
	.size	_ZN2at6native29vectorized_elementwise_kernelILi2EZZZNS0_15lcm_kernel_cudaERNS_18TensorIteratorBaseEENKUlvE_clEvENKUlvE1_clEvEUliiE_St5arrayIPcLm3EEEEviT0_T1_, .Lfunc_end59-_ZN2at6native29vectorized_elementwise_kernelILi2EZZZNS0_15lcm_kernel_cudaERNS_18TensorIteratorBaseEENKUlvE_clEvENKUlvE1_clEvEUliiE_St5arrayIPcLm3EEEEviT0_T1_
                                        ; -- End function
	.set _ZN2at6native29vectorized_elementwise_kernelILi2EZZZNS0_15lcm_kernel_cudaERNS_18TensorIteratorBaseEENKUlvE_clEvENKUlvE1_clEvEUliiE_St5arrayIPcLm3EEEEviT0_T1_.num_vgpr, 18
	.set _ZN2at6native29vectorized_elementwise_kernelILi2EZZZNS0_15lcm_kernel_cudaERNS_18TensorIteratorBaseEENKUlvE_clEvENKUlvE1_clEvEUliiE_St5arrayIPcLm3EEEEviT0_T1_.num_agpr, 0
	.set _ZN2at6native29vectorized_elementwise_kernelILi2EZZZNS0_15lcm_kernel_cudaERNS_18TensorIteratorBaseEENKUlvE_clEvENKUlvE1_clEvEUliiE_St5arrayIPcLm3EEEEviT0_T1_.numbered_sgpr, 16
	.set _ZN2at6native29vectorized_elementwise_kernelILi2EZZZNS0_15lcm_kernel_cudaERNS_18TensorIteratorBaseEENKUlvE_clEvENKUlvE1_clEvEUliiE_St5arrayIPcLm3EEEEviT0_T1_.num_named_barrier, 0
	.set _ZN2at6native29vectorized_elementwise_kernelILi2EZZZNS0_15lcm_kernel_cudaERNS_18TensorIteratorBaseEENKUlvE_clEvENKUlvE1_clEvEUliiE_St5arrayIPcLm3EEEEviT0_T1_.private_seg_size, 0
	.set _ZN2at6native29vectorized_elementwise_kernelILi2EZZZNS0_15lcm_kernel_cudaERNS_18TensorIteratorBaseEENKUlvE_clEvENKUlvE1_clEvEUliiE_St5arrayIPcLm3EEEEviT0_T1_.uses_vcc, 1
	.set _ZN2at6native29vectorized_elementwise_kernelILi2EZZZNS0_15lcm_kernel_cudaERNS_18TensorIteratorBaseEENKUlvE_clEvENKUlvE1_clEvEUliiE_St5arrayIPcLm3EEEEviT0_T1_.uses_flat_scratch, 0
	.set _ZN2at6native29vectorized_elementwise_kernelILi2EZZZNS0_15lcm_kernel_cudaERNS_18TensorIteratorBaseEENKUlvE_clEvENKUlvE1_clEvEUliiE_St5arrayIPcLm3EEEEviT0_T1_.has_dyn_sized_stack, 0
	.set _ZN2at6native29vectorized_elementwise_kernelILi2EZZZNS0_15lcm_kernel_cudaERNS_18TensorIteratorBaseEENKUlvE_clEvENKUlvE1_clEvEUliiE_St5arrayIPcLm3EEEEviT0_T1_.has_recursion, 0
	.set _ZN2at6native29vectorized_elementwise_kernelILi2EZZZNS0_15lcm_kernel_cudaERNS_18TensorIteratorBaseEENKUlvE_clEvENKUlvE1_clEvEUliiE_St5arrayIPcLm3EEEEviT0_T1_.has_indirect_call, 0
	.section	.AMDGPU.csdata,"",@progbits
; Kernel info:
; codeLenInByte = 4656
; TotalNumSgprs: 18
; NumVgprs: 18
; ScratchSize: 0
; MemoryBound: 0
; FloatMode: 240
; IeeeMode: 1
; LDSByteSize: 0 bytes/workgroup (compile time only)
; SGPRBlocks: 0
; VGPRBlocks: 1
; NumSGPRsForWavesPerEU: 18
; NumVGPRsForWavesPerEU: 18
; NamedBarCnt: 0
; Occupancy: 16
; WaveLimiterHint : 1
; COMPUTE_PGM_RSRC2:SCRATCH_EN: 0
; COMPUTE_PGM_RSRC2:USER_SGPR: 2
; COMPUTE_PGM_RSRC2:TRAP_HANDLER: 0
; COMPUTE_PGM_RSRC2:TGID_X_EN: 1
; COMPUTE_PGM_RSRC2:TGID_Y_EN: 0
; COMPUTE_PGM_RSRC2:TGID_Z_EN: 0
; COMPUTE_PGM_RSRC2:TIDIG_COMP_CNT: 0
	.section	.text._ZN2at6native27unrolled_elementwise_kernelIZZZNS0_15lcm_kernel_cudaERNS_18TensorIteratorBaseEENKUlvE_clEvENKUlvE1_clEvEUliiE_St5arrayIPcLm3EELi4E23TrivialOffsetCalculatorILi2EjESA_ILi1EjENS0_6memory15LoadWithoutCastENSD_16StoreWithoutCastEEEviT_T0_T2_T3_T4_T5_,"axG",@progbits,_ZN2at6native27unrolled_elementwise_kernelIZZZNS0_15lcm_kernel_cudaERNS_18TensorIteratorBaseEENKUlvE_clEvENKUlvE1_clEvEUliiE_St5arrayIPcLm3EELi4E23TrivialOffsetCalculatorILi2EjESA_ILi1EjENS0_6memory15LoadWithoutCastENSD_16StoreWithoutCastEEEviT_T0_T2_T3_T4_T5_,comdat
	.globl	_ZN2at6native27unrolled_elementwise_kernelIZZZNS0_15lcm_kernel_cudaERNS_18TensorIteratorBaseEENKUlvE_clEvENKUlvE1_clEvEUliiE_St5arrayIPcLm3EELi4E23TrivialOffsetCalculatorILi2EjESA_ILi1EjENS0_6memory15LoadWithoutCastENSD_16StoreWithoutCastEEEviT_T0_T2_T3_T4_T5_ ; -- Begin function _ZN2at6native27unrolled_elementwise_kernelIZZZNS0_15lcm_kernel_cudaERNS_18TensorIteratorBaseEENKUlvE_clEvENKUlvE1_clEvEUliiE_St5arrayIPcLm3EELi4E23TrivialOffsetCalculatorILi2EjESA_ILi1EjENS0_6memory15LoadWithoutCastENSD_16StoreWithoutCastEEEviT_T0_T2_T3_T4_T5_
	.p2align	8
	.type	_ZN2at6native27unrolled_elementwise_kernelIZZZNS0_15lcm_kernel_cudaERNS_18TensorIteratorBaseEENKUlvE_clEvENKUlvE1_clEvEUliiE_St5arrayIPcLm3EELi4E23TrivialOffsetCalculatorILi2EjESA_ILi1EjENS0_6memory15LoadWithoutCastENSD_16StoreWithoutCastEEEviT_T0_T2_T3_T4_T5_,@function
_ZN2at6native27unrolled_elementwise_kernelIZZZNS0_15lcm_kernel_cudaERNS_18TensorIteratorBaseEENKUlvE_clEvENKUlvE1_clEvEUliiE_St5arrayIPcLm3EELi4E23TrivialOffsetCalculatorILi2EjESA_ILi1EjENS0_6memory15LoadWithoutCastENSD_16StoreWithoutCastEEEviT_T0_T2_T3_T4_T5_: ; @_ZN2at6native27unrolled_elementwise_kernelIZZZNS0_15lcm_kernel_cudaERNS_18TensorIteratorBaseEENKUlvE_clEvENKUlvE1_clEvEUliiE_St5arrayIPcLm3EELi4E23TrivialOffsetCalculatorILi2EjESA_ILi1EjENS0_6memory15LoadWithoutCastENSD_16StoreWithoutCastEEEviT_T0_T2_T3_T4_T5_
; %bb.0:
	s_load_b32 s8, s[0:1], 0x0
	s_bfe_u32 s10, ttmp6, 0x4000c
	s_clause 0x1
	s_load_b128 s[4:7], s[0:1], 0x8
	s_load_b64 s[2:3], s[0:1], 0x18
	s_add_co_i32 s10, s10, 1
	s_and_b32 s9, ttmp6, 15
	s_wait_xcnt 0x0
	s_mul_i32 s0, ttmp9, s10
	s_getreg_b32 s11, hwreg(HW_REG_IB_STS2, 6, 4)
	s_add_co_i32 s9, s9, s0
	s_cmp_eq_u32 s11, 0
	v_dual_mov_b32 v2, 0 :: v_dual_mov_b32 v8, 0
	s_cselect_b32 s0, ttmp9, s9
	v_dual_mov_b32 v7, 0 :: v_dual_mov_b32 v10, 0
	s_lshl_b32 s1, s0, 10
	v_dual_mov_b32 v9, 0 :: v_dual_mov_b32 v12, 0
	v_dual_mov_b32 v11, 0 :: v_dual_bitop2_b32 v6, s1, v0 bitop3:0x54
	v_or_b32_e32 v5, 0x100, v0
	s_wait_kmcnt 0x0
	s_sub_co_i32 s8, s8, s1
	v_dual_mov_b32 v14, 0 :: v_dual_mov_b32 v13, 0
	v_cmp_gt_i32_e32 vcc_lo, s8, v0
	s_and_saveexec_b32 s9, vcc_lo
	s_cbranch_execz .LBB60_8
; %bb.1:
	s_clause 0x1
	global_load_b32 v14, v6, s[6:7] scale_offset
	global_load_b32 v13, v6, s[2:3] scale_offset
	v_or_b32_e32 v1, 0x100, v0
	v_dual_mov_b32 v11, 0 :: v_dual_mov_b32 v12, 0
	v_dual_mov_b32 v9, 0 :: v_dual_mov_b32 v10, 0
	;; [unrolled: 1-line block ×3, first 2 shown]
	s_mov_b32 s10, exec_lo
	s_wait_xcnt 0x0
	v_cmpx_gt_u32_e64 s8, v1
	s_cbranch_execz .LBB60_7
; %bb.2:
	v_dual_add_nc_u32 v1, s1, v1 :: v_dual_mov_b32 v9, 0
	v_dual_mov_b32 v10, 0 :: v_dual_mov_b32 v7, 0
	v_mov_b32_e32 v8, 0
	s_clause 0x1
	global_load_b32 v12, v1, s[6:7] scale_offset
	global_load_b32 v11, v1, s[2:3] scale_offset
	s_wait_xcnt 0x0
	v_or_b32_e32 v1, 0x200, v0
	s_mov_b32 s11, exec_lo
	s_delay_alu instid0(VALU_DEP_1)
	v_cmpx_gt_u32_e64 s8, v1
	s_cbranch_execz .LBB60_6
; %bb.3:
	v_dual_add_nc_u32 v1, s1, v1 :: v_dual_mov_b32 v7, 0
	v_mov_b32_e32 v8, 0
	s_mov_b32 s12, exec_lo
	s_clause 0x1
	global_load_b32 v10, v1, s[6:7] scale_offset
	global_load_b32 v9, v1, s[2:3] scale_offset
	s_wait_xcnt 0x0
	v_or_b32_e32 v1, 0x300, v0
	s_delay_alu instid0(VALU_DEP_1)
	v_cmpx_gt_u32_e64 s8, v1
	s_cbranch_execz .LBB60_5
; %bb.4:
	v_add_nc_u32_e32 v1, s1, v1
	s_clause 0x1
	global_load_b32 v8, v1, s[6:7] scale_offset
	global_load_b32 v7, v1, s[2:3] scale_offset
.LBB60_5:
	s_wait_xcnt 0x0
	s_or_b32 exec_lo, exec_lo, s12
.LBB60_6:
	s_delay_alu instid0(SALU_CYCLE_1)
	s_or_b32 exec_lo, exec_lo, s11
.LBB60_7:
	s_delay_alu instid0(SALU_CYCLE_1)
	s_or_b32 exec_lo, exec_lo, s10
.LBB60_8:
	s_delay_alu instid0(SALU_CYCLE_1)
	s_or_b32 exec_lo, exec_lo, s9
	v_dual_mov_b32 v1, v2 :: v_dual_mov_b32 v4, v2
	v_mov_b32_e32 v3, v2
	s_and_saveexec_b32 s2, vcc_lo
	s_cbranch_execz .LBB60_16
; %bb.9:
	s_wait_loadcnt 0x0
	v_dual_sub_nc_u32 v1, 0, v13 :: v_dual_sub_nc_u32 v3, 0, v14
	s_mov_b32 s3, exec_lo
	s_delay_alu instid0(VALU_DEP_1)
	v_max_i32_e32 v4, v13, v1
	v_cmpx_ne_u32_e32 0, v14
	s_cbranch_execz .LBB60_13
; %bb.10:
	v_max_i32_e32 v2, v14, v3
	s_mov_b32 s6, 0
.LBB60_11:                              ; =>This Inner Loop Header: Depth=1
	s_delay_alu instid0(VALU_DEP_1) | instskip(NEXT) | instid1(VALU_DEP_1)
	v_mov_b32_e32 v1, v2
	v_cvt_f32_u32_e32 v2, v1
	s_delay_alu instid0(VALU_DEP_1) | instskip(SKIP_1) | instid1(TRANS32_DEP_1)
	v_rcp_iflag_f32_e32 v2, v2
	v_nop
	v_dual_mul_f32 v2, 0x4f7ffffe, v2 :: v_dual_sub_nc_u32 v15, 0, v1
	s_delay_alu instid0(VALU_DEP_1) | instskip(NEXT) | instid1(VALU_DEP_1)
	v_cvt_u32_f32_e32 v2, v2
	v_mul_lo_u32 v15, v15, v2
	s_delay_alu instid0(VALU_DEP_1) | instskip(NEXT) | instid1(VALU_DEP_1)
	v_mul_hi_u32 v15, v2, v15
	v_add_nc_u32_e32 v2, v2, v15
	s_delay_alu instid0(VALU_DEP_1) | instskip(NEXT) | instid1(VALU_DEP_1)
	v_mul_hi_u32 v2, v4, v2
	v_mul_lo_u32 v2, v2, v1
	s_delay_alu instid0(VALU_DEP_1) | instskip(NEXT) | instid1(VALU_DEP_1)
	v_sub_nc_u32_e32 v2, v4, v2
	v_sub_nc_u32_e32 v4, v2, v1
	v_cmp_ge_u32_e64 s0, v2, v1
	s_delay_alu instid0(VALU_DEP_1) | instskip(NEXT) | instid1(VALU_DEP_1)
	v_cndmask_b32_e64 v2, v2, v4, s0
	v_sub_nc_u32_e32 v4, v2, v1
	v_cmp_ge_u32_e64 s0, v2, v1
	s_delay_alu instid0(VALU_DEP_1) | instskip(NEXT) | instid1(VALU_DEP_1)
	v_dual_cndmask_b32 v2, v2, v4, s0 :: v_dual_mov_b32 v4, v1
	v_cmp_eq_u32_e64 s0, 0, v2
	s_or_b32 s6, s0, s6
	s_delay_alu instid0(SALU_CYCLE_1)
	s_and_not1_b32 exec_lo, exec_lo, s6
	s_cbranch_execnz .LBB60_11
; %bb.12:
	s_or_b32 exec_lo, exec_lo, s6
	v_mov_b32_e32 v4, v1
.LBB60_13:
	s_or_b32 exec_lo, exec_lo, s3
	v_dual_mov_b32 v1, 0 :: v_dual_mov_b32 v2, 0
	s_mov_b32 s3, exec_lo
	s_delay_alu instid0(VALU_DEP_2)
	v_cmpx_ne_u32_e32 0, v4
	s_cbranch_execz .LBB60_15
; %bb.14:
	v_dual_sub_nc_u32 v2, 0, v4 :: v_dual_max_i32 v3, v14, v3
	s_delay_alu instid0(VALU_DEP_1) | instskip(SKIP_1) | instid1(VALU_DEP_2)
	v_max_i32_e32 v2, v4, v2
	v_xor_b32_e32 v4, v14, v4
	v_cvt_f32_u32_e32 v15, v2
	v_sub_nc_u32_e32 v16, 0, v2
	s_delay_alu instid0(VALU_DEP_2) | instskip(SKIP_1) | instid1(TRANS32_DEP_1)
	v_rcp_iflag_f32_e32 v15, v15
	v_nop
	v_mul_f32_e32 v15, 0x4f7ffffe, v15
	s_delay_alu instid0(VALU_DEP_1) | instskip(NEXT) | instid1(VALU_DEP_1)
	v_cvt_u32_f32_e32 v15, v15
	v_mul_lo_u32 v16, v16, v15
	s_delay_alu instid0(VALU_DEP_1) | instskip(NEXT) | instid1(VALU_DEP_1)
	v_mul_hi_u32 v16, v15, v16
	v_add_nc_u32_e32 v15, v15, v16
	s_delay_alu instid0(VALU_DEP_1) | instskip(NEXT) | instid1(VALU_DEP_1)
	v_mul_hi_u32 v15, v3, v15
	v_mul_lo_u32 v16, v15, v2
	s_delay_alu instid0(VALU_DEP_1) | instskip(NEXT) | instid1(VALU_DEP_1)
	v_dual_sub_nc_u32 v3, v3, v16 :: v_dual_add_nc_u32 v16, 1, v15
	v_sub_nc_u32_e32 v17, v3, v2
	v_cmp_ge_u32_e64 s0, v3, v2
	s_delay_alu instid0(VALU_DEP_1) | instskip(NEXT) | instid1(VALU_DEP_1)
	v_cndmask_b32_e64 v15, v15, v16, s0
	v_dual_cndmask_b32 v3, v3, v17, s0 :: v_dual_add_nc_u32 v14, 1, v15
	s_delay_alu instid0(VALU_DEP_1) | instskip(NEXT) | instid1(VALU_DEP_1)
	v_cmp_ge_u32_e64 s0, v3, v2
	v_dual_ashrrev_i32 v4, 31, v4 :: v_dual_cndmask_b32 v2, v15, v14, s0
	s_delay_alu instid0(VALU_DEP_1) | instskip(NEXT) | instid1(VALU_DEP_1)
	v_xor_b32_e32 v2, v2, v4
	v_sub_nc_u32_e32 v2, v2, v4
	s_delay_alu instid0(VALU_DEP_1) | instskip(NEXT) | instid1(VALU_DEP_1)
	v_mul_lo_u32 v2, v2, v13
	v_sub_nc_u32_e32 v3, 0, v2
	s_delay_alu instid0(VALU_DEP_1)
	v_max_i32_e32 v2, v2, v3
.LBB60_15:
	s_or_b32 exec_lo, exec_lo, s3
	v_dual_mov_b32 v4, v1 :: v_dual_mov_b32 v3, v1
.LBB60_16:
	s_or_b32 exec_lo, exec_lo, s2
	s_delay_alu instid0(SALU_CYCLE_1)
	s_mov_b32 s2, exec_lo
	v_cmpx_gt_i32_e64 s8, v5
	s_cbranch_execz .LBB60_24
; %bb.17:
	s_wait_loadcnt 0x0
	v_dual_sub_nc_u32 v1, 0, v11 :: v_dual_sub_nc_u32 v13, 0, v12
	s_mov_b32 s6, 0
	s_mov_b32 s3, exec_lo
	s_delay_alu instid0(VALU_DEP_1)
	v_max_i32_e32 v14, v11, v1
	v_cmpx_ne_u32_e32 0, v12
	s_cbranch_execz .LBB60_21
; %bb.18:
	v_max_i32_e32 v15, v12, v13
.LBB60_19:                              ; =>This Inner Loop Header: Depth=1
	s_delay_alu instid0(VALU_DEP_1) | instskip(NEXT) | instid1(VALU_DEP_1)
	v_mov_b32_e32 v1, v15
	v_cvt_f32_u32_e32 v15, v1
	v_sub_nc_u32_e32 v16, 0, v1
	s_delay_alu instid0(VALU_DEP_2) | instskip(SKIP_1) | instid1(TRANS32_DEP_1)
	v_rcp_iflag_f32_e32 v15, v15
	v_nop
	v_mul_f32_e32 v15, 0x4f7ffffe, v15
	s_delay_alu instid0(VALU_DEP_1) | instskip(NEXT) | instid1(VALU_DEP_1)
	v_cvt_u32_f32_e32 v15, v15
	v_mul_lo_u32 v16, v16, v15
	s_delay_alu instid0(VALU_DEP_1) | instskip(NEXT) | instid1(VALU_DEP_1)
	v_mul_hi_u32 v16, v15, v16
	v_add_nc_u32_e32 v15, v15, v16
	s_delay_alu instid0(VALU_DEP_1) | instskip(NEXT) | instid1(VALU_DEP_1)
	v_mul_hi_u32 v15, v14, v15
	v_mul_lo_u32 v15, v15, v1
	s_delay_alu instid0(VALU_DEP_1) | instskip(NEXT) | instid1(VALU_DEP_1)
	v_sub_nc_u32_e32 v14, v14, v15
	v_sub_nc_u32_e32 v15, v14, v1
	v_cmp_ge_u32_e64 s0, v14, v1
	s_delay_alu instid0(VALU_DEP_1) | instskip(NEXT) | instid1(VALU_DEP_1)
	v_cndmask_b32_e64 v14, v14, v15, s0
	v_sub_nc_u32_e32 v15, v14, v1
	v_cmp_ge_u32_e64 s0, v14, v1
	s_delay_alu instid0(VALU_DEP_1) | instskip(NEXT) | instid1(VALU_DEP_1)
	v_dual_cndmask_b32 v15, v14, v15, s0 :: v_dual_mov_b32 v14, v1
	v_cmp_eq_u32_e64 s0, 0, v15
	s_or_b32 s6, s0, s6
	s_delay_alu instid0(SALU_CYCLE_1)
	s_and_not1_b32 exec_lo, exec_lo, s6
	s_cbranch_execnz .LBB60_19
; %bb.20:
	s_or_b32 exec_lo, exec_lo, s6
	v_mov_b32_e32 v14, v1
.LBB60_21:
	s_or_b32 exec_lo, exec_lo, s3
	v_mov_b32_e32 v1, 0
	s_mov_b32 s3, exec_lo
	s_delay_alu instid0(VALU_DEP_2)
	v_cmpx_ne_u32_e32 0, v14
	s_cbranch_execz .LBB60_23
; %bb.22:
	v_dual_sub_nc_u32 v1, 0, v14 :: v_dual_max_i32 v13, v12, v13
	s_delay_alu instid0(VALU_DEP_1) | instskip(NEXT) | instid1(VALU_DEP_1)
	v_max_i32_e32 v1, v14, v1
	v_cvt_f32_u32_e32 v15, v1
	v_sub_nc_u32_e32 v16, 0, v1
	s_delay_alu instid0(VALU_DEP_2) | instskip(SKIP_1) | instid1(TRANS32_DEP_1)
	v_rcp_iflag_f32_e32 v15, v15
	v_nop
	v_mul_f32_e32 v15, 0x4f7ffffe, v15
	s_delay_alu instid0(VALU_DEP_1) | instskip(NEXT) | instid1(VALU_DEP_1)
	v_cvt_u32_f32_e32 v15, v15
	v_mul_lo_u32 v16, v16, v15
	s_delay_alu instid0(VALU_DEP_1) | instskip(NEXT) | instid1(VALU_DEP_1)
	v_mul_hi_u32 v16, v15, v16
	v_add_nc_u32_e32 v15, v15, v16
	s_delay_alu instid0(VALU_DEP_1) | instskip(NEXT) | instid1(VALU_DEP_1)
	v_mul_hi_u32 v15, v13, v15
	v_mul_lo_u32 v16, v15, v1
	s_delay_alu instid0(VALU_DEP_1) | instskip(NEXT) | instid1(VALU_DEP_1)
	v_dual_sub_nc_u32 v13, v13, v16 :: v_dual_add_nc_u32 v16, 1, v15
	v_cmp_ge_u32_e64 s0, v13, v1
	s_delay_alu instid0(VALU_DEP_1) | instskip(NEXT) | instid1(VALU_DEP_1)
	v_dual_sub_nc_u32 v17, v13, v1 :: v_dual_cndmask_b32 v15, v15, v16, s0
	v_dual_cndmask_b32 v13, v13, v17, s0 :: v_dual_bitop2_b32 v12, v12, v14 bitop3:0x14
	s_delay_alu instid0(VALU_DEP_1) | instskip(NEXT) | instid1(VALU_DEP_2)
	v_dual_add_nc_u32 v14, 1, v15 :: v_dual_ashrrev_i32 v12, 31, v12
	v_cmp_ge_u32_e64 s0, v13, v1
	s_delay_alu instid0(VALU_DEP_1) | instskip(NEXT) | instid1(VALU_DEP_1)
	v_cndmask_b32_e64 v1, v15, v14, s0
	v_xor_b32_e32 v1, v1, v12
	s_delay_alu instid0(VALU_DEP_1) | instskip(NEXT) | instid1(VALU_DEP_1)
	v_sub_nc_u32_e32 v1, v1, v12
	v_mul_lo_u32 v1, v1, v11
	s_delay_alu instid0(VALU_DEP_1) | instskip(NEXT) | instid1(VALU_DEP_1)
	v_sub_nc_u32_e32 v11, 0, v1
	v_max_i32_e32 v1, v1, v11
.LBB60_23:
	s_or_b32 exec_lo, exec_lo, s3
.LBB60_24:
	s_delay_alu instid0(SALU_CYCLE_1) | instskip(SKIP_3) | instid1(VALU_DEP_1)
	s_or_b32 exec_lo, exec_lo, s2
	s_wait_loadcnt 0x0
	v_or_b32_e32 v11, 0x200, v0
	s_mov_b32 s2, exec_lo
	v_cmpx_gt_i32_e64 s8, v11
	s_cbranch_execz .LBB60_32
; %bb.25:
	v_dual_sub_nc_u32 v4, 0, v9 :: v_dual_sub_nc_u32 v11, 0, v10
	s_mov_b32 s6, 0
	s_mov_b32 s3, exec_lo
	s_delay_alu instid0(VALU_DEP_1)
	v_max_i32_e32 v12, v9, v4
	v_cmpx_ne_u32_e32 0, v10
	s_cbranch_execz .LBB60_29
; %bb.26:
	v_max_i32_e32 v13, v10, v11
.LBB60_27:                              ; =>This Inner Loop Header: Depth=1
	s_delay_alu instid0(VALU_DEP_1) | instskip(NEXT) | instid1(VALU_DEP_1)
	v_mov_b32_e32 v4, v13
	v_cvt_f32_u32_e32 v13, v4
	s_delay_alu instid0(VALU_DEP_1) | instskip(SKIP_1) | instid1(TRANS32_DEP_1)
	v_rcp_iflag_f32_e32 v13, v13
	v_nop
	v_dual_mul_f32 v13, 0x4f7ffffe, v13 :: v_dual_sub_nc_u32 v14, 0, v4
	s_delay_alu instid0(VALU_DEP_1) | instskip(NEXT) | instid1(VALU_DEP_1)
	v_cvt_u32_f32_e32 v13, v13
	v_mul_lo_u32 v14, v14, v13
	s_delay_alu instid0(VALU_DEP_1) | instskip(NEXT) | instid1(VALU_DEP_1)
	v_mul_hi_u32 v14, v13, v14
	v_add_nc_u32_e32 v13, v13, v14
	s_delay_alu instid0(VALU_DEP_1) | instskip(NEXT) | instid1(VALU_DEP_1)
	v_mul_hi_u32 v13, v12, v13
	v_mul_lo_u32 v13, v13, v4
	s_delay_alu instid0(VALU_DEP_1) | instskip(NEXT) | instid1(VALU_DEP_1)
	v_sub_nc_u32_e32 v12, v12, v13
	v_sub_nc_u32_e32 v13, v12, v4
	v_cmp_ge_u32_e64 s0, v12, v4
	s_delay_alu instid0(VALU_DEP_1) | instskip(NEXT) | instid1(VALU_DEP_1)
	v_cndmask_b32_e64 v12, v12, v13, s0
	v_sub_nc_u32_e32 v13, v12, v4
	v_cmp_ge_u32_e64 s0, v12, v4
	s_delay_alu instid0(VALU_DEP_1) | instskip(SKIP_1) | instid1(VALU_DEP_2)
	v_cndmask_b32_e64 v13, v12, v13, s0
	v_mov_b32_e32 v12, v4
	v_cmp_eq_u32_e64 s0, 0, v13
	s_or_b32 s6, s0, s6
	s_delay_alu instid0(SALU_CYCLE_1)
	s_and_not1_b32 exec_lo, exec_lo, s6
	s_cbranch_execnz .LBB60_27
; %bb.28:
	s_or_b32 exec_lo, exec_lo, s6
	v_mov_b32_e32 v12, v4
.LBB60_29:
	s_or_b32 exec_lo, exec_lo, s3
	v_mov_b32_e32 v4, 0
	s_mov_b32 s3, exec_lo
	s_delay_alu instid0(VALU_DEP_2)
	v_cmpx_ne_u32_e32 0, v12
	s_cbranch_execz .LBB60_31
; %bb.30:
	v_dual_sub_nc_u32 v4, 0, v12 :: v_dual_max_i32 v11, v10, v11
	s_delay_alu instid0(VALU_DEP_1) | instskip(NEXT) | instid1(VALU_DEP_1)
	v_max_i32_e32 v4, v12, v4
	v_cvt_f32_u32_e32 v13, v4
	v_sub_nc_u32_e32 v14, 0, v4
	s_delay_alu instid0(VALU_DEP_2) | instskip(SKIP_1) | instid1(TRANS32_DEP_1)
	v_rcp_iflag_f32_e32 v13, v13
	v_nop
	v_mul_f32_e32 v13, 0x4f7ffffe, v13
	s_delay_alu instid0(VALU_DEP_1) | instskip(NEXT) | instid1(VALU_DEP_1)
	v_cvt_u32_f32_e32 v13, v13
	v_mul_lo_u32 v14, v14, v13
	s_delay_alu instid0(VALU_DEP_1) | instskip(NEXT) | instid1(VALU_DEP_1)
	v_mul_hi_u32 v14, v13, v14
	v_add_nc_u32_e32 v13, v13, v14
	s_delay_alu instid0(VALU_DEP_1) | instskip(NEXT) | instid1(VALU_DEP_1)
	v_mul_hi_u32 v13, v11, v13
	v_mul_lo_u32 v14, v13, v4
	s_delay_alu instid0(VALU_DEP_1) | instskip(NEXT) | instid1(VALU_DEP_1)
	v_dual_sub_nc_u32 v11, v11, v14 :: v_dual_add_nc_u32 v14, 1, v13
	v_cmp_ge_u32_e64 s0, v11, v4
	s_delay_alu instid0(VALU_DEP_1) | instskip(NEXT) | instid1(VALU_DEP_1)
	v_dual_sub_nc_u32 v15, v11, v4 :: v_dual_cndmask_b32 v13, v13, v14, s0
	v_dual_cndmask_b32 v11, v11, v15, s0 :: v_dual_bitop2_b32 v10, v10, v12 bitop3:0x14
	s_delay_alu instid0(VALU_DEP_1) | instskip(NEXT) | instid1(VALU_DEP_2)
	v_dual_add_nc_u32 v12, 1, v13 :: v_dual_ashrrev_i32 v10, 31, v10
	v_cmp_ge_u32_e64 s0, v11, v4
	s_delay_alu instid0(VALU_DEP_1) | instskip(NEXT) | instid1(VALU_DEP_1)
	v_cndmask_b32_e64 v4, v13, v12, s0
	v_xor_b32_e32 v4, v4, v10
	s_delay_alu instid0(VALU_DEP_1) | instskip(NEXT) | instid1(VALU_DEP_1)
	v_sub_nc_u32_e32 v4, v4, v10
	v_mul_lo_u32 v4, v4, v9
	s_delay_alu instid0(VALU_DEP_1) | instskip(NEXT) | instid1(VALU_DEP_1)
	v_sub_nc_u32_e32 v9, 0, v4
	v_max_i32_e32 v4, v4, v9
.LBB60_31:
	s_or_b32 exec_lo, exec_lo, s3
.LBB60_32:
	s_delay_alu instid0(SALU_CYCLE_1) | instskip(SKIP_2) | instid1(VALU_DEP_1)
	s_or_b32 exec_lo, exec_lo, s2
	v_or_b32_e32 v9, 0x300, v0
	s_mov_b32 s2, exec_lo
	v_cmpx_gt_i32_e64 s8, v9
	s_cbranch_execnz .LBB60_38
; %bb.33:
	s_or_b32 exec_lo, exec_lo, s2
	s_and_saveexec_b32 s0, vcc_lo
	s_delay_alu instid0(SALU_CYCLE_1)
	s_xor_b32 s0, exec_lo, s0
	s_cbranch_execnz .LBB60_45
.LBB60_34:
	s_or_b32 exec_lo, exec_lo, s0
	s_delay_alu instid0(SALU_CYCLE_1)
	s_mov_b32 s0, exec_lo
	v_cmpx_gt_i32_e64 s8, v0
	s_cbranch_execnz .LBB60_46
.LBB60_35:
	s_or_b32 exec_lo, exec_lo, s0
	s_delay_alu instid0(SALU_CYCLE_1)
	s_mov_b32 s0, exec_lo
	v_cmpx_gt_i32_e64 s8, v0
	s_cbranch_execnz .LBB60_47
.LBB60_36:
	s_or_b32 exec_lo, exec_lo, s0
	s_delay_alu instid0(SALU_CYCLE_1)
	s_mov_b32 s0, exec_lo
	v_cmpx_gt_i32_e64 s8, v0
	s_cbranch_execnz .LBB60_48
.LBB60_37:
	s_endpgm
.LBB60_38:
	v_dual_sub_nc_u32 v3, 0, v7 :: v_dual_sub_nc_u32 v9, 0, v8
	s_mov_b32 s6, 0
	s_mov_b32 s3, exec_lo
	s_delay_alu instid0(VALU_DEP_1)
	v_max_i32_e32 v10, v7, v3
	v_cmpx_ne_u32_e32 0, v8
	s_cbranch_execz .LBB60_42
; %bb.39:
	v_max_i32_e32 v11, v8, v9
.LBB60_40:                              ; =>This Inner Loop Header: Depth=1
	s_delay_alu instid0(VALU_DEP_1) | instskip(NEXT) | instid1(VALU_DEP_1)
	v_mov_b32_e32 v3, v11
	v_cvt_f32_u32_e32 v11, v3
	v_sub_nc_u32_e32 v12, 0, v3
	s_delay_alu instid0(VALU_DEP_2) | instskip(SKIP_1) | instid1(TRANS32_DEP_1)
	v_rcp_iflag_f32_e32 v11, v11
	v_nop
	v_mul_f32_e32 v11, 0x4f7ffffe, v11
	s_delay_alu instid0(VALU_DEP_1) | instskip(NEXT) | instid1(VALU_DEP_1)
	v_cvt_u32_f32_e32 v11, v11
	v_mul_lo_u32 v12, v12, v11
	s_delay_alu instid0(VALU_DEP_1) | instskip(NEXT) | instid1(VALU_DEP_1)
	v_mul_hi_u32 v12, v11, v12
	v_add_nc_u32_e32 v11, v11, v12
	s_delay_alu instid0(VALU_DEP_1) | instskip(NEXT) | instid1(VALU_DEP_1)
	v_mul_hi_u32 v11, v10, v11
	v_mul_lo_u32 v11, v11, v3
	s_delay_alu instid0(VALU_DEP_1) | instskip(NEXT) | instid1(VALU_DEP_1)
	v_sub_nc_u32_e32 v10, v10, v11
	v_sub_nc_u32_e32 v11, v10, v3
	v_cmp_ge_u32_e64 s0, v10, v3
	s_delay_alu instid0(VALU_DEP_1) | instskip(NEXT) | instid1(VALU_DEP_1)
	v_cndmask_b32_e64 v10, v10, v11, s0
	v_sub_nc_u32_e32 v11, v10, v3
	v_cmp_ge_u32_e64 s0, v10, v3
	s_delay_alu instid0(VALU_DEP_1) | instskip(NEXT) | instid1(VALU_DEP_1)
	v_dual_cndmask_b32 v11, v10, v11, s0 :: v_dual_mov_b32 v10, v3
	v_cmp_eq_u32_e64 s0, 0, v11
	s_or_b32 s6, s0, s6
	s_delay_alu instid0(SALU_CYCLE_1)
	s_and_not1_b32 exec_lo, exec_lo, s6
	s_cbranch_execnz .LBB60_40
; %bb.41:
	s_or_b32 exec_lo, exec_lo, s6
	v_mov_b32_e32 v10, v3
.LBB60_42:
	s_or_b32 exec_lo, exec_lo, s3
	v_mov_b32_e32 v3, 0
	s_mov_b32 s3, exec_lo
	s_delay_alu instid0(VALU_DEP_2)
	v_cmpx_ne_u32_e32 0, v10
	s_cbranch_execz .LBB60_44
; %bb.43:
	v_dual_sub_nc_u32 v3, 0, v10 :: v_dual_max_i32 v9, v8, v9
	v_xor_b32_e32 v8, v8, v10
	s_delay_alu instid0(VALU_DEP_1) | instskip(NEXT) | instid1(VALU_DEP_1)
	v_dual_ashrrev_i32 v8, 31, v8 :: v_dual_max_i32 v3, v10, v3
	v_cvt_f32_u32_e32 v11, v3
	v_sub_nc_u32_e32 v12, 0, v3
	s_delay_alu instid0(VALU_DEP_2) | instskip(SKIP_1) | instid1(TRANS32_DEP_1)
	v_rcp_iflag_f32_e32 v11, v11
	v_nop
	v_mul_f32_e32 v11, 0x4f7ffffe, v11
	s_delay_alu instid0(VALU_DEP_1) | instskip(NEXT) | instid1(VALU_DEP_1)
	v_cvt_u32_f32_e32 v11, v11
	v_mul_lo_u32 v12, v12, v11
	s_delay_alu instid0(VALU_DEP_1) | instskip(NEXT) | instid1(VALU_DEP_1)
	v_mul_hi_u32 v12, v11, v12
	v_add_nc_u32_e32 v11, v11, v12
	s_delay_alu instid0(VALU_DEP_1) | instskip(NEXT) | instid1(VALU_DEP_1)
	v_mul_hi_u32 v11, v9, v11
	v_mul_lo_u32 v12, v11, v3
	s_delay_alu instid0(VALU_DEP_1) | instskip(NEXT) | instid1(VALU_DEP_1)
	v_dual_sub_nc_u32 v9, v9, v12 :: v_dual_add_nc_u32 v12, 1, v11
	v_sub_nc_u32_e32 v13, v9, v3
	v_cmp_ge_u32_e64 s0, v9, v3
	s_delay_alu instid0(VALU_DEP_1) | instskip(NEXT) | instid1(VALU_DEP_1)
	v_dual_cndmask_b32 v11, v11, v12, s0 :: v_dual_cndmask_b32 v9, v9, v13, s0
	v_add_nc_u32_e32 v10, 1, v11
	s_delay_alu instid0(VALU_DEP_2) | instskip(NEXT) | instid1(VALU_DEP_1)
	v_cmp_ge_u32_e64 s0, v9, v3
	v_cndmask_b32_e64 v3, v11, v10, s0
	s_delay_alu instid0(VALU_DEP_1) | instskip(NEXT) | instid1(VALU_DEP_1)
	v_xor_b32_e32 v3, v3, v8
	v_sub_nc_u32_e32 v3, v3, v8
	s_delay_alu instid0(VALU_DEP_1) | instskip(NEXT) | instid1(VALU_DEP_1)
	v_mul_lo_u32 v3, v3, v7
	v_sub_nc_u32_e32 v7, 0, v3
	s_delay_alu instid0(VALU_DEP_1)
	v_max_i32_e32 v3, v3, v7
.LBB60_44:
	s_or_b32 exec_lo, exec_lo, s3
	s_delay_alu instid0(SALU_CYCLE_1) | instskip(SKIP_1) | instid1(SALU_CYCLE_1)
	s_or_b32 exec_lo, exec_lo, s2
	s_and_saveexec_b32 s0, vcc_lo
	s_xor_b32 s0, exec_lo, s0
	s_cbranch_execz .LBB60_34
.LBB60_45:
	v_mov_b32_e32 v0, v5
	global_store_b32 v6, v2, s[4:5] scale_offset
	s_wait_xcnt 0x0
	s_or_b32 exec_lo, exec_lo, s0
	s_delay_alu instid0(SALU_CYCLE_1)
	s_mov_b32 s0, exec_lo
	v_cmpx_gt_i32_e64 s8, v0
	s_cbranch_execz .LBB60_35
.LBB60_46:
	v_add_nc_u32_e32 v2, 0x100, v0
	s_delay_alu instid0(VALU_DEP_1) | instskip(SKIP_3) | instid1(SALU_CYCLE_1)
	v_dual_mov_b32 v0, v2 :: v_dual_add_nc_u32 v5, s1, v0
	global_store_b32 v5, v1, s[4:5] scale_offset
	s_wait_xcnt 0x0
	s_or_b32 exec_lo, exec_lo, s0
	s_mov_b32 s0, exec_lo
	v_cmpx_gt_i32_e64 s8, v0
	s_cbranch_execz .LBB60_36
.LBB60_47:
	v_add_nc_u32_e32 v1, 0x100, v0
	s_delay_alu instid0(VALU_DEP_1) | instskip(SKIP_3) | instid1(SALU_CYCLE_1)
	v_dual_add_nc_u32 v2, s1, v0 :: v_dual_mov_b32 v0, v1
	global_store_b32 v2, v4, s[4:5] scale_offset
	s_wait_xcnt 0x0
	s_or_b32 exec_lo, exec_lo, s0
	s_mov_b32 s0, exec_lo
	v_cmpx_gt_i32_e64 s8, v0
	s_cbranch_execz .LBB60_37
.LBB60_48:
	v_add_nc_u32_e32 v0, s1, v0
	global_store_b32 v0, v3, s[4:5] scale_offset
	s_endpgm
	.section	.rodata,"a",@progbits
	.p2align	6, 0x0
	.amdhsa_kernel _ZN2at6native27unrolled_elementwise_kernelIZZZNS0_15lcm_kernel_cudaERNS_18TensorIteratorBaseEENKUlvE_clEvENKUlvE1_clEvEUliiE_St5arrayIPcLm3EELi4E23TrivialOffsetCalculatorILi2EjESA_ILi1EjENS0_6memory15LoadWithoutCastENSD_16StoreWithoutCastEEEviT_T0_T2_T3_T4_T5_
		.amdhsa_group_segment_fixed_size 0
		.amdhsa_private_segment_fixed_size 0
		.amdhsa_kernarg_size 36
		.amdhsa_user_sgpr_count 2
		.amdhsa_user_sgpr_dispatch_ptr 0
		.amdhsa_user_sgpr_queue_ptr 0
		.amdhsa_user_sgpr_kernarg_segment_ptr 1
		.amdhsa_user_sgpr_dispatch_id 0
		.amdhsa_user_sgpr_kernarg_preload_length 0
		.amdhsa_user_sgpr_kernarg_preload_offset 0
		.amdhsa_user_sgpr_private_segment_size 0
		.amdhsa_wavefront_size32 1
		.amdhsa_uses_dynamic_stack 0
		.amdhsa_enable_private_segment 0
		.amdhsa_system_sgpr_workgroup_id_x 1
		.amdhsa_system_sgpr_workgroup_id_y 0
		.amdhsa_system_sgpr_workgroup_id_z 0
		.amdhsa_system_sgpr_workgroup_info 0
		.amdhsa_system_vgpr_workitem_id 0
		.amdhsa_next_free_vgpr 18
		.amdhsa_next_free_sgpr 13
		.amdhsa_named_barrier_count 0
		.amdhsa_reserve_vcc 1
		.amdhsa_float_round_mode_32 0
		.amdhsa_float_round_mode_16_64 0
		.amdhsa_float_denorm_mode_32 3
		.amdhsa_float_denorm_mode_16_64 3
		.amdhsa_fp16_overflow 0
		.amdhsa_memory_ordered 1
		.amdhsa_forward_progress 1
		.amdhsa_inst_pref_size 22
		.amdhsa_round_robin_scheduling 0
		.amdhsa_exception_fp_ieee_invalid_op 0
		.amdhsa_exception_fp_denorm_src 0
		.amdhsa_exception_fp_ieee_div_zero 0
		.amdhsa_exception_fp_ieee_overflow 0
		.amdhsa_exception_fp_ieee_underflow 0
		.amdhsa_exception_fp_ieee_inexact 0
		.amdhsa_exception_int_div_zero 0
	.end_amdhsa_kernel
	.section	.text._ZN2at6native27unrolled_elementwise_kernelIZZZNS0_15lcm_kernel_cudaERNS_18TensorIteratorBaseEENKUlvE_clEvENKUlvE1_clEvEUliiE_St5arrayIPcLm3EELi4E23TrivialOffsetCalculatorILi2EjESA_ILi1EjENS0_6memory15LoadWithoutCastENSD_16StoreWithoutCastEEEviT_T0_T2_T3_T4_T5_,"axG",@progbits,_ZN2at6native27unrolled_elementwise_kernelIZZZNS0_15lcm_kernel_cudaERNS_18TensorIteratorBaseEENKUlvE_clEvENKUlvE1_clEvEUliiE_St5arrayIPcLm3EELi4E23TrivialOffsetCalculatorILi2EjESA_ILi1EjENS0_6memory15LoadWithoutCastENSD_16StoreWithoutCastEEEviT_T0_T2_T3_T4_T5_,comdat
.Lfunc_end60:
	.size	_ZN2at6native27unrolled_elementwise_kernelIZZZNS0_15lcm_kernel_cudaERNS_18TensorIteratorBaseEENKUlvE_clEvENKUlvE1_clEvEUliiE_St5arrayIPcLm3EELi4E23TrivialOffsetCalculatorILi2EjESA_ILi1EjENS0_6memory15LoadWithoutCastENSD_16StoreWithoutCastEEEviT_T0_T2_T3_T4_T5_, .Lfunc_end60-_ZN2at6native27unrolled_elementwise_kernelIZZZNS0_15lcm_kernel_cudaERNS_18TensorIteratorBaseEENKUlvE_clEvENKUlvE1_clEvEUliiE_St5arrayIPcLm3EELi4E23TrivialOffsetCalculatorILi2EjESA_ILi1EjENS0_6memory15LoadWithoutCastENSD_16StoreWithoutCastEEEviT_T0_T2_T3_T4_T5_
                                        ; -- End function
	.set _ZN2at6native27unrolled_elementwise_kernelIZZZNS0_15lcm_kernel_cudaERNS_18TensorIteratorBaseEENKUlvE_clEvENKUlvE1_clEvEUliiE_St5arrayIPcLm3EELi4E23TrivialOffsetCalculatorILi2EjESA_ILi1EjENS0_6memory15LoadWithoutCastENSD_16StoreWithoutCastEEEviT_T0_T2_T3_T4_T5_.num_vgpr, 18
	.set _ZN2at6native27unrolled_elementwise_kernelIZZZNS0_15lcm_kernel_cudaERNS_18TensorIteratorBaseEENKUlvE_clEvENKUlvE1_clEvEUliiE_St5arrayIPcLm3EELi4E23TrivialOffsetCalculatorILi2EjESA_ILi1EjENS0_6memory15LoadWithoutCastENSD_16StoreWithoutCastEEEviT_T0_T2_T3_T4_T5_.num_agpr, 0
	.set _ZN2at6native27unrolled_elementwise_kernelIZZZNS0_15lcm_kernel_cudaERNS_18TensorIteratorBaseEENKUlvE_clEvENKUlvE1_clEvEUliiE_St5arrayIPcLm3EELi4E23TrivialOffsetCalculatorILi2EjESA_ILi1EjENS0_6memory15LoadWithoutCastENSD_16StoreWithoutCastEEEviT_T0_T2_T3_T4_T5_.numbered_sgpr, 13
	.set _ZN2at6native27unrolled_elementwise_kernelIZZZNS0_15lcm_kernel_cudaERNS_18TensorIteratorBaseEENKUlvE_clEvENKUlvE1_clEvEUliiE_St5arrayIPcLm3EELi4E23TrivialOffsetCalculatorILi2EjESA_ILi1EjENS0_6memory15LoadWithoutCastENSD_16StoreWithoutCastEEEviT_T0_T2_T3_T4_T5_.num_named_barrier, 0
	.set _ZN2at6native27unrolled_elementwise_kernelIZZZNS0_15lcm_kernel_cudaERNS_18TensorIteratorBaseEENKUlvE_clEvENKUlvE1_clEvEUliiE_St5arrayIPcLm3EELi4E23TrivialOffsetCalculatorILi2EjESA_ILi1EjENS0_6memory15LoadWithoutCastENSD_16StoreWithoutCastEEEviT_T0_T2_T3_T4_T5_.private_seg_size, 0
	.set _ZN2at6native27unrolled_elementwise_kernelIZZZNS0_15lcm_kernel_cudaERNS_18TensorIteratorBaseEENKUlvE_clEvENKUlvE1_clEvEUliiE_St5arrayIPcLm3EELi4E23TrivialOffsetCalculatorILi2EjESA_ILi1EjENS0_6memory15LoadWithoutCastENSD_16StoreWithoutCastEEEviT_T0_T2_T3_T4_T5_.uses_vcc, 1
	.set _ZN2at6native27unrolled_elementwise_kernelIZZZNS0_15lcm_kernel_cudaERNS_18TensorIteratorBaseEENKUlvE_clEvENKUlvE1_clEvEUliiE_St5arrayIPcLm3EELi4E23TrivialOffsetCalculatorILi2EjESA_ILi1EjENS0_6memory15LoadWithoutCastENSD_16StoreWithoutCastEEEviT_T0_T2_T3_T4_T5_.uses_flat_scratch, 0
	.set _ZN2at6native27unrolled_elementwise_kernelIZZZNS0_15lcm_kernel_cudaERNS_18TensorIteratorBaseEENKUlvE_clEvENKUlvE1_clEvEUliiE_St5arrayIPcLm3EELi4E23TrivialOffsetCalculatorILi2EjESA_ILi1EjENS0_6memory15LoadWithoutCastENSD_16StoreWithoutCastEEEviT_T0_T2_T3_T4_T5_.has_dyn_sized_stack, 0
	.set _ZN2at6native27unrolled_elementwise_kernelIZZZNS0_15lcm_kernel_cudaERNS_18TensorIteratorBaseEENKUlvE_clEvENKUlvE1_clEvEUliiE_St5arrayIPcLm3EELi4E23TrivialOffsetCalculatorILi2EjESA_ILi1EjENS0_6memory15LoadWithoutCastENSD_16StoreWithoutCastEEEviT_T0_T2_T3_T4_T5_.has_recursion, 0
	.set _ZN2at6native27unrolled_elementwise_kernelIZZZNS0_15lcm_kernel_cudaERNS_18TensorIteratorBaseEENKUlvE_clEvENKUlvE1_clEvEUliiE_St5arrayIPcLm3EELi4E23TrivialOffsetCalculatorILi2EjESA_ILi1EjENS0_6memory15LoadWithoutCastENSD_16StoreWithoutCastEEEviT_T0_T2_T3_T4_T5_.has_indirect_call, 0
	.section	.AMDGPU.csdata,"",@progbits
; Kernel info:
; codeLenInByte = 2744
; TotalNumSgprs: 15
; NumVgprs: 18
; ScratchSize: 0
; MemoryBound: 0
; FloatMode: 240
; IeeeMode: 1
; LDSByteSize: 0 bytes/workgroup (compile time only)
; SGPRBlocks: 0
; VGPRBlocks: 1
; NumSGPRsForWavesPerEU: 15
; NumVGPRsForWavesPerEU: 18
; NamedBarCnt: 0
; Occupancy: 16
; WaveLimiterHint : 0
; COMPUTE_PGM_RSRC2:SCRATCH_EN: 0
; COMPUTE_PGM_RSRC2:USER_SGPR: 2
; COMPUTE_PGM_RSRC2:TRAP_HANDLER: 0
; COMPUTE_PGM_RSRC2:TGID_X_EN: 1
; COMPUTE_PGM_RSRC2:TGID_Y_EN: 0
; COMPUTE_PGM_RSRC2:TGID_Z_EN: 0
; COMPUTE_PGM_RSRC2:TIDIG_COMP_CNT: 0
	.section	.text._ZN2at6native32elementwise_kernel_manual_unrollILi128ELi4EZNS0_22gpu_kernel_impl_nocastIZZZNS0_15lcm_kernel_cudaERNS_18TensorIteratorBaseEENKUlvE_clEvENKUlvE1_clEvEUliiE_EEvS4_RKT_EUlibE_EEviT1_,"axG",@progbits,_ZN2at6native32elementwise_kernel_manual_unrollILi128ELi4EZNS0_22gpu_kernel_impl_nocastIZZZNS0_15lcm_kernel_cudaERNS_18TensorIteratorBaseEENKUlvE_clEvENKUlvE1_clEvEUliiE_EEvS4_RKT_EUlibE_EEviT1_,comdat
	.globl	_ZN2at6native32elementwise_kernel_manual_unrollILi128ELi4EZNS0_22gpu_kernel_impl_nocastIZZZNS0_15lcm_kernel_cudaERNS_18TensorIteratorBaseEENKUlvE_clEvENKUlvE1_clEvEUliiE_EEvS4_RKT_EUlibE_EEviT1_ ; -- Begin function _ZN2at6native32elementwise_kernel_manual_unrollILi128ELi4EZNS0_22gpu_kernel_impl_nocastIZZZNS0_15lcm_kernel_cudaERNS_18TensorIteratorBaseEENKUlvE_clEvENKUlvE1_clEvEUliiE_EEvS4_RKT_EUlibE_EEviT1_
	.p2align	8
	.type	_ZN2at6native32elementwise_kernel_manual_unrollILi128ELi4EZNS0_22gpu_kernel_impl_nocastIZZZNS0_15lcm_kernel_cudaERNS_18TensorIteratorBaseEENKUlvE_clEvENKUlvE1_clEvEUliiE_EEvS4_RKT_EUlibE_EEviT1_,@function
_ZN2at6native32elementwise_kernel_manual_unrollILi128ELi4EZNS0_22gpu_kernel_impl_nocastIZZZNS0_15lcm_kernel_cudaERNS_18TensorIteratorBaseEENKUlvE_clEvENKUlvE1_clEvEUliiE_EEvS4_RKT_EUlibE_EEviT1_: ; @_ZN2at6native32elementwise_kernel_manual_unrollILi128ELi4EZNS0_22gpu_kernel_impl_nocastIZZZNS0_15lcm_kernel_cudaERNS_18TensorIteratorBaseEENKUlvE_clEvENKUlvE1_clEvEUliiE_EEvS4_RKT_EUlibE_EEviT1_
; %bb.0:
	s_clause 0x1
	s_load_b32 s26, s[0:1], 0x8
	s_load_b32 s33, s[0:1], 0x0
	s_bfe_u32 s2, ttmp6, 0x4000c
	s_and_b32 s3, ttmp6, 15
	s_add_co_i32 s2, s2, 1
	s_getreg_b32 s4, hwreg(HW_REG_IB_STS2, 6, 4)
	s_mul_i32 s2, ttmp9, s2
	s_add_nc_u64 s[12:13], s[0:1], 8
	s_add_co_i32 s3, s3, s2
	s_cmp_eq_u32 s4, 0
	s_mov_b32 s21, 0
	s_cselect_b32 s2, ttmp9, s3
	s_wait_xcnt 0x0
	s_mov_b32 s0, exec_lo
	v_lshl_or_b32 v0, s2, 9, v0
	s_delay_alu instid0(VALU_DEP_1) | instskip(SKIP_2) | instid1(SALU_CYCLE_1)
	v_or_b32_e32 v3, 0x180, v0
	s_wait_kmcnt 0x0
	s_add_co_i32 s27, s26, -1
	s_cmp_gt_u32 s27, 1
	s_cselect_b32 s28, -1, 0
	v_cmpx_le_i32_e64 s33, v3
	s_xor_b32 s29, exec_lo, s0
	s_cbranch_execz .LBB61_78
; %bb.1:
	s_clause 0x5
	s_load_b128 s[4:7], s[12:13], 0x4
	s_load_b64 s[16:17], s[12:13], 0x14
	s_load_b128 s[8:11], s[12:13], 0xc4
	s_load_b64 s[18:19], s[12:13], 0xd4
	s_load_b64 s[14:15], s[12:13], 0x198
	s_load_b128 s[0:3], s[12:13], 0x188
	s_cmp_lg_u32 s26, 0
	s_mov_b32 s23, s21
	s_cselect_b32 s34, -1, 0
	s_min_u32 s31, s27, 15
	s_cmp_gt_u32 s26, 1
	s_cselect_b32 s30, -1, 0
	s_wait_kmcnt 0x0
	s_mov_b32 s20, s5
	s_mov_b32 s22, s16
	s_mov_b32 s5, exec_lo
	v_cmpx_gt_i32_e64 s33, v0
	s_cbranch_execnz .LBB61_5
; %bb.2:
	s_or_b32 exec_lo, exec_lo, s5
	s_delay_alu instid0(SALU_CYCLE_1)
	s_mov_b32 s5, exec_lo
	v_cmpx_gt_i32_e64 s33, v0
	s_cbranch_execnz .LBB61_23
.LBB61_3:
	s_or_b32 exec_lo, exec_lo, s5
	s_delay_alu instid0(SALU_CYCLE_1)
	s_mov_b32 s5, exec_lo
	v_cmpx_gt_i32_e64 s33, v0
	s_cbranch_execnz .LBB61_41
.LBB61_4:
	s_or_b32 exec_lo, exec_lo, s5
	s_delay_alu instid0(SALU_CYCLE_1)
	s_mov_b32 s5, exec_lo
	v_cmpx_gt_i32_e64 s33, v0
	s_cbranch_execnz .LBB61_59
	s_branch .LBB61_77
.LBB61_5:
	s_and_not1_b32 vcc_lo, exec_lo, s28
	s_cbranch_vccnz .LBB61_11
; %bb.6:
	s_and_not1_b32 vcc_lo, exec_lo, s34
	s_cbranch_vccnz .LBB61_12
; %bb.7:
	v_dual_mov_b32 v4, 0 :: v_dual_mov_b32 v1, v0
	v_dual_mov_b32 v6, 0 :: v_dual_mov_b32 v5, 0
	s_add_co_i32 s16, s31, 1
	s_mov_b64 s[24:25], 0xffffffffffffffe8
	s_and_b32 s16, s16, 30
	s_add_nc_u64 s[24:25], s[12:13], s[24:25]
.LBB61_8:                               ; =>This Inner Loop Header: Depth=1
	s_clause 0x1
	s_load_b128 s[36:39], s[24:25], 0x1c
	s_load_b64 s[44:45], s[24:25], 0x2c
	s_add_co_i32 s16, s16, -2
	s_delay_alu instid0(SALU_CYCLE_1) | instskip(SKIP_2) | instid1(VALU_DEP_1)
	s_cmp_lg_u32 s16, 0
	s_wait_kmcnt 0x0
	v_mul_hi_u32 v2, s37, v1
	v_add_nc_u32_e32 v2, v1, v2
	s_delay_alu instid0(VALU_DEP_1) | instskip(NEXT) | instid1(VALU_DEP_1)
	v_lshrrev_b32_e32 v2, s38, v2
	v_mul_hi_u32 v3, s44, v2
	v_mul_lo_u32 v7, v2, s36
	s_clause 0x1
	s_load_b128 s[40:43], s[24:25], 0xdc
	s_load_b64 s[36:37], s[24:25], 0xec
	s_wait_xcnt 0x0
	s_add_nc_u64 s[24:25], s[24:25], 24
	s_delay_alu instid0(VALU_DEP_2) | instskip(NEXT) | instid1(VALU_DEP_2)
	v_add_nc_u32_e32 v3, v2, v3
	v_sub_nc_u32_e32 v7, v1, v7
	s_delay_alu instid0(VALU_DEP_2) | instskip(SKIP_1) | instid1(VALU_DEP_2)
	v_lshrrev_b32_e32 v1, s45, v3
	s_wait_kmcnt 0x0
	v_mad_u32 v4, v7, s40, v4
	s_delay_alu instid0(VALU_DEP_2) | instskip(SKIP_2) | instid1(VALU_DEP_3)
	v_mul_lo_u32 v3, v1, s39
	v_mad_u32 v5, v7, s42, v5
	v_mad_u32 v6, v7, s41, v6
	v_sub_nc_u32_e32 v2, v2, v3
	s_delay_alu instid0(VALU_DEP_1) | instskip(NEXT) | instid1(VALU_DEP_4)
	v_mad_u32 v4, v2, s43, v4
	v_mad_u32 v5, v2, s37, v5
	s_delay_alu instid0(VALU_DEP_4)
	v_mad_u32 v6, v2, s36, v6
	s_cbranch_scc1 .LBB61_8
; %bb.9:
	s_bitcmp1_b32 s31, 0
	s_cselect_b32 s16, -1, 0
	s_delay_alu instid0(SALU_CYCLE_1)
	s_and_b32 vcc_lo, exec_lo, s16
	s_cbranch_vccnz .LBB61_13
; %bb.10:
	s_clause 0x1
	s_load_b96 s[36:38], s[24:25], 0x1c
	s_load_b96 s[40:42], s[24:25], 0xdc
	s_wait_kmcnt 0x0
	v_mul_hi_u32 v2, s37, v1
	s_delay_alu instid0(VALU_DEP_1) | instskip(NEXT) | instid1(VALU_DEP_1)
	v_add_nc_u32_e32 v2, v1, v2
	v_lshrrev_b32_e32 v2, s38, v2
	s_delay_alu instid0(VALU_DEP_1) | instskip(NEXT) | instid1(VALU_DEP_1)
	v_mul_lo_u32 v2, v2, s36
	v_sub_nc_u32_e32 v1, v1, v2
	s_delay_alu instid0(VALU_DEP_1)
	v_mad_u32 v4, v1, s40, v4
	v_mad_u32 v6, v1, s41, v6
	;; [unrolled: 1-line block ×3, first 2 shown]
	s_cbranch_execz .LBB61_14
	s_branch .LBB61_16
.LBB61_11:
                                        ; implicit-def: $vgpr5
                                        ; implicit-def: $vgpr6
                                        ; implicit-def: $vgpr4
	s_branch .LBB61_14
.LBB61_12:
	v_dual_mov_b32 v5, 0 :: v_dual_mov_b32 v6, 0
	v_mov_b32_e32 v4, 0
.LBB61_13:
	s_cbranch_execnz .LBB61_16
.LBB61_14:
	v_mov_b32_e32 v1, 0
	s_and_not1_b32 vcc_lo, exec_lo, s30
	s_delay_alu instid0(VALU_DEP_1) | instskip(NEXT) | instid1(VALU_DEP_1)
	v_mul_u64_e32 v[2:3], s[20:21], v[0:1]
	v_add_nc_u32_e32 v2, v0, v3
	s_delay_alu instid0(VALU_DEP_1) | instskip(NEXT) | instid1(VALU_DEP_1)
	v_lshrrev_b32_e32 v2, s6, v2
	v_mul_lo_u32 v3, v2, s4
	s_delay_alu instid0(VALU_DEP_1) | instskip(NEXT) | instid1(VALU_DEP_1)
	v_sub_nc_u32_e32 v3, v0, v3
	v_mul_lo_u32 v4, v3, s8
	v_mul_lo_u32 v5, v3, s10
	;; [unrolled: 1-line block ×3, first 2 shown]
	s_cbranch_vccnz .LBB61_16
; %bb.15:
	v_mov_b32_e32 v3, v1
	s_delay_alu instid0(VALU_DEP_1) | instskip(NEXT) | instid1(VALU_DEP_1)
	v_mul_u64_e32 v[8:9], s[22:23], v[2:3]
	v_add_nc_u32_e32 v1, v2, v9
	s_delay_alu instid0(VALU_DEP_1) | instskip(NEXT) | instid1(VALU_DEP_1)
	v_lshrrev_b32_e32 v1, s17, v1
	v_mul_lo_u32 v1, v1, s7
	s_delay_alu instid0(VALU_DEP_1) | instskip(NEXT) | instid1(VALU_DEP_1)
	v_sub_nc_u32_e32 v1, v2, v1
	v_mad_u32 v4, v1, s11, v4
	v_mad_u32 v6, v1, s18, v6
	;; [unrolled: 1-line block ×3, first 2 shown]
.LBB61_16:
	global_load_b32 v1, v5, s[14:15]
	global_load_b32 v2, v6, s[2:3]
	s_mov_b32 s24, 0
	s_mov_b32 s16, exec_lo
	s_wait_loadcnt 0x1
	v_sub_nc_u32_e32 v3, 0, v1
	s_wait_loadcnt 0x0
	s_delay_alu instid0(VALU_DEP_1)
	v_dual_sub_nc_u32 v3, 0, v2 :: v_dual_max_i32 v5, v1, v3
	v_cmpx_ne_u32_e32 0, v2
	s_cbranch_execz .LBB61_20
; %bb.17:
	s_delay_alu instid0(VALU_DEP_2)
	v_max_i32_e32 v7, v2, v3
.LBB61_18:                              ; =>This Inner Loop Header: Depth=1
	s_delay_alu instid0(VALU_DEP_1) | instskip(NEXT) | instid1(VALU_DEP_1)
	v_mov_b32_e32 v6, v7
	v_cvt_f32_u32_e32 v7, v6
	s_delay_alu instid0(VALU_DEP_1) | instskip(SKIP_1) | instid1(TRANS32_DEP_1)
	v_rcp_iflag_f32_e32 v7, v7
	v_nop
	v_dual_mul_f32 v7, 0x4f7ffffe, v7 :: v_dual_sub_nc_u32 v8, 0, v6
	s_delay_alu instid0(VALU_DEP_1) | instskip(NEXT) | instid1(VALU_DEP_1)
	v_cvt_u32_f32_e32 v7, v7
	v_mul_lo_u32 v8, v8, v7
	s_delay_alu instid0(VALU_DEP_1) | instskip(NEXT) | instid1(VALU_DEP_1)
	v_mul_hi_u32 v8, v7, v8
	v_add_nc_u32_e32 v7, v7, v8
	s_delay_alu instid0(VALU_DEP_1) | instskip(NEXT) | instid1(VALU_DEP_1)
	v_mul_hi_u32 v7, v5, v7
	v_mul_lo_u32 v7, v7, v6
	s_delay_alu instid0(VALU_DEP_1) | instskip(NEXT) | instid1(VALU_DEP_1)
	v_sub_nc_u32_e32 v5, v5, v7
	v_sub_nc_u32_e32 v7, v5, v6
	v_cmp_ge_u32_e32 vcc_lo, v5, v6
	s_delay_alu instid0(VALU_DEP_2) | instskip(NEXT) | instid1(VALU_DEP_1)
	v_cndmask_b32_e32 v5, v5, v7, vcc_lo
	v_sub_nc_u32_e32 v7, v5, v6
	v_cmp_ge_u32_e32 vcc_lo, v5, v6
	s_delay_alu instid0(VALU_DEP_2) | instskip(NEXT) | instid1(VALU_DEP_1)
	v_dual_cndmask_b32 v7, v5, v7, vcc_lo :: v_dual_mov_b32 v5, v6
	v_cmp_eq_u32_e32 vcc_lo, 0, v7
	s_or_b32 s24, vcc_lo, s24
	s_delay_alu instid0(SALU_CYCLE_1)
	s_and_not1_b32 exec_lo, exec_lo, s24
	s_cbranch_execnz .LBB61_18
; %bb.19:
	s_or_b32 exec_lo, exec_lo, s24
	v_mov_b32_e32 v5, v6
.LBB61_20:
	s_or_b32 exec_lo, exec_lo, s16
	v_mov_b32_e32 v6, 0
	s_mov_b32 s16, exec_lo
	s_delay_alu instid0(VALU_DEP_2)
	v_cmpx_ne_u32_e32 0, v5
	s_cbranch_execz .LBB61_22
; %bb.21:
	v_dual_sub_nc_u32 v6, 0, v5 :: v_dual_max_i32 v3, v2, v3
	v_xor_b32_e32 v2, v2, v5
	s_delay_alu instid0(VALU_DEP_2) | instskip(NEXT) | instid1(VALU_DEP_2)
	v_max_i32_e32 v6, v5, v6
	v_ashrrev_i32_e32 v2, 31, v2
	s_delay_alu instid0(VALU_DEP_2) | instskip(SKIP_1) | instid1(VALU_DEP_2)
	v_cvt_f32_u32_e32 v7, v6
	v_sub_nc_u32_e32 v8, 0, v6
	v_rcp_iflag_f32_e32 v7, v7
	v_nop
	s_delay_alu instid0(TRANS32_DEP_1) | instskip(NEXT) | instid1(VALU_DEP_1)
	v_mul_f32_e32 v7, 0x4f7ffffe, v7
	v_cvt_u32_f32_e32 v7, v7
	s_delay_alu instid0(VALU_DEP_1) | instskip(NEXT) | instid1(VALU_DEP_1)
	v_mul_lo_u32 v8, v8, v7
	v_mul_hi_u32 v8, v7, v8
	s_delay_alu instid0(VALU_DEP_1) | instskip(NEXT) | instid1(VALU_DEP_1)
	v_add_nc_u32_e32 v7, v7, v8
	v_mul_hi_u32 v7, v3, v7
	s_delay_alu instid0(VALU_DEP_1) | instskip(NEXT) | instid1(VALU_DEP_1)
	v_mul_lo_u32 v8, v7, v6
	v_dual_sub_nc_u32 v3, v3, v8 :: v_dual_add_nc_u32 v8, 1, v7
	s_delay_alu instid0(VALU_DEP_1) | instskip(SKIP_1) | instid1(VALU_DEP_3)
	v_sub_nc_u32_e32 v9, v3, v6
	v_cmp_ge_u32_e32 vcc_lo, v3, v6
	v_cndmask_b32_e32 v7, v7, v8, vcc_lo
	s_delay_alu instid0(VALU_DEP_1) | instskip(NEXT) | instid1(VALU_DEP_1)
	v_dual_cndmask_b32 v3, v3, v9, vcc_lo :: v_dual_add_nc_u32 v5, 1, v7
	v_cmp_ge_u32_e32 vcc_lo, v3, v6
	s_delay_alu instid0(VALU_DEP_2) | instskip(NEXT) | instid1(VALU_DEP_1)
	v_cndmask_b32_e32 v3, v7, v5, vcc_lo
	v_xor_b32_e32 v3, v3, v2
	s_delay_alu instid0(VALU_DEP_1) | instskip(NEXT) | instid1(VALU_DEP_1)
	v_sub_nc_u32_e32 v2, v3, v2
	v_mul_lo_u32 v1, v2, v1
	s_delay_alu instid0(VALU_DEP_1) | instskip(NEXT) | instid1(VALU_DEP_1)
	v_sub_nc_u32_e32 v2, 0, v1
	v_max_i32_e32 v6, v1, v2
.LBB61_22:
	s_or_b32 exec_lo, exec_lo, s16
	v_add_nc_u32_e32 v0, 0x80, v0
	global_store_b32 v4, v6, s[0:1]
	s_wait_xcnt 0x0
	s_or_b32 exec_lo, exec_lo, s5
	s_delay_alu instid0(SALU_CYCLE_1)
	s_mov_b32 s5, exec_lo
	v_cmpx_gt_i32_e64 s33, v0
	s_cbranch_execz .LBB61_3
.LBB61_23:
	s_and_not1_b32 vcc_lo, exec_lo, s28
	s_cbranch_vccnz .LBB61_29
; %bb.24:
	s_and_not1_b32 vcc_lo, exec_lo, s34
	s_cbranch_vccnz .LBB61_30
; %bb.25:
	v_dual_mov_b32 v4, 0 :: v_dual_mov_b32 v1, v0
	v_dual_mov_b32 v6, 0 :: v_dual_mov_b32 v5, 0
	s_add_co_i32 s16, s31, 1
	s_mov_b64 s[24:25], 0xffffffffffffffe8
	s_and_b32 s16, s16, 30
	s_add_nc_u64 s[24:25], s[12:13], s[24:25]
.LBB61_26:                              ; =>This Inner Loop Header: Depth=1
	s_clause 0x1
	s_load_b128 s[36:39], s[24:25], 0x1c
	s_load_b64 s[44:45], s[24:25], 0x2c
	s_add_co_i32 s16, s16, -2
	s_delay_alu instid0(SALU_CYCLE_1) | instskip(SKIP_2) | instid1(VALU_DEP_1)
	s_cmp_eq_u32 s16, 0
	s_wait_kmcnt 0x0
	v_mul_hi_u32 v2, s37, v1
	v_add_nc_u32_e32 v2, v1, v2
	s_delay_alu instid0(VALU_DEP_1) | instskip(NEXT) | instid1(VALU_DEP_1)
	v_lshrrev_b32_e32 v2, s38, v2
	v_mul_hi_u32 v3, s44, v2
	v_mul_lo_u32 v7, v2, s36
	s_clause 0x1
	s_load_b128 s[40:43], s[24:25], 0xdc
	s_load_b64 s[36:37], s[24:25], 0xec
	s_wait_xcnt 0x0
	s_add_nc_u64 s[24:25], s[24:25], 24
	s_delay_alu instid0(VALU_DEP_2) | instskip(NEXT) | instid1(VALU_DEP_2)
	v_add_nc_u32_e32 v3, v2, v3
	v_sub_nc_u32_e32 v7, v1, v7
	s_delay_alu instid0(VALU_DEP_2) | instskip(SKIP_1) | instid1(VALU_DEP_2)
	v_lshrrev_b32_e32 v1, s45, v3
	s_wait_kmcnt 0x0
	v_mad_u32 v4, v7, s40, v4
	s_delay_alu instid0(VALU_DEP_2) | instskip(SKIP_2) | instid1(VALU_DEP_3)
	v_mul_lo_u32 v3, v1, s39
	v_mad_u32 v5, v7, s42, v5
	v_mad_u32 v6, v7, s41, v6
	v_sub_nc_u32_e32 v2, v2, v3
	s_delay_alu instid0(VALU_DEP_1) | instskip(NEXT) | instid1(VALU_DEP_4)
	v_mad_u32 v4, v2, s43, v4
	v_mad_u32 v5, v2, s37, v5
	s_delay_alu instid0(VALU_DEP_4)
	v_mad_u32 v6, v2, s36, v6
	s_cbranch_scc0 .LBB61_26
; %bb.27:
	s_bitcmp1_b32 s31, 0
	s_cselect_b32 s16, -1, 0
	s_delay_alu instid0(SALU_CYCLE_1)
	s_and_b32 vcc_lo, exec_lo, s16
	s_cbranch_vccnz .LBB61_31
; %bb.28:
	s_clause 0x1
	s_load_b96 s[36:38], s[24:25], 0x1c
	s_load_b96 s[40:42], s[24:25], 0xdc
	s_wait_kmcnt 0x0
	v_mul_hi_u32 v2, s37, v1
	s_delay_alu instid0(VALU_DEP_1) | instskip(NEXT) | instid1(VALU_DEP_1)
	v_add_nc_u32_e32 v2, v1, v2
	v_lshrrev_b32_e32 v2, s38, v2
	s_delay_alu instid0(VALU_DEP_1) | instskip(NEXT) | instid1(VALU_DEP_1)
	v_mul_lo_u32 v2, v2, s36
	v_sub_nc_u32_e32 v1, v1, v2
	s_delay_alu instid0(VALU_DEP_1)
	v_mad_u32 v4, v1, s40, v4
	v_mad_u32 v6, v1, s41, v6
	;; [unrolled: 1-line block ×3, first 2 shown]
	s_branch .LBB61_31
.LBB61_29:
                                        ; implicit-def: $vgpr5
                                        ; implicit-def: $vgpr6
                                        ; implicit-def: $vgpr4
	s_branch .LBB61_32
.LBB61_30:
	v_dual_mov_b32 v5, 0 :: v_dual_mov_b32 v6, 0
	v_mov_b32_e32 v4, 0
.LBB61_31:
	s_cbranch_execnz .LBB61_34
.LBB61_32:
	v_mov_b32_e32 v1, 0
	s_and_not1_b32 vcc_lo, exec_lo, s30
	s_delay_alu instid0(VALU_DEP_1) | instskip(NEXT) | instid1(VALU_DEP_1)
	v_mul_u64_e32 v[2:3], s[20:21], v[0:1]
	v_add_nc_u32_e32 v2, v0, v3
	s_delay_alu instid0(VALU_DEP_1) | instskip(NEXT) | instid1(VALU_DEP_1)
	v_lshrrev_b32_e32 v2, s6, v2
	v_mul_lo_u32 v3, v2, s4
	s_delay_alu instid0(VALU_DEP_1) | instskip(NEXT) | instid1(VALU_DEP_1)
	v_sub_nc_u32_e32 v3, v0, v3
	v_mul_lo_u32 v4, v3, s8
	v_mul_lo_u32 v5, v3, s10
	;; [unrolled: 1-line block ×3, first 2 shown]
	s_cbranch_vccnz .LBB61_34
; %bb.33:
	v_mov_b32_e32 v3, v1
	s_delay_alu instid0(VALU_DEP_1) | instskip(NEXT) | instid1(VALU_DEP_1)
	v_mul_u64_e32 v[8:9], s[22:23], v[2:3]
	v_add_nc_u32_e32 v1, v2, v9
	s_delay_alu instid0(VALU_DEP_1) | instskip(NEXT) | instid1(VALU_DEP_1)
	v_lshrrev_b32_e32 v1, s17, v1
	v_mul_lo_u32 v1, v1, s7
	s_delay_alu instid0(VALU_DEP_1) | instskip(NEXT) | instid1(VALU_DEP_1)
	v_sub_nc_u32_e32 v1, v2, v1
	v_mad_u32 v4, v1, s11, v4
	v_mad_u32 v6, v1, s18, v6
	;; [unrolled: 1-line block ×3, first 2 shown]
.LBB61_34:
	global_load_b32 v1, v5, s[14:15]
	global_load_b32 v2, v6, s[2:3]
	s_mov_b32 s24, 0
	s_mov_b32 s16, exec_lo
	s_wait_loadcnt 0x1
	v_sub_nc_u32_e32 v3, 0, v1
	s_wait_loadcnt 0x0
	s_wait_xcnt 0x1
	s_delay_alu instid0(VALU_DEP_1)
	v_dual_sub_nc_u32 v3, 0, v2 :: v_dual_max_i32 v5, v1, v3
	s_wait_xcnt 0x0
	v_cmpx_ne_u32_e32 0, v2
	s_cbranch_execz .LBB61_38
; %bb.35:
	s_delay_alu instid0(VALU_DEP_2)
	v_max_i32_e32 v7, v2, v3
.LBB61_36:                              ; =>This Inner Loop Header: Depth=1
	s_delay_alu instid0(VALU_DEP_1) | instskip(NEXT) | instid1(VALU_DEP_1)
	v_mov_b32_e32 v6, v7
	v_cvt_f32_u32_e32 v7, v6
	s_delay_alu instid0(VALU_DEP_1) | instskip(SKIP_1) | instid1(TRANS32_DEP_1)
	v_rcp_iflag_f32_e32 v7, v7
	v_nop
	v_dual_mul_f32 v7, 0x4f7ffffe, v7 :: v_dual_sub_nc_u32 v8, 0, v6
	s_delay_alu instid0(VALU_DEP_1) | instskip(NEXT) | instid1(VALU_DEP_1)
	v_cvt_u32_f32_e32 v7, v7
	v_mul_lo_u32 v8, v8, v7
	s_delay_alu instid0(VALU_DEP_1) | instskip(NEXT) | instid1(VALU_DEP_1)
	v_mul_hi_u32 v8, v7, v8
	v_add_nc_u32_e32 v7, v7, v8
	s_delay_alu instid0(VALU_DEP_1) | instskip(NEXT) | instid1(VALU_DEP_1)
	v_mul_hi_u32 v7, v5, v7
	v_mul_lo_u32 v7, v7, v6
	s_delay_alu instid0(VALU_DEP_1) | instskip(NEXT) | instid1(VALU_DEP_1)
	v_sub_nc_u32_e32 v5, v5, v7
	v_sub_nc_u32_e32 v7, v5, v6
	v_cmp_ge_u32_e32 vcc_lo, v5, v6
	s_delay_alu instid0(VALU_DEP_2) | instskip(NEXT) | instid1(VALU_DEP_1)
	v_cndmask_b32_e32 v5, v5, v7, vcc_lo
	v_sub_nc_u32_e32 v7, v5, v6
	v_cmp_ge_u32_e32 vcc_lo, v5, v6
	s_delay_alu instid0(VALU_DEP_2) | instskip(NEXT) | instid1(VALU_DEP_1)
	v_dual_cndmask_b32 v7, v5, v7, vcc_lo :: v_dual_mov_b32 v5, v6
	v_cmp_eq_u32_e32 vcc_lo, 0, v7
	s_or_b32 s24, vcc_lo, s24
	s_delay_alu instid0(SALU_CYCLE_1)
	s_and_not1_b32 exec_lo, exec_lo, s24
	s_cbranch_execnz .LBB61_36
; %bb.37:
	s_or_b32 exec_lo, exec_lo, s24
	v_mov_b32_e32 v5, v6
.LBB61_38:
	s_or_b32 exec_lo, exec_lo, s16
	v_mov_b32_e32 v6, 0
	s_mov_b32 s16, exec_lo
	s_delay_alu instid0(VALU_DEP_2)
	v_cmpx_ne_u32_e32 0, v5
	s_cbranch_execz .LBB61_40
; %bb.39:
	v_dual_sub_nc_u32 v6, 0, v5 :: v_dual_max_i32 v3, v2, v3
	v_xor_b32_e32 v2, v2, v5
	s_delay_alu instid0(VALU_DEP_2) | instskip(NEXT) | instid1(VALU_DEP_2)
	v_max_i32_e32 v6, v5, v6
	v_ashrrev_i32_e32 v2, 31, v2
	s_delay_alu instid0(VALU_DEP_2) | instskip(SKIP_1) | instid1(VALU_DEP_2)
	v_cvt_f32_u32_e32 v7, v6
	v_sub_nc_u32_e32 v8, 0, v6
	v_rcp_iflag_f32_e32 v7, v7
	v_nop
	s_delay_alu instid0(TRANS32_DEP_1) | instskip(NEXT) | instid1(VALU_DEP_1)
	v_mul_f32_e32 v7, 0x4f7ffffe, v7
	v_cvt_u32_f32_e32 v7, v7
	s_delay_alu instid0(VALU_DEP_1) | instskip(NEXT) | instid1(VALU_DEP_1)
	v_mul_lo_u32 v8, v8, v7
	v_mul_hi_u32 v8, v7, v8
	s_delay_alu instid0(VALU_DEP_1) | instskip(NEXT) | instid1(VALU_DEP_1)
	v_add_nc_u32_e32 v7, v7, v8
	v_mul_hi_u32 v7, v3, v7
	s_delay_alu instid0(VALU_DEP_1) | instskip(NEXT) | instid1(VALU_DEP_1)
	v_mul_lo_u32 v8, v7, v6
	v_dual_sub_nc_u32 v3, v3, v8 :: v_dual_add_nc_u32 v8, 1, v7
	s_delay_alu instid0(VALU_DEP_1) | instskip(SKIP_1) | instid1(VALU_DEP_3)
	v_sub_nc_u32_e32 v9, v3, v6
	v_cmp_ge_u32_e32 vcc_lo, v3, v6
	v_cndmask_b32_e32 v7, v7, v8, vcc_lo
	s_delay_alu instid0(VALU_DEP_1) | instskip(NEXT) | instid1(VALU_DEP_1)
	v_dual_cndmask_b32 v3, v3, v9, vcc_lo :: v_dual_add_nc_u32 v5, 1, v7
	v_cmp_ge_u32_e32 vcc_lo, v3, v6
	s_delay_alu instid0(VALU_DEP_2) | instskip(NEXT) | instid1(VALU_DEP_1)
	v_cndmask_b32_e32 v3, v7, v5, vcc_lo
	v_xor_b32_e32 v3, v3, v2
	s_delay_alu instid0(VALU_DEP_1) | instskip(NEXT) | instid1(VALU_DEP_1)
	v_sub_nc_u32_e32 v2, v3, v2
	v_mul_lo_u32 v1, v2, v1
	s_delay_alu instid0(VALU_DEP_1) | instskip(NEXT) | instid1(VALU_DEP_1)
	v_sub_nc_u32_e32 v2, 0, v1
	v_max_i32_e32 v6, v1, v2
.LBB61_40:
	s_or_b32 exec_lo, exec_lo, s16
	v_add_nc_u32_e32 v0, 0x80, v0
	global_store_b32 v4, v6, s[0:1]
	s_wait_xcnt 0x0
	s_or_b32 exec_lo, exec_lo, s5
	s_delay_alu instid0(SALU_CYCLE_1)
	s_mov_b32 s5, exec_lo
	v_cmpx_gt_i32_e64 s33, v0
	s_cbranch_execz .LBB61_4
.LBB61_41:
	s_and_not1_b32 vcc_lo, exec_lo, s28
	s_cbranch_vccnz .LBB61_47
; %bb.42:
	s_and_not1_b32 vcc_lo, exec_lo, s34
	s_cbranch_vccnz .LBB61_48
; %bb.43:
	v_dual_mov_b32 v4, 0 :: v_dual_mov_b32 v1, v0
	v_dual_mov_b32 v6, 0 :: v_dual_mov_b32 v5, 0
	s_add_co_i32 s16, s31, 1
	s_mov_b64 s[24:25], 0xffffffffffffffe8
	s_and_b32 s16, s16, 30
	s_add_nc_u64 s[24:25], s[12:13], s[24:25]
.LBB61_44:                              ; =>This Inner Loop Header: Depth=1
	s_clause 0x1
	s_load_b128 s[36:39], s[24:25], 0x1c
	s_load_b64 s[44:45], s[24:25], 0x2c
	s_add_co_i32 s16, s16, -2
	s_delay_alu instid0(SALU_CYCLE_1) | instskip(SKIP_2) | instid1(VALU_DEP_1)
	s_cmp_eq_u32 s16, 0
	s_wait_kmcnt 0x0
	v_mul_hi_u32 v2, s37, v1
	v_add_nc_u32_e32 v2, v1, v2
	s_delay_alu instid0(VALU_DEP_1) | instskip(NEXT) | instid1(VALU_DEP_1)
	v_lshrrev_b32_e32 v2, s38, v2
	v_mul_hi_u32 v3, s44, v2
	v_mul_lo_u32 v7, v2, s36
	s_clause 0x1
	s_load_b128 s[40:43], s[24:25], 0xdc
	s_load_b64 s[36:37], s[24:25], 0xec
	s_wait_xcnt 0x0
	s_add_nc_u64 s[24:25], s[24:25], 24
	s_delay_alu instid0(VALU_DEP_2) | instskip(NEXT) | instid1(VALU_DEP_2)
	v_add_nc_u32_e32 v3, v2, v3
	v_sub_nc_u32_e32 v7, v1, v7
	s_delay_alu instid0(VALU_DEP_2) | instskip(SKIP_1) | instid1(VALU_DEP_2)
	v_lshrrev_b32_e32 v1, s45, v3
	s_wait_kmcnt 0x0
	v_mad_u32 v4, v7, s40, v4
	s_delay_alu instid0(VALU_DEP_2) | instskip(SKIP_2) | instid1(VALU_DEP_3)
	v_mul_lo_u32 v3, v1, s39
	v_mad_u32 v5, v7, s42, v5
	v_mad_u32 v6, v7, s41, v6
	v_sub_nc_u32_e32 v2, v2, v3
	s_delay_alu instid0(VALU_DEP_1) | instskip(NEXT) | instid1(VALU_DEP_4)
	v_mad_u32 v4, v2, s43, v4
	v_mad_u32 v5, v2, s37, v5
	s_delay_alu instid0(VALU_DEP_4)
	v_mad_u32 v6, v2, s36, v6
	s_cbranch_scc0 .LBB61_44
; %bb.45:
	s_bitcmp1_b32 s31, 0
	s_cselect_b32 s16, -1, 0
	s_delay_alu instid0(SALU_CYCLE_1)
	s_and_b32 vcc_lo, exec_lo, s16
	s_cbranch_vccnz .LBB61_49
; %bb.46:
	s_clause 0x1
	s_load_b96 s[36:38], s[24:25], 0x1c
	s_load_b96 s[40:42], s[24:25], 0xdc
	s_wait_kmcnt 0x0
	v_mul_hi_u32 v2, s37, v1
	s_delay_alu instid0(VALU_DEP_1) | instskip(NEXT) | instid1(VALU_DEP_1)
	v_add_nc_u32_e32 v2, v1, v2
	v_lshrrev_b32_e32 v2, s38, v2
	s_delay_alu instid0(VALU_DEP_1) | instskip(NEXT) | instid1(VALU_DEP_1)
	v_mul_lo_u32 v2, v2, s36
	v_sub_nc_u32_e32 v1, v1, v2
	s_delay_alu instid0(VALU_DEP_1)
	v_mad_u32 v4, v1, s40, v4
	v_mad_u32 v6, v1, s41, v6
	;; [unrolled: 1-line block ×3, first 2 shown]
	s_branch .LBB61_49
.LBB61_47:
                                        ; implicit-def: $vgpr5
                                        ; implicit-def: $vgpr6
                                        ; implicit-def: $vgpr4
	s_branch .LBB61_50
.LBB61_48:
	v_dual_mov_b32 v5, 0 :: v_dual_mov_b32 v6, 0
	v_mov_b32_e32 v4, 0
.LBB61_49:
	s_cbranch_execnz .LBB61_52
.LBB61_50:
	v_mov_b32_e32 v1, 0
	s_and_not1_b32 vcc_lo, exec_lo, s30
	s_delay_alu instid0(VALU_DEP_1) | instskip(NEXT) | instid1(VALU_DEP_1)
	v_mul_u64_e32 v[2:3], s[20:21], v[0:1]
	v_add_nc_u32_e32 v2, v0, v3
	s_delay_alu instid0(VALU_DEP_1) | instskip(NEXT) | instid1(VALU_DEP_1)
	v_lshrrev_b32_e32 v2, s6, v2
	v_mul_lo_u32 v3, v2, s4
	s_delay_alu instid0(VALU_DEP_1) | instskip(NEXT) | instid1(VALU_DEP_1)
	v_sub_nc_u32_e32 v3, v0, v3
	v_mul_lo_u32 v4, v3, s8
	v_mul_lo_u32 v5, v3, s10
	;; [unrolled: 1-line block ×3, first 2 shown]
	s_cbranch_vccnz .LBB61_52
; %bb.51:
	v_mov_b32_e32 v3, v1
	s_delay_alu instid0(VALU_DEP_1) | instskip(NEXT) | instid1(VALU_DEP_1)
	v_mul_u64_e32 v[8:9], s[22:23], v[2:3]
	v_add_nc_u32_e32 v1, v2, v9
	s_delay_alu instid0(VALU_DEP_1) | instskip(NEXT) | instid1(VALU_DEP_1)
	v_lshrrev_b32_e32 v1, s17, v1
	v_mul_lo_u32 v1, v1, s7
	s_delay_alu instid0(VALU_DEP_1) | instskip(NEXT) | instid1(VALU_DEP_1)
	v_sub_nc_u32_e32 v1, v2, v1
	v_mad_u32 v4, v1, s11, v4
	v_mad_u32 v6, v1, s18, v6
	;; [unrolled: 1-line block ×3, first 2 shown]
.LBB61_52:
	global_load_b32 v1, v5, s[14:15]
	global_load_b32 v2, v6, s[2:3]
	s_mov_b32 s24, 0
	s_mov_b32 s16, exec_lo
	s_wait_loadcnt 0x1
	v_sub_nc_u32_e32 v3, 0, v1
	s_wait_loadcnt 0x0
	s_wait_xcnt 0x1
	s_delay_alu instid0(VALU_DEP_1)
	v_dual_sub_nc_u32 v3, 0, v2 :: v_dual_max_i32 v5, v1, v3
	s_wait_xcnt 0x0
	v_cmpx_ne_u32_e32 0, v2
	s_cbranch_execz .LBB61_56
; %bb.53:
	s_delay_alu instid0(VALU_DEP_2)
	v_max_i32_e32 v7, v2, v3
.LBB61_54:                              ; =>This Inner Loop Header: Depth=1
	s_delay_alu instid0(VALU_DEP_1) | instskip(NEXT) | instid1(VALU_DEP_1)
	v_mov_b32_e32 v6, v7
	v_cvt_f32_u32_e32 v7, v6
	s_delay_alu instid0(VALU_DEP_1) | instskip(SKIP_1) | instid1(TRANS32_DEP_1)
	v_rcp_iflag_f32_e32 v7, v7
	v_nop
	v_dual_mul_f32 v7, 0x4f7ffffe, v7 :: v_dual_sub_nc_u32 v8, 0, v6
	s_delay_alu instid0(VALU_DEP_1) | instskip(NEXT) | instid1(VALU_DEP_1)
	v_cvt_u32_f32_e32 v7, v7
	v_mul_lo_u32 v8, v8, v7
	s_delay_alu instid0(VALU_DEP_1) | instskip(NEXT) | instid1(VALU_DEP_1)
	v_mul_hi_u32 v8, v7, v8
	v_add_nc_u32_e32 v7, v7, v8
	s_delay_alu instid0(VALU_DEP_1) | instskip(NEXT) | instid1(VALU_DEP_1)
	v_mul_hi_u32 v7, v5, v7
	v_mul_lo_u32 v7, v7, v6
	s_delay_alu instid0(VALU_DEP_1) | instskip(NEXT) | instid1(VALU_DEP_1)
	v_sub_nc_u32_e32 v5, v5, v7
	v_sub_nc_u32_e32 v7, v5, v6
	v_cmp_ge_u32_e32 vcc_lo, v5, v6
	s_delay_alu instid0(VALU_DEP_2) | instskip(NEXT) | instid1(VALU_DEP_1)
	v_cndmask_b32_e32 v5, v5, v7, vcc_lo
	v_sub_nc_u32_e32 v7, v5, v6
	v_cmp_ge_u32_e32 vcc_lo, v5, v6
	s_delay_alu instid0(VALU_DEP_2) | instskip(NEXT) | instid1(VALU_DEP_1)
	v_dual_cndmask_b32 v7, v5, v7, vcc_lo :: v_dual_mov_b32 v5, v6
	v_cmp_eq_u32_e32 vcc_lo, 0, v7
	s_or_b32 s24, vcc_lo, s24
	s_delay_alu instid0(SALU_CYCLE_1)
	s_and_not1_b32 exec_lo, exec_lo, s24
	s_cbranch_execnz .LBB61_54
; %bb.55:
	s_or_b32 exec_lo, exec_lo, s24
	v_mov_b32_e32 v5, v6
.LBB61_56:
	s_or_b32 exec_lo, exec_lo, s16
	v_mov_b32_e32 v6, 0
	s_mov_b32 s16, exec_lo
	s_delay_alu instid0(VALU_DEP_2)
	v_cmpx_ne_u32_e32 0, v5
	s_cbranch_execz .LBB61_58
; %bb.57:
	v_dual_sub_nc_u32 v6, 0, v5 :: v_dual_max_i32 v3, v2, v3
	v_xor_b32_e32 v2, v2, v5
	s_delay_alu instid0(VALU_DEP_2) | instskip(NEXT) | instid1(VALU_DEP_2)
	v_max_i32_e32 v6, v5, v6
	v_ashrrev_i32_e32 v2, 31, v2
	s_delay_alu instid0(VALU_DEP_2) | instskip(SKIP_1) | instid1(VALU_DEP_2)
	v_cvt_f32_u32_e32 v7, v6
	v_sub_nc_u32_e32 v8, 0, v6
	v_rcp_iflag_f32_e32 v7, v7
	v_nop
	s_delay_alu instid0(TRANS32_DEP_1) | instskip(NEXT) | instid1(VALU_DEP_1)
	v_mul_f32_e32 v7, 0x4f7ffffe, v7
	v_cvt_u32_f32_e32 v7, v7
	s_delay_alu instid0(VALU_DEP_1) | instskip(NEXT) | instid1(VALU_DEP_1)
	v_mul_lo_u32 v8, v8, v7
	v_mul_hi_u32 v8, v7, v8
	s_delay_alu instid0(VALU_DEP_1) | instskip(NEXT) | instid1(VALU_DEP_1)
	v_add_nc_u32_e32 v7, v7, v8
	v_mul_hi_u32 v7, v3, v7
	s_delay_alu instid0(VALU_DEP_1) | instskip(NEXT) | instid1(VALU_DEP_1)
	v_mul_lo_u32 v8, v7, v6
	v_dual_sub_nc_u32 v3, v3, v8 :: v_dual_add_nc_u32 v8, 1, v7
	s_delay_alu instid0(VALU_DEP_1) | instskip(SKIP_1) | instid1(VALU_DEP_3)
	v_sub_nc_u32_e32 v9, v3, v6
	v_cmp_ge_u32_e32 vcc_lo, v3, v6
	v_cndmask_b32_e32 v7, v7, v8, vcc_lo
	s_delay_alu instid0(VALU_DEP_1) | instskip(NEXT) | instid1(VALU_DEP_1)
	v_dual_cndmask_b32 v3, v3, v9, vcc_lo :: v_dual_add_nc_u32 v5, 1, v7
	v_cmp_ge_u32_e32 vcc_lo, v3, v6
	s_delay_alu instid0(VALU_DEP_2) | instskip(NEXT) | instid1(VALU_DEP_1)
	v_cndmask_b32_e32 v3, v7, v5, vcc_lo
	v_xor_b32_e32 v3, v3, v2
	s_delay_alu instid0(VALU_DEP_1) | instskip(NEXT) | instid1(VALU_DEP_1)
	v_sub_nc_u32_e32 v2, v3, v2
	v_mul_lo_u32 v1, v2, v1
	s_delay_alu instid0(VALU_DEP_1) | instskip(NEXT) | instid1(VALU_DEP_1)
	v_sub_nc_u32_e32 v2, 0, v1
	v_max_i32_e32 v6, v1, v2
.LBB61_58:
	s_or_b32 exec_lo, exec_lo, s16
	v_add_nc_u32_e32 v0, 0x80, v0
	global_store_b32 v4, v6, s[0:1]
	s_wait_xcnt 0x0
	s_or_b32 exec_lo, exec_lo, s5
	s_delay_alu instid0(SALU_CYCLE_1)
	s_mov_b32 s5, exec_lo
	v_cmpx_gt_i32_e64 s33, v0
	s_cbranch_execz .LBB61_77
.LBB61_59:
	s_and_not1_b32 vcc_lo, exec_lo, s28
	s_cbranch_vccnz .LBB61_65
; %bb.60:
	s_and_not1_b32 vcc_lo, exec_lo, s34
	s_cbranch_vccnz .LBB61_66
; %bb.61:
	v_dual_mov_b32 v4, 0 :: v_dual_mov_b32 v1, v0
	v_dual_mov_b32 v5, 0 :: v_dual_mov_b32 v6, 0
	s_add_co_i32 s16, s31, 1
	s_mov_b64 s[24:25], 0xffffffffffffffe8
	s_and_b32 s16, s16, 30
	s_add_nc_u64 s[24:25], s[12:13], s[24:25]
.LBB61_62:                              ; =>This Inner Loop Header: Depth=1
	s_clause 0x1
	s_load_b128 s[36:39], s[24:25], 0x1c
	s_load_b64 s[34:35], s[24:25], 0x2c
	s_add_co_i32 s16, s16, -2
	s_delay_alu instid0(SALU_CYCLE_1) | instskip(SKIP_2) | instid1(VALU_DEP_1)
	s_cmp_eq_u32 s16, 0
	s_wait_kmcnt 0x0
	v_mul_hi_u32 v2, s37, v1
	v_add_nc_u32_e32 v2, v1, v2
	s_delay_alu instid0(VALU_DEP_1) | instskip(NEXT) | instid1(VALU_DEP_1)
	v_lshrrev_b32_e32 v2, s38, v2
	v_mul_hi_u32 v3, s34, v2
	v_mul_lo_u32 v7, v2, s36
	s_clause 0x1
	s_load_b128 s[40:43], s[24:25], 0xdc
	s_load_b64 s[36:37], s[24:25], 0xec
	s_wait_xcnt 0x0
	s_add_nc_u64 s[24:25], s[24:25], 24
	s_delay_alu instid0(VALU_DEP_2) | instskip(NEXT) | instid1(VALU_DEP_2)
	v_add_nc_u32_e32 v3, v2, v3
	v_sub_nc_u32_e32 v7, v1, v7
	s_delay_alu instid0(VALU_DEP_2) | instskip(SKIP_1) | instid1(VALU_DEP_2)
	v_lshrrev_b32_e32 v1, s35, v3
	s_wait_kmcnt 0x0
	v_mad_u32 v4, v7, s40, v4
	s_delay_alu instid0(VALU_DEP_2) | instskip(SKIP_2) | instid1(VALU_DEP_3)
	v_mul_lo_u32 v3, v1, s39
	v_mad_u32 v6, v7, s42, v6
	v_mad_u32 v5, v7, s41, v5
	v_sub_nc_u32_e32 v2, v2, v3
	s_delay_alu instid0(VALU_DEP_1) | instskip(NEXT) | instid1(VALU_DEP_4)
	v_mad_u32 v4, v2, s43, v4
	v_mad_u32 v6, v2, s37, v6
	s_delay_alu instid0(VALU_DEP_4)
	v_mad_u32 v5, v2, s36, v5
	s_cbranch_scc0 .LBB61_62
; %bb.63:
	s_bitcmp1_b32 s31, 0
	s_cselect_b32 s16, -1, 0
	s_delay_alu instid0(SALU_CYCLE_1)
	s_and_b32 vcc_lo, exec_lo, s16
	s_cbranch_vccnz .LBB61_67
; %bb.64:
	s_clause 0x1
	s_load_b96 s[36:38], s[24:25], 0x1c
	s_load_b96 s[40:42], s[24:25], 0xdc
	s_wait_kmcnt 0x0
	v_mul_hi_u32 v2, s37, v1
	s_delay_alu instid0(VALU_DEP_1) | instskip(NEXT) | instid1(VALU_DEP_1)
	v_add_nc_u32_e32 v2, v1, v2
	v_lshrrev_b32_e32 v2, s38, v2
	s_delay_alu instid0(VALU_DEP_1) | instskip(NEXT) | instid1(VALU_DEP_1)
	v_mul_lo_u32 v2, v2, s36
	v_sub_nc_u32_e32 v1, v1, v2
	s_delay_alu instid0(VALU_DEP_1)
	v_mad_u32 v4, v1, s40, v4
	v_mad_u32 v5, v1, s41, v5
	;; [unrolled: 1-line block ×3, first 2 shown]
	s_branch .LBB61_67
.LBB61_65:
                                        ; implicit-def: $vgpr6
                                        ; implicit-def: $vgpr5
                                        ; implicit-def: $vgpr4
	s_branch .LBB61_68
.LBB61_66:
	v_dual_mov_b32 v6, 0 :: v_dual_mov_b32 v5, 0
	v_mov_b32_e32 v4, 0
.LBB61_67:
	s_cbranch_execnz .LBB61_70
.LBB61_68:
	v_mov_b32_e32 v1, 0
	s_and_not1_b32 vcc_lo, exec_lo, s30
	s_delay_alu instid0(VALU_DEP_1) | instskip(NEXT) | instid1(VALU_DEP_1)
	v_mul_u64_e32 v[2:3], s[20:21], v[0:1]
	v_add_nc_u32_e32 v2, v0, v3
	s_delay_alu instid0(VALU_DEP_1) | instskip(NEXT) | instid1(VALU_DEP_1)
	v_lshrrev_b32_e32 v2, s6, v2
	v_mul_lo_u32 v3, v2, s4
	s_delay_alu instid0(VALU_DEP_1) | instskip(NEXT) | instid1(VALU_DEP_1)
	v_sub_nc_u32_e32 v0, v0, v3
	v_mul_lo_u32 v4, v0, s8
	v_mul_lo_u32 v6, v0, s10
	;; [unrolled: 1-line block ×3, first 2 shown]
	s_cbranch_vccnz .LBB61_70
; %bb.69:
	v_mov_b32_e32 v3, v1
	s_delay_alu instid0(VALU_DEP_1) | instskip(NEXT) | instid1(VALU_DEP_1)
	v_mul_u64_e32 v[0:1], s[22:23], v[2:3]
	v_add_nc_u32_e32 v0, v2, v1
	s_delay_alu instid0(VALU_DEP_1) | instskip(NEXT) | instid1(VALU_DEP_1)
	v_lshrrev_b32_e32 v0, s17, v0
	v_mul_lo_u32 v0, v0, s7
	s_delay_alu instid0(VALU_DEP_1) | instskip(NEXT) | instid1(VALU_DEP_1)
	v_sub_nc_u32_e32 v0, v2, v0
	v_mad_u32 v4, v0, s11, v4
	v_mad_u32 v5, v0, s18, v5
	;; [unrolled: 1-line block ×3, first 2 shown]
.LBB61_70:
	global_load_b32 v0, v6, s[14:15]
	global_load_b32 v1, v5, s[2:3]
	s_wait_xcnt 0x0
	s_mov_b32 s3, 0
	s_mov_b32 s2, exec_lo
	s_wait_loadcnt 0x1
	v_sub_nc_u32_e32 v2, 0, v0
	s_wait_loadcnt 0x0
	s_delay_alu instid0(VALU_DEP_1)
	v_dual_sub_nc_u32 v2, 0, v1 :: v_dual_max_i32 v3, v0, v2
	v_cmpx_ne_u32_e32 0, v1
	s_cbranch_execz .LBB61_74
; %bb.71:
	s_delay_alu instid0(VALU_DEP_2)
	v_max_i32_e32 v6, v1, v2
.LBB61_72:                              ; =>This Inner Loop Header: Depth=1
	s_delay_alu instid0(VALU_DEP_1) | instskip(NEXT) | instid1(VALU_DEP_1)
	v_mov_b32_e32 v5, v6
	v_cvt_f32_u32_e32 v6, v5
	s_delay_alu instid0(VALU_DEP_1) | instskip(SKIP_1) | instid1(TRANS32_DEP_1)
	v_rcp_iflag_f32_e32 v6, v6
	v_nop
	v_dual_mul_f32 v6, 0x4f7ffffe, v6 :: v_dual_sub_nc_u32 v7, 0, v5
	s_delay_alu instid0(VALU_DEP_1) | instskip(NEXT) | instid1(VALU_DEP_1)
	v_cvt_u32_f32_e32 v6, v6
	v_mul_lo_u32 v7, v7, v6
	s_delay_alu instid0(VALU_DEP_1) | instskip(NEXT) | instid1(VALU_DEP_1)
	v_mul_hi_u32 v7, v6, v7
	v_add_nc_u32_e32 v6, v6, v7
	s_delay_alu instid0(VALU_DEP_1) | instskip(NEXT) | instid1(VALU_DEP_1)
	v_mul_hi_u32 v6, v3, v6
	v_mul_lo_u32 v6, v6, v5
	s_delay_alu instid0(VALU_DEP_1) | instskip(NEXT) | instid1(VALU_DEP_1)
	v_sub_nc_u32_e32 v3, v3, v6
	v_sub_nc_u32_e32 v6, v3, v5
	v_cmp_ge_u32_e32 vcc_lo, v3, v5
	s_delay_alu instid0(VALU_DEP_2) | instskip(NEXT) | instid1(VALU_DEP_1)
	v_cndmask_b32_e32 v3, v3, v6, vcc_lo
	v_sub_nc_u32_e32 v6, v3, v5
	v_cmp_ge_u32_e32 vcc_lo, v3, v5
	s_delay_alu instid0(VALU_DEP_2) | instskip(NEXT) | instid1(VALU_DEP_1)
	v_dual_cndmask_b32 v6, v3, v6 :: v_dual_mov_b32 v3, v5
	v_cmp_eq_u32_e32 vcc_lo, 0, v6
	s_or_b32 s3, vcc_lo, s3
	s_delay_alu instid0(SALU_CYCLE_1)
	s_and_not1_b32 exec_lo, exec_lo, s3
	s_cbranch_execnz .LBB61_72
; %bb.73:
	s_or_b32 exec_lo, exec_lo, s3
	v_mov_b32_e32 v3, v5
.LBB61_74:
	s_or_b32 exec_lo, exec_lo, s2
	v_mov_b32_e32 v5, 0
	s_mov_b32 s2, exec_lo
	s_delay_alu instid0(VALU_DEP_2)
	v_cmpx_ne_u32_e32 0, v3
	s_cbranch_execz .LBB61_76
; %bb.75:
	v_dual_sub_nc_u32 v5, 0, v3 :: v_dual_max_i32 v2, v1, v2
	v_xor_b32_e32 v1, v1, v3
	s_delay_alu instid0(VALU_DEP_2) | instskip(NEXT) | instid1(VALU_DEP_2)
	v_max_i32_e32 v5, v3, v5
	v_ashrrev_i32_e32 v1, 31, v1
	s_delay_alu instid0(VALU_DEP_2) | instskip(SKIP_1) | instid1(VALU_DEP_2)
	v_cvt_f32_u32_e32 v6, v5
	v_sub_nc_u32_e32 v7, 0, v5
	v_rcp_iflag_f32_e32 v6, v6
	v_nop
	s_delay_alu instid0(TRANS32_DEP_1) | instskip(NEXT) | instid1(VALU_DEP_1)
	v_mul_f32_e32 v6, 0x4f7ffffe, v6
	v_cvt_u32_f32_e32 v6, v6
	s_delay_alu instid0(VALU_DEP_1) | instskip(NEXT) | instid1(VALU_DEP_1)
	v_mul_lo_u32 v7, v7, v6
	v_mul_hi_u32 v7, v6, v7
	s_delay_alu instid0(VALU_DEP_1) | instskip(NEXT) | instid1(VALU_DEP_1)
	v_add_nc_u32_e32 v6, v6, v7
	v_mul_hi_u32 v6, v2, v6
	s_delay_alu instid0(VALU_DEP_1) | instskip(NEXT) | instid1(VALU_DEP_1)
	v_mul_lo_u32 v7, v6, v5
	v_dual_sub_nc_u32 v2, v2, v7 :: v_dual_add_nc_u32 v7, 1, v6
	s_delay_alu instid0(VALU_DEP_1) | instskip(SKIP_1) | instid1(VALU_DEP_3)
	v_sub_nc_u32_e32 v8, v2, v5
	v_cmp_ge_u32_e32 vcc_lo, v2, v5
	v_cndmask_b32_e32 v6, v6, v7, vcc_lo
	s_delay_alu instid0(VALU_DEP_1) | instskip(NEXT) | instid1(VALU_DEP_1)
	v_dual_cndmask_b32 v2, v2, v8 :: v_dual_add_nc_u32 v3, 1, v6
	v_cmp_ge_u32_e32 vcc_lo, v2, v5
	s_delay_alu instid0(VALU_DEP_2) | instskip(NEXT) | instid1(VALU_DEP_1)
	v_cndmask_b32_e32 v2, v6, v3, vcc_lo
	v_xor_b32_e32 v2, v2, v1
	s_delay_alu instid0(VALU_DEP_1) | instskip(NEXT) | instid1(VALU_DEP_1)
	v_sub_nc_u32_e32 v1, v2, v1
	v_mul_lo_u32 v0, v1, v0
	s_delay_alu instid0(VALU_DEP_1) | instskip(NEXT) | instid1(VALU_DEP_1)
	v_sub_nc_u32_e32 v1, 0, v0
	v_max_i32_e32 v5, v0, v1
.LBB61_76:
	s_or_b32 exec_lo, exec_lo, s2
	global_store_b32 v4, v5, s[0:1]
.LBB61_77:
	s_wait_xcnt 0x0
	s_or_b32 exec_lo, exec_lo, s5
                                        ; implicit-def: $vgpr3
                                        ; implicit-def: $vgpr0
.LBB61_78:
	s_and_not1_saveexec_b32 s0, s29
	s_cbranch_execz .LBB61_85
; %bb.79:
	v_cndmask_b32_e64 v8, 0, 1, s28
	s_and_not1_b32 vcc_lo, exec_lo, s28
	s_cbranch_vccnz .LBB61_86
; %bb.80:
	s_cmp_lg_u32 s26, 0
	s_mov_b32 s2, 0
	s_cbranch_scc0 .LBB61_90
; %bb.81:
	s_min_u32 s3, s27, 15
	v_dual_mov_b32 v1, 0 :: v_dual_mov_b32 v2, v0
	v_dual_mov_b32 v5, 0 :: v_dual_mov_b32 v4, 0
	s_add_co_i32 s4, s3, 1
	s_mov_b64 s[0:1], 0xffffffffffffffe8
	s_and_b32 s4, s4, 30
	s_add_nc_u64 s[0:1], s[12:13], s[0:1]
.LBB61_82:                              ; =>This Inner Loop Header: Depth=1
	s_clause 0x1
	s_load_b128 s[8:11], s[0:1], 0x1c
	s_load_b64 s[6:7], s[0:1], 0x2c
	s_add_co_i32 s4, s4, -2
	s_delay_alu instid0(SALU_CYCLE_1) | instskip(SKIP_2) | instid1(VALU_DEP_1)
	s_cmp_lg_u32 s4, 0
	s_wait_kmcnt 0x0
	v_mul_hi_u32 v6, s9, v2
	v_add_nc_u32_e32 v6, v2, v6
	s_delay_alu instid0(VALU_DEP_1) | instskip(NEXT) | instid1(VALU_DEP_1)
	v_lshrrev_b32_e32 v6, s10, v6
	v_mul_hi_u32 v7, s6, v6
	v_mul_lo_u32 v9, v6, s8
	s_clause 0x1
	s_load_b128 s[16:19], s[0:1], 0xdc
	s_load_b64 s[8:9], s[0:1], 0xec
	s_wait_xcnt 0x0
	s_add_nc_u64 s[0:1], s[0:1], 24
	s_delay_alu instid0(VALU_DEP_2) | instskip(NEXT) | instid1(VALU_DEP_1)
	v_add_nc_u32_e32 v7, v6, v7
	v_dual_sub_nc_u32 v9, v2, v9 :: v_dual_lshrrev_b32 v2, s7, v7
	s_wait_kmcnt 0x0
	s_delay_alu instid0(VALU_DEP_1) | instskip(NEXT) | instid1(VALU_DEP_2)
	v_mad_u32 v1, v9, s16, v1
	v_mul_lo_u32 v7, v2, s11
	v_mad_u32 v4, v9, s18, v4
	v_mad_u32 v5, v9, s17, v5
	s_delay_alu instid0(VALU_DEP_3) | instskip(NEXT) | instid1(VALU_DEP_1)
	v_sub_nc_u32_e32 v6, v6, v7
	v_mad_u32 v1, v6, s19, v1
	s_delay_alu instid0(VALU_DEP_4) | instskip(NEXT) | instid1(VALU_DEP_4)
	v_mad_u32 v4, v6, s9, v4
	v_mad_u32 v5, v6, s8, v5
	s_cbranch_scc1 .LBB61_82
; %bb.83:
	s_bitcmp1_b32 s3, 0
	s_cselect_b32 s3, -1, 0
	s_delay_alu instid0(SALU_CYCLE_1)
	s_and_b32 vcc_lo, exec_lo, s3
	s_cbranch_vccnz .LBB61_87
; %bb.84:
	s_clause 0x1
	s_load_b96 s[4:6], s[0:1], 0x1c
	s_load_b96 s[8:10], s[0:1], 0xdc
	s_wait_kmcnt 0x0
	v_mul_hi_u32 v6, s5, v2
	s_delay_alu instid0(VALU_DEP_1) | instskip(NEXT) | instid1(VALU_DEP_1)
	v_add_nc_u32_e32 v6, v2, v6
	v_lshrrev_b32_e32 v6, s6, v6
	s_delay_alu instid0(VALU_DEP_1) | instskip(NEXT) | instid1(VALU_DEP_1)
	v_mul_lo_u32 v6, v6, s4
	v_sub_nc_u32_e32 v2, v2, v6
	s_delay_alu instid0(VALU_DEP_1)
	v_mad_u32 v1, v2, s8, v1
	v_mad_u32 v5, v2, s9, v5
	;; [unrolled: 1-line block ×3, first 2 shown]
	s_and_not1_b32 vcc_lo, exec_lo, s2
	s_cbranch_vccz .LBB61_88
	s_branch .LBB61_91
.LBB61_85:
	s_endpgm
.LBB61_86:
	s_mov_b32 s2, -1
                                        ; implicit-def: $vgpr4
                                        ; implicit-def: $vgpr5
                                        ; implicit-def: $vgpr1
.LBB61_87:
	s_delay_alu instid0(SALU_CYCLE_1)
	s_and_not1_b32 vcc_lo, exec_lo, s2
	s_cbranch_vccnz .LBB61_91
.LBB61_88:
	s_clause 0x1
	s_load_b96 s[0:2], s[12:13], 0x4
	s_load_b96 s[4:6], s[12:13], 0xc4
	s_cmp_lt_u32 s26, 2
	s_wait_kmcnt 0x0
	v_mul_hi_u32 v1, s1, v0
	s_delay_alu instid0(VALU_DEP_1) | instskip(NEXT) | instid1(VALU_DEP_1)
	v_add_nc_u32_e32 v1, v0, v1
	v_lshrrev_b32_e32 v2, s2, v1
	s_delay_alu instid0(VALU_DEP_1) | instskip(NEXT) | instid1(VALU_DEP_1)
	v_mul_lo_u32 v1, v2, s0
	v_sub_nc_u32_e32 v5, v0, v1
	s_delay_alu instid0(VALU_DEP_1)
	v_mul_lo_u32 v1, v5, s4
	v_mul_lo_u32 v4, v5, s6
	;; [unrolled: 1-line block ×3, first 2 shown]
	s_cbranch_scc1 .LBB61_91
; %bb.89:
	s_clause 0x1
	s_load_b96 s[0:2], s[12:13], 0x10
	s_load_b96 s[4:6], s[12:13], 0xd0
	s_wait_kmcnt 0x0
	v_mul_hi_u32 v6, s1, v2
	s_delay_alu instid0(VALU_DEP_1) | instskip(NEXT) | instid1(VALU_DEP_1)
	v_add_nc_u32_e32 v6, v2, v6
	v_lshrrev_b32_e32 v6, s2, v6
	s_delay_alu instid0(VALU_DEP_1) | instskip(NEXT) | instid1(VALU_DEP_1)
	v_mul_lo_u32 v6, v6, s0
	v_sub_nc_u32_e32 v2, v2, v6
	s_delay_alu instid0(VALU_DEP_1)
	v_mad_u32 v1, v2, s4, v1
	v_mad_u32 v5, v2, s5, v5
	;; [unrolled: 1-line block ×3, first 2 shown]
	s_branch .LBB61_91
.LBB61_90:
	v_dual_mov_b32 v4, 0 :: v_dual_mov_b32 v5, 0
	v_mov_b32_e32 v1, 0
	s_and_not1_b32 vcc_lo, exec_lo, s2
	s_cbranch_vccz .LBB61_88
.LBB61_91:
	v_cmp_ne_u32_e32 vcc_lo, 1, v8
	v_add_nc_u32_e32 v9, 0x80, v0
	s_cbranch_vccnz .LBB61_97
; %bb.92:
	s_cmp_lg_u32 s26, 0
	s_mov_b32 s2, 0
	s_cbranch_scc0 .LBB61_101
; %bb.93:
	s_min_u32 s3, s27, 15
	v_dual_mov_b32 v2, 0 :: v_dual_mov_b32 v10, v9
	v_dual_mov_b32 v7, 0 :: v_dual_mov_b32 v6, 0
	s_add_co_i32 s4, s3, 1
	s_mov_b64 s[0:1], 0xffffffffffffffe8
	s_and_b32 s4, s4, 30
	s_add_nc_u64 s[0:1], s[12:13], s[0:1]
.LBB61_94:                              ; =>This Inner Loop Header: Depth=1
	s_clause 0x1
	s_load_b128 s[8:11], s[0:1], 0x1c
	s_load_b64 s[6:7], s[0:1], 0x2c
	s_add_co_i32 s4, s4, -2
	s_delay_alu instid0(SALU_CYCLE_1) | instskip(SKIP_2) | instid1(VALU_DEP_1)
	s_cmp_lg_u32 s4, 0
	s_wait_kmcnt 0x0
	v_mul_hi_u32 v11, s9, v10
	v_add_nc_u32_e32 v11, v10, v11
	s_delay_alu instid0(VALU_DEP_1) | instskip(NEXT) | instid1(VALU_DEP_1)
	v_lshrrev_b32_e32 v11, s10, v11
	v_mul_hi_u32 v12, s6, v11
	v_mul_lo_u32 v13, v11, s8
	s_clause 0x1
	s_load_b128 s[16:19], s[0:1], 0xdc
	s_load_b64 s[8:9], s[0:1], 0xec
	s_wait_xcnt 0x0
	s_add_nc_u64 s[0:1], s[0:1], 24
	s_delay_alu instid0(VALU_DEP_1) | instskip(NEXT) | instid1(VALU_DEP_1)
	v_dual_add_nc_u32 v12, v11, v12 :: v_dual_sub_nc_u32 v13, v10, v13
	v_lshrrev_b32_e32 v10, s7, v12
	s_wait_kmcnt 0x0
	s_delay_alu instid0(VALU_DEP_2) | instskip(NEXT) | instid1(VALU_DEP_2)
	v_mad_u32 v2, v13, s16, v2
	v_mul_lo_u32 v12, v10, s11
	v_mad_u32 v6, v13, s18, v6
	v_mad_u32 v7, v13, s17, v7
	s_delay_alu instid0(VALU_DEP_3) | instskip(NEXT) | instid1(VALU_DEP_1)
	v_sub_nc_u32_e32 v11, v11, v12
	v_mad_u32 v2, v11, s19, v2
	s_delay_alu instid0(VALU_DEP_4) | instskip(NEXT) | instid1(VALU_DEP_4)
	v_mad_u32 v6, v11, s9, v6
	v_mad_u32 v7, v11, s8, v7
	s_cbranch_scc1 .LBB61_94
; %bb.95:
	s_bitcmp1_b32 s3, 0
	s_cselect_b32 s3, -1, 0
	s_delay_alu instid0(SALU_CYCLE_1)
	s_and_b32 vcc_lo, exec_lo, s3
	s_cbranch_vccnz .LBB61_98
; %bb.96:
	s_clause 0x1
	s_load_b96 s[4:6], s[0:1], 0x1c
	s_load_b96 s[8:10], s[0:1], 0xdc
	s_wait_kmcnt 0x0
	v_mul_hi_u32 v11, s5, v10
	s_delay_alu instid0(VALU_DEP_1) | instskip(NEXT) | instid1(VALU_DEP_1)
	v_add_nc_u32_e32 v11, v10, v11
	v_lshrrev_b32_e32 v11, s6, v11
	s_delay_alu instid0(VALU_DEP_1) | instskip(NEXT) | instid1(VALU_DEP_1)
	v_mul_lo_u32 v11, v11, s4
	v_sub_nc_u32_e32 v10, v10, v11
	s_delay_alu instid0(VALU_DEP_1)
	v_mad_u32 v2, v10, s8, v2
	v_mad_u32 v7, v10, s9, v7
	v_mad_u32 v6, v10, s10, v6
	s_and_not1_b32 vcc_lo, exec_lo, s2
	s_cbranch_vccz .LBB61_99
	s_branch .LBB61_102
.LBB61_97:
	s_mov_b32 s2, -1
                                        ; implicit-def: $vgpr6
                                        ; implicit-def: $vgpr7
                                        ; implicit-def: $vgpr2
.LBB61_98:
	s_delay_alu instid0(SALU_CYCLE_1)
	s_and_not1_b32 vcc_lo, exec_lo, s2
	s_cbranch_vccnz .LBB61_102
.LBB61_99:
	s_clause 0x1
	s_load_b96 s[0:2], s[12:13], 0x4
	s_load_b96 s[4:6], s[12:13], 0xc4
	s_cmp_lt_u32 s26, 2
	s_wait_kmcnt 0x0
	v_mul_hi_u32 v2, s1, v9
	s_delay_alu instid0(VALU_DEP_1) | instskip(NEXT) | instid1(VALU_DEP_1)
	v_add_nc_u32_e32 v2, v9, v2
	v_lshrrev_b32_e32 v10, s2, v2
	s_delay_alu instid0(VALU_DEP_1) | instskip(NEXT) | instid1(VALU_DEP_1)
	v_mul_lo_u32 v2, v10, s0
	v_sub_nc_u32_e32 v7, v9, v2
	s_delay_alu instid0(VALU_DEP_1)
	v_mul_lo_u32 v2, v7, s4
	v_mul_lo_u32 v6, v7, s6
	;; [unrolled: 1-line block ×3, first 2 shown]
	s_cbranch_scc1 .LBB61_102
; %bb.100:
	s_clause 0x1
	s_load_b96 s[0:2], s[12:13], 0x10
	s_load_b96 s[4:6], s[12:13], 0xd0
	s_wait_kmcnt 0x0
	v_mul_hi_u32 v9, s1, v10
	s_delay_alu instid0(VALU_DEP_1) | instskip(NEXT) | instid1(VALU_DEP_1)
	v_add_nc_u32_e32 v9, v10, v9
	v_lshrrev_b32_e32 v9, s2, v9
	s_delay_alu instid0(VALU_DEP_1) | instskip(NEXT) | instid1(VALU_DEP_1)
	v_mul_lo_u32 v9, v9, s0
	v_sub_nc_u32_e32 v9, v10, v9
	s_delay_alu instid0(VALU_DEP_1)
	v_mad_u32 v2, v9, s4, v2
	v_mad_u32 v7, v9, s5, v7
	v_mad_u32 v6, v9, s6, v6
	s_branch .LBB61_102
.LBB61_101:
	v_dual_mov_b32 v6, 0 :: v_dual_mov_b32 v7, 0
	v_mov_b32_e32 v2, 0
	s_and_not1_b32 vcc_lo, exec_lo, s2
	s_cbranch_vccz .LBB61_99
.LBB61_102:
	v_cmp_ne_u32_e32 vcc_lo, 1, v8
	v_add_nc_u32_e32 v11, 0x100, v0
	s_cbranch_vccnz .LBB61_108
; %bb.103:
	s_cmp_lg_u32 s26, 0
	s_mov_b32 s2, 0
	s_cbranch_scc0 .LBB61_112
; %bb.104:
	s_min_u32 s3, s27, 15
	v_dual_mov_b32 v0, 0 :: v_dual_mov_b32 v12, v11
	v_dual_mov_b32 v10, 0 :: v_dual_mov_b32 v9, 0
	s_add_co_i32 s4, s3, 1
	s_mov_b64 s[0:1], 0xffffffffffffffe8
	s_and_b32 s4, s4, 30
	s_add_nc_u64 s[0:1], s[12:13], s[0:1]
.LBB61_105:                             ; =>This Inner Loop Header: Depth=1
	s_clause 0x1
	s_load_b128 s[8:11], s[0:1], 0x1c
	s_load_b64 s[6:7], s[0:1], 0x2c
	s_add_co_i32 s4, s4, -2
	s_delay_alu instid0(SALU_CYCLE_1) | instskip(SKIP_2) | instid1(VALU_DEP_1)
	s_cmp_lg_u32 s4, 0
	s_wait_kmcnt 0x0
	v_mul_hi_u32 v13, s9, v12
	v_add_nc_u32_e32 v13, v12, v13
	s_delay_alu instid0(VALU_DEP_1) | instskip(NEXT) | instid1(VALU_DEP_1)
	v_lshrrev_b32_e32 v13, s10, v13
	v_mul_hi_u32 v14, s6, v13
	v_mul_lo_u32 v15, v13, s8
	s_clause 0x1
	s_load_b128 s[16:19], s[0:1], 0xdc
	s_load_b64 s[8:9], s[0:1], 0xec
	s_wait_xcnt 0x0
	s_add_nc_u64 s[0:1], s[0:1], 24
	s_delay_alu instid0(VALU_DEP_1) | instskip(NEXT) | instid1(VALU_DEP_1)
	v_dual_add_nc_u32 v14, v13, v14 :: v_dual_sub_nc_u32 v15, v12, v15
	v_lshrrev_b32_e32 v12, s7, v14
	s_wait_kmcnt 0x0
	s_delay_alu instid0(VALU_DEP_2) | instskip(NEXT) | instid1(VALU_DEP_2)
	v_mad_u32 v0, v15, s16, v0
	v_mul_lo_u32 v14, v12, s11
	v_mad_u32 v9, v15, s18, v9
	v_mad_u32 v10, v15, s17, v10
	s_delay_alu instid0(VALU_DEP_3) | instskip(NEXT) | instid1(VALU_DEP_1)
	v_sub_nc_u32_e32 v13, v13, v14
	v_mad_u32 v0, v13, s19, v0
	s_delay_alu instid0(VALU_DEP_4) | instskip(NEXT) | instid1(VALU_DEP_4)
	v_mad_u32 v9, v13, s9, v9
	v_mad_u32 v10, v13, s8, v10
	s_cbranch_scc1 .LBB61_105
; %bb.106:
	s_bitcmp1_b32 s3, 0
	s_cselect_b32 s3, -1, 0
	s_delay_alu instid0(SALU_CYCLE_1)
	s_and_b32 vcc_lo, exec_lo, s3
	s_cbranch_vccnz .LBB61_109
; %bb.107:
	s_clause 0x1
	s_load_b96 s[4:6], s[0:1], 0x1c
	s_load_b96 s[8:10], s[0:1], 0xdc
	s_wait_kmcnt 0x0
	v_mul_hi_u32 v13, s5, v12
	s_delay_alu instid0(VALU_DEP_1) | instskip(NEXT) | instid1(VALU_DEP_1)
	v_add_nc_u32_e32 v13, v12, v13
	v_lshrrev_b32_e32 v13, s6, v13
	s_delay_alu instid0(VALU_DEP_1) | instskip(NEXT) | instid1(VALU_DEP_1)
	v_mul_lo_u32 v13, v13, s4
	v_sub_nc_u32_e32 v12, v12, v13
	s_delay_alu instid0(VALU_DEP_1)
	v_mad_u32 v0, v12, s8, v0
	v_mad_u32 v10, v12, s9, v10
	;; [unrolled: 1-line block ×3, first 2 shown]
	s_and_not1_b32 vcc_lo, exec_lo, s2
	s_cbranch_vccz .LBB61_110
	s_branch .LBB61_113
.LBB61_108:
	s_mov_b32 s2, -1
                                        ; implicit-def: $vgpr9
                                        ; implicit-def: $vgpr10
                                        ; implicit-def: $vgpr0
.LBB61_109:
	s_delay_alu instid0(SALU_CYCLE_1)
	s_and_not1_b32 vcc_lo, exec_lo, s2
	s_cbranch_vccnz .LBB61_113
.LBB61_110:
	s_clause 0x1
	s_load_b96 s[0:2], s[12:13], 0x4
	s_load_b96 s[4:6], s[12:13], 0xc4
	s_cmp_lt_u32 s26, 2
	s_wait_kmcnt 0x0
	v_mul_hi_u32 v0, s1, v11
	s_delay_alu instid0(VALU_DEP_1) | instskip(NEXT) | instid1(VALU_DEP_1)
	v_add_nc_u32_e32 v0, v11, v0
	v_lshrrev_b32_e32 v12, s2, v0
	s_delay_alu instid0(VALU_DEP_1) | instskip(NEXT) | instid1(VALU_DEP_1)
	v_mul_lo_u32 v0, v12, s0
	v_sub_nc_u32_e32 v10, v11, v0
	s_delay_alu instid0(VALU_DEP_1)
	v_mul_lo_u32 v0, v10, s4
	v_mul_lo_u32 v9, v10, s6
	;; [unrolled: 1-line block ×3, first 2 shown]
	s_cbranch_scc1 .LBB61_113
; %bb.111:
	s_clause 0x1
	s_load_b96 s[0:2], s[12:13], 0x10
	s_load_b96 s[4:6], s[12:13], 0xd0
	s_wait_kmcnt 0x0
	v_mul_hi_u32 v11, s1, v12
	s_delay_alu instid0(VALU_DEP_1) | instskip(NEXT) | instid1(VALU_DEP_1)
	v_add_nc_u32_e32 v11, v12, v11
	v_lshrrev_b32_e32 v11, s2, v11
	s_delay_alu instid0(VALU_DEP_1) | instskip(NEXT) | instid1(VALU_DEP_1)
	v_mul_lo_u32 v11, v11, s0
	v_sub_nc_u32_e32 v11, v12, v11
	s_delay_alu instid0(VALU_DEP_1)
	v_mad_u32 v0, v11, s4, v0
	v_mad_u32 v10, v11, s5, v10
	;; [unrolled: 1-line block ×3, first 2 shown]
	s_branch .LBB61_113
.LBB61_112:
	v_dual_mov_b32 v9, 0 :: v_dual_mov_b32 v10, 0
	v_mov_b32_e32 v0, 0
	s_and_not1_b32 vcc_lo, exec_lo, s2
	s_cbranch_vccz .LBB61_110
.LBB61_113:
	v_cmp_ne_u32_e32 vcc_lo, 1, v8
	s_cbranch_vccnz .LBB61_119
; %bb.114:
	s_cmp_lg_u32 s26, 0
	s_mov_b32 s2, 0
	s_cbranch_scc0 .LBB61_123
; %bb.115:
	s_min_u32 s3, s27, 15
	v_dual_mov_b32 v8, 0 :: v_dual_mov_b32 v13, v3
	v_dual_mov_b32 v11, 0 :: v_dual_mov_b32 v12, 0
	s_add_co_i32 s4, s3, 1
	s_mov_b64 s[0:1], 0xffffffffffffffe8
	s_and_b32 s4, s4, 30
	s_add_nc_u64 s[0:1], s[12:13], s[0:1]
.LBB61_116:                             ; =>This Inner Loop Header: Depth=1
	s_clause 0x1
	s_load_b128 s[8:11], s[0:1], 0x1c
	s_load_b64 s[6:7], s[0:1], 0x2c
	s_add_co_i32 s4, s4, -2
	s_delay_alu instid0(SALU_CYCLE_1) | instskip(SKIP_2) | instid1(VALU_DEP_1)
	s_cmp_lg_u32 s4, 0
	s_wait_kmcnt 0x0
	v_mul_hi_u32 v14, s9, v13
	v_add_nc_u32_e32 v14, v13, v14
	s_delay_alu instid0(VALU_DEP_1) | instskip(NEXT) | instid1(VALU_DEP_1)
	v_lshrrev_b32_e32 v14, s10, v14
	v_mul_hi_u32 v15, s6, v14
	v_mul_lo_u32 v16, v14, s8
	s_clause 0x1
	s_load_b128 s[16:19], s[0:1], 0xdc
	s_load_b64 s[8:9], s[0:1], 0xec
	s_wait_xcnt 0x0
	s_add_nc_u64 s[0:1], s[0:1], 24
	s_delay_alu instid0(VALU_DEP_1) | instskip(NEXT) | instid1(VALU_DEP_1)
	v_dual_add_nc_u32 v15, v14, v15 :: v_dual_sub_nc_u32 v16, v13, v16
	v_lshrrev_b32_e32 v13, s7, v15
	s_wait_kmcnt 0x0
	s_delay_alu instid0(VALU_DEP_2) | instskip(NEXT) | instid1(VALU_DEP_2)
	v_mad_u32 v8, v16, s16, v8
	v_mul_lo_u32 v15, v13, s11
	v_mad_u32 v12, v16, s18, v12
	v_mad_u32 v11, v16, s17, v11
	s_delay_alu instid0(VALU_DEP_3) | instskip(NEXT) | instid1(VALU_DEP_1)
	v_sub_nc_u32_e32 v14, v14, v15
	v_mad_u32 v8, v14, s19, v8
	s_delay_alu instid0(VALU_DEP_4) | instskip(NEXT) | instid1(VALU_DEP_4)
	v_mad_u32 v12, v14, s9, v12
	v_mad_u32 v11, v14, s8, v11
	s_cbranch_scc1 .LBB61_116
; %bb.117:
	s_bitcmp1_b32 s3, 0
	s_cselect_b32 s3, -1, 0
	s_delay_alu instid0(SALU_CYCLE_1)
	s_and_b32 vcc_lo, exec_lo, s3
	s_cbranch_vccnz .LBB61_120
; %bb.118:
	s_clause 0x1
	s_load_b96 s[4:6], s[0:1], 0x1c
	s_load_b96 s[8:10], s[0:1], 0xdc
	s_wait_kmcnt 0x0
	v_mul_hi_u32 v14, s5, v13
	s_delay_alu instid0(VALU_DEP_1) | instskip(NEXT) | instid1(VALU_DEP_1)
	v_add_nc_u32_e32 v14, v13, v14
	v_lshrrev_b32_e32 v14, s6, v14
	s_delay_alu instid0(VALU_DEP_1) | instskip(NEXT) | instid1(VALU_DEP_1)
	v_mul_lo_u32 v14, v14, s4
	v_sub_nc_u32_e32 v13, v13, v14
	s_delay_alu instid0(VALU_DEP_1)
	v_mad_u32 v8, v13, s8, v8
	v_mad_u32 v11, v13, s9, v11
	;; [unrolled: 1-line block ×3, first 2 shown]
	s_and_not1_b32 vcc_lo, exec_lo, s2
	s_cbranch_vccz .LBB61_121
	s_branch .LBB61_124
.LBB61_119:
	s_mov_b32 s2, -1
                                        ; implicit-def: $vgpr12
                                        ; implicit-def: $vgpr11
                                        ; implicit-def: $vgpr8
.LBB61_120:
	s_delay_alu instid0(SALU_CYCLE_1)
	s_and_not1_b32 vcc_lo, exec_lo, s2
	s_cbranch_vccnz .LBB61_124
.LBB61_121:
	s_clause 0x1
	s_load_b96 s[0:2], s[12:13], 0x4
	s_load_b96 s[4:6], s[12:13], 0xc4
	s_cmp_lt_u32 s26, 2
	s_wait_kmcnt 0x0
	v_mul_hi_u32 v8, s1, v3
	s_delay_alu instid0(VALU_DEP_1) | instskip(NEXT) | instid1(VALU_DEP_1)
	v_add_nc_u32_e32 v8, v3, v8
	v_lshrrev_b32_e32 v13, s2, v8
	s_delay_alu instid0(VALU_DEP_1) | instskip(NEXT) | instid1(VALU_DEP_1)
	v_mul_lo_u32 v8, v13, s0
	v_sub_nc_u32_e32 v3, v3, v8
	s_delay_alu instid0(VALU_DEP_1)
	v_mul_lo_u32 v8, v3, s4
	v_mul_lo_u32 v12, v3, s6
	;; [unrolled: 1-line block ×3, first 2 shown]
	s_cbranch_scc1 .LBB61_124
; %bb.122:
	s_clause 0x1
	s_load_b96 s[0:2], s[12:13], 0x10
	s_load_b96 s[4:6], s[12:13], 0xd0
	s_wait_kmcnt 0x0
	v_mul_hi_u32 v3, s1, v13
	s_delay_alu instid0(VALU_DEP_1) | instskip(NEXT) | instid1(VALU_DEP_1)
	v_add_nc_u32_e32 v3, v13, v3
	v_lshrrev_b32_e32 v3, s2, v3
	s_delay_alu instid0(VALU_DEP_1) | instskip(NEXT) | instid1(VALU_DEP_1)
	v_mul_lo_u32 v3, v3, s0
	v_sub_nc_u32_e32 v3, v13, v3
	s_delay_alu instid0(VALU_DEP_1)
	v_mad_u32 v8, v3, s4, v8
	v_mad_u32 v11, v3, s5, v11
	;; [unrolled: 1-line block ×3, first 2 shown]
	s_branch .LBB61_124
.LBB61_123:
	v_dual_mov_b32 v12, 0 :: v_dual_mov_b32 v11, 0
	v_mov_b32_e32 v8, 0
	s_and_not1_b32 vcc_lo, exec_lo, s2
	s_cbranch_vccz .LBB61_121
.LBB61_124:
	s_clause 0x1
	s_load_b64 s[4:5], s[12:13], 0x198
	s_load_b128 s[0:3], s[12:13], 0x188
	s_mov_b32 s7, 0
	s_mov_b32 s6, exec_lo
	s_wait_kmcnt 0x0
	global_load_b32 v13, v4, s[4:5]
	global_load_b32 v14, v5, s[2:3]
	s_wait_loadcnt 0x0
	s_wait_xcnt 0x1
	v_dual_sub_nc_u32 v3, 0, v13 :: v_dual_sub_nc_u32 v4, 0, v14
	s_wait_xcnt 0x0
	s_delay_alu instid0(VALU_DEP_1)
	v_max_i32_e32 v5, v13, v3
	v_cmpx_ne_u32_e32 0, v14
	s_cbranch_execz .LBB61_128
; %bb.125:
	v_max_i32_e32 v15, v14, v4
.LBB61_126:                             ; =>This Inner Loop Header: Depth=1
	s_delay_alu instid0(VALU_DEP_1) | instskip(NEXT) | instid1(VALU_DEP_1)
	v_mov_b32_e32 v3, v15
	v_cvt_f32_u32_e32 v15, v3
	v_sub_nc_u32_e32 v16, 0, v3
	s_delay_alu instid0(VALU_DEP_2) | instskip(SKIP_1) | instid1(TRANS32_DEP_1)
	v_rcp_iflag_f32_e32 v15, v15
	v_nop
	v_mul_f32_e32 v15, 0x4f7ffffe, v15
	s_delay_alu instid0(VALU_DEP_1) | instskip(NEXT) | instid1(VALU_DEP_1)
	v_cvt_u32_f32_e32 v15, v15
	v_mul_lo_u32 v16, v16, v15
	s_delay_alu instid0(VALU_DEP_1) | instskip(NEXT) | instid1(VALU_DEP_1)
	v_mul_hi_u32 v16, v15, v16
	v_add_nc_u32_e32 v15, v15, v16
	s_delay_alu instid0(VALU_DEP_1) | instskip(NEXT) | instid1(VALU_DEP_1)
	v_mul_hi_u32 v15, v5, v15
	v_mul_lo_u32 v15, v15, v3
	s_delay_alu instid0(VALU_DEP_1) | instskip(NEXT) | instid1(VALU_DEP_1)
	v_sub_nc_u32_e32 v5, v5, v15
	v_sub_nc_u32_e32 v15, v5, v3
	v_cmp_ge_u32_e32 vcc_lo, v5, v3
	s_delay_alu instid0(VALU_DEP_2) | instskip(NEXT) | instid1(VALU_DEP_1)
	v_cndmask_b32_e32 v5, v5, v15, vcc_lo
	v_sub_nc_u32_e32 v15, v5, v3
	v_cmp_ge_u32_e32 vcc_lo, v5, v3
	s_delay_alu instid0(VALU_DEP_2) | instskip(NEXT) | instid1(VALU_DEP_1)
	v_dual_cndmask_b32 v15, v5, v15, vcc_lo :: v_dual_mov_b32 v5, v3
	v_cmp_eq_u32_e32 vcc_lo, 0, v15
	s_or_b32 s7, vcc_lo, s7
	s_delay_alu instid0(SALU_CYCLE_1)
	s_and_not1_b32 exec_lo, exec_lo, s7
	s_cbranch_execnz .LBB61_126
; %bb.127:
	s_or_b32 exec_lo, exec_lo, s7
	v_mov_b32_e32 v5, v3
.LBB61_128:
	s_or_b32 exec_lo, exec_lo, s6
	v_mov_b32_e32 v3, 0
	s_mov_b32 s6, exec_lo
	s_delay_alu instid0(VALU_DEP_2)
	v_cmpx_ne_u32_e32 0, v5
	s_cbranch_execz .LBB61_130
; %bb.129:
	v_dual_sub_nc_u32 v3, 0, v5 :: v_dual_max_i32 v4, v14, v4
	s_delay_alu instid0(VALU_DEP_1) | instskip(SKIP_1) | instid1(VALU_DEP_2)
	v_max_i32_e32 v3, v5, v3
	v_xor_b32_e32 v5, v14, v5
	v_cvt_f32_u32_e32 v15, v3
	s_delay_alu instid0(VALU_DEP_2) | instskip(NEXT) | instid1(VALU_DEP_2)
	v_dual_sub_nc_u32 v16, 0, v3 :: v_dual_ashrrev_i32 v5, 31, v5
	v_rcp_iflag_f32_e32 v15, v15
	v_nop
	s_delay_alu instid0(TRANS32_DEP_1) | instskip(NEXT) | instid1(VALU_DEP_1)
	v_mul_f32_e32 v15, 0x4f7ffffe, v15
	v_cvt_u32_f32_e32 v15, v15
	s_delay_alu instid0(VALU_DEP_1) | instskip(NEXT) | instid1(VALU_DEP_1)
	v_mul_lo_u32 v16, v16, v15
	v_mul_hi_u32 v16, v15, v16
	s_delay_alu instid0(VALU_DEP_1) | instskip(NEXT) | instid1(VALU_DEP_1)
	v_add_nc_u32_e32 v15, v15, v16
	v_mul_hi_u32 v15, v4, v15
	s_delay_alu instid0(VALU_DEP_1) | instskip(NEXT) | instid1(VALU_DEP_1)
	v_mul_lo_u32 v16, v15, v3
	v_dual_sub_nc_u32 v4, v4, v16 :: v_dual_add_nc_u32 v16, 1, v15
	s_delay_alu instid0(VALU_DEP_1) | instskip(SKIP_1) | instid1(VALU_DEP_2)
	v_sub_nc_u32_e32 v17, v4, v3
	v_cmp_ge_u32_e32 vcc_lo, v4, v3
	v_dual_cndmask_b32 v15, v15, v16 :: v_dual_cndmask_b32 v4, v4, v17
	s_delay_alu instid0(VALU_DEP_1) | instskip(NEXT) | instid1(VALU_DEP_2)
	v_add_nc_u32_e32 v14, 1, v15
	v_cmp_ge_u32_e32 vcc_lo, v4, v3
	s_delay_alu instid0(VALU_DEP_2) | instskip(NEXT) | instid1(VALU_DEP_1)
	v_cndmask_b32_e32 v3, v15, v14, vcc_lo
	v_xor_b32_e32 v3, v3, v5
	s_delay_alu instid0(VALU_DEP_1) | instskip(NEXT) | instid1(VALU_DEP_1)
	v_sub_nc_u32_e32 v3, v3, v5
	v_mul_lo_u32 v3, v3, v13
	s_delay_alu instid0(VALU_DEP_1) | instskip(NEXT) | instid1(VALU_DEP_1)
	v_sub_nc_u32_e32 v4, 0, v3
	v_max_i32_e32 v3, v3, v4
.LBB61_130:
	s_or_b32 exec_lo, exec_lo, s6
	global_load_b32 v5, v6, s[4:5]
	global_load_b32 v13, v7, s[2:3]
	s_mov_b32 s7, 0
	s_mov_b32 s6, exec_lo
	s_wait_loadcnt 0x1
	v_sub_nc_u32_e32 v4, 0, v5
	s_wait_loadcnt 0x0
	s_delay_alu instid0(VALU_DEP_1)
	v_dual_sub_nc_u32 v6, 0, v13 :: v_dual_max_i32 v7, v5, v4
	v_cmpx_ne_u32_e32 0, v13
	s_cbranch_execz .LBB61_134
; %bb.131:
	s_delay_alu instid0(VALU_DEP_2)
	v_max_i32_e32 v14, v13, v6
.LBB61_132:                             ; =>This Inner Loop Header: Depth=1
	s_delay_alu instid0(VALU_DEP_1) | instskip(NEXT) | instid1(VALU_DEP_1)
	v_mov_b32_e32 v4, v14
	v_cvt_f32_u32_e32 v14, v4
	v_sub_nc_u32_e32 v15, 0, v4
	s_delay_alu instid0(VALU_DEP_2) | instskip(SKIP_1) | instid1(TRANS32_DEP_1)
	v_rcp_iflag_f32_e32 v14, v14
	v_nop
	v_mul_f32_e32 v14, 0x4f7ffffe, v14
	s_delay_alu instid0(VALU_DEP_1) | instskip(NEXT) | instid1(VALU_DEP_1)
	v_cvt_u32_f32_e32 v14, v14
	v_mul_lo_u32 v15, v15, v14
	s_delay_alu instid0(VALU_DEP_1) | instskip(NEXT) | instid1(VALU_DEP_1)
	v_mul_hi_u32 v15, v14, v15
	v_add_nc_u32_e32 v14, v14, v15
	s_delay_alu instid0(VALU_DEP_1) | instskip(NEXT) | instid1(VALU_DEP_1)
	v_mul_hi_u32 v14, v7, v14
	v_mul_lo_u32 v14, v14, v4
	s_delay_alu instid0(VALU_DEP_1) | instskip(NEXT) | instid1(VALU_DEP_1)
	v_sub_nc_u32_e32 v7, v7, v14
	v_sub_nc_u32_e32 v14, v7, v4
	v_cmp_ge_u32_e32 vcc_lo, v7, v4
	s_delay_alu instid0(VALU_DEP_2) | instskip(NEXT) | instid1(VALU_DEP_1)
	v_cndmask_b32_e32 v7, v7, v14, vcc_lo
	v_sub_nc_u32_e32 v14, v7, v4
	v_cmp_ge_u32_e32 vcc_lo, v7, v4
	s_delay_alu instid0(VALU_DEP_2) | instskip(NEXT) | instid1(VALU_DEP_1)
	v_dual_cndmask_b32 v14, v7, v14 :: v_dual_mov_b32 v7, v4
	v_cmp_eq_u32_e32 vcc_lo, 0, v14
	s_or_b32 s7, vcc_lo, s7
	s_delay_alu instid0(SALU_CYCLE_1)
	s_and_not1_b32 exec_lo, exec_lo, s7
	s_cbranch_execnz .LBB61_132
; %bb.133:
	s_or_b32 exec_lo, exec_lo, s7
	v_mov_b32_e32 v7, v4
.LBB61_134:
	s_or_b32 exec_lo, exec_lo, s6
	v_mov_b32_e32 v4, 0
	s_mov_b32 s6, exec_lo
	s_delay_alu instid0(VALU_DEP_2)
	v_cmpx_ne_u32_e32 0, v7
	s_cbranch_execz .LBB61_136
; %bb.135:
	v_dual_sub_nc_u32 v4, 0, v7 :: v_dual_max_i32 v6, v13, v6
	s_delay_alu instid0(VALU_DEP_1) | instskip(SKIP_1) | instid1(VALU_DEP_2)
	v_max_i32_e32 v4, v7, v4
	v_xor_b32_e32 v7, v13, v7
	v_cvt_f32_u32_e32 v14, v4
	v_sub_nc_u32_e32 v15, 0, v4
	s_delay_alu instid0(VALU_DEP_2) | instskip(SKIP_1) | instid1(TRANS32_DEP_1)
	v_rcp_iflag_f32_e32 v14, v14
	v_nop
	v_mul_f32_e32 v14, 0x4f7ffffe, v14
	s_delay_alu instid0(VALU_DEP_1) | instskip(NEXT) | instid1(VALU_DEP_1)
	v_cvt_u32_f32_e32 v14, v14
	v_mul_lo_u32 v15, v15, v14
	s_delay_alu instid0(VALU_DEP_1) | instskip(NEXT) | instid1(VALU_DEP_1)
	v_mul_hi_u32 v15, v14, v15
	v_add_nc_u32_e32 v14, v14, v15
	s_delay_alu instid0(VALU_DEP_1) | instskip(NEXT) | instid1(VALU_DEP_1)
	v_mul_hi_u32 v14, v6, v14
	v_mul_lo_u32 v15, v14, v4
	s_delay_alu instid0(VALU_DEP_1) | instskip(NEXT) | instid1(VALU_DEP_1)
	v_dual_sub_nc_u32 v6, v6, v15 :: v_dual_add_nc_u32 v15, 1, v14
	v_sub_nc_u32_e32 v16, v6, v4
	v_cmp_ge_u32_e32 vcc_lo, v6, v4
	s_delay_alu instid0(VALU_DEP_3) | instskip(NEXT) | instid1(VALU_DEP_1)
	v_cndmask_b32_e32 v14, v14, v15, vcc_lo
	v_dual_cndmask_b32 v6, v6, v16 :: v_dual_add_nc_u32 v13, 1, v14
	s_delay_alu instid0(VALU_DEP_1) | instskip(NEXT) | instid1(VALU_DEP_2)
	v_cmp_ge_u32_e32 vcc_lo, v6, v4
	v_dual_cndmask_b32 v4, v14, v13 :: v_dual_ashrrev_i32 v7, 31, v7
	s_delay_alu instid0(VALU_DEP_1) | instskip(NEXT) | instid1(VALU_DEP_1)
	v_xor_b32_e32 v4, v4, v7
	v_sub_nc_u32_e32 v4, v4, v7
	s_delay_alu instid0(VALU_DEP_1) | instskip(NEXT) | instid1(VALU_DEP_1)
	v_mul_lo_u32 v4, v4, v5
	v_sub_nc_u32_e32 v5, 0, v4
	s_delay_alu instid0(VALU_DEP_1)
	v_max_i32_e32 v4, v4, v5
.LBB61_136:
	s_or_b32 exec_lo, exec_lo, s6
	global_load_b32 v6, v9, s[4:5]
	global_load_b32 v7, v10, s[2:3]
	s_mov_b32 s7, 0
	s_mov_b32 s6, exec_lo
	s_wait_loadcnt 0x0
	s_wait_xcnt 0x1
	v_dual_sub_nc_u32 v5, 0, v6 :: v_dual_sub_nc_u32 v9, 0, v7
	s_wait_xcnt 0x0
	s_delay_alu instid0(VALU_DEP_1)
	v_max_i32_e32 v10, v6, v5
	v_cmpx_ne_u32_e32 0, v7
	s_cbranch_execz .LBB61_140
; %bb.137:
	v_max_i32_e32 v13, v7, v9
.LBB61_138:                             ; =>This Inner Loop Header: Depth=1
	s_delay_alu instid0(VALU_DEP_1) | instskip(NEXT) | instid1(VALU_DEP_1)
	v_mov_b32_e32 v5, v13
	v_cvt_f32_u32_e32 v13, v5
	v_sub_nc_u32_e32 v14, 0, v5
	s_delay_alu instid0(VALU_DEP_2) | instskip(SKIP_1) | instid1(TRANS32_DEP_1)
	v_rcp_iflag_f32_e32 v13, v13
	v_nop
	v_mul_f32_e32 v13, 0x4f7ffffe, v13
	s_delay_alu instid0(VALU_DEP_1) | instskip(NEXT) | instid1(VALU_DEP_1)
	v_cvt_u32_f32_e32 v13, v13
	v_mul_lo_u32 v14, v14, v13
	s_delay_alu instid0(VALU_DEP_1) | instskip(NEXT) | instid1(VALU_DEP_1)
	v_mul_hi_u32 v14, v13, v14
	v_add_nc_u32_e32 v13, v13, v14
	s_delay_alu instid0(VALU_DEP_1) | instskip(NEXT) | instid1(VALU_DEP_1)
	v_mul_hi_u32 v13, v10, v13
	v_mul_lo_u32 v13, v13, v5
	s_delay_alu instid0(VALU_DEP_1) | instskip(NEXT) | instid1(VALU_DEP_1)
	v_sub_nc_u32_e32 v10, v10, v13
	v_sub_nc_u32_e32 v13, v10, v5
	v_cmp_ge_u32_e32 vcc_lo, v10, v5
	s_delay_alu instid0(VALU_DEP_2) | instskip(NEXT) | instid1(VALU_DEP_1)
	v_cndmask_b32_e32 v10, v10, v13, vcc_lo
	v_sub_nc_u32_e32 v13, v10, v5
	v_cmp_ge_u32_e32 vcc_lo, v10, v5
	s_delay_alu instid0(VALU_DEP_2) | instskip(NEXT) | instid1(VALU_DEP_1)
	v_dual_cndmask_b32 v13, v10, v13 :: v_dual_mov_b32 v10, v5
	v_cmp_eq_u32_e32 vcc_lo, 0, v13
	s_or_b32 s7, vcc_lo, s7
	s_delay_alu instid0(SALU_CYCLE_1)
	s_and_not1_b32 exec_lo, exec_lo, s7
	s_cbranch_execnz .LBB61_138
; %bb.139:
	s_or_b32 exec_lo, exec_lo, s7
	v_mov_b32_e32 v10, v5
.LBB61_140:
	s_or_b32 exec_lo, exec_lo, s6
	v_mov_b32_e32 v5, 0
	s_mov_b32 s6, exec_lo
	s_delay_alu instid0(VALU_DEP_2)
	v_cmpx_ne_u32_e32 0, v10
	s_cbranch_execz .LBB61_142
; %bb.141:
	v_dual_sub_nc_u32 v5, 0, v10 :: v_dual_max_i32 v9, v7, v9
	s_delay_alu instid0(VALU_DEP_1) | instskip(NEXT) | instid1(VALU_DEP_1)
	v_max_i32_e32 v5, v10, v5
	v_cvt_f32_u32_e32 v13, v5
	v_sub_nc_u32_e32 v14, 0, v5
	s_delay_alu instid0(VALU_DEP_2) | instskip(SKIP_1) | instid1(TRANS32_DEP_1)
	v_rcp_iflag_f32_e32 v13, v13
	v_nop
	v_mul_f32_e32 v13, 0x4f7ffffe, v13
	s_delay_alu instid0(VALU_DEP_1) | instskip(NEXT) | instid1(VALU_DEP_1)
	v_cvt_u32_f32_e32 v13, v13
	v_mul_lo_u32 v14, v14, v13
	s_delay_alu instid0(VALU_DEP_1) | instskip(NEXT) | instid1(VALU_DEP_1)
	v_mul_hi_u32 v14, v13, v14
	v_add_nc_u32_e32 v13, v13, v14
	s_delay_alu instid0(VALU_DEP_1) | instskip(NEXT) | instid1(VALU_DEP_1)
	v_mul_hi_u32 v13, v9, v13
	v_mul_lo_u32 v14, v13, v5
	s_delay_alu instid0(VALU_DEP_1) | instskip(NEXT) | instid1(VALU_DEP_1)
	v_dual_sub_nc_u32 v9, v9, v14 :: v_dual_add_nc_u32 v14, 1, v13
	v_sub_nc_u32_e32 v15, v9, v5
	v_cmp_ge_u32_e32 vcc_lo, v9, v5
	s_delay_alu instid0(VALU_DEP_2) | instskip(NEXT) | instid1(VALU_DEP_1)
	v_dual_cndmask_b32 v9, v9, v15, vcc_lo :: v_dual_bitop2_b32 v7, v7, v10 bitop3:0x14
	v_dual_cndmask_b32 v13, v13, v14, vcc_lo :: v_dual_ashrrev_i32 v7, 31, v7
	s_delay_alu instid0(VALU_DEP_2) | instskip(NEXT) | instid1(VALU_DEP_2)
	v_cmp_ge_u32_e32 vcc_lo, v9, v5
	v_add_nc_u32_e32 v10, 1, v13
	s_delay_alu instid0(VALU_DEP_1) | instskip(NEXT) | instid1(VALU_DEP_1)
	v_cndmask_b32_e32 v5, v13, v10, vcc_lo
	v_xor_b32_e32 v5, v5, v7
	s_delay_alu instid0(VALU_DEP_1) | instskip(NEXT) | instid1(VALU_DEP_1)
	v_sub_nc_u32_e32 v5, v5, v7
	v_mul_lo_u32 v5, v5, v6
	s_delay_alu instid0(VALU_DEP_1) | instskip(NEXT) | instid1(VALU_DEP_1)
	v_sub_nc_u32_e32 v6, 0, v5
	v_max_i32_e32 v5, v5, v6
.LBB61_142:
	s_or_b32 exec_lo, exec_lo, s6
	global_load_b32 v6, v12, s[4:5]
	global_load_b32 v7, v11, s[2:3]
	s_wait_xcnt 0x0
	s_mov_b32 s3, 0
	s_mov_b32 s2, exec_lo
	s_wait_loadcnt 0x1
	v_sub_nc_u32_e32 v9, 0, v6
	s_wait_loadcnt 0x0
	s_delay_alu instid0(VALU_DEP_1)
	v_dual_sub_nc_u32 v9, 0, v7 :: v_dual_max_i32 v10, v6, v9
	v_cmpx_ne_u32_e32 0, v7
	s_cbranch_execz .LBB61_146
; %bb.143:
	s_delay_alu instid0(VALU_DEP_2)
	v_max_i32_e32 v12, v7, v9
.LBB61_144:                             ; =>This Inner Loop Header: Depth=1
	s_delay_alu instid0(VALU_DEP_1) | instskip(NEXT) | instid1(VALU_DEP_1)
	v_mov_b32_e32 v11, v12
	v_cvt_f32_u32_e32 v12, v11
	s_delay_alu instid0(VALU_DEP_1) | instskip(SKIP_1) | instid1(TRANS32_DEP_1)
	v_rcp_iflag_f32_e32 v12, v12
	v_nop
	v_dual_mul_f32 v12, 0x4f7ffffe, v12 :: v_dual_sub_nc_u32 v13, 0, v11
	s_delay_alu instid0(VALU_DEP_1) | instskip(NEXT) | instid1(VALU_DEP_1)
	v_cvt_u32_f32_e32 v12, v12
	v_mul_lo_u32 v13, v13, v12
	s_delay_alu instid0(VALU_DEP_1) | instskip(NEXT) | instid1(VALU_DEP_1)
	v_mul_hi_u32 v13, v12, v13
	v_add_nc_u32_e32 v12, v12, v13
	s_delay_alu instid0(VALU_DEP_1) | instskip(NEXT) | instid1(VALU_DEP_1)
	v_mul_hi_u32 v12, v10, v12
	v_mul_lo_u32 v12, v12, v11
	s_delay_alu instid0(VALU_DEP_1) | instskip(NEXT) | instid1(VALU_DEP_1)
	v_sub_nc_u32_e32 v10, v10, v12
	v_sub_nc_u32_e32 v12, v10, v11
	v_cmp_ge_u32_e32 vcc_lo, v10, v11
	s_delay_alu instid0(VALU_DEP_2) | instskip(NEXT) | instid1(VALU_DEP_1)
	v_cndmask_b32_e32 v10, v10, v12, vcc_lo
	v_sub_nc_u32_e32 v12, v10, v11
	v_cmp_ge_u32_e32 vcc_lo, v10, v11
	s_delay_alu instid0(VALU_DEP_2) | instskip(NEXT) | instid1(VALU_DEP_1)
	v_dual_cndmask_b32 v12, v10, v12, vcc_lo :: v_dual_mov_b32 v10, v11
	v_cmp_eq_u32_e32 vcc_lo, 0, v12
	s_or_b32 s3, vcc_lo, s3
	s_delay_alu instid0(SALU_CYCLE_1)
	s_and_not1_b32 exec_lo, exec_lo, s3
	s_cbranch_execnz .LBB61_144
; %bb.145:
	s_or_b32 exec_lo, exec_lo, s3
	v_mov_b32_e32 v10, v11
.LBB61_146:
	s_or_b32 exec_lo, exec_lo, s2
	v_mov_b32_e32 v11, 0
	s_mov_b32 s2, exec_lo
	s_delay_alu instid0(VALU_DEP_2)
	v_cmpx_ne_u32_e32 0, v10
	s_cbranch_execz .LBB61_148
; %bb.147:
	v_dual_sub_nc_u32 v11, 0, v10 :: v_dual_max_i32 v9, v7, v9
	s_delay_alu instid0(VALU_DEP_1) | instskip(NEXT) | instid1(VALU_DEP_1)
	v_max_i32_e32 v11, v10, v11
	v_cvt_f32_u32_e32 v12, v11
	v_sub_nc_u32_e32 v13, 0, v11
	s_delay_alu instid0(VALU_DEP_2) | instskip(SKIP_1) | instid1(TRANS32_DEP_1)
	v_rcp_iflag_f32_e32 v12, v12
	v_nop
	v_mul_f32_e32 v12, 0x4f7ffffe, v12
	s_delay_alu instid0(VALU_DEP_1) | instskip(NEXT) | instid1(VALU_DEP_1)
	v_cvt_u32_f32_e32 v12, v12
	v_mul_lo_u32 v13, v13, v12
	s_delay_alu instid0(VALU_DEP_1) | instskip(NEXT) | instid1(VALU_DEP_1)
	v_mul_hi_u32 v13, v12, v13
	v_add_nc_u32_e32 v12, v12, v13
	s_delay_alu instid0(VALU_DEP_1) | instskip(NEXT) | instid1(VALU_DEP_1)
	v_mul_hi_u32 v12, v9, v12
	v_mul_lo_u32 v13, v12, v11
	s_delay_alu instid0(VALU_DEP_1) | instskip(NEXT) | instid1(VALU_DEP_1)
	v_dual_sub_nc_u32 v9, v9, v13 :: v_dual_add_nc_u32 v13, 1, v12
	v_cmp_ge_u32_e32 vcc_lo, v9, v11
	s_delay_alu instid0(VALU_DEP_2) | instskip(NEXT) | instid1(VALU_DEP_1)
	v_dual_sub_nc_u32 v14, v9, v11 :: v_dual_cndmask_b32 v12, v12, v13, vcc_lo
	v_dual_add_nc_u32 v10, 1, v12 :: v_dual_bitop2_b32 v7, v7, v10 bitop3:0x14
	s_delay_alu instid0(VALU_DEP_1) | instskip(NEXT) | instid1(VALU_DEP_1)
	v_dual_cndmask_b32 v9, v9, v14, vcc_lo :: v_dual_ashrrev_i32 v7, 31, v7
	v_cmp_ge_u32_e32 vcc_lo, v9, v11
	s_delay_alu instid0(VALU_DEP_3) | instskip(NEXT) | instid1(VALU_DEP_1)
	v_cndmask_b32_e32 v9, v12, v10, vcc_lo
	v_xor_b32_e32 v9, v9, v7
	s_delay_alu instid0(VALU_DEP_1) | instskip(NEXT) | instid1(VALU_DEP_1)
	v_sub_nc_u32_e32 v7, v9, v7
	v_mul_lo_u32 v6, v7, v6
	s_delay_alu instid0(VALU_DEP_1) | instskip(NEXT) | instid1(VALU_DEP_1)
	v_sub_nc_u32_e32 v7, 0, v6
	v_max_i32_e32 v11, v6, v7
.LBB61_148:
	s_or_b32 exec_lo, exec_lo, s2
	s_clause 0x3
	global_store_b32 v1, v3, s[0:1]
	global_store_b32 v2, v4, s[0:1]
	;; [unrolled: 1-line block ×4, first 2 shown]
	s_endpgm
	.section	.rodata,"a",@progbits
	.p2align	6, 0x0
	.amdhsa_kernel _ZN2at6native32elementwise_kernel_manual_unrollILi128ELi4EZNS0_22gpu_kernel_impl_nocastIZZZNS0_15lcm_kernel_cudaERNS_18TensorIteratorBaseEENKUlvE_clEvENKUlvE1_clEvEUliiE_EEvS4_RKT_EUlibE_EEviT1_
		.amdhsa_group_segment_fixed_size 0
		.amdhsa_private_segment_fixed_size 0
		.amdhsa_kernarg_size 432
		.amdhsa_user_sgpr_count 2
		.amdhsa_user_sgpr_dispatch_ptr 0
		.amdhsa_user_sgpr_queue_ptr 0
		.amdhsa_user_sgpr_kernarg_segment_ptr 1
		.amdhsa_user_sgpr_dispatch_id 0
		.amdhsa_user_sgpr_kernarg_preload_length 0
		.amdhsa_user_sgpr_kernarg_preload_offset 0
		.amdhsa_user_sgpr_private_segment_size 0
		.amdhsa_wavefront_size32 1
		.amdhsa_uses_dynamic_stack 0
		.amdhsa_enable_private_segment 0
		.amdhsa_system_sgpr_workgroup_id_x 1
		.amdhsa_system_sgpr_workgroup_id_y 0
		.amdhsa_system_sgpr_workgroup_id_z 0
		.amdhsa_system_sgpr_workgroup_info 0
		.amdhsa_system_vgpr_workitem_id 0
		.amdhsa_next_free_vgpr 18
		.amdhsa_next_free_sgpr 46
		.amdhsa_named_barrier_count 0
		.amdhsa_reserve_vcc 1
		.amdhsa_float_round_mode_32 0
		.amdhsa_float_round_mode_16_64 0
		.amdhsa_float_denorm_mode_32 3
		.amdhsa_float_denorm_mode_16_64 3
		.amdhsa_fp16_overflow 0
		.amdhsa_memory_ordered 1
		.amdhsa_forward_progress 1
		.amdhsa_inst_pref_size 70
		.amdhsa_round_robin_scheduling 0
		.amdhsa_exception_fp_ieee_invalid_op 0
		.amdhsa_exception_fp_denorm_src 0
		.amdhsa_exception_fp_ieee_div_zero 0
		.amdhsa_exception_fp_ieee_overflow 0
		.amdhsa_exception_fp_ieee_underflow 0
		.amdhsa_exception_fp_ieee_inexact 0
		.amdhsa_exception_int_div_zero 0
	.end_amdhsa_kernel
	.section	.text._ZN2at6native32elementwise_kernel_manual_unrollILi128ELi4EZNS0_22gpu_kernel_impl_nocastIZZZNS0_15lcm_kernel_cudaERNS_18TensorIteratorBaseEENKUlvE_clEvENKUlvE1_clEvEUliiE_EEvS4_RKT_EUlibE_EEviT1_,"axG",@progbits,_ZN2at6native32elementwise_kernel_manual_unrollILi128ELi4EZNS0_22gpu_kernel_impl_nocastIZZZNS0_15lcm_kernel_cudaERNS_18TensorIteratorBaseEENKUlvE_clEvENKUlvE1_clEvEUliiE_EEvS4_RKT_EUlibE_EEviT1_,comdat
.Lfunc_end61:
	.size	_ZN2at6native32elementwise_kernel_manual_unrollILi128ELi4EZNS0_22gpu_kernel_impl_nocastIZZZNS0_15lcm_kernel_cudaERNS_18TensorIteratorBaseEENKUlvE_clEvENKUlvE1_clEvEUliiE_EEvS4_RKT_EUlibE_EEviT1_, .Lfunc_end61-_ZN2at6native32elementwise_kernel_manual_unrollILi128ELi4EZNS0_22gpu_kernel_impl_nocastIZZZNS0_15lcm_kernel_cudaERNS_18TensorIteratorBaseEENKUlvE_clEvENKUlvE1_clEvEUliiE_EEvS4_RKT_EUlibE_EEviT1_
                                        ; -- End function
	.set _ZN2at6native32elementwise_kernel_manual_unrollILi128ELi4EZNS0_22gpu_kernel_impl_nocastIZZZNS0_15lcm_kernel_cudaERNS_18TensorIteratorBaseEENKUlvE_clEvENKUlvE1_clEvEUliiE_EEvS4_RKT_EUlibE_EEviT1_.num_vgpr, 18
	.set _ZN2at6native32elementwise_kernel_manual_unrollILi128ELi4EZNS0_22gpu_kernel_impl_nocastIZZZNS0_15lcm_kernel_cudaERNS_18TensorIteratorBaseEENKUlvE_clEvENKUlvE1_clEvEUliiE_EEvS4_RKT_EUlibE_EEviT1_.num_agpr, 0
	.set _ZN2at6native32elementwise_kernel_manual_unrollILi128ELi4EZNS0_22gpu_kernel_impl_nocastIZZZNS0_15lcm_kernel_cudaERNS_18TensorIteratorBaseEENKUlvE_clEvENKUlvE1_clEvEUliiE_EEvS4_RKT_EUlibE_EEviT1_.numbered_sgpr, 46
	.set _ZN2at6native32elementwise_kernel_manual_unrollILi128ELi4EZNS0_22gpu_kernel_impl_nocastIZZZNS0_15lcm_kernel_cudaERNS_18TensorIteratorBaseEENKUlvE_clEvENKUlvE1_clEvEUliiE_EEvS4_RKT_EUlibE_EEviT1_.num_named_barrier, 0
	.set _ZN2at6native32elementwise_kernel_manual_unrollILi128ELi4EZNS0_22gpu_kernel_impl_nocastIZZZNS0_15lcm_kernel_cudaERNS_18TensorIteratorBaseEENKUlvE_clEvENKUlvE1_clEvEUliiE_EEvS4_RKT_EUlibE_EEviT1_.private_seg_size, 0
	.set _ZN2at6native32elementwise_kernel_manual_unrollILi128ELi4EZNS0_22gpu_kernel_impl_nocastIZZZNS0_15lcm_kernel_cudaERNS_18TensorIteratorBaseEENKUlvE_clEvENKUlvE1_clEvEUliiE_EEvS4_RKT_EUlibE_EEviT1_.uses_vcc, 1
	.set _ZN2at6native32elementwise_kernel_manual_unrollILi128ELi4EZNS0_22gpu_kernel_impl_nocastIZZZNS0_15lcm_kernel_cudaERNS_18TensorIteratorBaseEENKUlvE_clEvENKUlvE1_clEvEUliiE_EEvS4_RKT_EUlibE_EEviT1_.uses_flat_scratch, 0
	.set _ZN2at6native32elementwise_kernel_manual_unrollILi128ELi4EZNS0_22gpu_kernel_impl_nocastIZZZNS0_15lcm_kernel_cudaERNS_18TensorIteratorBaseEENKUlvE_clEvENKUlvE1_clEvEUliiE_EEvS4_RKT_EUlibE_EEviT1_.has_dyn_sized_stack, 0
	.set _ZN2at6native32elementwise_kernel_manual_unrollILi128ELi4EZNS0_22gpu_kernel_impl_nocastIZZZNS0_15lcm_kernel_cudaERNS_18TensorIteratorBaseEENKUlvE_clEvENKUlvE1_clEvEUliiE_EEvS4_RKT_EUlibE_EEviT1_.has_recursion, 0
	.set _ZN2at6native32elementwise_kernel_manual_unrollILi128ELi4EZNS0_22gpu_kernel_impl_nocastIZZZNS0_15lcm_kernel_cudaERNS_18TensorIteratorBaseEENKUlvE_clEvENKUlvE1_clEvEUliiE_EEvS4_RKT_EUlibE_EEviT1_.has_indirect_call, 0
	.section	.AMDGPU.csdata,"",@progbits
; Kernel info:
; codeLenInByte = 8852
; TotalNumSgprs: 48
; NumVgprs: 18
; ScratchSize: 0
; MemoryBound: 0
; FloatMode: 240
; IeeeMode: 1
; LDSByteSize: 0 bytes/workgroup (compile time only)
; SGPRBlocks: 0
; VGPRBlocks: 1
; NumSGPRsForWavesPerEU: 48
; NumVGPRsForWavesPerEU: 18
; NamedBarCnt: 0
; Occupancy: 16
; WaveLimiterHint : 1
; COMPUTE_PGM_RSRC2:SCRATCH_EN: 0
; COMPUTE_PGM_RSRC2:USER_SGPR: 2
; COMPUTE_PGM_RSRC2:TRAP_HANDLER: 0
; COMPUTE_PGM_RSRC2:TGID_X_EN: 1
; COMPUTE_PGM_RSRC2:TGID_Y_EN: 0
; COMPUTE_PGM_RSRC2:TGID_Z_EN: 0
; COMPUTE_PGM_RSRC2:TIDIG_COMP_CNT: 0
	.section	.text._ZN2at6native32elementwise_kernel_manual_unrollILi128ELi4EZNS0_15gpu_kernel_implIZZZNS0_15lcm_kernel_cudaERNS_18TensorIteratorBaseEENKUlvE_clEvENKUlvE1_clEvEUliiE_EEvS4_RKT_EUlibE_EEviT1_,"axG",@progbits,_ZN2at6native32elementwise_kernel_manual_unrollILi128ELi4EZNS0_15gpu_kernel_implIZZZNS0_15lcm_kernel_cudaERNS_18TensorIteratorBaseEENKUlvE_clEvENKUlvE1_clEvEUliiE_EEvS4_RKT_EUlibE_EEviT1_,comdat
	.globl	_ZN2at6native32elementwise_kernel_manual_unrollILi128ELi4EZNS0_15gpu_kernel_implIZZZNS0_15lcm_kernel_cudaERNS_18TensorIteratorBaseEENKUlvE_clEvENKUlvE1_clEvEUliiE_EEvS4_RKT_EUlibE_EEviT1_ ; -- Begin function _ZN2at6native32elementwise_kernel_manual_unrollILi128ELi4EZNS0_15gpu_kernel_implIZZZNS0_15lcm_kernel_cudaERNS_18TensorIteratorBaseEENKUlvE_clEvENKUlvE1_clEvEUliiE_EEvS4_RKT_EUlibE_EEviT1_
	.p2align	8
	.type	_ZN2at6native32elementwise_kernel_manual_unrollILi128ELi4EZNS0_15gpu_kernel_implIZZZNS0_15lcm_kernel_cudaERNS_18TensorIteratorBaseEENKUlvE_clEvENKUlvE1_clEvEUliiE_EEvS4_RKT_EUlibE_EEviT1_,@function
_ZN2at6native32elementwise_kernel_manual_unrollILi128ELi4EZNS0_15gpu_kernel_implIZZZNS0_15lcm_kernel_cudaERNS_18TensorIteratorBaseEENKUlvE_clEvENKUlvE1_clEvEUliiE_EEvS4_RKT_EUlibE_EEviT1_: ; @_ZN2at6native32elementwise_kernel_manual_unrollILi128ELi4EZNS0_15gpu_kernel_implIZZZNS0_15lcm_kernel_cudaERNS_18TensorIteratorBaseEENKUlvE_clEvENKUlvE1_clEvEUliiE_EEvS4_RKT_EUlibE_EEviT1_
; %bb.0:
	v_mov_b32_e32 v1, 0
	s_bfe_u32 s4, ttmp6, 0x4000c
	s_load_b32 s16, s[0:1], 0x0
	s_add_co_i32 s13, s4, 1
	s_load_b128 s[4:7], s[0:1], 0x8
	s_clause 0x1
	global_load_u16 v2, v1, s[0:1] offset:45
	global_load_i8 v3, v1, s[0:1] offset:47
	s_clause 0x1
	s_load_b64 s[2:3], s[0:1], 0x18
	s_load_b96 s[8:10], s[0:1], 0x20
	s_and_b32 s12, ttmp6, 15
	s_wait_xcnt 0x0
	s_mul_i32 s0, ttmp9, s13
	s_getreg_b32 s14, hwreg(HW_REG_IB_STS2, 6, 4)
	s_add_co_i32 s12, s12, s0
	s_mov_b32 s15, 0
	s_wait_loadcnt 0x1
	v_readfirstlane_b32 s11, v2
	s_wait_loadcnt 0x0
	v_readfirstlane_b32 s1, v3
	s_lshr_b32 s13, s11, 8
	s_cmp_eq_u32 s14, 0
	s_cselect_b32 s0, ttmp9, s12
	s_mov_b32 s12, 0
	v_lshl_or_b32 v10, s0, 9, v0
	s_mov_b32 s0, exec_lo
	s_delay_alu instid0(VALU_DEP_1) | instskip(SKIP_1) | instid1(VALU_DEP_1)
	v_or_b32_e32 v0, 0x180, v10
	s_wait_kmcnt 0x0
	v_cmpx_le_i32_e64 s16, v0
	s_xor_b32 s14, exec_lo, s0
	s_cbranch_execz .LBB62_1539
; %bb.1:
	s_mov_b32 s23, -1
	s_mov_b32 s20, 0
	s_mov_b32 s18, 0
	;; [unrolled: 1-line block ×3, first 2 shown]
	s_mov_b32 s19, exec_lo
	v_cmpx_gt_i32_e64 s16, v10
	s_cbranch_execz .LBB62_380
; %bb.2:
	v_mul_lo_u32 v0, v10, s9
	s_and_b32 s0, s13, 0xff
	s_delay_alu instid0(SALU_CYCLE_1) | instskip(NEXT) | instid1(VALU_DEP_1)
	s_cmp_lt_i32 s0, 11
	v_ashrrev_i32_e32 v1, 31, v0
	s_delay_alu instid0(VALU_DEP_1)
	v_add_nc_u64_e32 v[0:1], s[6:7], v[0:1]
	s_cbranch_scc1 .LBB62_9
; %bb.3:
	s_and_b32 s15, 0xffff, s0
	s_delay_alu instid0(SALU_CYCLE_1)
	s_cmp_gt_i32 s15, 25
	s_cbranch_scc0 .LBB62_18
; %bb.4:
	s_cmp_gt_i32 s15, 28
	s_cbranch_scc0 .LBB62_34
; %bb.5:
	;; [unrolled: 3-line block ×4, first 2 shown]
	s_cmp_eq_u32 s15, 46
	s_mov_b32 s21, 0
	s_cbranch_scc0 .LBB62_43
; %bb.8:
	global_load_b32 v2, v[0:1], off
	s_mov_b32 s17, -1
	s_wait_loadcnt 0x0
	v_lshlrev_b32_e32 v2, 16, v2
	s_delay_alu instid0(VALU_DEP_1)
	v_cvt_i32_f32_e32 v2, v2
	s_branch .LBB62_45
.LBB62_9:
                                        ; implicit-def: $vgpr2
	s_cbranch_execnz .LBB62_107
.LBB62_10:
	s_and_not1_b32 vcc_lo, exec_lo, s17
	s_cbranch_vccnz .LBB62_154
.LBB62_11:
	s_wait_xcnt 0x0
	v_mul_lo_u32 v0, v10, s10
	s_and_b32 s0, s1, 0xff
	s_delay_alu instid0(SALU_CYCLE_1) | instskip(NEXT) | instid1(VALU_DEP_1)
	s_cmp_lt_i32 s0, 11
	v_ashrrev_i32_e32 v1, 31, v0
	s_delay_alu instid0(VALU_DEP_1)
	v_add_nc_u64_e32 v[0:1], s[2:3], v[0:1]
	s_cbranch_scc1 .LBB62_19
; %bb.12:
	s_and_b32 s15, 0xffff, s0
	s_delay_alu instid0(SALU_CYCLE_1)
	s_cmp_gt_i32 s15, 25
	s_cbranch_scc0 .LBB62_35
; %bb.13:
	s_cmp_gt_i32 s15, 28
	s_cbranch_scc0 .LBB62_38
; %bb.14:
	;; [unrolled: 3-line block ×4, first 2 shown]
	s_cmp_eq_u32 s15, 46
	s_mov_b32 s22, 0
	s_cbranch_scc0 .LBB62_155
; %bb.17:
	global_load_b32 v3, v[0:1], off
	s_mov_b32 s21, -1
	s_mov_b32 s17, 0
	s_wait_loadcnt 0x0
	v_lshlrev_b32_e32 v3, 16, v3
	s_delay_alu instid0(VALU_DEP_1)
	v_cvt_i32_f32_e32 v3, v3
	s_branch .LBB62_157
.LBB62_18:
                                        ; implicit-def: $vgpr2
	s_cbranch_execnz .LBB62_74
	s_branch .LBB62_106
.LBB62_19:
	s_mov_b32 s17, 0
	s_mov_b32 s21, 0
                                        ; implicit-def: $vgpr3
	s_cbranch_execnz .LBB62_329
.LBB62_20:
	s_and_not1_b32 vcc_lo, exec_lo, s21
	s_cbranch_vccnz .LBB62_377
.LBB62_21:
	s_wait_loadcnt 0x0
	s_delay_alu instid0(VALU_DEP_1) | instskip(SKIP_2) | instid1(VALU_DEP_1)
	v_dual_sub_nc_u32 v0, 0, v3 :: v_dual_sub_nc_u32 v1, 0, v2
	s_mov_b32 s15, 0
	s_mov_b32 s0, exec_lo
	v_max_i32_e32 v4, v3, v0
	v_cmpx_ne_u32_e32 0, v2
	s_cbranch_execz .LBB62_25
; %bb.22:
	v_max_i32_e32 v5, v2, v1
.LBB62_23:                              ; =>This Inner Loop Header: Depth=1
	s_delay_alu instid0(VALU_DEP_1) | instskip(NEXT) | instid1(VALU_DEP_1)
	v_mov_b32_e32 v0, v5
	v_cvt_f32_u32_e32 v5, v0
	s_delay_alu instid0(VALU_DEP_1) | instskip(SKIP_1) | instid1(TRANS32_DEP_1)
	v_rcp_iflag_f32_e32 v5, v5
	v_nop
	v_dual_mul_f32 v5, 0x4f7ffffe, v5 :: v_dual_sub_nc_u32 v6, 0, v0
	s_delay_alu instid0(VALU_DEP_1) | instskip(NEXT) | instid1(VALU_DEP_1)
	v_cvt_u32_f32_e32 v5, v5
	v_mul_lo_u32 v6, v6, v5
	s_delay_alu instid0(VALU_DEP_1) | instskip(NEXT) | instid1(VALU_DEP_1)
	v_mul_hi_u32 v6, v5, v6
	v_add_nc_u32_e32 v5, v5, v6
	s_delay_alu instid0(VALU_DEP_1) | instskip(NEXT) | instid1(VALU_DEP_1)
	v_mul_hi_u32 v5, v4, v5
	v_mul_lo_u32 v5, v5, v0
	s_delay_alu instid0(VALU_DEP_1) | instskip(NEXT) | instid1(VALU_DEP_1)
	v_sub_nc_u32_e32 v4, v4, v5
	v_sub_nc_u32_e32 v5, v4, v0
	v_cmp_ge_u32_e32 vcc_lo, v4, v0
	s_delay_alu instid0(VALU_DEP_2) | instskip(NEXT) | instid1(VALU_DEP_1)
	v_cndmask_b32_e32 v4, v4, v5, vcc_lo
	v_sub_nc_u32_e32 v5, v4, v0
	v_cmp_ge_u32_e32 vcc_lo, v4, v0
	s_delay_alu instid0(VALU_DEP_2) | instskip(SKIP_1) | instid1(VALU_DEP_2)
	v_cndmask_b32_e32 v5, v4, v5, vcc_lo
	v_mov_b32_e32 v4, v0
	v_cmp_eq_u32_e32 vcc_lo, 0, v5
	s_or_b32 s15, vcc_lo, s15
	s_delay_alu instid0(SALU_CYCLE_1)
	s_and_not1_b32 exec_lo, exec_lo, s15
	s_cbranch_execnz .LBB62_23
; %bb.24:
	s_or_b32 exec_lo, exec_lo, s15
	v_mov_b32_e32 v4, v0
.LBB62_25:
	s_or_b32 exec_lo, exec_lo, s0
	v_mov_b32_e32 v0, 0
	s_mov_b32 s0, exec_lo
	s_delay_alu instid0(VALU_DEP_2)
	v_cmpx_ne_u32_e32 0, v4
	s_cbranch_execz .LBB62_27
; %bb.26:
	v_dual_sub_nc_u32 v0, 0, v4 :: v_dual_max_i32 v1, v2, v1
	v_xor_b32_e32 v2, v2, v4
	s_delay_alu instid0(VALU_DEP_1) | instskip(NEXT) | instid1(VALU_DEP_1)
	v_dual_ashrrev_i32 v2, 31, v2 :: v_dual_max_i32 v0, v4, v0
	v_cvt_f32_u32_e32 v5, v0
	v_sub_nc_u32_e32 v6, 0, v0
	s_delay_alu instid0(VALU_DEP_2) | instskip(SKIP_1) | instid1(TRANS32_DEP_1)
	v_rcp_iflag_f32_e32 v5, v5
	v_nop
	v_mul_f32_e32 v5, 0x4f7ffffe, v5
	s_delay_alu instid0(VALU_DEP_1) | instskip(NEXT) | instid1(VALU_DEP_1)
	v_cvt_u32_f32_e32 v5, v5
	v_mul_lo_u32 v6, v6, v5
	s_delay_alu instid0(VALU_DEP_1) | instskip(NEXT) | instid1(VALU_DEP_1)
	v_mul_hi_u32 v6, v5, v6
	v_add_nc_u32_e32 v5, v5, v6
	s_delay_alu instid0(VALU_DEP_1) | instskip(NEXT) | instid1(VALU_DEP_1)
	v_mul_hi_u32 v5, v1, v5
	v_mul_lo_u32 v6, v5, v0
	s_delay_alu instid0(VALU_DEP_1) | instskip(NEXT) | instid1(VALU_DEP_1)
	v_dual_sub_nc_u32 v1, v1, v6 :: v_dual_add_nc_u32 v6, 1, v5
	v_cmp_ge_u32_e32 vcc_lo, v1, v0
	s_delay_alu instid0(VALU_DEP_2) | instskip(NEXT) | instid1(VALU_DEP_1)
	v_cndmask_b32_e32 v5, v5, v6, vcc_lo
	v_dual_sub_nc_u32 v7, v1, v0 :: v_dual_add_nc_u32 v4, 1, v5
	s_delay_alu instid0(VALU_DEP_1) | instskip(NEXT) | instid1(VALU_DEP_1)
	v_cndmask_b32_e32 v1, v1, v7, vcc_lo
	v_cmp_ge_u32_e32 vcc_lo, v1, v0
	s_delay_alu instid0(VALU_DEP_3) | instskip(NEXT) | instid1(VALU_DEP_1)
	v_cndmask_b32_e32 v0, v5, v4, vcc_lo
	v_xor_b32_e32 v0, v0, v2
	s_delay_alu instid0(VALU_DEP_1) | instskip(NEXT) | instid1(VALU_DEP_1)
	v_sub_nc_u32_e32 v0, v0, v2
	v_mul_lo_u32 v0, v0, v3
	s_delay_alu instid0(VALU_DEP_1) | instskip(NEXT) | instid1(VALU_DEP_1)
	v_sub_nc_u32_e32 v1, 0, v0
	v_max_i32_e32 v0, v0, v1
.LBB62_27:
	s_or_b32 exec_lo, exec_lo, s0
	v_mul_lo_u32 v2, v10, s8
	s_and_b32 s15, s11, 0xff
	s_delay_alu instid0(SALU_CYCLE_1) | instskip(NEXT) | instid1(VALU_DEP_1)
	s_cmp_lt_i32 s15, 11
	v_ashrrev_i32_e32 v3, 31, v2
	s_delay_alu instid0(VALU_DEP_1)
	v_add_nc_u64_e32 v[2:3], s[4:5], v[2:3]
	s_cbranch_scc1 .LBB62_36
; %bb.28:
	s_and_b32 s21, 0xffff, s15
	s_delay_alu instid0(SALU_CYCLE_1)
	s_cmp_gt_i32 s21, 25
	s_cbranch_scc0 .LBB62_39
; %bb.29:
	s_cmp_gt_i32 s21, 28
	s_cbranch_scc0 .LBB62_42
; %bb.30:
	;; [unrolled: 3-line block ×4, first 2 shown]
	s_mov_b32 s23, 0
	s_mov_b32 s0, -1
	s_cmp_eq_u32 s21, 46
	s_mov_b32 s22, 0
	s_cbranch_scc0 .LBB62_161
; %bb.33:
	v_cvt_f32_u32_e32 v1, v0
	s_mov_b32 s22, -1
	s_mov_b32 s0, 0
	s_delay_alu instid0(VALU_DEP_1) | instskip(NEXT) | instid1(VALU_DEP_1)
	v_bfe_u32 v4, v1, 16, 1
	v_add3_u32 v1, v1, v4, 0x7fff
	s_delay_alu instid0(VALU_DEP_1)
	v_lshrrev_b32_e32 v1, 16, v1
	global_store_b32 v[2:3], v1, off
	s_branch .LBB62_161
.LBB62_34:
	s_mov_b32 s21, -1
                                        ; implicit-def: $vgpr2
	s_branch .LBB62_57
.LBB62_35:
	s_mov_b32 s22, -1
	s_mov_b32 s17, 0
	s_mov_b32 s21, 0
                                        ; implicit-def: $vgpr3
	s_branch .LBB62_295
.LBB62_36:
	s_mov_b32 s21, -1
	s_mov_b32 s0, 0
	s_mov_b32 s22, 0
	s_branch .LBB62_230
.LBB62_37:
	s_mov_b32 s21, -1
                                        ; implicit-def: $vgpr2
	s_branch .LBB62_52
.LBB62_38:
	s_mov_b32 s22, -1
	s_mov_b32 s17, 0
	s_mov_b32 s21, 0
                                        ; implicit-def: $vgpr3
	s_branch .LBB62_278
.LBB62_39:
	s_mov_b32 s23, -1
	s_mov_b32 s0, 0
	s_mov_b32 s22, 0
	s_branch .LBB62_188
.LBB62_40:
	s_mov_b32 s21, -1
	s_branch .LBB62_44
.LBB62_41:
	s_mov_b32 s22, -1
	s_mov_b32 s17, 0
	s_mov_b32 s21, 0
                                        ; implicit-def: $vgpr3
	s_branch .LBB62_273
.LBB62_42:
	s_mov_b32 s23, -1
	s_mov_b32 s0, 0
	s_mov_b32 s22, 0
	s_branch .LBB62_171
.LBB62_43:
	s_mov_b32 s18, -1
.LBB62_44:
                                        ; implicit-def: $vgpr2
.LBB62_45:
	s_and_b32 vcc_lo, exec_lo, s21
	s_cbranch_vccz .LBB62_51
; %bb.46:
	s_cmp_eq_u32 s15, 44
	s_cbranch_scc0 .LBB62_50
; %bb.47:
	global_load_u8 v2, v[0:1], off
	s_mov_b32 s18, 0
	s_mov_b32 s17, -1
	s_wait_loadcnt 0x0
	v_lshlrev_b32_e32 v3, 23, v2
	v_cmp_ne_u32_e32 vcc_lo, 0, v2
	s_delay_alu instid0(VALU_DEP_2) | instskip(NEXT) | instid1(VALU_DEP_1)
	v_cvt_i32_f32_e32 v3, v3
	v_cndmask_b32_e32 v2, 0, v3, vcc_lo
	s_branch .LBB62_51
.LBB62_48:
	s_mov_b32 s22, -1
	s_mov_b32 s17, 0
	s_branch .LBB62_156
.LBB62_49:
	s_mov_b32 s23, -1
	s_mov_b32 s0, 0
	s_mov_b32 s22, 0
	s_branch .LBB62_167
.LBB62_50:
	s_mov_b32 s18, -1
                                        ; implicit-def: $vgpr2
.LBB62_51:
	s_mov_b32 s21, 0
.LBB62_52:
	s_delay_alu instid0(SALU_CYCLE_1)
	s_and_b32 vcc_lo, exec_lo, s21
	s_cbranch_vccz .LBB62_56
; %bb.53:
	s_cmp_eq_u32 s15, 29
	s_cbranch_scc0 .LBB62_55
; %bb.54:
	global_load_b32 v2, v[0:1], off
	s_mov_b32 s17, -1
	s_mov_b32 s18, 0
	s_branch .LBB62_56
.LBB62_55:
	s_mov_b32 s18, -1
                                        ; implicit-def: $vgpr2
.LBB62_56:
	s_mov_b32 s21, 0
.LBB62_57:
	s_delay_alu instid0(SALU_CYCLE_1)
	s_and_b32 vcc_lo, exec_lo, s21
	s_cbranch_vccz .LBB62_73
; %bb.58:
	s_cmp_lt_i32 s15, 27
	s_cbranch_scc1 .LBB62_61
; %bb.59:
	s_cmp_gt_i32 s15, 27
	s_cbranch_scc0 .LBB62_62
; %bb.60:
	s_wait_loadcnt 0x0
	global_load_b32 v2, v[0:1], off
	s_mov_b32 s17, 0
	s_branch .LBB62_63
.LBB62_61:
	s_mov_b32 s17, -1
                                        ; implicit-def: $vgpr2
	s_branch .LBB62_66
.LBB62_62:
	s_mov_b32 s17, -1
                                        ; implicit-def: $vgpr2
.LBB62_63:
	s_delay_alu instid0(SALU_CYCLE_1)
	s_and_not1_b32 vcc_lo, exec_lo, s17
	s_cbranch_vccnz .LBB62_65
; %bb.64:
	s_wait_loadcnt 0x0
	global_load_u16 v2, v[0:1], off
.LBB62_65:
	s_mov_b32 s17, 0
.LBB62_66:
	s_delay_alu instid0(SALU_CYCLE_1)
	s_and_not1_b32 vcc_lo, exec_lo, s17
	s_cbranch_vccnz .LBB62_72
; %bb.67:
	global_load_u8 v3, v[0:1], off
	s_mov_b32 s21, 0
	s_mov_b32 s17, exec_lo
	s_wait_loadcnt 0x0
	v_cmpx_lt_i16_e32 0x7f, v3
	s_xor_b32 s17, exec_lo, s17
	s_cbranch_execz .LBB62_83
; %bb.68:
	v_cmp_ne_u16_e32 vcc_lo, 0x80, v3
	s_and_b32 s21, vcc_lo, exec_lo
	s_and_not1_saveexec_b32 s17, s17
	s_cbranch_execnz .LBB62_84
.LBB62_69:
	s_or_b32 exec_lo, exec_lo, s17
	v_mov_b32_e32 v2, 0
	s_and_saveexec_b32 s17, s21
	s_cbranch_execz .LBB62_71
.LBB62_70:
	v_and_b32_e32 v2, 0xffff, v3
	s_delay_alu instid0(VALU_DEP_1) | instskip(SKIP_1) | instid1(VALU_DEP_2)
	v_and_b32_e32 v4, 7, v2
	v_bfe_u32 v7, v2, 3, 4
	v_clz_i32_u32_e32 v5, v4
	s_delay_alu instid0(VALU_DEP_2) | instskip(NEXT) | instid1(VALU_DEP_2)
	v_cmp_eq_u32_e32 vcc_lo, 0, v7
	v_min_u32_e32 v5, 32, v5
	s_delay_alu instid0(VALU_DEP_1) | instskip(NEXT) | instid1(VALU_DEP_1)
	v_subrev_nc_u32_e32 v6, 28, v5
	v_dual_lshlrev_b32 v2, v6, v2 :: v_dual_sub_nc_u32 v5, 29, v5
	s_delay_alu instid0(VALU_DEP_1) | instskip(NEXT) | instid1(VALU_DEP_1)
	v_dual_lshlrev_b32 v3, 24, v3 :: v_dual_bitop2_b32 v2, 7, v2 bitop3:0x40
	v_dual_cndmask_b32 v5, v7, v5 :: v_dual_cndmask_b32 v2, v4, v2
	s_delay_alu instid0(VALU_DEP_2) | instskip(NEXT) | instid1(VALU_DEP_2)
	v_and_b32_e32 v3, 0x80000000, v3
	v_lshl_add_u32 v4, v5, 23, 0x3b800000
	s_delay_alu instid0(VALU_DEP_3) | instskip(NEXT) | instid1(VALU_DEP_1)
	v_lshlrev_b32_e32 v2, 20, v2
	v_or3_b32 v2, v3, v4, v2
	s_delay_alu instid0(VALU_DEP_1)
	v_cvt_i32_f32_e32 v2, v2
.LBB62_71:
	s_or_b32 exec_lo, exec_lo, s17
.LBB62_72:
	s_mov_b32 s17, -1
.LBB62_73:
	s_branch .LBB62_106
.LBB62_74:
	s_cmp_gt_i32 s15, 22
	s_cbranch_scc0 .LBB62_82
; %bb.75:
	s_cmp_lt_i32 s15, 24
	s_cbranch_scc1 .LBB62_85
; %bb.76:
	s_cmp_gt_i32 s15, 24
	s_cbranch_scc0 .LBB62_86
; %bb.77:
	global_load_u8 v3, v[0:1], off
	s_mov_b32 s21, 0
	s_mov_b32 s17, exec_lo
	s_wait_loadcnt 0x0
	v_cmpx_lt_i16_e32 0x7f, v3
	s_xor_b32 s17, exec_lo, s17
	s_cbranch_execz .LBB62_98
; %bb.78:
	v_cmp_ne_u16_e32 vcc_lo, 0x80, v3
	s_and_b32 s21, vcc_lo, exec_lo
	s_and_not1_saveexec_b32 s17, s17
	s_cbranch_execnz .LBB62_99
.LBB62_79:
	s_or_b32 exec_lo, exec_lo, s17
	v_mov_b32_e32 v2, 0
	s_and_saveexec_b32 s17, s21
	s_cbranch_execz .LBB62_81
.LBB62_80:
	v_and_b32_e32 v2, 0xffff, v3
	s_delay_alu instid0(VALU_DEP_1) | instskip(SKIP_1) | instid1(VALU_DEP_2)
	v_and_b32_e32 v4, 3, v2
	v_bfe_u32 v7, v2, 2, 5
	v_clz_i32_u32_e32 v5, v4
	s_delay_alu instid0(VALU_DEP_2) | instskip(NEXT) | instid1(VALU_DEP_2)
	v_cmp_eq_u32_e32 vcc_lo, 0, v7
	v_min_u32_e32 v5, 32, v5
	s_delay_alu instid0(VALU_DEP_1) | instskip(NEXT) | instid1(VALU_DEP_1)
	v_subrev_nc_u32_e32 v6, 29, v5
	v_dual_lshlrev_b32 v2, v6, v2 :: v_dual_sub_nc_u32 v5, 30, v5
	s_delay_alu instid0(VALU_DEP_1) | instskip(NEXT) | instid1(VALU_DEP_1)
	v_dual_lshlrev_b32 v3, 24, v3 :: v_dual_bitop2_b32 v2, 3, v2 bitop3:0x40
	v_dual_cndmask_b32 v5, v7, v5 :: v_dual_cndmask_b32 v2, v4, v2
	s_delay_alu instid0(VALU_DEP_2) | instskip(NEXT) | instid1(VALU_DEP_2)
	v_and_b32_e32 v3, 0x80000000, v3
	v_lshl_add_u32 v4, v5, 23, 0x37800000
	s_delay_alu instid0(VALU_DEP_3) | instskip(NEXT) | instid1(VALU_DEP_1)
	v_lshlrev_b32_e32 v2, 21, v2
	v_or3_b32 v2, v3, v4, v2
	s_delay_alu instid0(VALU_DEP_1)
	v_cvt_i32_f32_e32 v2, v2
.LBB62_81:
	s_or_b32 exec_lo, exec_lo, s17
	s_mov_b32 s17, 0
	s_branch .LBB62_87
.LBB62_82:
	s_mov_b32 s21, -1
                                        ; implicit-def: $vgpr2
	s_branch .LBB62_93
.LBB62_83:
	s_and_not1_saveexec_b32 s17, s17
	s_cbranch_execz .LBB62_69
.LBB62_84:
	v_cmp_ne_u16_e32 vcc_lo, 0, v3
	s_and_not1_b32 s21, s21, exec_lo
	s_and_b32 s22, vcc_lo, exec_lo
	s_delay_alu instid0(SALU_CYCLE_1)
	s_or_b32 s21, s21, s22
	s_or_b32 exec_lo, exec_lo, s17
	v_mov_b32_e32 v2, 0
	s_and_saveexec_b32 s17, s21
	s_cbranch_execnz .LBB62_70
	s_branch .LBB62_71
.LBB62_85:
	s_mov_b32 s17, -1
                                        ; implicit-def: $vgpr2
	s_branch .LBB62_90
.LBB62_86:
	s_mov_b32 s17, -1
                                        ; implicit-def: $vgpr2
.LBB62_87:
	s_delay_alu instid0(SALU_CYCLE_1)
	s_and_b32 vcc_lo, exec_lo, s17
	s_cbranch_vccz .LBB62_89
; %bb.88:
	s_wait_loadcnt 0x0
	global_load_u8 v2, v[0:1], off
	s_wait_loadcnt 0x0
	v_lshlrev_b32_e32 v2, 24, v2
	s_delay_alu instid0(VALU_DEP_1) | instskip(NEXT) | instid1(VALU_DEP_1)
	v_and_b32_e32 v3, 0x7f000000, v2
	v_clz_i32_u32_e32 v4, v3
	v_cmp_ne_u32_e32 vcc_lo, 0, v3
	v_add_nc_u32_e32 v6, 0x1000000, v3
	s_delay_alu instid0(VALU_DEP_3) | instskip(NEXT) | instid1(VALU_DEP_1)
	v_min_u32_e32 v4, 32, v4
	v_sub_nc_u32_e64 v4, v4, 4 clamp
	s_delay_alu instid0(VALU_DEP_1) | instskip(NEXT) | instid1(VALU_DEP_1)
	v_dual_lshlrev_b32 v5, v4, v3 :: v_dual_lshlrev_b32 v4, 23, v4
	v_lshrrev_b32_e32 v5, 4, v5
	s_delay_alu instid0(VALU_DEP_1) | instskip(NEXT) | instid1(VALU_DEP_1)
	v_dual_sub_nc_u32 v4, v5, v4 :: v_dual_ashrrev_i32 v5, 8, v6
	v_add_nc_u32_e32 v4, 0x3c000000, v4
	s_delay_alu instid0(VALU_DEP_1) | instskip(NEXT) | instid1(VALU_DEP_1)
	v_and_or_b32 v4, 0x7f800000, v5, v4
	v_cndmask_b32_e32 v3, 0, v4, vcc_lo
	s_delay_alu instid0(VALU_DEP_1) | instskip(NEXT) | instid1(VALU_DEP_1)
	v_and_or_b32 v2, 0x80000000, v2, v3
	v_cvt_i32_f32_e32 v2, v2
.LBB62_89:
	s_mov_b32 s17, 0
.LBB62_90:
	s_delay_alu instid0(SALU_CYCLE_1)
	s_and_not1_b32 vcc_lo, exec_lo, s17
	s_cbranch_vccnz .LBB62_92
; %bb.91:
	s_wait_loadcnt 0x0
	global_load_u8 v2, v[0:1], off
	s_wait_loadcnt 0x0
	v_lshlrev_b32_e32 v3, 25, v2
	v_lshlrev_b16 v2, 8, v2
	s_delay_alu instid0(VALU_DEP_1) | instskip(SKIP_1) | instid1(VALU_DEP_2)
	v_and_or_b32 v5, 0x7f00, v2, 0.5
	v_bfe_i32 v2, v2, 0, 16
	v_dual_add_f32 v5, -0.5, v5 :: v_dual_lshrrev_b32 v4, 4, v3
	v_cmp_gt_u32_e32 vcc_lo, 0x8000000, v3
	s_delay_alu instid0(VALU_DEP_2) | instskip(NEXT) | instid1(VALU_DEP_1)
	v_or_b32_e32 v4, 0x70000000, v4
	v_mul_f32_e32 v4, 0x7800000, v4
	s_delay_alu instid0(VALU_DEP_1) | instskip(NEXT) | instid1(VALU_DEP_1)
	v_cndmask_b32_e32 v3, v4, v5, vcc_lo
	v_and_or_b32 v2, 0x80000000, v2, v3
	s_delay_alu instid0(VALU_DEP_1)
	v_cvt_i32_f32_e32 v2, v2
.LBB62_92:
	s_mov_b32 s21, 0
	s_mov_b32 s17, -1
.LBB62_93:
	s_and_not1_b32 vcc_lo, exec_lo, s21
	s_cbranch_vccnz .LBB62_106
; %bb.94:
	s_cmp_gt_i32 s15, 14
	s_cbranch_scc0 .LBB62_97
; %bb.95:
	s_cmp_eq_u32 s15, 15
	s_cbranch_scc0 .LBB62_100
; %bb.96:
	s_wait_loadcnt 0x0
	global_load_u16 v2, v[0:1], off
	s_mov_b32 s17, -1
	s_mov_b32 s18, 0
	s_wait_loadcnt 0x0
	v_lshlrev_b32_e32 v2, 16, v2
	s_delay_alu instid0(VALU_DEP_1)
	v_cvt_i32_f32_e32 v2, v2
	s_branch .LBB62_101
.LBB62_97:
	s_mov_b32 s21, -1
                                        ; implicit-def: $vgpr2
	s_branch .LBB62_102
.LBB62_98:
	s_and_not1_saveexec_b32 s17, s17
	s_cbranch_execz .LBB62_79
.LBB62_99:
	v_cmp_ne_u16_e32 vcc_lo, 0, v3
	s_and_not1_b32 s21, s21, exec_lo
	s_and_b32 s22, vcc_lo, exec_lo
	s_delay_alu instid0(SALU_CYCLE_1)
	s_or_b32 s21, s21, s22
	s_or_b32 exec_lo, exec_lo, s17
	v_mov_b32_e32 v2, 0
	s_and_saveexec_b32 s17, s21
	s_cbranch_execnz .LBB62_80
	s_branch .LBB62_81
.LBB62_100:
	s_mov_b32 s18, -1
                                        ; implicit-def: $vgpr2
.LBB62_101:
	s_mov_b32 s21, 0
.LBB62_102:
	s_delay_alu instid0(SALU_CYCLE_1)
	s_and_b32 vcc_lo, exec_lo, s21
	s_cbranch_vccz .LBB62_106
; %bb.103:
	s_cmp_eq_u32 s15, 11
	s_cbranch_scc0 .LBB62_105
; %bb.104:
	s_wait_loadcnt 0x0
	global_load_u8 v2, v[0:1], off
	s_mov_b32 s18, 0
	s_mov_b32 s17, -1
	s_wait_loadcnt 0x0
	v_cmp_ne_u16_e32 vcc_lo, 0, v2
	v_cndmask_b32_e64 v2, 0, 1, vcc_lo
	s_branch .LBB62_106
.LBB62_105:
	s_mov_b32 s18, -1
                                        ; implicit-def: $vgpr2
.LBB62_106:
	s_branch .LBB62_10
.LBB62_107:
	s_and_b32 s0, 0xffff, s0
	s_delay_alu instid0(SALU_CYCLE_1)
	s_cmp_lt_i32 s0, 5
	s_cbranch_scc1 .LBB62_112
; %bb.108:
	s_cmp_lt_i32 s0, 8
	s_cbranch_scc1 .LBB62_113
; %bb.109:
	;; [unrolled: 3-line block ×3, first 2 shown]
	s_cmp_gt_i32 s0, 9
	s_cbranch_scc0 .LBB62_115
; %bb.111:
	s_wait_loadcnt 0x0
	global_load_b64 v[2:3], v[0:1], off
	s_mov_b32 s15, 0
	s_wait_loadcnt 0x0
	v_cvt_i32_f64_e32 v2, v[2:3]
	s_branch .LBB62_116
.LBB62_112:
                                        ; implicit-def: $vgpr2
	s_branch .LBB62_134
.LBB62_113:
	s_mov_b32 s15, -1
                                        ; implicit-def: $vgpr2
	s_branch .LBB62_122
.LBB62_114:
	s_mov_b32 s15, -1
                                        ; implicit-def: $vgpr2
	s_branch .LBB62_119
.LBB62_115:
	s_mov_b32 s15, -1
                                        ; implicit-def: $vgpr2
.LBB62_116:
	s_delay_alu instid0(SALU_CYCLE_1)
	s_and_not1_b32 vcc_lo, exec_lo, s15
	s_cbranch_vccnz .LBB62_118
; %bb.117:
	s_wait_loadcnt 0x0
	global_load_b32 v2, v[0:1], off
	s_wait_loadcnt 0x0
	v_cvt_i32_f32_e32 v2, v2
.LBB62_118:
	s_mov_b32 s15, 0
.LBB62_119:
	s_delay_alu instid0(SALU_CYCLE_1)
	s_and_not1_b32 vcc_lo, exec_lo, s15
	s_cbranch_vccnz .LBB62_121
; %bb.120:
	s_wait_loadcnt 0x0
	global_load_b32 v2, v[0:1], off
	s_wait_loadcnt 0x0
	v_cvt_f32_f16_e32 v2, v2
	s_delay_alu instid0(VALU_DEP_1)
	v_cvt_i32_f32_e32 v2, v2
.LBB62_121:
	s_mov_b32 s15, 0
.LBB62_122:
	s_delay_alu instid0(SALU_CYCLE_1)
	s_and_not1_b32 vcc_lo, exec_lo, s15
	s_cbranch_vccnz .LBB62_133
; %bb.123:
	s_cmp_lt_i32 s0, 6
	s_cbranch_scc1 .LBB62_126
; %bb.124:
	s_cmp_gt_i32 s0, 6
	s_cbranch_scc0 .LBB62_127
; %bb.125:
	s_wait_loadcnt 0x0
	global_load_b64 v[2:3], v[0:1], off
	s_mov_b32 s15, 0
	s_wait_loadcnt 0x0
	v_cvt_i32_f64_e32 v2, v[2:3]
	s_branch .LBB62_128
.LBB62_126:
	s_mov_b32 s15, -1
                                        ; implicit-def: $vgpr2
	s_branch .LBB62_131
.LBB62_127:
	s_mov_b32 s15, -1
                                        ; implicit-def: $vgpr2
.LBB62_128:
	s_delay_alu instid0(SALU_CYCLE_1)
	s_and_not1_b32 vcc_lo, exec_lo, s15
	s_cbranch_vccnz .LBB62_130
; %bb.129:
	s_wait_loadcnt 0x0
	global_load_b32 v2, v[0:1], off
	s_wait_loadcnt 0x0
	v_cvt_i32_f32_e32 v2, v2
.LBB62_130:
	s_mov_b32 s15, 0
.LBB62_131:
	s_delay_alu instid0(SALU_CYCLE_1)
	s_and_not1_b32 vcc_lo, exec_lo, s15
	s_cbranch_vccnz .LBB62_133
; %bb.132:
	s_wait_loadcnt 0x0
	global_load_u16 v2, v[0:1], off
	s_wait_loadcnt 0x0
	v_cvt_f32_f16_e32 v2, v2
	s_delay_alu instid0(VALU_DEP_1)
	v_cvt_i32_f32_e32 v2, v2
.LBB62_133:
	s_cbranch_execnz .LBB62_153
.LBB62_134:
	s_cmp_lt_i32 s0, 2
	s_cbranch_scc1 .LBB62_138
; %bb.135:
	s_cmp_lt_i32 s0, 3
	s_cbranch_scc1 .LBB62_139
; %bb.136:
	s_cmp_gt_i32 s0, 3
	s_cbranch_scc0 .LBB62_140
; %bb.137:
	s_wait_loadcnt 0x0
	global_load_b32 v2, v[0:1], off
	s_mov_b32 s15, 0
	s_branch .LBB62_141
.LBB62_138:
	s_mov_b32 s15, -1
                                        ; implicit-def: $vgpr2
	s_branch .LBB62_147
.LBB62_139:
	s_mov_b32 s15, -1
                                        ; implicit-def: $vgpr2
	s_branch .LBB62_144
.LBB62_140:
	s_mov_b32 s15, -1
                                        ; implicit-def: $vgpr2
.LBB62_141:
	s_delay_alu instid0(SALU_CYCLE_1)
	s_and_not1_b32 vcc_lo, exec_lo, s15
	s_cbranch_vccnz .LBB62_143
; %bb.142:
	s_wait_loadcnt 0x0
	global_load_b32 v2, v[0:1], off
.LBB62_143:
	s_mov_b32 s15, 0
.LBB62_144:
	s_delay_alu instid0(SALU_CYCLE_1)
	s_and_not1_b32 vcc_lo, exec_lo, s15
	s_cbranch_vccnz .LBB62_146
; %bb.145:
	s_wait_loadcnt 0x0
	global_load_i16 v2, v[0:1], off
.LBB62_146:
	s_mov_b32 s15, 0
.LBB62_147:
	s_delay_alu instid0(SALU_CYCLE_1)
	s_and_not1_b32 vcc_lo, exec_lo, s15
	s_cbranch_vccnz .LBB62_153
; %bb.148:
	s_cmp_gt_i32 s0, 0
	s_mov_b32 s0, 0
	s_cbranch_scc0 .LBB62_150
; %bb.149:
	s_wait_loadcnt 0x0
	global_load_i8 v2, v[0:1], off
	s_branch .LBB62_151
.LBB62_150:
	s_mov_b32 s0, -1
                                        ; implicit-def: $vgpr2
.LBB62_151:
	s_delay_alu instid0(SALU_CYCLE_1)
	s_and_not1_b32 vcc_lo, exec_lo, s0
	s_cbranch_vccnz .LBB62_153
; %bb.152:
	s_wait_loadcnt 0x0
	global_load_u8 v2, v[0:1], off
.LBB62_153:
	s_branch .LBB62_11
.LBB62_154:
	s_mov_b32 s0, 0
	s_mov_b32 s17, 0
	s_branch .LBB62_378
.LBB62_155:
	s_mov_b32 s17, -1
.LBB62_156:
	s_mov_b32 s21, 0
                                        ; implicit-def: $vgpr3
.LBB62_157:
	s_and_b32 vcc_lo, exec_lo, s22
	s_cbranch_vccz .LBB62_272
; %bb.158:
	s_cmp_eq_u32 s15, 44
	s_cbranch_scc0 .LBB62_271
; %bb.159:
	global_load_u8 v3, v[0:1], off
	s_mov_b32 s17, 0
	s_mov_b32 s21, -1
	s_wait_loadcnt 0x0
	v_lshlrev_b32_e32 v4, 23, v3
	v_cmp_ne_u32_e32 vcc_lo, 0, v3
	s_delay_alu instid0(VALU_DEP_2) | instskip(NEXT) | instid1(VALU_DEP_1)
	v_cvt_i32_f32_e32 v4, v4
	v_cndmask_b32_e32 v3, 0, v4, vcc_lo
	s_branch .LBB62_272
.LBB62_160:
	s_mov_b32 s23, -1
	s_mov_b32 s0, 0
	s_mov_b32 s22, 0
.LBB62_161:
	s_and_b32 vcc_lo, exec_lo, s23
	s_cbranch_vccz .LBB62_166
; %bb.162:
	s_cmp_eq_u32 s21, 44
	s_mov_b32 s0, -1
	s_cbranch_scc0 .LBB62_166
; %bb.163:
	v_cvt_f32_u32_e32 v5, v0
	s_mov_b32 s22, exec_lo
	s_wait_xcnt 0x0
	s_delay_alu instid0(VALU_DEP_1) | instskip(NEXT) | instid1(VALU_DEP_1)
	v_dual_mov_b32 v4, 0xff :: v_dual_lshrrev_b32 v1, 23, v5
	v_cmpx_ne_u32_e32 0xff, v1
; %bb.164:
	v_and_b32_e32 v4, 0x400000, v5
	v_and_or_b32 v5, 0x3fffff, v5, v1
	s_delay_alu instid0(VALU_DEP_2) | instskip(NEXT) | instid1(VALU_DEP_2)
	v_cmp_ne_u32_e32 vcc_lo, 0, v4
	v_cmp_ne_u32_e64 s0, 0, v5
	s_and_b32 s0, vcc_lo, s0
	s_delay_alu instid0(SALU_CYCLE_1) | instskip(NEXT) | instid1(VALU_DEP_1)
	v_cndmask_b32_e64 v4, 0, 1, s0
	v_add_nc_u32_e32 v4, v1, v4
; %bb.165:
	s_or_b32 exec_lo, exec_lo, s22
	s_mov_b32 s22, -1
	s_mov_b32 s0, 0
	global_store_b8 v[2:3], v4, off
.LBB62_166:
	s_mov_b32 s23, 0
.LBB62_167:
	s_delay_alu instid0(SALU_CYCLE_1)
	s_and_b32 vcc_lo, exec_lo, s23
	s_cbranch_vccz .LBB62_170
; %bb.168:
	s_cmp_eq_u32 s21, 29
	s_mov_b32 s0, -1
	s_cbranch_scc0 .LBB62_170
; %bb.169:
	s_wait_xcnt 0x0
	v_mov_b32_e32 v1, 0
	s_mov_b32 s22, -1
	s_mov_b32 s0, 0
	s_mov_b32 s23, 0
	global_store_b64 v[2:3], v[0:1], off
	s_branch .LBB62_171
.LBB62_170:
	s_mov_b32 s23, 0
.LBB62_171:
	s_delay_alu instid0(SALU_CYCLE_1)
	s_and_b32 vcc_lo, exec_lo, s23
	s_cbranch_vccz .LBB62_187
; %bb.172:
	s_cmp_lt_i32 s21, 27
	s_mov_b32 s22, -1
	s_cbranch_scc1 .LBB62_178
; %bb.173:
	s_cmp_gt_i32 s21, 27
	s_cbranch_scc0 .LBB62_175
; %bb.174:
	s_mov_b32 s22, 0
	global_store_b32 v[2:3], v0, off
.LBB62_175:
	s_and_not1_b32 vcc_lo, exec_lo, s22
	s_cbranch_vccnz .LBB62_177
; %bb.176:
	global_store_b16 v[2:3], v0, off
.LBB62_177:
	s_mov_b32 s22, 0
.LBB62_178:
	s_delay_alu instid0(SALU_CYCLE_1)
	s_and_not1_b32 vcc_lo, exec_lo, s22
	s_cbranch_vccnz .LBB62_186
; %bb.179:
	s_wait_xcnt 0x0
	v_cvt_f32_u32_e32 v4, v0
	v_mov_b32_e32 v5, 0x80
	s_mov_b32 s22, exec_lo
	s_delay_alu instid0(VALU_DEP_2)
	v_cmpx_gt_u32_e32 0x43800000, v4
	s_cbranch_execz .LBB62_185
; %bb.180:
	s_mov_b32 s23, 0
	s_mov_b32 s24, exec_lo
                                        ; implicit-def: $vgpr1
	v_cmpx_lt_u32_e32 0x3bffffff, v4
	s_xor_b32 s24, exec_lo, s24
	s_cbranch_execz .LBB62_409
; %bb.181:
	v_bfe_u32 v1, v4, 20, 1
	s_mov_b32 s23, exec_lo
	s_delay_alu instid0(VALU_DEP_1) | instskip(NEXT) | instid1(VALU_DEP_1)
	v_add3_u32 v1, v4, v1, 0x487ffff
                                        ; implicit-def: $vgpr4
	v_lshrrev_b32_e32 v1, 20, v1
	s_and_not1_saveexec_b32 s24, s24
	s_cbranch_execnz .LBB62_410
.LBB62_182:
	s_or_b32 exec_lo, exec_lo, s24
	v_mov_b32_e32 v5, 0
	s_and_saveexec_b32 s24, s23
.LBB62_183:
	v_mov_b32_e32 v5, v1
.LBB62_184:
	s_or_b32 exec_lo, exec_lo, s24
.LBB62_185:
	s_delay_alu instid0(SALU_CYCLE_1)
	s_or_b32 exec_lo, exec_lo, s22
	global_store_b8 v[2:3], v5, off
.LBB62_186:
	s_mov_b32 s22, -1
.LBB62_187:
	s_mov_b32 s23, 0
.LBB62_188:
	s_delay_alu instid0(SALU_CYCLE_1)
	s_and_b32 vcc_lo, exec_lo, s23
	s_cbranch_vccz .LBB62_229
; %bb.189:
	s_cmp_gt_i32 s21, 22
	s_mov_b32 s23, -1
	s_cbranch_scc0 .LBB62_221
; %bb.190:
	s_cmp_lt_i32 s21, 24
	s_mov_b32 s22, -1
	s_cbranch_scc1 .LBB62_210
; %bb.191:
	s_cmp_gt_i32 s21, 24
	s_cbranch_scc0 .LBB62_199
; %bb.192:
	s_wait_xcnt 0x0
	v_cvt_f32_u32_e32 v4, v0
	v_mov_b32_e32 v5, 0x80
	s_mov_b32 s22, exec_lo
	s_delay_alu instid0(VALU_DEP_2)
	v_cmpx_gt_u32_e32 0x47800000, v4
	s_cbranch_execz .LBB62_198
; %bb.193:
	s_mov_b32 s23, 0
	s_mov_b32 s24, exec_lo
                                        ; implicit-def: $vgpr1
	v_cmpx_lt_u32_e32 0x37ffffff, v4
	s_xor_b32 s24, exec_lo, s24
	s_cbranch_execz .LBB62_524
; %bb.194:
	v_bfe_u32 v1, v4, 21, 1
	s_mov_b32 s23, exec_lo
	s_delay_alu instid0(VALU_DEP_1) | instskip(NEXT) | instid1(VALU_DEP_1)
	v_add3_u32 v1, v4, v1, 0x88fffff
                                        ; implicit-def: $vgpr4
	v_lshrrev_b32_e32 v1, 21, v1
	s_and_not1_saveexec_b32 s24, s24
	s_cbranch_execnz .LBB62_525
.LBB62_195:
	s_or_b32 exec_lo, exec_lo, s24
	v_mov_b32_e32 v5, 0
	s_and_saveexec_b32 s24, s23
.LBB62_196:
	v_mov_b32_e32 v5, v1
.LBB62_197:
	s_or_b32 exec_lo, exec_lo, s24
.LBB62_198:
	s_delay_alu instid0(SALU_CYCLE_1)
	s_or_b32 exec_lo, exec_lo, s22
	s_mov_b32 s22, 0
	global_store_b8 v[2:3], v5, off
.LBB62_199:
	s_and_b32 vcc_lo, exec_lo, s22
	s_cbranch_vccz .LBB62_209
; %bb.200:
	s_wait_xcnt 0x0
	v_cvt_f32_u32_e32 v4, v0
	s_mov_b32 s22, exec_lo
                                        ; implicit-def: $vgpr1
	s_delay_alu instid0(VALU_DEP_1)
	v_cmpx_gt_u32_e32 0x43f00000, v4
	s_xor_b32 s22, exec_lo, s22
	s_cbranch_execz .LBB62_206
; %bb.201:
	s_mov_b32 s23, exec_lo
                                        ; implicit-def: $vgpr1
	v_cmpx_lt_u32_e32 0x3c7fffff, v4
	s_xor_b32 s23, exec_lo, s23
; %bb.202:
	v_bfe_u32 v1, v4, 20, 1
	s_delay_alu instid0(VALU_DEP_1) | instskip(NEXT) | instid1(VALU_DEP_1)
	v_add3_u32 v1, v4, v1, 0x407ffff
	v_and_b32_e32 v4, 0xff00000, v1
	v_lshrrev_b32_e32 v1, 20, v1
	s_delay_alu instid0(VALU_DEP_2) | instskip(NEXT) | instid1(VALU_DEP_2)
	v_cmp_ne_u32_e32 vcc_lo, 0x7f00000, v4
                                        ; implicit-def: $vgpr4
	v_cndmask_b32_e32 v1, 0x7e, v1, vcc_lo
; %bb.203:
	s_and_not1_saveexec_b32 s23, s23
; %bb.204:
	v_add_f32_e32 v1, 0x46800000, v4
; %bb.205:
	s_or_b32 exec_lo, exec_lo, s23
                                        ; implicit-def: $vgpr4
.LBB62_206:
	s_and_not1_saveexec_b32 s22, s22
; %bb.207:
	v_mov_b32_e32 v1, 0x7f
	v_cmp_lt_u32_e32 vcc_lo, 0x7f800000, v4
	s_delay_alu instid0(VALU_DEP_2)
	v_cndmask_b32_e32 v1, 0x7e, v1, vcc_lo
; %bb.208:
	s_or_b32 exec_lo, exec_lo, s22
	global_store_b8 v[2:3], v1, off
.LBB62_209:
	s_mov_b32 s22, 0
.LBB62_210:
	s_delay_alu instid0(SALU_CYCLE_1)
	s_and_not1_b32 vcc_lo, exec_lo, s22
	s_cbranch_vccnz .LBB62_220
; %bb.211:
	s_wait_xcnt 0x0
	v_cvt_f32_u32_e32 v4, v0
	s_mov_b32 s22, exec_lo
                                        ; implicit-def: $vgpr1
	s_delay_alu instid0(VALU_DEP_1)
	v_cmpx_gt_u32_e32 0x47800000, v4
	s_xor_b32 s22, exec_lo, s22
	s_cbranch_execz .LBB62_217
; %bb.212:
	s_mov_b32 s23, exec_lo
                                        ; implicit-def: $vgpr1
	v_cmpx_lt_u32_e32 0x387fffff, v4
	s_xor_b32 s23, exec_lo, s23
; %bb.213:
	v_bfe_u32 v1, v4, 21, 1
	s_delay_alu instid0(VALU_DEP_1) | instskip(NEXT) | instid1(VALU_DEP_1)
	v_add3_u32 v1, v4, v1, 0x80fffff
                                        ; implicit-def: $vgpr4
	v_lshrrev_b32_e32 v1, 21, v1
; %bb.214:
	s_and_not1_saveexec_b32 s23, s23
; %bb.215:
	v_add_f32_e32 v1, 0x43000000, v4
; %bb.216:
	s_or_b32 exec_lo, exec_lo, s23
                                        ; implicit-def: $vgpr4
.LBB62_217:
	s_and_not1_saveexec_b32 s22, s22
; %bb.218:
	v_mov_b32_e32 v1, 0x7f
	v_cmp_lt_u32_e32 vcc_lo, 0x7f800000, v4
	s_delay_alu instid0(VALU_DEP_2)
	v_cndmask_b32_e32 v1, 0x7c, v1, vcc_lo
; %bb.219:
	s_or_b32 exec_lo, exec_lo, s22
	global_store_b8 v[2:3], v1, off
.LBB62_220:
	s_mov_b32 s23, 0
	s_mov_b32 s22, -1
.LBB62_221:
	s_and_not1_b32 vcc_lo, exec_lo, s23
	s_cbranch_vccnz .LBB62_229
; %bb.222:
	s_cmp_gt_i32 s21, 14
	s_mov_b32 s23, -1
	s_cbranch_scc0 .LBB62_226
; %bb.223:
	s_cmp_eq_u32 s21, 15
	s_mov_b32 s0, -1
	s_cbranch_scc0 .LBB62_225
; %bb.224:
	s_wait_xcnt 0x0
	v_cvt_f32_u32_e32 v1, v0
	s_mov_b32 s22, -1
	s_mov_b32 s0, 0
	s_delay_alu instid0(VALU_DEP_1) | instskip(NEXT) | instid1(VALU_DEP_1)
	v_bfe_u32 v4, v1, 16, 1
	v_add3_u32 v1, v1, v4, 0x7fff
	global_store_d16_hi_b16 v[2:3], v1, off
.LBB62_225:
	s_mov_b32 s23, 0
.LBB62_226:
	s_delay_alu instid0(SALU_CYCLE_1)
	s_and_b32 vcc_lo, exec_lo, s23
	s_cbranch_vccz .LBB62_229
; %bb.227:
	s_cmp_eq_u32 s21, 11
	s_mov_b32 s0, -1
	s_cbranch_scc0 .LBB62_229
; %bb.228:
	v_cmp_ne_u32_e32 vcc_lo, 0, v0
	s_mov_b32 s0, 0
	s_mov_b32 s22, -1
	s_wait_xcnt 0x0
	v_cndmask_b32_e64 v1, 0, 1, vcc_lo
	global_store_b8 v[2:3], v1, off
.LBB62_229:
	s_mov_b32 s21, 0
.LBB62_230:
	s_delay_alu instid0(SALU_CYCLE_1)
	s_and_b32 vcc_lo, exec_lo, s21
	s_cbranch_vccz .LBB62_269
; %bb.231:
	s_and_b32 s15, 0xffff, s15
	s_mov_b32 s21, -1
	s_cmp_lt_i32 s15, 5
	s_cbranch_scc1 .LBB62_252
; %bb.232:
	s_cmp_lt_i32 s15, 8
	s_cbranch_scc1 .LBB62_242
; %bb.233:
	;; [unrolled: 3-line block ×3, first 2 shown]
	s_cmp_gt_i32 s15, 9
	s_cbranch_scc0 .LBB62_236
; %bb.235:
	s_wait_xcnt 0x0
	v_cvt_f64_u32_e32 v[4:5], v0
	v_mov_b32_e32 v6, 0
	s_mov_b32 s21, 0
	s_delay_alu instid0(VALU_DEP_1)
	v_mov_b32_e32 v7, v6
	global_store_b128 v[2:3], v[4:7], off
.LBB62_236:
	s_and_not1_b32 vcc_lo, exec_lo, s21
	s_cbranch_vccnz .LBB62_238
; %bb.237:
	s_wait_xcnt 0x0
	v_cvt_f32_u32_e32 v4, v0
	v_mov_b32_e32 v5, 0
	global_store_b64 v[2:3], v[4:5], off
.LBB62_238:
	s_mov_b32 s21, 0
.LBB62_239:
	s_delay_alu instid0(SALU_CYCLE_1)
	s_and_not1_b32 vcc_lo, exec_lo, s21
	s_cbranch_vccnz .LBB62_241
; %bb.240:
	s_wait_xcnt 0x0
	v_cvt_f32_u32_e32 v1, v0
	s_delay_alu instid0(VALU_DEP_1) | instskip(NEXT) | instid1(VALU_DEP_1)
	v_cvt_f16_f32_e32 v1, v1
	v_and_b32_e32 v1, 0xffff, v1
	global_store_b32 v[2:3], v1, off
.LBB62_241:
	s_mov_b32 s21, 0
.LBB62_242:
	s_delay_alu instid0(SALU_CYCLE_1)
	s_and_not1_b32 vcc_lo, exec_lo, s21
	s_cbranch_vccnz .LBB62_251
; %bb.243:
	s_cmp_lt_i32 s15, 6
	s_mov_b32 s21, -1
	s_cbranch_scc1 .LBB62_249
; %bb.244:
	s_cmp_gt_i32 s15, 6
	s_cbranch_scc0 .LBB62_246
; %bb.245:
	s_wait_xcnt 0x0
	v_cvt_f64_u32_e32 v[4:5], v0
	s_mov_b32 s21, 0
	global_store_b64 v[2:3], v[4:5], off
.LBB62_246:
	s_and_not1_b32 vcc_lo, exec_lo, s21
	s_cbranch_vccnz .LBB62_248
; %bb.247:
	s_wait_xcnt 0x0
	v_cvt_f32_u32_e32 v1, v0
	global_store_b32 v[2:3], v1, off
.LBB62_248:
	s_mov_b32 s21, 0
.LBB62_249:
	s_delay_alu instid0(SALU_CYCLE_1)
	s_and_not1_b32 vcc_lo, exec_lo, s21
	s_cbranch_vccnz .LBB62_251
; %bb.250:
	s_wait_xcnt 0x0
	v_cvt_f32_u32_e32 v1, v0
	s_delay_alu instid0(VALU_DEP_1)
	v_cvt_f16_f32_e32 v1, v1
	global_store_b16 v[2:3], v1, off
.LBB62_251:
	s_mov_b32 s21, 0
.LBB62_252:
	s_delay_alu instid0(SALU_CYCLE_1)
	s_and_not1_b32 vcc_lo, exec_lo, s21
	s_cbranch_vccnz .LBB62_268
; %bb.253:
	s_cmp_lt_i32 s15, 2
	s_mov_b32 s21, -1
	s_cbranch_scc1 .LBB62_263
; %bb.254:
	s_cmp_lt_i32 s15, 3
	s_cbranch_scc1 .LBB62_260
; %bb.255:
	s_cmp_gt_i32 s15, 3
	s_cbranch_scc0 .LBB62_257
; %bb.256:
	s_wait_xcnt 0x0
	v_mov_b32_e32 v1, 0
	s_mov_b32 s21, 0
	global_store_b64 v[2:3], v[0:1], off
.LBB62_257:
	s_and_not1_b32 vcc_lo, exec_lo, s21
	s_cbranch_vccnz .LBB62_259
; %bb.258:
	global_store_b32 v[2:3], v0, off
.LBB62_259:
	s_mov_b32 s21, 0
.LBB62_260:
	s_delay_alu instid0(SALU_CYCLE_1)
	s_and_not1_b32 vcc_lo, exec_lo, s21
	s_cbranch_vccnz .LBB62_262
; %bb.261:
	global_store_b16 v[2:3], v0, off
.LBB62_262:
	s_mov_b32 s21, 0
.LBB62_263:
	s_delay_alu instid0(SALU_CYCLE_1)
	s_and_not1_b32 vcc_lo, exec_lo, s21
	s_cbranch_vccnz .LBB62_268
; %bb.264:
	s_cmp_gt_i32 s15, 0
	s_mov_b32 s15, -1
	s_cbranch_scc0 .LBB62_266
; %bb.265:
	s_mov_b32 s15, 0
	global_store_b8 v[2:3], v0, off
.LBB62_266:
	s_and_not1_b32 vcc_lo, exec_lo, s15
	s_cbranch_vccnz .LBB62_268
; %bb.267:
	global_store_b8 v[2:3], v0, off
.LBB62_268:
	s_mov_b32 s22, -1
.LBB62_269:
	s_delay_alu instid0(SALU_CYCLE_1)
	s_and_not1_b32 vcc_lo, exec_lo, s22
	s_cbranch_vccnz .LBB62_378
; %bb.270:
	v_add_nc_u32_e32 v10, 0x80, v10
	s_mov_b32 s21, -1
	s_branch .LBB62_379
.LBB62_271:
	s_mov_b32 s17, -1
                                        ; implicit-def: $vgpr3
.LBB62_272:
	s_mov_b32 s22, 0
.LBB62_273:
	s_delay_alu instid0(SALU_CYCLE_1)
	s_and_b32 vcc_lo, exec_lo, s22
	s_cbranch_vccz .LBB62_277
; %bb.274:
	s_cmp_eq_u32 s15, 29
	s_cbranch_scc0 .LBB62_276
; %bb.275:
	global_load_b32 v3, v[0:1], off
	s_mov_b32 s21, -1
	s_mov_b32 s17, 0
	s_branch .LBB62_277
.LBB62_276:
	s_mov_b32 s17, -1
                                        ; implicit-def: $vgpr3
.LBB62_277:
	s_mov_b32 s22, 0
.LBB62_278:
	s_delay_alu instid0(SALU_CYCLE_1)
	s_and_b32 vcc_lo, exec_lo, s22
	s_cbranch_vccz .LBB62_294
; %bb.279:
	s_cmp_lt_i32 s15, 27
	s_cbranch_scc1 .LBB62_282
; %bb.280:
	s_cmp_gt_i32 s15, 27
	s_cbranch_scc0 .LBB62_283
; %bb.281:
	s_wait_loadcnt 0x0
	global_load_b32 v3, v[0:1], off
	s_mov_b32 s21, 0
	s_branch .LBB62_284
.LBB62_282:
	s_mov_b32 s21, -1
                                        ; implicit-def: $vgpr3
	s_branch .LBB62_287
.LBB62_283:
	s_mov_b32 s21, -1
                                        ; implicit-def: $vgpr3
.LBB62_284:
	s_delay_alu instid0(SALU_CYCLE_1)
	s_and_not1_b32 vcc_lo, exec_lo, s21
	s_cbranch_vccnz .LBB62_286
; %bb.285:
	s_wait_loadcnt 0x0
	global_load_u16 v3, v[0:1], off
.LBB62_286:
	s_mov_b32 s21, 0
.LBB62_287:
	s_delay_alu instid0(SALU_CYCLE_1)
	s_and_not1_b32 vcc_lo, exec_lo, s21
	s_cbranch_vccnz .LBB62_293
; %bb.288:
	global_load_u8 v4, v[0:1], off
	s_mov_b32 s22, 0
	s_mov_b32 s21, exec_lo
	s_wait_loadcnt 0x0
	v_cmpx_lt_i16_e32 0x7f, v4
	s_xor_b32 s21, exec_lo, s21
	s_cbranch_execz .LBB62_305
; %bb.289:
	v_cmp_ne_u16_e32 vcc_lo, 0x80, v4
	s_and_b32 s22, vcc_lo, exec_lo
	s_and_not1_saveexec_b32 s21, s21
	s_cbranch_execnz .LBB62_306
.LBB62_290:
	s_or_b32 exec_lo, exec_lo, s21
	v_mov_b32_e32 v3, 0
	s_and_saveexec_b32 s21, s22
	s_cbranch_execz .LBB62_292
.LBB62_291:
	v_and_b32_e32 v3, 0xffff, v4
	s_delay_alu instid0(VALU_DEP_1) | instskip(SKIP_1) | instid1(VALU_DEP_2)
	v_and_b32_e32 v5, 7, v3
	v_bfe_u32 v8, v3, 3, 4
	v_clz_i32_u32_e32 v6, v5
	s_delay_alu instid0(VALU_DEP_2) | instskip(NEXT) | instid1(VALU_DEP_2)
	v_cmp_eq_u32_e32 vcc_lo, 0, v8
	v_min_u32_e32 v6, 32, v6
	s_delay_alu instid0(VALU_DEP_1) | instskip(NEXT) | instid1(VALU_DEP_1)
	v_subrev_nc_u32_e32 v7, 28, v6
	v_dual_lshlrev_b32 v3, v7, v3 :: v_dual_sub_nc_u32 v6, 29, v6
	s_delay_alu instid0(VALU_DEP_1) | instskip(NEXT) | instid1(VALU_DEP_1)
	v_dual_lshlrev_b32 v4, 24, v4 :: v_dual_bitop2_b32 v3, 7, v3 bitop3:0x40
	v_dual_cndmask_b32 v6, v8, v6 :: v_dual_cndmask_b32 v3, v5, v3
	s_delay_alu instid0(VALU_DEP_2) | instskip(NEXT) | instid1(VALU_DEP_2)
	v_and_b32_e32 v4, 0x80000000, v4
	v_lshl_add_u32 v5, v6, 23, 0x3b800000
	s_delay_alu instid0(VALU_DEP_3) | instskip(NEXT) | instid1(VALU_DEP_1)
	v_lshlrev_b32_e32 v3, 20, v3
	v_or3_b32 v3, v4, v5, v3
	s_delay_alu instid0(VALU_DEP_1)
	v_cvt_i32_f32_e32 v3, v3
.LBB62_292:
	s_or_b32 exec_lo, exec_lo, s21
.LBB62_293:
	s_mov_b32 s21, -1
.LBB62_294:
	s_mov_b32 s22, 0
.LBB62_295:
	s_delay_alu instid0(SALU_CYCLE_1)
	s_and_b32 vcc_lo, exec_lo, s22
	s_cbranch_vccz .LBB62_328
; %bb.296:
	s_cmp_gt_i32 s15, 22
	s_cbranch_scc0 .LBB62_304
; %bb.297:
	s_cmp_lt_i32 s15, 24
	s_cbranch_scc1 .LBB62_307
; %bb.298:
	s_cmp_gt_i32 s15, 24
	s_cbranch_scc0 .LBB62_308
; %bb.299:
	global_load_u8 v4, v[0:1], off
	s_mov_b32 s22, 0
	s_mov_b32 s21, exec_lo
	s_wait_loadcnt 0x0
	v_cmpx_lt_i16_e32 0x7f, v4
	s_xor_b32 s21, exec_lo, s21
	s_cbranch_execz .LBB62_320
; %bb.300:
	v_cmp_ne_u16_e32 vcc_lo, 0x80, v4
	s_and_b32 s22, vcc_lo, exec_lo
	s_and_not1_saveexec_b32 s21, s21
	s_cbranch_execnz .LBB62_321
.LBB62_301:
	s_or_b32 exec_lo, exec_lo, s21
	v_mov_b32_e32 v3, 0
	s_and_saveexec_b32 s21, s22
	s_cbranch_execz .LBB62_303
.LBB62_302:
	v_and_b32_e32 v3, 0xffff, v4
	s_delay_alu instid0(VALU_DEP_1) | instskip(SKIP_1) | instid1(VALU_DEP_2)
	v_and_b32_e32 v5, 3, v3
	v_bfe_u32 v8, v3, 2, 5
	v_clz_i32_u32_e32 v6, v5
	s_delay_alu instid0(VALU_DEP_2) | instskip(NEXT) | instid1(VALU_DEP_2)
	v_cmp_eq_u32_e32 vcc_lo, 0, v8
	v_min_u32_e32 v6, 32, v6
	s_delay_alu instid0(VALU_DEP_1) | instskip(NEXT) | instid1(VALU_DEP_1)
	v_subrev_nc_u32_e32 v7, 29, v6
	v_dual_lshlrev_b32 v3, v7, v3 :: v_dual_sub_nc_u32 v6, 30, v6
	s_delay_alu instid0(VALU_DEP_1) | instskip(NEXT) | instid1(VALU_DEP_1)
	v_dual_lshlrev_b32 v4, 24, v4 :: v_dual_bitop2_b32 v3, 3, v3 bitop3:0x40
	v_dual_cndmask_b32 v6, v8, v6 :: v_dual_cndmask_b32 v3, v5, v3
	s_delay_alu instid0(VALU_DEP_2) | instskip(NEXT) | instid1(VALU_DEP_2)
	v_and_b32_e32 v4, 0x80000000, v4
	v_lshl_add_u32 v5, v6, 23, 0x37800000
	s_delay_alu instid0(VALU_DEP_3) | instskip(NEXT) | instid1(VALU_DEP_1)
	v_lshlrev_b32_e32 v3, 21, v3
	v_or3_b32 v3, v4, v5, v3
	s_delay_alu instid0(VALU_DEP_1)
	v_cvt_i32_f32_e32 v3, v3
.LBB62_303:
	s_or_b32 exec_lo, exec_lo, s21
	s_mov_b32 s21, 0
	s_branch .LBB62_309
.LBB62_304:
	s_mov_b32 s22, -1
                                        ; implicit-def: $vgpr3
	s_branch .LBB62_315
.LBB62_305:
	s_and_not1_saveexec_b32 s21, s21
	s_cbranch_execz .LBB62_290
.LBB62_306:
	v_cmp_ne_u16_e32 vcc_lo, 0, v4
	s_and_not1_b32 s22, s22, exec_lo
	s_and_b32 s23, vcc_lo, exec_lo
	s_delay_alu instid0(SALU_CYCLE_1)
	s_or_b32 s22, s22, s23
	s_or_b32 exec_lo, exec_lo, s21
	v_mov_b32_e32 v3, 0
	s_and_saveexec_b32 s21, s22
	s_cbranch_execnz .LBB62_291
	s_branch .LBB62_292
.LBB62_307:
	s_mov_b32 s21, -1
                                        ; implicit-def: $vgpr3
	s_branch .LBB62_312
.LBB62_308:
	s_mov_b32 s21, -1
                                        ; implicit-def: $vgpr3
.LBB62_309:
	s_delay_alu instid0(SALU_CYCLE_1)
	s_and_b32 vcc_lo, exec_lo, s21
	s_cbranch_vccz .LBB62_311
; %bb.310:
	s_wait_loadcnt 0x0
	global_load_u8 v3, v[0:1], off
	s_wait_loadcnt 0x0
	v_lshlrev_b32_e32 v3, 24, v3
	s_delay_alu instid0(VALU_DEP_1) | instskip(NEXT) | instid1(VALU_DEP_1)
	v_and_b32_e32 v4, 0x7f000000, v3
	v_clz_i32_u32_e32 v5, v4
	v_cmp_ne_u32_e32 vcc_lo, 0, v4
	v_add_nc_u32_e32 v7, 0x1000000, v4
	s_delay_alu instid0(VALU_DEP_3) | instskip(NEXT) | instid1(VALU_DEP_1)
	v_min_u32_e32 v5, 32, v5
	v_sub_nc_u32_e64 v5, v5, 4 clamp
	s_delay_alu instid0(VALU_DEP_1) | instskip(NEXT) | instid1(VALU_DEP_1)
	v_dual_lshlrev_b32 v6, v5, v4 :: v_dual_lshlrev_b32 v5, 23, v5
	v_lshrrev_b32_e32 v6, 4, v6
	s_delay_alu instid0(VALU_DEP_1) | instskip(NEXT) | instid1(VALU_DEP_1)
	v_dual_sub_nc_u32 v5, v6, v5 :: v_dual_ashrrev_i32 v6, 8, v7
	v_add_nc_u32_e32 v5, 0x3c000000, v5
	s_delay_alu instid0(VALU_DEP_1) | instskip(NEXT) | instid1(VALU_DEP_1)
	v_and_or_b32 v5, 0x7f800000, v6, v5
	v_cndmask_b32_e32 v4, 0, v5, vcc_lo
	s_delay_alu instid0(VALU_DEP_1) | instskip(NEXT) | instid1(VALU_DEP_1)
	v_and_or_b32 v3, 0x80000000, v3, v4
	v_cvt_i32_f32_e32 v3, v3
.LBB62_311:
	s_mov_b32 s21, 0
.LBB62_312:
	s_delay_alu instid0(SALU_CYCLE_1)
	s_and_not1_b32 vcc_lo, exec_lo, s21
	s_cbranch_vccnz .LBB62_314
; %bb.313:
	s_wait_loadcnt 0x0
	global_load_u8 v3, v[0:1], off
	s_wait_loadcnt 0x0
	v_lshlrev_b32_e32 v4, 25, v3
	v_lshlrev_b16 v3, 8, v3
	s_delay_alu instid0(VALU_DEP_1) | instskip(SKIP_1) | instid1(VALU_DEP_2)
	v_and_or_b32 v6, 0x7f00, v3, 0.5
	v_bfe_i32 v3, v3, 0, 16
	v_dual_add_f32 v6, -0.5, v6 :: v_dual_lshrrev_b32 v5, 4, v4
	v_cmp_gt_u32_e32 vcc_lo, 0x8000000, v4
	s_delay_alu instid0(VALU_DEP_2) | instskip(NEXT) | instid1(VALU_DEP_1)
	v_or_b32_e32 v5, 0x70000000, v5
	v_mul_f32_e32 v5, 0x7800000, v5
	s_delay_alu instid0(VALU_DEP_1) | instskip(NEXT) | instid1(VALU_DEP_1)
	v_cndmask_b32_e32 v4, v5, v6, vcc_lo
	v_and_or_b32 v3, 0x80000000, v3, v4
	s_delay_alu instid0(VALU_DEP_1)
	v_cvt_i32_f32_e32 v3, v3
.LBB62_314:
	s_mov_b32 s22, 0
	s_mov_b32 s21, -1
.LBB62_315:
	s_and_not1_b32 vcc_lo, exec_lo, s22
	s_cbranch_vccnz .LBB62_328
; %bb.316:
	s_cmp_gt_i32 s15, 14
	s_cbranch_scc0 .LBB62_319
; %bb.317:
	s_cmp_eq_u32 s15, 15
	s_cbranch_scc0 .LBB62_322
; %bb.318:
	s_wait_loadcnt 0x0
	global_load_u16 v3, v[0:1], off
	s_mov_b32 s21, -1
	s_mov_b32 s17, 0
	s_wait_loadcnt 0x0
	v_lshlrev_b32_e32 v3, 16, v3
	s_delay_alu instid0(VALU_DEP_1)
	v_cvt_i32_f32_e32 v3, v3
	s_branch .LBB62_323
.LBB62_319:
	s_mov_b32 s22, -1
                                        ; implicit-def: $vgpr3
	s_branch .LBB62_324
.LBB62_320:
	s_and_not1_saveexec_b32 s21, s21
	s_cbranch_execz .LBB62_301
.LBB62_321:
	v_cmp_ne_u16_e32 vcc_lo, 0, v4
	s_and_not1_b32 s22, s22, exec_lo
	s_and_b32 s23, vcc_lo, exec_lo
	s_delay_alu instid0(SALU_CYCLE_1)
	s_or_b32 s22, s22, s23
	s_or_b32 exec_lo, exec_lo, s21
	v_mov_b32_e32 v3, 0
	s_and_saveexec_b32 s21, s22
	s_cbranch_execnz .LBB62_302
	s_branch .LBB62_303
.LBB62_322:
	s_mov_b32 s17, -1
                                        ; implicit-def: $vgpr3
.LBB62_323:
	s_mov_b32 s22, 0
.LBB62_324:
	s_delay_alu instid0(SALU_CYCLE_1)
	s_and_b32 vcc_lo, exec_lo, s22
	s_cbranch_vccz .LBB62_328
; %bb.325:
	s_cmp_eq_u32 s15, 11
	s_cbranch_scc0 .LBB62_327
; %bb.326:
	s_wait_loadcnt 0x0
	global_load_u8 v3, v[0:1], off
	s_mov_b32 s17, 0
	s_mov_b32 s21, -1
	s_wait_loadcnt 0x0
	v_cmp_ne_u16_e32 vcc_lo, 0, v3
	v_cndmask_b32_e64 v3, 0, 1, vcc_lo
	s_branch .LBB62_328
.LBB62_327:
	s_mov_b32 s17, -1
                                        ; implicit-def: $vgpr3
.LBB62_328:
	s_branch .LBB62_20
.LBB62_329:
	s_and_b32 s0, 0xffff, s0
	s_delay_alu instid0(SALU_CYCLE_1)
	s_cmp_lt_i32 s0, 5
	s_cbranch_scc1 .LBB62_334
; %bb.330:
	s_cmp_lt_i32 s0, 8
	s_cbranch_scc1 .LBB62_335
; %bb.331:
	;; [unrolled: 3-line block ×3, first 2 shown]
	s_cmp_gt_i32 s0, 9
	s_cbranch_scc0 .LBB62_337
; %bb.333:
	global_load_b64 v[4:5], v[0:1], off
	s_mov_b32 s15, 0
	s_wait_loadcnt 0x0
	v_cvt_i32_f64_e32 v3, v[4:5]
	s_branch .LBB62_338
.LBB62_334:
	s_mov_b32 s15, -1
                                        ; implicit-def: $vgpr3
	s_branch .LBB62_356
.LBB62_335:
	s_mov_b32 s15, -1
                                        ; implicit-def: $vgpr3
	s_branch .LBB62_344
.LBB62_336:
	s_mov_b32 s15, -1
                                        ; implicit-def: $vgpr3
	s_branch .LBB62_341
.LBB62_337:
	s_mov_b32 s15, -1
                                        ; implicit-def: $vgpr3
.LBB62_338:
	s_delay_alu instid0(SALU_CYCLE_1)
	s_and_not1_b32 vcc_lo, exec_lo, s15
	s_cbranch_vccnz .LBB62_340
; %bb.339:
	s_wait_loadcnt 0x0
	global_load_b32 v3, v[0:1], off
	s_wait_loadcnt 0x0
	v_cvt_i32_f32_e32 v3, v3
.LBB62_340:
	s_mov_b32 s15, 0
.LBB62_341:
	s_delay_alu instid0(SALU_CYCLE_1)
	s_and_not1_b32 vcc_lo, exec_lo, s15
	s_cbranch_vccnz .LBB62_343
; %bb.342:
	s_wait_loadcnt 0x0
	global_load_b32 v3, v[0:1], off
	s_wait_loadcnt 0x0
	v_cvt_f32_f16_e32 v3, v3
	s_delay_alu instid0(VALU_DEP_1)
	v_cvt_i32_f32_e32 v3, v3
.LBB62_343:
	s_mov_b32 s15, 0
.LBB62_344:
	s_delay_alu instid0(SALU_CYCLE_1)
	s_and_not1_b32 vcc_lo, exec_lo, s15
	s_cbranch_vccnz .LBB62_355
; %bb.345:
	s_cmp_lt_i32 s0, 6
	s_cbranch_scc1 .LBB62_348
; %bb.346:
	s_cmp_gt_i32 s0, 6
	s_cbranch_scc0 .LBB62_349
; %bb.347:
	global_load_b64 v[4:5], v[0:1], off
	s_mov_b32 s15, 0
	s_wait_loadcnt 0x0
	v_cvt_i32_f64_e32 v3, v[4:5]
	s_branch .LBB62_350
.LBB62_348:
	s_mov_b32 s15, -1
                                        ; implicit-def: $vgpr3
	s_branch .LBB62_353
.LBB62_349:
	s_mov_b32 s15, -1
                                        ; implicit-def: $vgpr3
.LBB62_350:
	s_delay_alu instid0(SALU_CYCLE_1)
	s_and_not1_b32 vcc_lo, exec_lo, s15
	s_cbranch_vccnz .LBB62_352
; %bb.351:
	s_wait_loadcnt 0x0
	global_load_b32 v3, v[0:1], off
	s_wait_loadcnt 0x0
	v_cvt_i32_f32_e32 v3, v3
.LBB62_352:
	s_mov_b32 s15, 0
.LBB62_353:
	s_delay_alu instid0(SALU_CYCLE_1)
	s_and_not1_b32 vcc_lo, exec_lo, s15
	s_cbranch_vccnz .LBB62_355
; %bb.354:
	s_wait_loadcnt 0x0
	global_load_u16 v3, v[0:1], off
	s_wait_loadcnt 0x0
	v_cvt_f32_f16_e32 v3, v3
	s_delay_alu instid0(VALU_DEP_1)
	v_cvt_i32_f32_e32 v3, v3
.LBB62_355:
	s_mov_b32 s15, 0
.LBB62_356:
	s_delay_alu instid0(SALU_CYCLE_1)
	s_and_not1_b32 vcc_lo, exec_lo, s15
	s_cbranch_vccnz .LBB62_376
; %bb.357:
	s_cmp_lt_i32 s0, 2
	s_cbranch_scc1 .LBB62_361
; %bb.358:
	s_cmp_lt_i32 s0, 3
	s_cbranch_scc1 .LBB62_362
; %bb.359:
	s_cmp_gt_i32 s0, 3
	s_cbranch_scc0 .LBB62_363
; %bb.360:
	s_wait_loadcnt 0x0
	global_load_b32 v3, v[0:1], off
	s_mov_b32 s15, 0
	s_branch .LBB62_364
.LBB62_361:
	s_mov_b32 s15, -1
                                        ; implicit-def: $vgpr3
	s_branch .LBB62_370
.LBB62_362:
	s_mov_b32 s15, -1
                                        ; implicit-def: $vgpr3
	s_branch .LBB62_367
.LBB62_363:
	s_mov_b32 s15, -1
                                        ; implicit-def: $vgpr3
.LBB62_364:
	s_delay_alu instid0(SALU_CYCLE_1)
	s_and_not1_b32 vcc_lo, exec_lo, s15
	s_cbranch_vccnz .LBB62_366
; %bb.365:
	s_wait_loadcnt 0x0
	global_load_b32 v3, v[0:1], off
.LBB62_366:
	s_mov_b32 s15, 0
.LBB62_367:
	s_delay_alu instid0(SALU_CYCLE_1)
	s_and_not1_b32 vcc_lo, exec_lo, s15
	s_cbranch_vccnz .LBB62_369
; %bb.368:
	s_wait_loadcnt 0x0
	global_load_i16 v3, v[0:1], off
.LBB62_369:
	s_mov_b32 s15, 0
.LBB62_370:
	s_delay_alu instid0(SALU_CYCLE_1)
	s_and_not1_b32 vcc_lo, exec_lo, s15
	s_cbranch_vccnz .LBB62_376
; %bb.371:
	s_cmp_gt_i32 s0, 0
	s_mov_b32 s0, 0
	s_cbranch_scc0 .LBB62_373
; %bb.372:
	s_wait_loadcnt 0x0
	global_load_i8 v3, v[0:1], off
	s_branch .LBB62_374
.LBB62_373:
	s_mov_b32 s0, -1
                                        ; implicit-def: $vgpr3
.LBB62_374:
	s_delay_alu instid0(SALU_CYCLE_1)
	s_and_not1_b32 vcc_lo, exec_lo, s0
	s_cbranch_vccnz .LBB62_376
; %bb.375:
	s_wait_loadcnt 0x0
	global_load_u8 v3, v[0:1], off
.LBB62_376:
	s_branch .LBB62_21
.LBB62_377:
	s_mov_b32 s0, 0
.LBB62_378:
	s_mov_b32 s21, 0
                                        ; implicit-def: $vgpr10
.LBB62_379:
	s_and_b32 s15, s0, exec_lo
	s_and_b32 s17, s17, exec_lo
	;; [unrolled: 1-line block ×3, first 2 shown]
	s_or_not1_b32 s23, s21, exec_lo
.LBB62_380:
	s_wait_xcnt 0x0
	s_or_b32 exec_lo, exec_lo, s19
	s_mov_b32 s22, 0
	s_mov_b32 s21, 0
                                        ; implicit-def: $sgpr0
                                        ; implicit-def: $vgpr0_vgpr1
                                        ; implicit-def: $vgpr4
	s_and_saveexec_b32 s19, s23
	s_cbranch_execz .LBB62_389
; %bb.381:
	s_mov_b32 s25, -1
	s_mov_b32 s20, s18
	s_mov_b32 s22, s17
	;; [unrolled: 1-line block ×3, first 2 shown]
	s_mov_b32 s23, exec_lo
	v_cmpx_gt_i32_e64 s16, v10
	s_cbranch_execz .LBB62_771
; %bb.382:
	v_mul_lo_u32 v0, v10, s9
	s_and_b32 s0, s13, 0xff
	s_delay_alu instid0(SALU_CYCLE_1) | instskip(NEXT) | instid1(VALU_DEP_1)
	s_cmp_lt_i32 s0, 11
	v_ashrrev_i32_e32 v1, 31, v0
	s_delay_alu instid0(VALU_DEP_1)
	v_add_nc_u64_e32 v[0:1], s[6:7], v[0:1]
	s_cbranch_scc1 .LBB62_392
; %bb.383:
	s_and_b32 s21, 0xffff, s0
	s_delay_alu instid0(SALU_CYCLE_1)
	s_cmp_gt_i32 s21, 25
	s_cbranch_scc0 .LBB62_401
; %bb.384:
	s_cmp_gt_i32 s21, 28
	s_cbranch_scc0 .LBB62_403
; %bb.385:
	;; [unrolled: 3-line block ×4, first 2 shown]
	s_cmp_eq_u32 s21, 46
	s_mov_b32 s24, 0
	s_cbranch_scc0 .LBB62_411
; %bb.388:
	s_wait_loadcnt 0x0
	global_load_b32 v2, v[0:1], off
	s_mov_b32 s22, -1
	s_mov_b32 s20, 0
	s_wait_loadcnt 0x0
	v_lshlrev_b32_e32 v2, 16, v2
	s_delay_alu instid0(VALU_DEP_1)
	v_cvt_i32_f32_e32 v2, v2
	s_branch .LBB62_413
.LBB62_389:
	s_or_b32 exec_lo, exec_lo, s19
	s_mov_b32 s16, 0
	s_and_saveexec_b32 s19, s18
	s_cbranch_execnz .LBB62_1241
.LBB62_390:
	s_or_b32 exec_lo, exec_lo, s19
	s_and_saveexec_b32 s18, s20
	s_delay_alu instid0(SALU_CYCLE_1)
	s_xor_b32 s18, exec_lo, s18
	s_cbranch_execz .LBB62_1242
.LBB62_391:
	s_wait_loadcnt 0x0
	global_load_u8 v2, v[0:1], off
	s_or_b32 s21, s21, exec_lo
	s_wait_loadcnt 0x0
	v_cmp_ne_u16_e32 vcc_lo, 0, v2
	v_cndmask_b32_e64 v4, 0, 1, vcc_lo
	s_wait_xcnt 0x0
	s_or_b32 exec_lo, exec_lo, s18
	s_and_saveexec_b32 s18, s22
	s_cbranch_execz .LBB62_1288
	s_branch .LBB62_1243
.LBB62_392:
	s_mov_b32 s22, 0
	s_mov_b32 s20, s18
                                        ; implicit-def: $vgpr2
	s_cbranch_execnz .LBB62_475
.LBB62_393:
	s_and_not1_b32 vcc_lo, exec_lo, s22
	s_cbranch_vccnz .LBB62_523
.LBB62_394:
	s_wait_xcnt 0x0
	v_mul_lo_u32 v0, v10, s10
	s_and_b32 s0, s1, 0xff
	s_delay_alu instid0(SALU_CYCLE_1) | instskip(NEXT) | instid1(VALU_DEP_1)
	s_cmp_lt_i32 s0, 11
	v_ashrrev_i32_e32 v1, 31, v0
	s_delay_alu instid0(VALU_DEP_1)
	v_add_nc_u64_e32 v[0:1], s[2:3], v[0:1]
	s_cbranch_scc1 .LBB62_402
; %bb.395:
	s_and_b32 s21, 0xffff, s0
	s_delay_alu instid0(SALU_CYCLE_1)
	s_cmp_gt_i32 s21, 25
	s_cbranch_scc0 .LBB62_404
; %bb.396:
	s_cmp_gt_i32 s21, 28
	s_cbranch_scc0 .LBB62_406
; %bb.397:
	;; [unrolled: 3-line block ×4, first 2 shown]
	s_cmp_eq_u32 s21, 46
	s_mov_b32 s25, 0
	s_cbranch_scc0 .LBB62_526
; %bb.400:
	s_wait_loadcnt 0x0
	global_load_b32 v3, v[0:1], off
	s_mov_b32 s24, -1
	s_mov_b32 s22, 0
	s_wait_loadcnt 0x0
	v_lshlrev_b32_e32 v3, 16, v3
	s_delay_alu instid0(VALU_DEP_1)
	v_cvt_i32_f32_e32 v3, v3
	s_branch .LBB62_528
.LBB62_401:
	s_mov_b32 s24, -1
	s_mov_b32 s22, 0
	s_mov_b32 s20, s18
                                        ; implicit-def: $vgpr2
	s_branch .LBB62_441
.LBB62_402:
	s_mov_b32 s21, -1
	s_mov_b32 s24, 0
	s_mov_b32 s22, s17
                                        ; implicit-def: $vgpr3
	s_branch .LBB62_589
.LBB62_403:
	s_mov_b32 s24, -1
	s_mov_b32 s22, 0
	s_mov_b32 s20, s18
                                        ; implicit-def: $vgpr2
	s_branch .LBB62_424
.LBB62_404:
	s_mov_b32 s25, -1
	s_mov_b32 s24, 0
	s_mov_b32 s22, s17
                                        ; implicit-def: $vgpr3
	s_branch .LBB62_555
.LBB62_405:
	s_mov_b32 s24, -1
	s_mov_b32 s22, 0
	s_mov_b32 s20, s18
                                        ; implicit-def: $vgpr2
	s_branch .LBB62_419
.LBB62_406:
	s_mov_b32 s25, -1
	s_mov_b32 s24, 0
	s_mov_b32 s22, s17
                                        ; implicit-def: $vgpr3
	s_branch .LBB62_538
.LBB62_407:
	s_mov_b32 s24, -1
	s_mov_b32 s22, 0
	s_mov_b32 s20, s18
	s_branch .LBB62_412
.LBB62_408:
	s_mov_b32 s25, -1
	s_mov_b32 s24, 0
	s_mov_b32 s22, s17
                                        ; implicit-def: $vgpr3
	s_branch .LBB62_533
.LBB62_409:
	s_and_not1_saveexec_b32 s24, s24
	s_cbranch_execz .LBB62_182
.LBB62_410:
	v_add_f32_e32 v1, 0x46000000, v4
	s_and_not1_b32 s23, s23, exec_lo
	s_delay_alu instid0(VALU_DEP_1) | instskip(NEXT) | instid1(VALU_DEP_1)
	v_and_b32_e32 v1, 0xff, v1
	v_cmp_ne_u32_e32 vcc_lo, 0, v1
	s_and_b32 s25, vcc_lo, exec_lo
	s_delay_alu instid0(SALU_CYCLE_1)
	s_or_b32 s23, s23, s25
	s_or_b32 exec_lo, exec_lo, s24
	v_mov_b32_e32 v5, 0
	s_and_saveexec_b32 s24, s23
	s_cbranch_execnz .LBB62_183
	s_branch .LBB62_184
.LBB62_411:
	s_mov_b32 s20, -1
	s_mov_b32 s22, 0
.LBB62_412:
                                        ; implicit-def: $vgpr2
.LBB62_413:
	s_and_b32 vcc_lo, exec_lo, s24
	s_cbranch_vccz .LBB62_418
; %bb.414:
	s_cmp_eq_u32 s21, 44
	s_cbranch_scc0 .LBB62_417
; %bb.415:
	s_wait_loadcnt 0x0
	global_load_u8 v2, v[0:1], off
	s_mov_b32 s20, 0
	s_mov_b32 s22, -1
	s_wait_loadcnt 0x0
	v_lshlrev_b32_e32 v3, 23, v2
	v_cmp_ne_u32_e32 vcc_lo, 0, v2
	s_delay_alu instid0(VALU_DEP_2) | instskip(NEXT) | instid1(VALU_DEP_1)
	v_cvt_i32_f32_e32 v3, v3
	v_cndmask_b32_e32 v2, 0, v3, vcc_lo
	s_branch .LBB62_418
.LBB62_416:
	s_mov_b32 s25, -1
	s_mov_b32 s24, 0
	s_mov_b32 s22, s17
	s_branch .LBB62_527
.LBB62_417:
	s_mov_b32 s20, -1
                                        ; implicit-def: $vgpr2
.LBB62_418:
	s_mov_b32 s24, 0
.LBB62_419:
	s_delay_alu instid0(SALU_CYCLE_1)
	s_and_b32 vcc_lo, exec_lo, s24
	s_cbranch_vccz .LBB62_423
; %bb.420:
	s_cmp_eq_u32 s21, 29
	s_cbranch_scc0 .LBB62_422
; %bb.421:
	s_wait_loadcnt 0x0
	global_load_b32 v2, v[0:1], off
	s_mov_b32 s22, -1
	s_mov_b32 s20, 0
	s_branch .LBB62_423
.LBB62_422:
	s_mov_b32 s20, -1
                                        ; implicit-def: $vgpr2
.LBB62_423:
	s_mov_b32 s24, 0
.LBB62_424:
	s_delay_alu instid0(SALU_CYCLE_1)
	s_and_b32 vcc_lo, exec_lo, s24
	s_cbranch_vccz .LBB62_440
; %bb.425:
	s_cmp_lt_i32 s21, 27
	s_cbranch_scc1 .LBB62_428
; %bb.426:
	s_cmp_gt_i32 s21, 27
	s_cbranch_scc0 .LBB62_429
; %bb.427:
	s_wait_loadcnt 0x0
	global_load_b32 v2, v[0:1], off
	s_mov_b32 s22, 0
	s_branch .LBB62_430
.LBB62_428:
	s_mov_b32 s22, -1
                                        ; implicit-def: $vgpr2
	s_branch .LBB62_433
.LBB62_429:
	s_mov_b32 s22, -1
                                        ; implicit-def: $vgpr2
.LBB62_430:
	s_delay_alu instid0(SALU_CYCLE_1)
	s_and_not1_b32 vcc_lo, exec_lo, s22
	s_cbranch_vccnz .LBB62_432
; %bb.431:
	s_wait_loadcnt 0x0
	global_load_u16 v2, v[0:1], off
.LBB62_432:
	s_mov_b32 s22, 0
.LBB62_433:
	s_delay_alu instid0(SALU_CYCLE_1)
	s_and_not1_b32 vcc_lo, exec_lo, s22
	s_cbranch_vccnz .LBB62_439
; %bb.434:
	s_wait_loadcnt 0x0
	global_load_u8 v3, v[0:1], off
	s_mov_b32 s24, 0
	s_mov_b32 s22, exec_lo
	s_wait_loadcnt 0x0
	v_cmpx_lt_i16_e32 0x7f, v3
	s_xor_b32 s22, exec_lo, s22
	s_cbranch_execz .LBB62_451
; %bb.435:
	v_cmp_ne_u16_e32 vcc_lo, 0x80, v3
	s_and_b32 s24, vcc_lo, exec_lo
	s_and_not1_saveexec_b32 s22, s22
	s_cbranch_execnz .LBB62_452
.LBB62_436:
	s_or_b32 exec_lo, exec_lo, s22
	v_mov_b32_e32 v2, 0
	s_and_saveexec_b32 s22, s24
	s_cbranch_execz .LBB62_438
.LBB62_437:
	v_and_b32_e32 v2, 0xffff, v3
	s_delay_alu instid0(VALU_DEP_1) | instskip(SKIP_1) | instid1(VALU_DEP_2)
	v_and_b32_e32 v4, 7, v2
	v_bfe_u32 v7, v2, 3, 4
	v_clz_i32_u32_e32 v5, v4
	s_delay_alu instid0(VALU_DEP_2) | instskip(NEXT) | instid1(VALU_DEP_2)
	v_cmp_eq_u32_e32 vcc_lo, 0, v7
	v_min_u32_e32 v5, 32, v5
	s_delay_alu instid0(VALU_DEP_1) | instskip(NEXT) | instid1(VALU_DEP_1)
	v_subrev_nc_u32_e32 v6, 28, v5
	v_dual_lshlrev_b32 v2, v6, v2 :: v_dual_sub_nc_u32 v5, 29, v5
	s_delay_alu instid0(VALU_DEP_1) | instskip(NEXT) | instid1(VALU_DEP_1)
	v_dual_lshlrev_b32 v3, 24, v3 :: v_dual_bitop2_b32 v2, 7, v2 bitop3:0x40
	v_dual_cndmask_b32 v5, v7, v5 :: v_dual_cndmask_b32 v2, v4, v2
	s_delay_alu instid0(VALU_DEP_2) | instskip(NEXT) | instid1(VALU_DEP_2)
	v_and_b32_e32 v3, 0x80000000, v3
	v_lshl_add_u32 v4, v5, 23, 0x3b800000
	s_delay_alu instid0(VALU_DEP_3) | instskip(NEXT) | instid1(VALU_DEP_1)
	v_lshlrev_b32_e32 v2, 20, v2
	v_or3_b32 v2, v3, v4, v2
	s_delay_alu instid0(VALU_DEP_1)
	v_cvt_i32_f32_e32 v2, v2
.LBB62_438:
	s_or_b32 exec_lo, exec_lo, s22
.LBB62_439:
	s_mov_b32 s22, -1
.LBB62_440:
	s_mov_b32 s24, 0
.LBB62_441:
	s_delay_alu instid0(SALU_CYCLE_1)
	s_and_b32 vcc_lo, exec_lo, s24
	s_cbranch_vccz .LBB62_474
; %bb.442:
	s_cmp_gt_i32 s21, 22
	s_cbranch_scc0 .LBB62_450
; %bb.443:
	s_cmp_lt_i32 s21, 24
	s_cbranch_scc1 .LBB62_453
; %bb.444:
	s_cmp_gt_i32 s21, 24
	s_cbranch_scc0 .LBB62_454
; %bb.445:
	s_wait_loadcnt 0x0
	global_load_u8 v3, v[0:1], off
	s_mov_b32 s24, 0
	s_mov_b32 s22, exec_lo
	s_wait_loadcnt 0x0
	v_cmpx_lt_i16_e32 0x7f, v3
	s_xor_b32 s22, exec_lo, s22
	s_cbranch_execz .LBB62_466
; %bb.446:
	v_cmp_ne_u16_e32 vcc_lo, 0x80, v3
	s_and_b32 s24, vcc_lo, exec_lo
	s_and_not1_saveexec_b32 s22, s22
	s_cbranch_execnz .LBB62_467
.LBB62_447:
	s_or_b32 exec_lo, exec_lo, s22
	v_mov_b32_e32 v2, 0
	s_and_saveexec_b32 s22, s24
	s_cbranch_execz .LBB62_449
.LBB62_448:
	v_and_b32_e32 v2, 0xffff, v3
	s_delay_alu instid0(VALU_DEP_1) | instskip(SKIP_1) | instid1(VALU_DEP_2)
	v_and_b32_e32 v4, 3, v2
	v_bfe_u32 v7, v2, 2, 5
	v_clz_i32_u32_e32 v5, v4
	s_delay_alu instid0(VALU_DEP_2) | instskip(NEXT) | instid1(VALU_DEP_2)
	v_cmp_eq_u32_e32 vcc_lo, 0, v7
	v_min_u32_e32 v5, 32, v5
	s_delay_alu instid0(VALU_DEP_1) | instskip(NEXT) | instid1(VALU_DEP_1)
	v_subrev_nc_u32_e32 v6, 29, v5
	v_dual_lshlrev_b32 v2, v6, v2 :: v_dual_sub_nc_u32 v5, 30, v5
	s_delay_alu instid0(VALU_DEP_1) | instskip(NEXT) | instid1(VALU_DEP_1)
	v_dual_lshlrev_b32 v3, 24, v3 :: v_dual_bitop2_b32 v2, 3, v2 bitop3:0x40
	v_dual_cndmask_b32 v5, v7, v5 :: v_dual_cndmask_b32 v2, v4, v2
	s_delay_alu instid0(VALU_DEP_2) | instskip(NEXT) | instid1(VALU_DEP_2)
	v_and_b32_e32 v3, 0x80000000, v3
	v_lshl_add_u32 v4, v5, 23, 0x37800000
	s_delay_alu instid0(VALU_DEP_3) | instskip(NEXT) | instid1(VALU_DEP_1)
	v_lshlrev_b32_e32 v2, 21, v2
	v_or3_b32 v2, v3, v4, v2
	s_delay_alu instid0(VALU_DEP_1)
	v_cvt_i32_f32_e32 v2, v2
.LBB62_449:
	s_or_b32 exec_lo, exec_lo, s22
	s_mov_b32 s22, 0
	s_branch .LBB62_455
.LBB62_450:
	s_mov_b32 s24, -1
                                        ; implicit-def: $vgpr2
	s_branch .LBB62_461
.LBB62_451:
	s_and_not1_saveexec_b32 s22, s22
	s_cbranch_execz .LBB62_436
.LBB62_452:
	v_cmp_ne_u16_e32 vcc_lo, 0, v3
	s_and_not1_b32 s24, s24, exec_lo
	s_and_b32 s25, vcc_lo, exec_lo
	s_delay_alu instid0(SALU_CYCLE_1)
	s_or_b32 s24, s24, s25
	s_or_b32 exec_lo, exec_lo, s22
	v_mov_b32_e32 v2, 0
	s_and_saveexec_b32 s22, s24
	s_cbranch_execnz .LBB62_437
	s_branch .LBB62_438
.LBB62_453:
	s_mov_b32 s22, -1
                                        ; implicit-def: $vgpr2
	s_branch .LBB62_458
.LBB62_454:
	s_mov_b32 s22, -1
                                        ; implicit-def: $vgpr2
.LBB62_455:
	s_delay_alu instid0(SALU_CYCLE_1)
	s_and_b32 vcc_lo, exec_lo, s22
	s_cbranch_vccz .LBB62_457
; %bb.456:
	s_wait_loadcnt 0x0
	global_load_u8 v2, v[0:1], off
	s_wait_loadcnt 0x0
	v_lshlrev_b32_e32 v2, 24, v2
	s_delay_alu instid0(VALU_DEP_1) | instskip(NEXT) | instid1(VALU_DEP_1)
	v_and_b32_e32 v3, 0x7f000000, v2
	v_clz_i32_u32_e32 v4, v3
	v_cmp_ne_u32_e32 vcc_lo, 0, v3
	v_add_nc_u32_e32 v6, 0x1000000, v3
	s_delay_alu instid0(VALU_DEP_3) | instskip(NEXT) | instid1(VALU_DEP_1)
	v_min_u32_e32 v4, 32, v4
	v_sub_nc_u32_e64 v4, v4, 4 clamp
	s_delay_alu instid0(VALU_DEP_1) | instskip(NEXT) | instid1(VALU_DEP_1)
	v_dual_lshlrev_b32 v5, v4, v3 :: v_dual_lshlrev_b32 v4, 23, v4
	v_lshrrev_b32_e32 v5, 4, v5
	s_delay_alu instid0(VALU_DEP_1) | instskip(NEXT) | instid1(VALU_DEP_1)
	v_dual_sub_nc_u32 v4, v5, v4 :: v_dual_ashrrev_i32 v5, 8, v6
	v_add_nc_u32_e32 v4, 0x3c000000, v4
	s_delay_alu instid0(VALU_DEP_1) | instskip(NEXT) | instid1(VALU_DEP_1)
	v_and_or_b32 v4, 0x7f800000, v5, v4
	v_cndmask_b32_e32 v3, 0, v4, vcc_lo
	s_delay_alu instid0(VALU_DEP_1) | instskip(NEXT) | instid1(VALU_DEP_1)
	v_and_or_b32 v2, 0x80000000, v2, v3
	v_cvt_i32_f32_e32 v2, v2
.LBB62_457:
	s_mov_b32 s22, 0
.LBB62_458:
	s_delay_alu instid0(SALU_CYCLE_1)
	s_and_not1_b32 vcc_lo, exec_lo, s22
	s_cbranch_vccnz .LBB62_460
; %bb.459:
	s_wait_loadcnt 0x0
	global_load_u8 v2, v[0:1], off
	s_wait_loadcnt 0x0
	v_lshlrev_b32_e32 v3, 25, v2
	v_lshlrev_b16 v2, 8, v2
	s_delay_alu instid0(VALU_DEP_1) | instskip(SKIP_1) | instid1(VALU_DEP_2)
	v_and_or_b32 v5, 0x7f00, v2, 0.5
	v_bfe_i32 v2, v2, 0, 16
	v_dual_add_f32 v5, -0.5, v5 :: v_dual_lshrrev_b32 v4, 4, v3
	v_cmp_gt_u32_e32 vcc_lo, 0x8000000, v3
	s_delay_alu instid0(VALU_DEP_2) | instskip(NEXT) | instid1(VALU_DEP_1)
	v_or_b32_e32 v4, 0x70000000, v4
	v_mul_f32_e32 v4, 0x7800000, v4
	s_delay_alu instid0(VALU_DEP_1) | instskip(NEXT) | instid1(VALU_DEP_1)
	v_cndmask_b32_e32 v3, v4, v5, vcc_lo
	v_and_or_b32 v2, 0x80000000, v2, v3
	s_delay_alu instid0(VALU_DEP_1)
	v_cvt_i32_f32_e32 v2, v2
.LBB62_460:
	s_mov_b32 s24, 0
	s_mov_b32 s22, -1
.LBB62_461:
	s_and_not1_b32 vcc_lo, exec_lo, s24
	s_cbranch_vccnz .LBB62_474
; %bb.462:
	s_cmp_gt_i32 s21, 14
	s_cbranch_scc0 .LBB62_465
; %bb.463:
	s_cmp_eq_u32 s21, 15
	s_cbranch_scc0 .LBB62_468
; %bb.464:
	s_wait_loadcnt 0x0
	global_load_u16 v2, v[0:1], off
	s_mov_b32 s22, -1
	s_mov_b32 s20, 0
	s_wait_loadcnt 0x0
	v_lshlrev_b32_e32 v2, 16, v2
	s_delay_alu instid0(VALU_DEP_1)
	v_cvt_i32_f32_e32 v2, v2
	s_branch .LBB62_469
.LBB62_465:
	s_mov_b32 s24, -1
                                        ; implicit-def: $vgpr2
	s_branch .LBB62_470
.LBB62_466:
	s_and_not1_saveexec_b32 s22, s22
	s_cbranch_execz .LBB62_447
.LBB62_467:
	v_cmp_ne_u16_e32 vcc_lo, 0, v3
	s_and_not1_b32 s24, s24, exec_lo
	s_and_b32 s25, vcc_lo, exec_lo
	s_delay_alu instid0(SALU_CYCLE_1)
	s_or_b32 s24, s24, s25
	s_or_b32 exec_lo, exec_lo, s22
	v_mov_b32_e32 v2, 0
	s_and_saveexec_b32 s22, s24
	s_cbranch_execnz .LBB62_448
	s_branch .LBB62_449
.LBB62_468:
	s_mov_b32 s20, -1
                                        ; implicit-def: $vgpr2
.LBB62_469:
	s_mov_b32 s24, 0
.LBB62_470:
	s_delay_alu instid0(SALU_CYCLE_1)
	s_and_b32 vcc_lo, exec_lo, s24
	s_cbranch_vccz .LBB62_474
; %bb.471:
	s_cmp_eq_u32 s21, 11
	s_cbranch_scc0 .LBB62_473
; %bb.472:
	s_wait_loadcnt 0x0
	global_load_u8 v2, v[0:1], off
	s_mov_b32 s20, 0
	s_mov_b32 s22, -1
	s_wait_loadcnt 0x0
	v_cmp_ne_u16_e32 vcc_lo, 0, v2
	v_cndmask_b32_e64 v2, 0, 1, vcc_lo
	s_branch .LBB62_474
.LBB62_473:
	s_mov_b32 s20, -1
                                        ; implicit-def: $vgpr2
.LBB62_474:
	s_branch .LBB62_393
.LBB62_475:
	s_and_b32 s0, 0xffff, s0
	s_delay_alu instid0(SALU_CYCLE_1)
	s_cmp_lt_i32 s0, 5
	s_cbranch_scc1 .LBB62_480
; %bb.476:
	s_cmp_lt_i32 s0, 8
	s_cbranch_scc1 .LBB62_481
; %bb.477:
	;; [unrolled: 3-line block ×3, first 2 shown]
	s_cmp_gt_i32 s0, 9
	s_cbranch_scc0 .LBB62_483
; %bb.479:
	s_wait_loadcnt 0x0
	global_load_b64 v[2:3], v[0:1], off
	s_mov_b32 s21, 0
	s_wait_loadcnt 0x0
	v_cvt_i32_f64_e32 v2, v[2:3]
	s_branch .LBB62_484
.LBB62_480:
	s_mov_b32 s21, -1
                                        ; implicit-def: $vgpr2
	s_branch .LBB62_502
.LBB62_481:
	s_mov_b32 s21, -1
                                        ; implicit-def: $vgpr2
	s_branch .LBB62_490
.LBB62_482:
	s_mov_b32 s21, -1
                                        ; implicit-def: $vgpr2
	s_branch .LBB62_487
.LBB62_483:
	s_mov_b32 s21, -1
                                        ; implicit-def: $vgpr2
.LBB62_484:
	s_delay_alu instid0(SALU_CYCLE_1)
	s_and_not1_b32 vcc_lo, exec_lo, s21
	s_cbranch_vccnz .LBB62_486
; %bb.485:
	s_wait_loadcnt 0x0
	global_load_b32 v2, v[0:1], off
	s_wait_loadcnt 0x0
	v_cvt_i32_f32_e32 v2, v2
.LBB62_486:
	s_mov_b32 s21, 0
.LBB62_487:
	s_delay_alu instid0(SALU_CYCLE_1)
	s_and_not1_b32 vcc_lo, exec_lo, s21
	s_cbranch_vccnz .LBB62_489
; %bb.488:
	s_wait_loadcnt 0x0
	global_load_b32 v2, v[0:1], off
	s_wait_loadcnt 0x0
	v_cvt_f32_f16_e32 v2, v2
	s_delay_alu instid0(VALU_DEP_1)
	v_cvt_i32_f32_e32 v2, v2
.LBB62_489:
	s_mov_b32 s21, 0
.LBB62_490:
	s_delay_alu instid0(SALU_CYCLE_1)
	s_and_not1_b32 vcc_lo, exec_lo, s21
	s_cbranch_vccnz .LBB62_501
; %bb.491:
	s_cmp_lt_i32 s0, 6
	s_cbranch_scc1 .LBB62_494
; %bb.492:
	s_cmp_gt_i32 s0, 6
	s_cbranch_scc0 .LBB62_495
; %bb.493:
	s_wait_loadcnt 0x0
	global_load_b64 v[2:3], v[0:1], off
	s_mov_b32 s21, 0
	s_wait_loadcnt 0x0
	v_cvt_i32_f64_e32 v2, v[2:3]
	s_branch .LBB62_496
.LBB62_494:
	s_mov_b32 s21, -1
                                        ; implicit-def: $vgpr2
	s_branch .LBB62_499
.LBB62_495:
	s_mov_b32 s21, -1
                                        ; implicit-def: $vgpr2
.LBB62_496:
	s_delay_alu instid0(SALU_CYCLE_1)
	s_and_not1_b32 vcc_lo, exec_lo, s21
	s_cbranch_vccnz .LBB62_498
; %bb.497:
	s_wait_loadcnt 0x0
	global_load_b32 v2, v[0:1], off
	s_wait_loadcnt 0x0
	v_cvt_i32_f32_e32 v2, v2
.LBB62_498:
	s_mov_b32 s21, 0
.LBB62_499:
	s_delay_alu instid0(SALU_CYCLE_1)
	s_and_not1_b32 vcc_lo, exec_lo, s21
	s_cbranch_vccnz .LBB62_501
; %bb.500:
	s_wait_loadcnt 0x0
	global_load_u16 v2, v[0:1], off
	s_wait_loadcnt 0x0
	v_cvt_f32_f16_e32 v2, v2
	s_delay_alu instid0(VALU_DEP_1)
	v_cvt_i32_f32_e32 v2, v2
.LBB62_501:
	s_mov_b32 s21, 0
.LBB62_502:
	s_delay_alu instid0(SALU_CYCLE_1)
	s_and_not1_b32 vcc_lo, exec_lo, s21
	s_cbranch_vccnz .LBB62_522
; %bb.503:
	s_cmp_lt_i32 s0, 2
	s_cbranch_scc1 .LBB62_507
; %bb.504:
	s_cmp_lt_i32 s0, 3
	s_cbranch_scc1 .LBB62_508
; %bb.505:
	s_cmp_gt_i32 s0, 3
	s_cbranch_scc0 .LBB62_509
; %bb.506:
	s_wait_loadcnt 0x0
	global_load_b32 v2, v[0:1], off
	s_mov_b32 s21, 0
	s_branch .LBB62_510
.LBB62_507:
	s_mov_b32 s21, -1
                                        ; implicit-def: $vgpr2
	s_branch .LBB62_516
.LBB62_508:
	s_mov_b32 s21, -1
                                        ; implicit-def: $vgpr2
	s_branch .LBB62_513
.LBB62_509:
	s_mov_b32 s21, -1
                                        ; implicit-def: $vgpr2
.LBB62_510:
	s_delay_alu instid0(SALU_CYCLE_1)
	s_and_not1_b32 vcc_lo, exec_lo, s21
	s_cbranch_vccnz .LBB62_512
; %bb.511:
	s_wait_loadcnt 0x0
	global_load_b32 v2, v[0:1], off
.LBB62_512:
	s_mov_b32 s21, 0
.LBB62_513:
	s_delay_alu instid0(SALU_CYCLE_1)
	s_and_not1_b32 vcc_lo, exec_lo, s21
	s_cbranch_vccnz .LBB62_515
; %bb.514:
	s_wait_loadcnt 0x0
	global_load_i16 v2, v[0:1], off
.LBB62_515:
	s_mov_b32 s21, 0
.LBB62_516:
	s_delay_alu instid0(SALU_CYCLE_1)
	s_and_not1_b32 vcc_lo, exec_lo, s21
	s_cbranch_vccnz .LBB62_522
; %bb.517:
	s_cmp_gt_i32 s0, 0
	s_mov_b32 s0, 0
	s_cbranch_scc0 .LBB62_519
; %bb.518:
	s_wait_loadcnt 0x0
	global_load_i8 v2, v[0:1], off
	s_branch .LBB62_520
.LBB62_519:
	s_mov_b32 s0, -1
                                        ; implicit-def: $vgpr2
.LBB62_520:
	s_delay_alu instid0(SALU_CYCLE_1)
	s_and_not1_b32 vcc_lo, exec_lo, s0
	s_cbranch_vccnz .LBB62_522
; %bb.521:
	s_wait_loadcnt 0x0
	global_load_u8 v2, v[0:1], off
.LBB62_522:
	s_branch .LBB62_394
.LBB62_523:
	s_mov_b32 s24, 0
	s_mov_b32 s0, s15
	;; [unrolled: 1-line block ×3, first 2 shown]
	s_branch .LBB62_769
.LBB62_524:
	s_and_not1_saveexec_b32 s24, s24
	s_cbranch_execz .LBB62_195
.LBB62_525:
	v_add_f32_e32 v1, 0x42800000, v4
	s_and_not1_b32 s23, s23, exec_lo
	s_delay_alu instid0(VALU_DEP_1) | instskip(NEXT) | instid1(VALU_DEP_1)
	v_and_b32_e32 v1, 0xff, v1
	v_cmp_ne_u32_e32 vcc_lo, 0, v1
	s_and_b32 s25, vcc_lo, exec_lo
	s_delay_alu instid0(SALU_CYCLE_1)
	s_or_b32 s23, s23, s25
	s_or_b32 exec_lo, exec_lo, s24
	v_mov_b32_e32 v5, 0
	s_and_saveexec_b32 s24, s23
	s_cbranch_execnz .LBB62_196
	s_branch .LBB62_197
.LBB62_526:
	s_mov_b32 s22, -1
	s_mov_b32 s24, 0
.LBB62_527:
                                        ; implicit-def: $vgpr3
.LBB62_528:
	s_and_b32 vcc_lo, exec_lo, s25
	s_cbranch_vccz .LBB62_532
; %bb.529:
	s_cmp_eq_u32 s21, 44
	s_cbranch_scc0 .LBB62_531
; %bb.530:
	s_wait_loadcnt 0x0
	global_load_u8 v3, v[0:1], off
	s_mov_b32 s22, 0
	s_mov_b32 s24, -1
	s_wait_loadcnt 0x0
	v_lshlrev_b32_e32 v4, 23, v3
	v_cmp_ne_u32_e32 vcc_lo, 0, v3
	s_delay_alu instid0(VALU_DEP_2) | instskip(NEXT) | instid1(VALU_DEP_1)
	v_cvt_i32_f32_e32 v4, v4
	v_cndmask_b32_e32 v3, 0, v4, vcc_lo
	s_branch .LBB62_532
.LBB62_531:
	s_mov_b32 s22, -1
                                        ; implicit-def: $vgpr3
.LBB62_532:
	s_mov_b32 s25, 0
.LBB62_533:
	s_delay_alu instid0(SALU_CYCLE_1)
	s_and_b32 vcc_lo, exec_lo, s25
	s_cbranch_vccz .LBB62_537
; %bb.534:
	s_cmp_eq_u32 s21, 29
	s_cbranch_scc0 .LBB62_536
; %bb.535:
	s_wait_loadcnt 0x0
	global_load_b32 v3, v[0:1], off
	s_mov_b32 s24, -1
	s_mov_b32 s22, 0
	s_branch .LBB62_537
.LBB62_536:
	s_mov_b32 s22, -1
                                        ; implicit-def: $vgpr3
.LBB62_537:
	s_mov_b32 s25, 0
.LBB62_538:
	s_delay_alu instid0(SALU_CYCLE_1)
	s_and_b32 vcc_lo, exec_lo, s25
	s_cbranch_vccz .LBB62_554
; %bb.539:
	s_cmp_lt_i32 s21, 27
	s_cbranch_scc1 .LBB62_542
; %bb.540:
	s_cmp_gt_i32 s21, 27
	s_cbranch_scc0 .LBB62_543
; %bb.541:
	s_wait_loadcnt 0x0
	global_load_b32 v3, v[0:1], off
	s_mov_b32 s24, 0
	s_branch .LBB62_544
.LBB62_542:
	s_mov_b32 s24, -1
                                        ; implicit-def: $vgpr3
	s_branch .LBB62_547
.LBB62_543:
	s_mov_b32 s24, -1
                                        ; implicit-def: $vgpr3
.LBB62_544:
	s_delay_alu instid0(SALU_CYCLE_1)
	s_and_not1_b32 vcc_lo, exec_lo, s24
	s_cbranch_vccnz .LBB62_546
; %bb.545:
	s_wait_loadcnt 0x0
	global_load_u16 v3, v[0:1], off
.LBB62_546:
	s_mov_b32 s24, 0
.LBB62_547:
	s_delay_alu instid0(SALU_CYCLE_1)
	s_and_not1_b32 vcc_lo, exec_lo, s24
	s_cbranch_vccnz .LBB62_553
; %bb.548:
	global_load_u8 v4, v[0:1], off
	s_mov_b32 s25, 0
	s_mov_b32 s24, exec_lo
	s_wait_loadcnt 0x0
	v_cmpx_lt_i16_e32 0x7f, v4
	s_xor_b32 s24, exec_lo, s24
	s_cbranch_execz .LBB62_565
; %bb.549:
	v_cmp_ne_u16_e32 vcc_lo, 0x80, v4
	s_and_b32 s25, vcc_lo, exec_lo
	s_and_not1_saveexec_b32 s24, s24
	s_cbranch_execnz .LBB62_566
.LBB62_550:
	s_or_b32 exec_lo, exec_lo, s24
	v_mov_b32_e32 v3, 0
	s_and_saveexec_b32 s24, s25
	s_cbranch_execz .LBB62_552
.LBB62_551:
	v_and_b32_e32 v3, 0xffff, v4
	s_delay_alu instid0(VALU_DEP_1) | instskip(SKIP_1) | instid1(VALU_DEP_2)
	v_and_b32_e32 v5, 7, v3
	v_bfe_u32 v8, v3, 3, 4
	v_clz_i32_u32_e32 v6, v5
	s_delay_alu instid0(VALU_DEP_2) | instskip(NEXT) | instid1(VALU_DEP_2)
	v_cmp_eq_u32_e32 vcc_lo, 0, v8
	v_min_u32_e32 v6, 32, v6
	s_delay_alu instid0(VALU_DEP_1) | instskip(NEXT) | instid1(VALU_DEP_1)
	v_subrev_nc_u32_e32 v7, 28, v6
	v_dual_lshlrev_b32 v3, v7, v3 :: v_dual_sub_nc_u32 v6, 29, v6
	s_delay_alu instid0(VALU_DEP_1) | instskip(NEXT) | instid1(VALU_DEP_1)
	v_dual_lshlrev_b32 v4, 24, v4 :: v_dual_bitop2_b32 v3, 7, v3 bitop3:0x40
	v_dual_cndmask_b32 v6, v8, v6 :: v_dual_cndmask_b32 v3, v5, v3
	s_delay_alu instid0(VALU_DEP_2) | instskip(NEXT) | instid1(VALU_DEP_2)
	v_and_b32_e32 v4, 0x80000000, v4
	v_lshl_add_u32 v5, v6, 23, 0x3b800000
	s_delay_alu instid0(VALU_DEP_3) | instskip(NEXT) | instid1(VALU_DEP_1)
	v_lshlrev_b32_e32 v3, 20, v3
	v_or3_b32 v3, v4, v5, v3
	s_delay_alu instid0(VALU_DEP_1)
	v_cvt_i32_f32_e32 v3, v3
.LBB62_552:
	s_or_b32 exec_lo, exec_lo, s24
.LBB62_553:
	s_mov_b32 s24, -1
.LBB62_554:
	s_mov_b32 s25, 0
.LBB62_555:
	s_delay_alu instid0(SALU_CYCLE_1)
	s_and_b32 vcc_lo, exec_lo, s25
	s_cbranch_vccz .LBB62_588
; %bb.556:
	s_cmp_gt_i32 s21, 22
	s_cbranch_scc0 .LBB62_564
; %bb.557:
	s_cmp_lt_i32 s21, 24
	s_cbranch_scc1 .LBB62_567
; %bb.558:
	s_cmp_gt_i32 s21, 24
	s_cbranch_scc0 .LBB62_568
; %bb.559:
	global_load_u8 v4, v[0:1], off
	s_mov_b32 s25, 0
	s_mov_b32 s24, exec_lo
	s_wait_loadcnt 0x0
	v_cmpx_lt_i16_e32 0x7f, v4
	s_xor_b32 s24, exec_lo, s24
	s_cbranch_execz .LBB62_580
; %bb.560:
	v_cmp_ne_u16_e32 vcc_lo, 0x80, v4
	s_and_b32 s25, vcc_lo, exec_lo
	s_and_not1_saveexec_b32 s24, s24
	s_cbranch_execnz .LBB62_581
.LBB62_561:
	s_or_b32 exec_lo, exec_lo, s24
	v_mov_b32_e32 v3, 0
	s_and_saveexec_b32 s24, s25
	s_cbranch_execz .LBB62_563
.LBB62_562:
	v_and_b32_e32 v3, 0xffff, v4
	s_delay_alu instid0(VALU_DEP_1) | instskip(SKIP_1) | instid1(VALU_DEP_2)
	v_and_b32_e32 v5, 3, v3
	v_bfe_u32 v8, v3, 2, 5
	v_clz_i32_u32_e32 v6, v5
	s_delay_alu instid0(VALU_DEP_2) | instskip(NEXT) | instid1(VALU_DEP_2)
	v_cmp_eq_u32_e32 vcc_lo, 0, v8
	v_min_u32_e32 v6, 32, v6
	s_delay_alu instid0(VALU_DEP_1) | instskip(NEXT) | instid1(VALU_DEP_1)
	v_subrev_nc_u32_e32 v7, 29, v6
	v_dual_lshlrev_b32 v3, v7, v3 :: v_dual_sub_nc_u32 v6, 30, v6
	s_delay_alu instid0(VALU_DEP_1) | instskip(NEXT) | instid1(VALU_DEP_1)
	v_dual_lshlrev_b32 v4, 24, v4 :: v_dual_bitop2_b32 v3, 3, v3 bitop3:0x40
	v_dual_cndmask_b32 v6, v8, v6 :: v_dual_cndmask_b32 v3, v5, v3
	s_delay_alu instid0(VALU_DEP_2) | instskip(NEXT) | instid1(VALU_DEP_2)
	v_and_b32_e32 v4, 0x80000000, v4
	v_lshl_add_u32 v5, v6, 23, 0x37800000
	s_delay_alu instid0(VALU_DEP_3) | instskip(NEXT) | instid1(VALU_DEP_1)
	v_lshlrev_b32_e32 v3, 21, v3
	v_or3_b32 v3, v4, v5, v3
	s_delay_alu instid0(VALU_DEP_1)
	v_cvt_i32_f32_e32 v3, v3
.LBB62_563:
	s_or_b32 exec_lo, exec_lo, s24
	s_mov_b32 s24, 0
	s_branch .LBB62_569
.LBB62_564:
	s_mov_b32 s25, -1
                                        ; implicit-def: $vgpr3
	s_branch .LBB62_575
.LBB62_565:
	s_and_not1_saveexec_b32 s24, s24
	s_cbranch_execz .LBB62_550
.LBB62_566:
	v_cmp_ne_u16_e32 vcc_lo, 0, v4
	s_and_not1_b32 s25, s25, exec_lo
	s_and_b32 s26, vcc_lo, exec_lo
	s_delay_alu instid0(SALU_CYCLE_1)
	s_or_b32 s25, s25, s26
	s_or_b32 exec_lo, exec_lo, s24
	v_mov_b32_e32 v3, 0
	s_and_saveexec_b32 s24, s25
	s_cbranch_execnz .LBB62_551
	s_branch .LBB62_552
.LBB62_567:
	s_mov_b32 s24, -1
                                        ; implicit-def: $vgpr3
	s_branch .LBB62_572
.LBB62_568:
	s_mov_b32 s24, -1
                                        ; implicit-def: $vgpr3
.LBB62_569:
	s_delay_alu instid0(SALU_CYCLE_1)
	s_and_b32 vcc_lo, exec_lo, s24
	s_cbranch_vccz .LBB62_571
; %bb.570:
	s_wait_loadcnt 0x0
	global_load_u8 v3, v[0:1], off
	s_wait_loadcnt 0x0
	v_lshlrev_b32_e32 v3, 24, v3
	s_delay_alu instid0(VALU_DEP_1) | instskip(NEXT) | instid1(VALU_DEP_1)
	v_and_b32_e32 v4, 0x7f000000, v3
	v_clz_i32_u32_e32 v5, v4
	v_cmp_ne_u32_e32 vcc_lo, 0, v4
	v_add_nc_u32_e32 v7, 0x1000000, v4
	s_delay_alu instid0(VALU_DEP_3) | instskip(NEXT) | instid1(VALU_DEP_1)
	v_min_u32_e32 v5, 32, v5
	v_sub_nc_u32_e64 v5, v5, 4 clamp
	s_delay_alu instid0(VALU_DEP_1) | instskip(NEXT) | instid1(VALU_DEP_1)
	v_dual_lshlrev_b32 v6, v5, v4 :: v_dual_lshlrev_b32 v5, 23, v5
	v_lshrrev_b32_e32 v6, 4, v6
	s_delay_alu instid0(VALU_DEP_1) | instskip(NEXT) | instid1(VALU_DEP_1)
	v_dual_sub_nc_u32 v5, v6, v5 :: v_dual_ashrrev_i32 v6, 8, v7
	v_add_nc_u32_e32 v5, 0x3c000000, v5
	s_delay_alu instid0(VALU_DEP_1) | instskip(NEXT) | instid1(VALU_DEP_1)
	v_and_or_b32 v5, 0x7f800000, v6, v5
	v_cndmask_b32_e32 v4, 0, v5, vcc_lo
	s_delay_alu instid0(VALU_DEP_1) | instskip(NEXT) | instid1(VALU_DEP_1)
	v_and_or_b32 v3, 0x80000000, v3, v4
	v_cvt_i32_f32_e32 v3, v3
.LBB62_571:
	s_mov_b32 s24, 0
.LBB62_572:
	s_delay_alu instid0(SALU_CYCLE_1)
	s_and_not1_b32 vcc_lo, exec_lo, s24
	s_cbranch_vccnz .LBB62_574
; %bb.573:
	s_wait_loadcnt 0x0
	global_load_u8 v3, v[0:1], off
	s_wait_loadcnt 0x0
	v_lshlrev_b32_e32 v4, 25, v3
	v_lshlrev_b16 v3, 8, v3
	s_delay_alu instid0(VALU_DEP_1) | instskip(SKIP_1) | instid1(VALU_DEP_2)
	v_and_or_b32 v6, 0x7f00, v3, 0.5
	v_bfe_i32 v3, v3, 0, 16
	v_dual_add_f32 v6, -0.5, v6 :: v_dual_lshrrev_b32 v5, 4, v4
	v_cmp_gt_u32_e32 vcc_lo, 0x8000000, v4
	s_delay_alu instid0(VALU_DEP_2) | instskip(NEXT) | instid1(VALU_DEP_1)
	v_or_b32_e32 v5, 0x70000000, v5
	v_mul_f32_e32 v5, 0x7800000, v5
	s_delay_alu instid0(VALU_DEP_1) | instskip(NEXT) | instid1(VALU_DEP_1)
	v_cndmask_b32_e32 v4, v5, v6, vcc_lo
	v_and_or_b32 v3, 0x80000000, v3, v4
	s_delay_alu instid0(VALU_DEP_1)
	v_cvt_i32_f32_e32 v3, v3
.LBB62_574:
	s_mov_b32 s25, 0
	s_mov_b32 s24, -1
.LBB62_575:
	s_and_not1_b32 vcc_lo, exec_lo, s25
	s_cbranch_vccnz .LBB62_588
; %bb.576:
	s_cmp_gt_i32 s21, 14
	s_cbranch_scc0 .LBB62_579
; %bb.577:
	s_cmp_eq_u32 s21, 15
	s_cbranch_scc0 .LBB62_582
; %bb.578:
	s_wait_loadcnt 0x0
	global_load_u16 v3, v[0:1], off
	s_mov_b32 s24, -1
	s_mov_b32 s22, 0
	s_wait_loadcnt 0x0
	v_lshlrev_b32_e32 v3, 16, v3
	s_delay_alu instid0(VALU_DEP_1)
	v_cvt_i32_f32_e32 v3, v3
	s_branch .LBB62_583
.LBB62_579:
	s_mov_b32 s25, -1
                                        ; implicit-def: $vgpr3
	s_branch .LBB62_584
.LBB62_580:
	s_and_not1_saveexec_b32 s24, s24
	s_cbranch_execz .LBB62_561
.LBB62_581:
	v_cmp_ne_u16_e32 vcc_lo, 0, v4
	s_and_not1_b32 s25, s25, exec_lo
	s_and_b32 s26, vcc_lo, exec_lo
	s_delay_alu instid0(SALU_CYCLE_1)
	s_or_b32 s25, s25, s26
	s_or_b32 exec_lo, exec_lo, s24
	v_mov_b32_e32 v3, 0
	s_and_saveexec_b32 s24, s25
	s_cbranch_execnz .LBB62_562
	s_branch .LBB62_563
.LBB62_582:
	s_mov_b32 s22, -1
                                        ; implicit-def: $vgpr3
.LBB62_583:
	s_mov_b32 s25, 0
.LBB62_584:
	s_delay_alu instid0(SALU_CYCLE_1)
	s_and_b32 vcc_lo, exec_lo, s25
	s_cbranch_vccz .LBB62_588
; %bb.585:
	s_cmp_eq_u32 s21, 11
	s_cbranch_scc0 .LBB62_587
; %bb.586:
	s_wait_loadcnt 0x0
	global_load_u8 v3, v[0:1], off
	s_mov_b32 s22, 0
	s_mov_b32 s24, -1
	s_wait_loadcnt 0x0
	v_cmp_ne_u16_e32 vcc_lo, 0, v3
	v_cndmask_b32_e64 v3, 0, 1, vcc_lo
	s_branch .LBB62_588
.LBB62_587:
	s_mov_b32 s22, -1
                                        ; implicit-def: $vgpr3
.LBB62_588:
	s_mov_b32 s21, 0
.LBB62_589:
	s_delay_alu instid0(SALU_CYCLE_1)
	s_and_b32 vcc_lo, exec_lo, s21
	s_cbranch_vccz .LBB62_638
; %bb.590:
	s_and_b32 s0, 0xffff, s0
	s_delay_alu instid0(SALU_CYCLE_1)
	s_cmp_lt_i32 s0, 5
	s_cbranch_scc1 .LBB62_595
; %bb.591:
	s_cmp_lt_i32 s0, 8
	s_cbranch_scc1 .LBB62_596
; %bb.592:
	;; [unrolled: 3-line block ×3, first 2 shown]
	s_cmp_gt_i32 s0, 9
	s_cbranch_scc0 .LBB62_598
; %bb.594:
	global_load_b64 v[4:5], v[0:1], off
	s_mov_b32 s21, 0
	s_wait_loadcnt 0x0
	v_cvt_i32_f64_e32 v3, v[4:5]
	s_branch .LBB62_599
.LBB62_595:
	s_mov_b32 s21, -1
                                        ; implicit-def: $vgpr3
	s_branch .LBB62_617
.LBB62_596:
	s_mov_b32 s21, -1
                                        ; implicit-def: $vgpr3
	s_branch .LBB62_605
.LBB62_597:
	s_mov_b32 s21, -1
                                        ; implicit-def: $vgpr3
	s_branch .LBB62_602
.LBB62_598:
	s_mov_b32 s21, -1
                                        ; implicit-def: $vgpr3
.LBB62_599:
	s_delay_alu instid0(SALU_CYCLE_1)
	s_and_not1_b32 vcc_lo, exec_lo, s21
	s_cbranch_vccnz .LBB62_601
; %bb.600:
	s_wait_loadcnt 0x0
	global_load_b32 v3, v[0:1], off
	s_wait_loadcnt 0x0
	v_cvt_i32_f32_e32 v3, v3
.LBB62_601:
	s_mov_b32 s21, 0
.LBB62_602:
	s_delay_alu instid0(SALU_CYCLE_1)
	s_and_not1_b32 vcc_lo, exec_lo, s21
	s_cbranch_vccnz .LBB62_604
; %bb.603:
	s_wait_loadcnt 0x0
	global_load_b32 v3, v[0:1], off
	s_wait_loadcnt 0x0
	v_cvt_f32_f16_e32 v3, v3
	s_delay_alu instid0(VALU_DEP_1)
	v_cvt_i32_f32_e32 v3, v3
.LBB62_604:
	s_mov_b32 s21, 0
.LBB62_605:
	s_delay_alu instid0(SALU_CYCLE_1)
	s_and_not1_b32 vcc_lo, exec_lo, s21
	s_cbranch_vccnz .LBB62_616
; %bb.606:
	s_cmp_lt_i32 s0, 6
	s_cbranch_scc1 .LBB62_609
; %bb.607:
	s_cmp_gt_i32 s0, 6
	s_cbranch_scc0 .LBB62_610
; %bb.608:
	global_load_b64 v[4:5], v[0:1], off
	s_mov_b32 s21, 0
	s_wait_loadcnt 0x0
	v_cvt_i32_f64_e32 v3, v[4:5]
	s_branch .LBB62_611
.LBB62_609:
	s_mov_b32 s21, -1
                                        ; implicit-def: $vgpr3
	s_branch .LBB62_614
.LBB62_610:
	s_mov_b32 s21, -1
                                        ; implicit-def: $vgpr3
.LBB62_611:
	s_delay_alu instid0(SALU_CYCLE_1)
	s_and_not1_b32 vcc_lo, exec_lo, s21
	s_cbranch_vccnz .LBB62_613
; %bb.612:
	s_wait_loadcnt 0x0
	global_load_b32 v3, v[0:1], off
	s_wait_loadcnt 0x0
	v_cvt_i32_f32_e32 v3, v3
.LBB62_613:
	s_mov_b32 s21, 0
.LBB62_614:
	s_delay_alu instid0(SALU_CYCLE_1)
	s_and_not1_b32 vcc_lo, exec_lo, s21
	s_cbranch_vccnz .LBB62_616
; %bb.615:
	s_wait_loadcnt 0x0
	global_load_u16 v3, v[0:1], off
	s_wait_loadcnt 0x0
	v_cvt_f32_f16_e32 v3, v3
	s_delay_alu instid0(VALU_DEP_1)
	v_cvt_i32_f32_e32 v3, v3
.LBB62_616:
	s_mov_b32 s21, 0
.LBB62_617:
	s_delay_alu instid0(SALU_CYCLE_1)
	s_and_not1_b32 vcc_lo, exec_lo, s21
	s_cbranch_vccnz .LBB62_637
; %bb.618:
	s_cmp_lt_i32 s0, 2
	s_cbranch_scc1 .LBB62_622
; %bb.619:
	s_cmp_lt_i32 s0, 3
	s_cbranch_scc1 .LBB62_623
; %bb.620:
	s_cmp_gt_i32 s0, 3
	s_cbranch_scc0 .LBB62_624
; %bb.621:
	s_wait_loadcnt 0x0
	global_load_b32 v3, v[0:1], off
	s_mov_b32 s21, 0
	s_branch .LBB62_625
.LBB62_622:
	s_mov_b32 s21, -1
                                        ; implicit-def: $vgpr3
	s_branch .LBB62_631
.LBB62_623:
	s_mov_b32 s21, -1
                                        ; implicit-def: $vgpr3
	s_branch .LBB62_628
.LBB62_624:
	s_mov_b32 s21, -1
                                        ; implicit-def: $vgpr3
.LBB62_625:
	s_delay_alu instid0(SALU_CYCLE_1)
	s_and_not1_b32 vcc_lo, exec_lo, s21
	s_cbranch_vccnz .LBB62_627
; %bb.626:
	s_wait_loadcnt 0x0
	global_load_b32 v3, v[0:1], off
.LBB62_627:
	s_mov_b32 s21, 0
.LBB62_628:
	s_delay_alu instid0(SALU_CYCLE_1)
	s_and_not1_b32 vcc_lo, exec_lo, s21
	s_cbranch_vccnz .LBB62_630
; %bb.629:
	s_wait_loadcnt 0x0
	global_load_i16 v3, v[0:1], off
.LBB62_630:
	s_mov_b32 s21, 0
.LBB62_631:
	s_delay_alu instid0(SALU_CYCLE_1)
	s_and_not1_b32 vcc_lo, exec_lo, s21
	s_cbranch_vccnz .LBB62_637
; %bb.632:
	s_cmp_gt_i32 s0, 0
	s_mov_b32 s0, 0
	s_cbranch_scc0 .LBB62_634
; %bb.633:
	s_wait_loadcnt 0x0
	global_load_i8 v3, v[0:1], off
	s_branch .LBB62_635
.LBB62_634:
	s_mov_b32 s0, -1
                                        ; implicit-def: $vgpr3
.LBB62_635:
	s_delay_alu instid0(SALU_CYCLE_1)
	s_and_not1_b32 vcc_lo, exec_lo, s0
	s_cbranch_vccnz .LBB62_637
; %bb.636:
	s_wait_loadcnt 0x0
	global_load_u8 v3, v[0:1], off
.LBB62_637:
	s_mov_b32 s24, -1
.LBB62_638:
	s_delay_alu instid0(SALU_CYCLE_1)
	s_and_not1_b32 vcc_lo, exec_lo, s24
	s_cbranch_vccnz .LBB62_652
; %bb.639:
	s_wait_loadcnt 0x0
	s_delay_alu instid0(VALU_DEP_1) | instskip(SKIP_2) | instid1(VALU_DEP_1)
	v_dual_sub_nc_u32 v0, 0, v3 :: v_dual_sub_nc_u32 v1, 0, v2
	s_mov_b32 s21, 0
	s_mov_b32 s0, exec_lo
	v_max_i32_e32 v4, v3, v0
	v_cmpx_ne_u32_e32 0, v2
	s_cbranch_execz .LBB62_643
; %bb.640:
	v_max_i32_e32 v5, v2, v1
.LBB62_641:                             ; =>This Inner Loop Header: Depth=1
	s_delay_alu instid0(VALU_DEP_1) | instskip(NEXT) | instid1(VALU_DEP_1)
	v_mov_b32_e32 v0, v5
	v_cvt_f32_u32_e32 v5, v0
	s_delay_alu instid0(VALU_DEP_1) | instskip(SKIP_1) | instid1(TRANS32_DEP_1)
	v_rcp_iflag_f32_e32 v5, v5
	v_nop
	v_dual_mul_f32 v5, 0x4f7ffffe, v5 :: v_dual_sub_nc_u32 v6, 0, v0
	s_delay_alu instid0(VALU_DEP_1) | instskip(NEXT) | instid1(VALU_DEP_1)
	v_cvt_u32_f32_e32 v5, v5
	v_mul_lo_u32 v6, v6, v5
	s_delay_alu instid0(VALU_DEP_1) | instskip(NEXT) | instid1(VALU_DEP_1)
	v_mul_hi_u32 v6, v5, v6
	v_add_nc_u32_e32 v5, v5, v6
	s_delay_alu instid0(VALU_DEP_1) | instskip(NEXT) | instid1(VALU_DEP_1)
	v_mul_hi_u32 v5, v4, v5
	v_mul_lo_u32 v5, v5, v0
	s_delay_alu instid0(VALU_DEP_1) | instskip(NEXT) | instid1(VALU_DEP_1)
	v_sub_nc_u32_e32 v4, v4, v5
	v_sub_nc_u32_e32 v5, v4, v0
	v_cmp_ge_u32_e32 vcc_lo, v4, v0
	s_delay_alu instid0(VALU_DEP_2) | instskip(NEXT) | instid1(VALU_DEP_1)
	v_cndmask_b32_e32 v4, v4, v5, vcc_lo
	v_sub_nc_u32_e32 v5, v4, v0
	v_cmp_ge_u32_e32 vcc_lo, v4, v0
	s_delay_alu instid0(VALU_DEP_2) | instskip(SKIP_1) | instid1(VALU_DEP_2)
	v_cndmask_b32_e32 v5, v4, v5, vcc_lo
	v_mov_b32_e32 v4, v0
	v_cmp_eq_u32_e32 vcc_lo, 0, v5
	s_or_b32 s21, vcc_lo, s21
	s_delay_alu instid0(SALU_CYCLE_1)
	s_and_not1_b32 exec_lo, exec_lo, s21
	s_cbranch_execnz .LBB62_641
; %bb.642:
	s_or_b32 exec_lo, exec_lo, s21
	v_mov_b32_e32 v4, v0
.LBB62_643:
	s_or_b32 exec_lo, exec_lo, s0
	v_mov_b32_e32 v0, 0
	s_mov_b32 s0, exec_lo
	s_delay_alu instid0(VALU_DEP_2)
	v_cmpx_ne_u32_e32 0, v4
	s_cbranch_execz .LBB62_645
; %bb.644:
	v_dual_sub_nc_u32 v0, 0, v4 :: v_dual_max_i32 v1, v2, v1
	v_xor_b32_e32 v2, v2, v4
	s_delay_alu instid0(VALU_DEP_1) | instskip(NEXT) | instid1(VALU_DEP_1)
	v_dual_ashrrev_i32 v2, 31, v2 :: v_dual_max_i32 v0, v4, v0
	v_cvt_f32_u32_e32 v5, v0
	v_sub_nc_u32_e32 v6, 0, v0
	s_delay_alu instid0(VALU_DEP_2) | instskip(SKIP_1) | instid1(TRANS32_DEP_1)
	v_rcp_iflag_f32_e32 v5, v5
	v_nop
	v_mul_f32_e32 v5, 0x4f7ffffe, v5
	s_delay_alu instid0(VALU_DEP_1) | instskip(NEXT) | instid1(VALU_DEP_1)
	v_cvt_u32_f32_e32 v5, v5
	v_mul_lo_u32 v6, v6, v5
	s_delay_alu instid0(VALU_DEP_1) | instskip(NEXT) | instid1(VALU_DEP_1)
	v_mul_hi_u32 v6, v5, v6
	v_add_nc_u32_e32 v5, v5, v6
	s_delay_alu instid0(VALU_DEP_1) | instskip(NEXT) | instid1(VALU_DEP_1)
	v_mul_hi_u32 v5, v1, v5
	v_mul_lo_u32 v6, v5, v0
	s_delay_alu instid0(VALU_DEP_1) | instskip(NEXT) | instid1(VALU_DEP_1)
	v_dual_sub_nc_u32 v1, v1, v6 :: v_dual_add_nc_u32 v6, 1, v5
	v_cmp_ge_u32_e32 vcc_lo, v1, v0
	s_delay_alu instid0(VALU_DEP_2) | instskip(NEXT) | instid1(VALU_DEP_1)
	v_cndmask_b32_e32 v5, v5, v6, vcc_lo
	v_dual_sub_nc_u32 v7, v1, v0 :: v_dual_add_nc_u32 v4, 1, v5
	s_delay_alu instid0(VALU_DEP_1) | instskip(NEXT) | instid1(VALU_DEP_1)
	v_cndmask_b32_e32 v1, v1, v7, vcc_lo
	v_cmp_ge_u32_e32 vcc_lo, v1, v0
	s_delay_alu instid0(VALU_DEP_3) | instskip(NEXT) | instid1(VALU_DEP_1)
	v_cndmask_b32_e32 v0, v5, v4, vcc_lo
	v_xor_b32_e32 v0, v0, v2
	s_delay_alu instid0(VALU_DEP_1) | instskip(NEXT) | instid1(VALU_DEP_1)
	v_sub_nc_u32_e32 v0, v0, v2
	v_mul_lo_u32 v0, v0, v3
	s_delay_alu instid0(VALU_DEP_1) | instskip(NEXT) | instid1(VALU_DEP_1)
	v_sub_nc_u32_e32 v1, 0, v0
	v_max_i32_e32 v0, v0, v1
.LBB62_645:
	s_or_b32 exec_lo, exec_lo, s0
	v_mul_lo_u32 v2, v10, s8
	s_and_b32 s21, s11, 0xff
	s_delay_alu instid0(SALU_CYCLE_1) | instskip(NEXT) | instid1(VALU_DEP_1)
	s_cmp_lt_i32 s21, 11
	v_ashrrev_i32_e32 v3, 31, v2
	s_delay_alu instid0(VALU_DEP_1)
	v_add_nc_u64_e32 v[2:3], s[4:5], v[2:3]
	s_cbranch_scc1 .LBB62_653
; %bb.646:
	s_and_b32 s24, 0xffff, s21
	s_delay_alu instid0(SALU_CYCLE_1)
	s_cmp_gt_i32 s24, 25
	s_cbranch_scc0 .LBB62_654
; %bb.647:
	s_cmp_gt_i32 s24, 28
	s_cbranch_scc0 .LBB62_655
; %bb.648:
	;; [unrolled: 3-line block ×4, first 2 shown]
	s_mov_b32 s26, 0
	s_mov_b32 s0, -1
	s_cmp_eq_u32 s24, 46
	s_mov_b32 s25, 0
	s_cbranch_scc0 .LBB62_658
; %bb.651:
	v_cvt_f32_u32_e32 v1, v0
	s_mov_b32 s25, -1
	s_mov_b32 s0, 0
	s_delay_alu instid0(VALU_DEP_1) | instskip(NEXT) | instid1(VALU_DEP_1)
	v_bfe_u32 v4, v1, 16, 1
	v_add3_u32 v1, v1, v4, 0x7fff
	s_delay_alu instid0(VALU_DEP_1)
	v_lshrrev_b32_e32 v1, 16, v1
	global_store_b32 v[2:3], v1, off
	s_branch .LBB62_658
.LBB62_652:
	s_mov_b32 s24, 0
	s_mov_b32 s0, s15
	s_branch .LBB62_769
.LBB62_653:
	s_mov_b32 s24, -1
	s_mov_b32 s25, 0
	s_mov_b32 s0, s15
	s_branch .LBB62_727
.LBB62_654:
	s_mov_b32 s26, -1
	s_mov_b32 s25, 0
	s_mov_b32 s0, s15
	s_branch .LBB62_685
.LBB62_655:
	s_mov_b32 s26, -1
	s_mov_b32 s25, 0
	s_mov_b32 s0, s15
	s_branch .LBB62_668
.LBB62_656:
	s_mov_b32 s26, -1
	s_mov_b32 s25, 0
	s_mov_b32 s0, s15
	s_branch .LBB62_664
.LBB62_657:
	s_mov_b32 s26, -1
	s_mov_b32 s25, 0
	s_mov_b32 s0, s15
.LBB62_658:
	s_and_b32 vcc_lo, exec_lo, s26
	s_cbranch_vccz .LBB62_663
; %bb.659:
	s_cmp_eq_u32 s24, 44
	s_mov_b32 s0, -1
	s_cbranch_scc0 .LBB62_663
; %bb.660:
	v_cvt_f32_u32_e32 v5, v0
	s_mov_b32 s25, exec_lo
	s_wait_xcnt 0x0
	s_delay_alu instid0(VALU_DEP_1) | instskip(NEXT) | instid1(VALU_DEP_1)
	v_dual_mov_b32 v4, 0xff :: v_dual_lshrrev_b32 v1, 23, v5
	v_cmpx_ne_u32_e32 0xff, v1
; %bb.661:
	v_and_b32_e32 v4, 0x400000, v5
	v_and_or_b32 v5, 0x3fffff, v5, v1
	s_delay_alu instid0(VALU_DEP_2) | instskip(NEXT) | instid1(VALU_DEP_2)
	v_cmp_ne_u32_e32 vcc_lo, 0, v4
	v_cmp_ne_u32_e64 s0, 0, v5
	s_and_b32 s0, vcc_lo, s0
	s_delay_alu instid0(SALU_CYCLE_1) | instskip(NEXT) | instid1(VALU_DEP_1)
	v_cndmask_b32_e64 v4, 0, 1, s0
	v_add_nc_u32_e32 v4, v1, v4
; %bb.662:
	s_or_b32 exec_lo, exec_lo, s25
	s_mov_b32 s25, -1
	s_mov_b32 s0, 0
	global_store_b8 v[2:3], v4, off
.LBB62_663:
	s_mov_b32 s26, 0
.LBB62_664:
	s_delay_alu instid0(SALU_CYCLE_1)
	s_and_b32 vcc_lo, exec_lo, s26
	s_cbranch_vccz .LBB62_667
; %bb.665:
	s_cmp_eq_u32 s24, 29
	s_mov_b32 s0, -1
	s_cbranch_scc0 .LBB62_667
; %bb.666:
	s_wait_xcnt 0x0
	v_mov_b32_e32 v1, 0
	s_mov_b32 s25, -1
	s_mov_b32 s0, 0
	s_mov_b32 s26, 0
	global_store_b64 v[2:3], v[0:1], off
	s_branch .LBB62_668
.LBB62_667:
	s_mov_b32 s26, 0
.LBB62_668:
	s_delay_alu instid0(SALU_CYCLE_1)
	s_and_b32 vcc_lo, exec_lo, s26
	s_cbranch_vccz .LBB62_684
; %bb.669:
	s_cmp_lt_i32 s24, 27
	s_mov_b32 s25, -1
	s_cbranch_scc1 .LBB62_675
; %bb.670:
	s_cmp_gt_i32 s24, 27
	s_cbranch_scc0 .LBB62_672
; %bb.671:
	s_mov_b32 s25, 0
	global_store_b32 v[2:3], v0, off
.LBB62_672:
	s_and_not1_b32 vcc_lo, exec_lo, s25
	s_cbranch_vccnz .LBB62_674
; %bb.673:
	global_store_b16 v[2:3], v0, off
.LBB62_674:
	s_mov_b32 s25, 0
.LBB62_675:
	s_delay_alu instid0(SALU_CYCLE_1)
	s_and_not1_b32 vcc_lo, exec_lo, s25
	s_cbranch_vccnz .LBB62_683
; %bb.676:
	s_wait_xcnt 0x0
	v_cvt_f32_u32_e32 v4, v0
	v_mov_b32_e32 v5, 0x80
	s_mov_b32 s25, exec_lo
	s_delay_alu instid0(VALU_DEP_2)
	v_cmpx_gt_u32_e32 0x43800000, v4
	s_cbranch_execz .LBB62_682
; %bb.677:
	s_mov_b32 s26, 0
	s_mov_b32 s27, exec_lo
                                        ; implicit-def: $vgpr1
	v_cmpx_lt_u32_e32 0x3bffffff, v4
	s_xor_b32 s27, exec_lo, s27
	s_cbranch_execz .LBB62_785
; %bb.678:
	v_bfe_u32 v1, v4, 20, 1
	s_mov_b32 s26, exec_lo
	s_delay_alu instid0(VALU_DEP_1) | instskip(NEXT) | instid1(VALU_DEP_1)
	v_add3_u32 v1, v4, v1, 0x487ffff
                                        ; implicit-def: $vgpr4
	v_lshrrev_b32_e32 v1, 20, v1
	s_and_not1_saveexec_b32 s27, s27
	s_cbranch_execnz .LBB62_786
.LBB62_679:
	s_or_b32 exec_lo, exec_lo, s27
	v_mov_b32_e32 v5, 0
	s_and_saveexec_b32 s27, s26
.LBB62_680:
	v_mov_b32_e32 v5, v1
.LBB62_681:
	s_or_b32 exec_lo, exec_lo, s27
.LBB62_682:
	s_delay_alu instid0(SALU_CYCLE_1)
	s_or_b32 exec_lo, exec_lo, s25
	global_store_b8 v[2:3], v5, off
.LBB62_683:
	s_mov_b32 s25, -1
.LBB62_684:
	s_mov_b32 s26, 0
.LBB62_685:
	s_delay_alu instid0(SALU_CYCLE_1)
	s_and_b32 vcc_lo, exec_lo, s26
	s_cbranch_vccz .LBB62_726
; %bb.686:
	s_cmp_gt_i32 s24, 22
	s_mov_b32 s26, -1
	s_cbranch_scc0 .LBB62_718
; %bb.687:
	s_cmp_lt_i32 s24, 24
	s_mov_b32 s25, -1
	s_cbranch_scc1 .LBB62_707
; %bb.688:
	s_cmp_gt_i32 s24, 24
	s_cbranch_scc0 .LBB62_696
; %bb.689:
	s_wait_xcnt 0x0
	v_cvt_f32_u32_e32 v4, v0
	v_mov_b32_e32 v5, 0x80
	s_mov_b32 s25, exec_lo
	s_delay_alu instid0(VALU_DEP_2)
	v_cmpx_gt_u32_e32 0x47800000, v4
	s_cbranch_execz .LBB62_695
; %bb.690:
	s_mov_b32 s26, 0
	s_mov_b32 s27, exec_lo
                                        ; implicit-def: $vgpr1
	v_cmpx_lt_u32_e32 0x37ffffff, v4
	s_xor_b32 s27, exec_lo, s27
	s_cbranch_execz .LBB62_913
; %bb.691:
	v_bfe_u32 v1, v4, 21, 1
	s_mov_b32 s26, exec_lo
	s_delay_alu instid0(VALU_DEP_1) | instskip(NEXT) | instid1(VALU_DEP_1)
	v_add3_u32 v1, v4, v1, 0x88fffff
                                        ; implicit-def: $vgpr4
	v_lshrrev_b32_e32 v1, 21, v1
	s_and_not1_saveexec_b32 s27, s27
	s_cbranch_execnz .LBB62_914
.LBB62_692:
	s_or_b32 exec_lo, exec_lo, s27
	v_mov_b32_e32 v5, 0
	s_and_saveexec_b32 s27, s26
.LBB62_693:
	v_mov_b32_e32 v5, v1
.LBB62_694:
	s_or_b32 exec_lo, exec_lo, s27
.LBB62_695:
	s_delay_alu instid0(SALU_CYCLE_1)
	s_or_b32 exec_lo, exec_lo, s25
	s_mov_b32 s25, 0
	global_store_b8 v[2:3], v5, off
.LBB62_696:
	s_and_b32 vcc_lo, exec_lo, s25
	s_cbranch_vccz .LBB62_706
; %bb.697:
	s_wait_xcnt 0x0
	v_cvt_f32_u32_e32 v4, v0
	s_mov_b32 s25, exec_lo
                                        ; implicit-def: $vgpr1
	s_delay_alu instid0(VALU_DEP_1)
	v_cmpx_gt_u32_e32 0x43f00000, v4
	s_xor_b32 s25, exec_lo, s25
	s_cbranch_execz .LBB62_703
; %bb.698:
	s_mov_b32 s26, exec_lo
                                        ; implicit-def: $vgpr1
	v_cmpx_lt_u32_e32 0x3c7fffff, v4
	s_xor_b32 s26, exec_lo, s26
; %bb.699:
	v_bfe_u32 v1, v4, 20, 1
	s_delay_alu instid0(VALU_DEP_1) | instskip(NEXT) | instid1(VALU_DEP_1)
	v_add3_u32 v1, v4, v1, 0x407ffff
	v_and_b32_e32 v4, 0xff00000, v1
	v_lshrrev_b32_e32 v1, 20, v1
	s_delay_alu instid0(VALU_DEP_2) | instskip(NEXT) | instid1(VALU_DEP_2)
	v_cmp_ne_u32_e32 vcc_lo, 0x7f00000, v4
                                        ; implicit-def: $vgpr4
	v_cndmask_b32_e32 v1, 0x7e, v1, vcc_lo
; %bb.700:
	s_and_not1_saveexec_b32 s26, s26
; %bb.701:
	v_add_f32_e32 v1, 0x46800000, v4
; %bb.702:
	s_or_b32 exec_lo, exec_lo, s26
                                        ; implicit-def: $vgpr4
.LBB62_703:
	s_and_not1_saveexec_b32 s25, s25
; %bb.704:
	v_mov_b32_e32 v1, 0x7f
	v_cmp_lt_u32_e32 vcc_lo, 0x7f800000, v4
	s_delay_alu instid0(VALU_DEP_2)
	v_cndmask_b32_e32 v1, 0x7e, v1, vcc_lo
; %bb.705:
	s_or_b32 exec_lo, exec_lo, s25
	global_store_b8 v[2:3], v1, off
.LBB62_706:
	s_mov_b32 s25, 0
.LBB62_707:
	s_delay_alu instid0(SALU_CYCLE_1)
	s_and_not1_b32 vcc_lo, exec_lo, s25
	s_cbranch_vccnz .LBB62_717
; %bb.708:
	s_wait_xcnt 0x0
	v_cvt_f32_u32_e32 v4, v0
	s_mov_b32 s25, exec_lo
                                        ; implicit-def: $vgpr1
	s_delay_alu instid0(VALU_DEP_1)
	v_cmpx_gt_u32_e32 0x47800000, v4
	s_xor_b32 s25, exec_lo, s25
	s_cbranch_execz .LBB62_714
; %bb.709:
	s_mov_b32 s26, exec_lo
                                        ; implicit-def: $vgpr1
	v_cmpx_lt_u32_e32 0x387fffff, v4
	s_xor_b32 s26, exec_lo, s26
; %bb.710:
	v_bfe_u32 v1, v4, 21, 1
	s_delay_alu instid0(VALU_DEP_1) | instskip(NEXT) | instid1(VALU_DEP_1)
	v_add3_u32 v1, v4, v1, 0x80fffff
                                        ; implicit-def: $vgpr4
	v_lshrrev_b32_e32 v1, 21, v1
; %bb.711:
	s_and_not1_saveexec_b32 s26, s26
; %bb.712:
	v_add_f32_e32 v1, 0x43000000, v4
; %bb.713:
	s_or_b32 exec_lo, exec_lo, s26
                                        ; implicit-def: $vgpr4
.LBB62_714:
	s_and_not1_saveexec_b32 s25, s25
; %bb.715:
	v_mov_b32_e32 v1, 0x7f
	v_cmp_lt_u32_e32 vcc_lo, 0x7f800000, v4
	s_delay_alu instid0(VALU_DEP_2)
	v_cndmask_b32_e32 v1, 0x7c, v1, vcc_lo
; %bb.716:
	s_or_b32 exec_lo, exec_lo, s25
	global_store_b8 v[2:3], v1, off
.LBB62_717:
	s_mov_b32 s26, 0
	s_mov_b32 s25, -1
.LBB62_718:
	s_and_not1_b32 vcc_lo, exec_lo, s26
	s_cbranch_vccnz .LBB62_726
; %bb.719:
	s_cmp_gt_i32 s24, 14
	s_mov_b32 s26, -1
	s_cbranch_scc0 .LBB62_723
; %bb.720:
	s_cmp_eq_u32 s24, 15
	s_mov_b32 s0, -1
	s_cbranch_scc0 .LBB62_722
; %bb.721:
	s_wait_xcnt 0x0
	v_cvt_f32_u32_e32 v1, v0
	s_mov_b32 s25, -1
	s_mov_b32 s0, 0
	s_delay_alu instid0(VALU_DEP_1) | instskip(NEXT) | instid1(VALU_DEP_1)
	v_bfe_u32 v4, v1, 16, 1
	v_add3_u32 v1, v1, v4, 0x7fff
	global_store_d16_hi_b16 v[2:3], v1, off
.LBB62_722:
	s_mov_b32 s26, 0
.LBB62_723:
	s_delay_alu instid0(SALU_CYCLE_1)
	s_and_b32 vcc_lo, exec_lo, s26
	s_cbranch_vccz .LBB62_726
; %bb.724:
	s_cmp_eq_u32 s24, 11
	s_mov_b32 s0, -1
	s_cbranch_scc0 .LBB62_726
; %bb.725:
	v_cmp_ne_u32_e32 vcc_lo, 0, v0
	s_mov_b32 s0, 0
	s_mov_b32 s25, -1
	s_wait_xcnt 0x0
	v_cndmask_b32_e64 v1, 0, 1, vcc_lo
	global_store_b8 v[2:3], v1, off
.LBB62_726:
	s_mov_b32 s24, 0
.LBB62_727:
	s_delay_alu instid0(SALU_CYCLE_1)
	s_and_b32 vcc_lo, exec_lo, s24
	s_cbranch_vccz .LBB62_766
; %bb.728:
	s_and_b32 s21, 0xffff, s21
	s_mov_b32 s24, -1
	s_cmp_lt_i32 s21, 5
	s_cbranch_scc1 .LBB62_749
; %bb.729:
	s_cmp_lt_i32 s21, 8
	s_cbranch_scc1 .LBB62_739
; %bb.730:
	;; [unrolled: 3-line block ×3, first 2 shown]
	s_cmp_gt_i32 s21, 9
	s_cbranch_scc0 .LBB62_733
; %bb.732:
	s_wait_xcnt 0x0
	v_cvt_f64_u32_e32 v[4:5], v0
	v_mov_b32_e32 v6, 0
	s_mov_b32 s24, 0
	s_delay_alu instid0(VALU_DEP_1)
	v_mov_b32_e32 v7, v6
	global_store_b128 v[2:3], v[4:7], off
.LBB62_733:
	s_and_not1_b32 vcc_lo, exec_lo, s24
	s_cbranch_vccnz .LBB62_735
; %bb.734:
	s_wait_xcnt 0x0
	v_cvt_f32_u32_e32 v4, v0
	v_mov_b32_e32 v5, 0
	global_store_b64 v[2:3], v[4:5], off
.LBB62_735:
	s_mov_b32 s24, 0
.LBB62_736:
	s_delay_alu instid0(SALU_CYCLE_1)
	s_and_not1_b32 vcc_lo, exec_lo, s24
	s_cbranch_vccnz .LBB62_738
; %bb.737:
	s_wait_xcnt 0x0
	v_cvt_f32_u32_e32 v1, v0
	s_delay_alu instid0(VALU_DEP_1) | instskip(NEXT) | instid1(VALU_DEP_1)
	v_cvt_f16_f32_e32 v1, v1
	v_and_b32_e32 v1, 0xffff, v1
	global_store_b32 v[2:3], v1, off
.LBB62_738:
	s_mov_b32 s24, 0
.LBB62_739:
	s_delay_alu instid0(SALU_CYCLE_1)
	s_and_not1_b32 vcc_lo, exec_lo, s24
	s_cbranch_vccnz .LBB62_748
; %bb.740:
	s_cmp_lt_i32 s21, 6
	s_mov_b32 s24, -1
	s_cbranch_scc1 .LBB62_746
; %bb.741:
	s_cmp_gt_i32 s21, 6
	s_cbranch_scc0 .LBB62_743
; %bb.742:
	s_wait_xcnt 0x0
	v_cvt_f64_u32_e32 v[4:5], v0
	s_mov_b32 s24, 0
	global_store_b64 v[2:3], v[4:5], off
.LBB62_743:
	s_and_not1_b32 vcc_lo, exec_lo, s24
	s_cbranch_vccnz .LBB62_745
; %bb.744:
	s_wait_xcnt 0x0
	v_cvt_f32_u32_e32 v1, v0
	global_store_b32 v[2:3], v1, off
.LBB62_745:
	s_mov_b32 s24, 0
.LBB62_746:
	s_delay_alu instid0(SALU_CYCLE_1)
	s_and_not1_b32 vcc_lo, exec_lo, s24
	s_cbranch_vccnz .LBB62_748
; %bb.747:
	s_wait_xcnt 0x0
	v_cvt_f32_u32_e32 v1, v0
	s_delay_alu instid0(VALU_DEP_1)
	v_cvt_f16_f32_e32 v1, v1
	global_store_b16 v[2:3], v1, off
.LBB62_748:
	s_mov_b32 s24, 0
.LBB62_749:
	s_delay_alu instid0(SALU_CYCLE_1)
	s_and_not1_b32 vcc_lo, exec_lo, s24
	s_cbranch_vccnz .LBB62_765
; %bb.750:
	s_cmp_lt_i32 s21, 2
	s_mov_b32 s24, -1
	s_cbranch_scc1 .LBB62_760
; %bb.751:
	s_cmp_lt_i32 s21, 3
	s_cbranch_scc1 .LBB62_757
; %bb.752:
	s_cmp_gt_i32 s21, 3
	s_cbranch_scc0 .LBB62_754
; %bb.753:
	s_wait_xcnt 0x0
	v_mov_b32_e32 v1, 0
	s_mov_b32 s24, 0
	global_store_b64 v[2:3], v[0:1], off
.LBB62_754:
	s_and_not1_b32 vcc_lo, exec_lo, s24
	s_cbranch_vccnz .LBB62_756
; %bb.755:
	global_store_b32 v[2:3], v0, off
.LBB62_756:
	s_mov_b32 s24, 0
.LBB62_757:
	s_delay_alu instid0(SALU_CYCLE_1)
	s_and_not1_b32 vcc_lo, exec_lo, s24
	s_cbranch_vccnz .LBB62_759
; %bb.758:
	global_store_b16 v[2:3], v0, off
.LBB62_759:
	s_mov_b32 s24, 0
.LBB62_760:
	s_delay_alu instid0(SALU_CYCLE_1)
	s_and_not1_b32 vcc_lo, exec_lo, s24
	s_cbranch_vccnz .LBB62_765
; %bb.761:
	s_cmp_gt_i32 s21, 0
	s_mov_b32 s21, -1
	s_cbranch_scc0 .LBB62_763
; %bb.762:
	s_mov_b32 s21, 0
	global_store_b8 v[2:3], v0, off
.LBB62_763:
	s_and_not1_b32 vcc_lo, exec_lo, s21
	s_cbranch_vccnz .LBB62_765
; %bb.764:
	global_store_b8 v[2:3], v0, off
.LBB62_765:
	s_mov_b32 s25, -1
.LBB62_766:
	s_delay_alu instid0(SALU_CYCLE_1)
	s_and_not1_b32 vcc_lo, exec_lo, s25
	s_cbranch_vccnz .LBB62_768
; %bb.767:
	v_add_nc_u32_e32 v10, 0x80, v10
	s_mov_b32 s24, -1
	s_branch .LBB62_770
.LBB62_768:
	s_mov_b32 s24, 0
.LBB62_769:
                                        ; implicit-def: $vgpr10
.LBB62_770:
	s_and_not1_b32 s21, s15, exec_lo
	s_and_b32 s0, s0, exec_lo
	s_and_b32 s22, s22, exec_lo
	s_or_b32 s21, s21, s0
	s_and_not1_b32 s0, s17, exec_lo
	s_and_not1_b32 s25, s18, exec_lo
	s_and_b32 s20, s20, exec_lo
	s_or_b32 s22, s0, s22
	s_or_b32 s20, s25, s20
	s_or_not1_b32 s25, s24, exec_lo
.LBB62_771:
	s_wait_xcnt 0x0
	s_or_b32 exec_lo, exec_lo, s23
	s_mov_b32 s24, 0
	s_mov_b32 s26, 0
	;; [unrolled: 1-line block ×3, first 2 shown]
                                        ; implicit-def: $sgpr0
                                        ; implicit-def: $vgpr0_vgpr1
                                        ; implicit-def: $vgpr4
	s_and_saveexec_b32 s23, s25
	s_cbranch_execz .LBB62_1240
; %bb.772:
	s_mov_b32 s31, -1
	s_mov_b32 s25, s20
	s_mov_b32 s26, s22
	;; [unrolled: 1-line block ×3, first 2 shown]
	s_mov_b32 s24, exec_lo
	v_cmpx_gt_i32_e64 s16, v10
	s_cbranch_execz .LBB62_1160
; %bb.773:
	v_mul_lo_u32 v0, v10, s9
	s_and_b32 s0, s13, 0xff
	s_delay_alu instid0(SALU_CYCLE_1) | instskip(NEXT) | instid1(VALU_DEP_1)
	s_cmp_lt_i32 s0, 11
	v_ashrrev_i32_e32 v1, 31, v0
	s_delay_alu instid0(VALU_DEP_1)
	v_add_nc_u64_e32 v[0:1], s[6:7], v[0:1]
	s_cbranch_scc1 .LBB62_780
; %bb.774:
	s_and_b32 s26, 0xffff, s0
	s_delay_alu instid0(SALU_CYCLE_1)
	s_cmp_gt_i32 s26, 25
	s_cbranch_scc0 .LBB62_781
; %bb.775:
	s_cmp_gt_i32 s26, 28
	s_cbranch_scc0 .LBB62_782
; %bb.776:
	;; [unrolled: 3-line block ×4, first 2 shown]
	s_cmp_eq_u32 s26, 46
	s_mov_b32 s28, 0
	s_cbranch_scc0 .LBB62_787
; %bb.779:
	s_wait_loadcnt 0x0
	global_load_b32 v2, v[0:1], off
	s_mov_b32 s27, -1
	s_mov_b32 s25, 0
	s_wait_loadcnt 0x0
	v_lshlrev_b32_e32 v2, 16, v2
	s_delay_alu instid0(VALU_DEP_1)
	v_cvt_i32_f32_e32 v2, v2
	s_branch .LBB62_789
.LBB62_780:
	s_mov_b32 s26, -1
	s_mov_b32 s27, 0
	s_mov_b32 s25, s20
                                        ; implicit-def: $vgpr2
	s_branch .LBB62_850
.LBB62_781:
	s_mov_b32 s28, -1
	s_mov_b32 s27, 0
	s_mov_b32 s25, s20
                                        ; implicit-def: $vgpr2
	s_branch .LBB62_816
.LBB62_782:
	s_mov_b32 s28, -1
	s_mov_b32 s27, 0
	s_mov_b32 s25, s20
                                        ; implicit-def: $vgpr2
	s_branch .LBB62_799
.LBB62_783:
	s_mov_b32 s28, -1
	s_mov_b32 s27, 0
	s_mov_b32 s25, s20
                                        ; implicit-def: $vgpr2
	s_branch .LBB62_794
.LBB62_784:
	s_mov_b32 s28, -1
	s_mov_b32 s27, 0
	s_mov_b32 s25, s20
	s_branch .LBB62_788
.LBB62_785:
	s_and_not1_saveexec_b32 s27, s27
	s_cbranch_execz .LBB62_679
.LBB62_786:
	v_add_f32_e32 v1, 0x46000000, v4
	s_and_not1_b32 s26, s26, exec_lo
	s_delay_alu instid0(VALU_DEP_1) | instskip(NEXT) | instid1(VALU_DEP_1)
	v_and_b32_e32 v1, 0xff, v1
	v_cmp_ne_u32_e32 vcc_lo, 0, v1
	s_and_b32 s28, vcc_lo, exec_lo
	s_delay_alu instid0(SALU_CYCLE_1)
	s_or_b32 s26, s26, s28
	s_or_b32 exec_lo, exec_lo, s27
	v_mov_b32_e32 v5, 0
	s_and_saveexec_b32 s27, s26
	s_cbranch_execnz .LBB62_680
	s_branch .LBB62_681
.LBB62_787:
	s_mov_b32 s25, -1
	s_mov_b32 s27, 0
.LBB62_788:
                                        ; implicit-def: $vgpr2
.LBB62_789:
	s_and_b32 vcc_lo, exec_lo, s28
	s_cbranch_vccz .LBB62_793
; %bb.790:
	s_cmp_eq_u32 s26, 44
	s_cbranch_scc0 .LBB62_792
; %bb.791:
	s_wait_loadcnt 0x0
	global_load_u8 v2, v[0:1], off
	s_mov_b32 s25, 0
	s_mov_b32 s27, -1
	s_wait_loadcnt 0x0
	v_lshlrev_b32_e32 v3, 23, v2
	v_cmp_ne_u32_e32 vcc_lo, 0, v2
	s_delay_alu instid0(VALU_DEP_2) | instskip(NEXT) | instid1(VALU_DEP_1)
	v_cvt_i32_f32_e32 v3, v3
	v_cndmask_b32_e32 v2, 0, v3, vcc_lo
	s_branch .LBB62_793
.LBB62_792:
	s_mov_b32 s25, -1
                                        ; implicit-def: $vgpr2
.LBB62_793:
	s_mov_b32 s28, 0
.LBB62_794:
	s_delay_alu instid0(SALU_CYCLE_1)
	s_and_b32 vcc_lo, exec_lo, s28
	s_cbranch_vccz .LBB62_798
; %bb.795:
	s_cmp_eq_u32 s26, 29
	s_cbranch_scc0 .LBB62_797
; %bb.796:
	s_wait_loadcnt 0x0
	global_load_b32 v2, v[0:1], off
	s_mov_b32 s27, -1
	s_mov_b32 s25, 0
	s_branch .LBB62_798
.LBB62_797:
	s_mov_b32 s25, -1
                                        ; implicit-def: $vgpr2
.LBB62_798:
	s_mov_b32 s28, 0
.LBB62_799:
	s_delay_alu instid0(SALU_CYCLE_1)
	s_and_b32 vcc_lo, exec_lo, s28
	s_cbranch_vccz .LBB62_815
; %bb.800:
	s_cmp_lt_i32 s26, 27
	s_cbranch_scc1 .LBB62_803
; %bb.801:
	s_cmp_gt_i32 s26, 27
	s_cbranch_scc0 .LBB62_804
; %bb.802:
	s_wait_loadcnt 0x0
	global_load_b32 v2, v[0:1], off
	s_mov_b32 s27, 0
	s_branch .LBB62_805
.LBB62_803:
	s_mov_b32 s27, -1
                                        ; implicit-def: $vgpr2
	s_branch .LBB62_808
.LBB62_804:
	s_mov_b32 s27, -1
                                        ; implicit-def: $vgpr2
.LBB62_805:
	s_delay_alu instid0(SALU_CYCLE_1)
	s_and_not1_b32 vcc_lo, exec_lo, s27
	s_cbranch_vccnz .LBB62_807
; %bb.806:
	s_wait_loadcnt 0x0
	global_load_u16 v2, v[0:1], off
.LBB62_807:
	s_mov_b32 s27, 0
.LBB62_808:
	s_delay_alu instid0(SALU_CYCLE_1)
	s_and_not1_b32 vcc_lo, exec_lo, s27
	s_cbranch_vccnz .LBB62_814
; %bb.809:
	s_wait_loadcnt 0x0
	global_load_u8 v3, v[0:1], off
	s_mov_b32 s28, 0
	s_mov_b32 s27, exec_lo
	s_wait_loadcnt 0x0
	v_cmpx_lt_i16_e32 0x7f, v3
	s_xor_b32 s27, exec_lo, s27
	s_cbranch_execz .LBB62_826
; %bb.810:
	v_cmp_ne_u16_e32 vcc_lo, 0x80, v3
	s_and_b32 s28, vcc_lo, exec_lo
	s_and_not1_saveexec_b32 s27, s27
	s_cbranch_execnz .LBB62_827
.LBB62_811:
	s_or_b32 exec_lo, exec_lo, s27
	v_mov_b32_e32 v2, 0
	s_and_saveexec_b32 s27, s28
	s_cbranch_execz .LBB62_813
.LBB62_812:
	v_and_b32_e32 v2, 0xffff, v3
	s_delay_alu instid0(VALU_DEP_1) | instskip(SKIP_1) | instid1(VALU_DEP_2)
	v_and_b32_e32 v4, 7, v2
	v_bfe_u32 v7, v2, 3, 4
	v_clz_i32_u32_e32 v5, v4
	s_delay_alu instid0(VALU_DEP_2) | instskip(NEXT) | instid1(VALU_DEP_2)
	v_cmp_eq_u32_e32 vcc_lo, 0, v7
	v_min_u32_e32 v5, 32, v5
	s_delay_alu instid0(VALU_DEP_1) | instskip(NEXT) | instid1(VALU_DEP_1)
	v_subrev_nc_u32_e32 v6, 28, v5
	v_dual_lshlrev_b32 v2, v6, v2 :: v_dual_sub_nc_u32 v5, 29, v5
	s_delay_alu instid0(VALU_DEP_1) | instskip(NEXT) | instid1(VALU_DEP_1)
	v_dual_lshlrev_b32 v3, 24, v3 :: v_dual_bitop2_b32 v2, 7, v2 bitop3:0x40
	v_dual_cndmask_b32 v5, v7, v5 :: v_dual_cndmask_b32 v2, v4, v2
	s_delay_alu instid0(VALU_DEP_2) | instskip(NEXT) | instid1(VALU_DEP_2)
	v_and_b32_e32 v3, 0x80000000, v3
	v_lshl_add_u32 v4, v5, 23, 0x3b800000
	s_delay_alu instid0(VALU_DEP_3) | instskip(NEXT) | instid1(VALU_DEP_1)
	v_lshlrev_b32_e32 v2, 20, v2
	v_or3_b32 v2, v3, v4, v2
	s_delay_alu instid0(VALU_DEP_1)
	v_cvt_i32_f32_e32 v2, v2
.LBB62_813:
	s_or_b32 exec_lo, exec_lo, s27
.LBB62_814:
	s_mov_b32 s27, -1
.LBB62_815:
	s_mov_b32 s28, 0
.LBB62_816:
	s_delay_alu instid0(SALU_CYCLE_1)
	s_and_b32 vcc_lo, exec_lo, s28
	s_cbranch_vccz .LBB62_849
; %bb.817:
	s_cmp_gt_i32 s26, 22
	s_cbranch_scc0 .LBB62_825
; %bb.818:
	s_cmp_lt_i32 s26, 24
	s_cbranch_scc1 .LBB62_828
; %bb.819:
	s_cmp_gt_i32 s26, 24
	s_cbranch_scc0 .LBB62_829
; %bb.820:
	s_wait_loadcnt 0x0
	global_load_u8 v3, v[0:1], off
	s_mov_b32 s28, 0
	s_mov_b32 s27, exec_lo
	s_wait_loadcnt 0x0
	v_cmpx_lt_i16_e32 0x7f, v3
	s_xor_b32 s27, exec_lo, s27
	s_cbranch_execz .LBB62_841
; %bb.821:
	v_cmp_ne_u16_e32 vcc_lo, 0x80, v3
	s_and_b32 s28, vcc_lo, exec_lo
	s_and_not1_saveexec_b32 s27, s27
	s_cbranch_execnz .LBB62_842
.LBB62_822:
	s_or_b32 exec_lo, exec_lo, s27
	v_mov_b32_e32 v2, 0
	s_and_saveexec_b32 s27, s28
	s_cbranch_execz .LBB62_824
.LBB62_823:
	v_and_b32_e32 v2, 0xffff, v3
	s_delay_alu instid0(VALU_DEP_1) | instskip(SKIP_1) | instid1(VALU_DEP_2)
	v_and_b32_e32 v4, 3, v2
	v_bfe_u32 v7, v2, 2, 5
	v_clz_i32_u32_e32 v5, v4
	s_delay_alu instid0(VALU_DEP_2) | instskip(NEXT) | instid1(VALU_DEP_2)
	v_cmp_eq_u32_e32 vcc_lo, 0, v7
	v_min_u32_e32 v5, 32, v5
	s_delay_alu instid0(VALU_DEP_1) | instskip(NEXT) | instid1(VALU_DEP_1)
	v_subrev_nc_u32_e32 v6, 29, v5
	v_dual_lshlrev_b32 v2, v6, v2 :: v_dual_sub_nc_u32 v5, 30, v5
	s_delay_alu instid0(VALU_DEP_1) | instskip(NEXT) | instid1(VALU_DEP_1)
	v_dual_lshlrev_b32 v3, 24, v3 :: v_dual_bitop2_b32 v2, 3, v2 bitop3:0x40
	v_dual_cndmask_b32 v5, v7, v5 :: v_dual_cndmask_b32 v2, v4, v2
	s_delay_alu instid0(VALU_DEP_2) | instskip(NEXT) | instid1(VALU_DEP_2)
	v_and_b32_e32 v3, 0x80000000, v3
	v_lshl_add_u32 v4, v5, 23, 0x37800000
	s_delay_alu instid0(VALU_DEP_3) | instskip(NEXT) | instid1(VALU_DEP_1)
	v_lshlrev_b32_e32 v2, 21, v2
	v_or3_b32 v2, v3, v4, v2
	s_delay_alu instid0(VALU_DEP_1)
	v_cvt_i32_f32_e32 v2, v2
.LBB62_824:
	s_or_b32 exec_lo, exec_lo, s27
	s_mov_b32 s27, 0
	s_branch .LBB62_830
.LBB62_825:
	s_mov_b32 s28, -1
                                        ; implicit-def: $vgpr2
	s_branch .LBB62_836
.LBB62_826:
	s_and_not1_saveexec_b32 s27, s27
	s_cbranch_execz .LBB62_811
.LBB62_827:
	v_cmp_ne_u16_e32 vcc_lo, 0, v3
	s_and_not1_b32 s28, s28, exec_lo
	s_and_b32 s29, vcc_lo, exec_lo
	s_delay_alu instid0(SALU_CYCLE_1)
	s_or_b32 s28, s28, s29
	s_or_b32 exec_lo, exec_lo, s27
	v_mov_b32_e32 v2, 0
	s_and_saveexec_b32 s27, s28
	s_cbranch_execnz .LBB62_812
	s_branch .LBB62_813
.LBB62_828:
	s_mov_b32 s27, -1
                                        ; implicit-def: $vgpr2
	s_branch .LBB62_833
.LBB62_829:
	s_mov_b32 s27, -1
                                        ; implicit-def: $vgpr2
.LBB62_830:
	s_delay_alu instid0(SALU_CYCLE_1)
	s_and_b32 vcc_lo, exec_lo, s27
	s_cbranch_vccz .LBB62_832
; %bb.831:
	s_wait_loadcnt 0x0
	global_load_u8 v2, v[0:1], off
	s_wait_loadcnt 0x0
	v_lshlrev_b32_e32 v2, 24, v2
	s_delay_alu instid0(VALU_DEP_1) | instskip(NEXT) | instid1(VALU_DEP_1)
	v_and_b32_e32 v3, 0x7f000000, v2
	v_clz_i32_u32_e32 v4, v3
	v_cmp_ne_u32_e32 vcc_lo, 0, v3
	v_add_nc_u32_e32 v6, 0x1000000, v3
	s_delay_alu instid0(VALU_DEP_3) | instskip(NEXT) | instid1(VALU_DEP_1)
	v_min_u32_e32 v4, 32, v4
	v_sub_nc_u32_e64 v4, v4, 4 clamp
	s_delay_alu instid0(VALU_DEP_1) | instskip(NEXT) | instid1(VALU_DEP_1)
	v_dual_lshlrev_b32 v5, v4, v3 :: v_dual_lshlrev_b32 v4, 23, v4
	v_lshrrev_b32_e32 v5, 4, v5
	s_delay_alu instid0(VALU_DEP_1) | instskip(NEXT) | instid1(VALU_DEP_1)
	v_dual_sub_nc_u32 v4, v5, v4 :: v_dual_ashrrev_i32 v5, 8, v6
	v_add_nc_u32_e32 v4, 0x3c000000, v4
	s_delay_alu instid0(VALU_DEP_1) | instskip(NEXT) | instid1(VALU_DEP_1)
	v_and_or_b32 v4, 0x7f800000, v5, v4
	v_cndmask_b32_e32 v3, 0, v4, vcc_lo
	s_delay_alu instid0(VALU_DEP_1) | instskip(NEXT) | instid1(VALU_DEP_1)
	v_and_or_b32 v2, 0x80000000, v2, v3
	v_cvt_i32_f32_e32 v2, v2
.LBB62_832:
	s_mov_b32 s27, 0
.LBB62_833:
	s_delay_alu instid0(SALU_CYCLE_1)
	s_and_not1_b32 vcc_lo, exec_lo, s27
	s_cbranch_vccnz .LBB62_835
; %bb.834:
	s_wait_loadcnt 0x0
	global_load_u8 v2, v[0:1], off
	s_wait_loadcnt 0x0
	v_lshlrev_b32_e32 v3, 25, v2
	v_lshlrev_b16 v2, 8, v2
	s_delay_alu instid0(VALU_DEP_1) | instskip(SKIP_1) | instid1(VALU_DEP_2)
	v_and_or_b32 v5, 0x7f00, v2, 0.5
	v_bfe_i32 v2, v2, 0, 16
	v_dual_add_f32 v5, -0.5, v5 :: v_dual_lshrrev_b32 v4, 4, v3
	v_cmp_gt_u32_e32 vcc_lo, 0x8000000, v3
	s_delay_alu instid0(VALU_DEP_2) | instskip(NEXT) | instid1(VALU_DEP_1)
	v_or_b32_e32 v4, 0x70000000, v4
	v_mul_f32_e32 v4, 0x7800000, v4
	s_delay_alu instid0(VALU_DEP_1) | instskip(NEXT) | instid1(VALU_DEP_1)
	v_cndmask_b32_e32 v3, v4, v5, vcc_lo
	v_and_or_b32 v2, 0x80000000, v2, v3
	s_delay_alu instid0(VALU_DEP_1)
	v_cvt_i32_f32_e32 v2, v2
.LBB62_835:
	s_mov_b32 s28, 0
	s_mov_b32 s27, -1
.LBB62_836:
	s_and_not1_b32 vcc_lo, exec_lo, s28
	s_cbranch_vccnz .LBB62_849
; %bb.837:
	s_cmp_gt_i32 s26, 14
	s_cbranch_scc0 .LBB62_840
; %bb.838:
	s_cmp_eq_u32 s26, 15
	s_cbranch_scc0 .LBB62_843
; %bb.839:
	s_wait_loadcnt 0x0
	global_load_u16 v2, v[0:1], off
	s_mov_b32 s27, -1
	s_mov_b32 s25, 0
	s_wait_loadcnt 0x0
	v_lshlrev_b32_e32 v2, 16, v2
	s_delay_alu instid0(VALU_DEP_1)
	v_cvt_i32_f32_e32 v2, v2
	s_branch .LBB62_844
.LBB62_840:
	s_mov_b32 s28, -1
                                        ; implicit-def: $vgpr2
	s_branch .LBB62_845
.LBB62_841:
	s_and_not1_saveexec_b32 s27, s27
	s_cbranch_execz .LBB62_822
.LBB62_842:
	v_cmp_ne_u16_e32 vcc_lo, 0, v3
	s_and_not1_b32 s28, s28, exec_lo
	s_and_b32 s29, vcc_lo, exec_lo
	s_delay_alu instid0(SALU_CYCLE_1)
	s_or_b32 s28, s28, s29
	s_or_b32 exec_lo, exec_lo, s27
	v_mov_b32_e32 v2, 0
	s_and_saveexec_b32 s27, s28
	s_cbranch_execnz .LBB62_823
	s_branch .LBB62_824
.LBB62_843:
	s_mov_b32 s25, -1
                                        ; implicit-def: $vgpr2
.LBB62_844:
	s_mov_b32 s28, 0
.LBB62_845:
	s_delay_alu instid0(SALU_CYCLE_1)
	s_and_b32 vcc_lo, exec_lo, s28
	s_cbranch_vccz .LBB62_849
; %bb.846:
	s_cmp_eq_u32 s26, 11
	s_cbranch_scc0 .LBB62_848
; %bb.847:
	s_wait_loadcnt 0x0
	global_load_u8 v2, v[0:1], off
	s_mov_b32 s25, 0
	s_mov_b32 s27, -1
	s_wait_loadcnt 0x0
	v_cmp_ne_u16_e32 vcc_lo, 0, v2
	v_cndmask_b32_e64 v2, 0, 1, vcc_lo
	s_branch .LBB62_849
.LBB62_848:
	s_mov_b32 s25, -1
                                        ; implicit-def: $vgpr2
.LBB62_849:
	s_mov_b32 s26, 0
.LBB62_850:
	s_delay_alu instid0(SALU_CYCLE_1)
	s_and_b32 vcc_lo, exec_lo, s26
	s_cbranch_vccz .LBB62_899
; %bb.851:
	s_and_b32 s0, 0xffff, s0
	s_delay_alu instid0(SALU_CYCLE_1)
	s_cmp_lt_i32 s0, 5
	s_cbranch_scc1 .LBB62_856
; %bb.852:
	s_cmp_lt_i32 s0, 8
	s_cbranch_scc1 .LBB62_857
; %bb.853:
	;; [unrolled: 3-line block ×3, first 2 shown]
	s_cmp_gt_i32 s0, 9
	s_cbranch_scc0 .LBB62_859
; %bb.855:
	s_wait_loadcnt 0x0
	global_load_b64 v[2:3], v[0:1], off
	s_mov_b32 s26, 0
	s_wait_loadcnt 0x0
	v_cvt_i32_f64_e32 v2, v[2:3]
	s_branch .LBB62_860
.LBB62_856:
	s_mov_b32 s26, -1
                                        ; implicit-def: $vgpr2
	s_branch .LBB62_878
.LBB62_857:
	s_mov_b32 s26, -1
                                        ; implicit-def: $vgpr2
	s_branch .LBB62_866
.LBB62_858:
	s_mov_b32 s26, -1
                                        ; implicit-def: $vgpr2
	s_branch .LBB62_863
.LBB62_859:
	s_mov_b32 s26, -1
                                        ; implicit-def: $vgpr2
.LBB62_860:
	s_delay_alu instid0(SALU_CYCLE_1)
	s_and_not1_b32 vcc_lo, exec_lo, s26
	s_cbranch_vccnz .LBB62_862
; %bb.861:
	s_wait_loadcnt 0x0
	global_load_b32 v2, v[0:1], off
	s_wait_loadcnt 0x0
	v_cvt_i32_f32_e32 v2, v2
.LBB62_862:
	s_mov_b32 s26, 0
.LBB62_863:
	s_delay_alu instid0(SALU_CYCLE_1)
	s_and_not1_b32 vcc_lo, exec_lo, s26
	s_cbranch_vccnz .LBB62_865
; %bb.864:
	s_wait_loadcnt 0x0
	global_load_b32 v2, v[0:1], off
	s_wait_loadcnt 0x0
	v_cvt_f32_f16_e32 v2, v2
	s_delay_alu instid0(VALU_DEP_1)
	v_cvt_i32_f32_e32 v2, v2
.LBB62_865:
	s_mov_b32 s26, 0
.LBB62_866:
	s_delay_alu instid0(SALU_CYCLE_1)
	s_and_not1_b32 vcc_lo, exec_lo, s26
	s_cbranch_vccnz .LBB62_877
; %bb.867:
	s_cmp_lt_i32 s0, 6
	s_cbranch_scc1 .LBB62_870
; %bb.868:
	s_cmp_gt_i32 s0, 6
	s_cbranch_scc0 .LBB62_871
; %bb.869:
	s_wait_loadcnt 0x0
	global_load_b64 v[2:3], v[0:1], off
	s_mov_b32 s26, 0
	s_wait_loadcnt 0x0
	v_cvt_i32_f64_e32 v2, v[2:3]
	s_branch .LBB62_872
.LBB62_870:
	s_mov_b32 s26, -1
                                        ; implicit-def: $vgpr2
	s_branch .LBB62_875
.LBB62_871:
	s_mov_b32 s26, -1
                                        ; implicit-def: $vgpr2
.LBB62_872:
	s_delay_alu instid0(SALU_CYCLE_1)
	s_and_not1_b32 vcc_lo, exec_lo, s26
	s_cbranch_vccnz .LBB62_874
; %bb.873:
	s_wait_loadcnt 0x0
	global_load_b32 v2, v[0:1], off
	s_wait_loadcnt 0x0
	v_cvt_i32_f32_e32 v2, v2
.LBB62_874:
	s_mov_b32 s26, 0
.LBB62_875:
	s_delay_alu instid0(SALU_CYCLE_1)
	s_and_not1_b32 vcc_lo, exec_lo, s26
	s_cbranch_vccnz .LBB62_877
; %bb.876:
	s_wait_loadcnt 0x0
	global_load_u16 v2, v[0:1], off
	s_wait_loadcnt 0x0
	v_cvt_f32_f16_e32 v2, v2
	s_delay_alu instid0(VALU_DEP_1)
	v_cvt_i32_f32_e32 v2, v2
.LBB62_877:
	s_mov_b32 s26, 0
.LBB62_878:
	s_delay_alu instid0(SALU_CYCLE_1)
	s_and_not1_b32 vcc_lo, exec_lo, s26
	s_cbranch_vccnz .LBB62_898
; %bb.879:
	s_cmp_lt_i32 s0, 2
	s_cbranch_scc1 .LBB62_883
; %bb.880:
	s_cmp_lt_i32 s0, 3
	s_cbranch_scc1 .LBB62_884
; %bb.881:
	s_cmp_gt_i32 s0, 3
	s_cbranch_scc0 .LBB62_885
; %bb.882:
	s_wait_loadcnt 0x0
	global_load_b32 v2, v[0:1], off
	s_mov_b32 s26, 0
	s_branch .LBB62_886
.LBB62_883:
	s_mov_b32 s26, -1
                                        ; implicit-def: $vgpr2
	s_branch .LBB62_892
.LBB62_884:
	s_mov_b32 s26, -1
                                        ; implicit-def: $vgpr2
	s_branch .LBB62_889
.LBB62_885:
	s_mov_b32 s26, -1
                                        ; implicit-def: $vgpr2
.LBB62_886:
	s_delay_alu instid0(SALU_CYCLE_1)
	s_and_not1_b32 vcc_lo, exec_lo, s26
	s_cbranch_vccnz .LBB62_888
; %bb.887:
	s_wait_loadcnt 0x0
	global_load_b32 v2, v[0:1], off
.LBB62_888:
	s_mov_b32 s26, 0
.LBB62_889:
	s_delay_alu instid0(SALU_CYCLE_1)
	s_and_not1_b32 vcc_lo, exec_lo, s26
	s_cbranch_vccnz .LBB62_891
; %bb.890:
	s_wait_loadcnt 0x0
	global_load_i16 v2, v[0:1], off
.LBB62_891:
	s_mov_b32 s26, 0
.LBB62_892:
	s_delay_alu instid0(SALU_CYCLE_1)
	s_and_not1_b32 vcc_lo, exec_lo, s26
	s_cbranch_vccnz .LBB62_898
; %bb.893:
	s_cmp_gt_i32 s0, 0
	s_mov_b32 s0, 0
	s_cbranch_scc0 .LBB62_895
; %bb.894:
	s_wait_loadcnt 0x0
	global_load_i8 v2, v[0:1], off
	s_branch .LBB62_896
.LBB62_895:
	s_mov_b32 s0, -1
                                        ; implicit-def: $vgpr2
.LBB62_896:
	s_delay_alu instid0(SALU_CYCLE_1)
	s_and_not1_b32 vcc_lo, exec_lo, s0
	s_cbranch_vccnz .LBB62_898
; %bb.897:
	s_wait_loadcnt 0x0
	global_load_u8 v2, v[0:1], off
.LBB62_898:
	s_mov_b32 s27, -1
.LBB62_899:
	s_delay_alu instid0(SALU_CYCLE_1)
	s_and_not1_b32 vcc_lo, exec_lo, s27
	s_cbranch_vccnz .LBB62_907
; %bb.900:
	s_wait_xcnt 0x0
	v_mul_lo_u32 v0, v10, s10
	s_and_b32 s0, s1, 0xff
	s_delay_alu instid0(SALU_CYCLE_1) | instskip(NEXT) | instid1(VALU_DEP_1)
	s_cmp_lt_i32 s0, 11
	v_ashrrev_i32_e32 v1, 31, v0
	s_delay_alu instid0(VALU_DEP_1)
	v_add_nc_u64_e32 v[0:1], s[2:3], v[0:1]
	s_cbranch_scc1 .LBB62_908
; %bb.901:
	s_and_b32 s27, 0xffff, s0
	s_delay_alu instid0(SALU_CYCLE_1)
	s_cmp_gt_i32 s27, 25
	s_cbranch_scc0 .LBB62_909
; %bb.902:
	s_cmp_gt_i32 s27, 28
	s_cbranch_scc0 .LBB62_910
; %bb.903:
	;; [unrolled: 3-line block ×4, first 2 shown]
	s_cmp_eq_u32 s27, 46
	s_mov_b32 s29, 0
	s_cbranch_scc0 .LBB62_915
; %bb.906:
	s_wait_loadcnt 0x0
	global_load_b32 v3, v[0:1], off
	s_mov_b32 s28, -1
	s_mov_b32 s26, 0
	s_wait_loadcnt 0x0
	v_lshlrev_b32_e32 v3, 16, v3
	s_delay_alu instid0(VALU_DEP_1)
	v_cvt_i32_f32_e32 v3, v3
	s_branch .LBB62_917
.LBB62_907:
	s_mov_b32 s28, 0
	s_mov_b32 s0, s21
	s_mov_b32 s26, s22
	s_branch .LBB62_1158
.LBB62_908:
	s_mov_b32 s27, -1
	s_mov_b32 s28, 0
	s_mov_b32 s26, s22
                                        ; implicit-def: $vgpr3
	s_branch .LBB62_978
.LBB62_909:
	s_mov_b32 s29, -1
	s_mov_b32 s28, 0
	s_mov_b32 s26, s22
                                        ; implicit-def: $vgpr3
	s_branch .LBB62_944
.LBB62_910:
	s_mov_b32 s29, -1
	s_mov_b32 s28, 0
	s_mov_b32 s26, s22
                                        ; implicit-def: $vgpr3
	s_branch .LBB62_927
.LBB62_911:
	s_mov_b32 s29, -1
	s_mov_b32 s28, 0
	s_mov_b32 s26, s22
                                        ; implicit-def: $vgpr3
	s_branch .LBB62_922
.LBB62_912:
	s_mov_b32 s29, -1
	s_mov_b32 s28, 0
	s_mov_b32 s26, s22
	s_branch .LBB62_916
.LBB62_913:
	s_and_not1_saveexec_b32 s27, s27
	s_cbranch_execz .LBB62_692
.LBB62_914:
	v_add_f32_e32 v1, 0x42800000, v4
	s_and_not1_b32 s26, s26, exec_lo
	s_delay_alu instid0(VALU_DEP_1) | instskip(NEXT) | instid1(VALU_DEP_1)
	v_and_b32_e32 v1, 0xff, v1
	v_cmp_ne_u32_e32 vcc_lo, 0, v1
	s_and_b32 s28, vcc_lo, exec_lo
	s_delay_alu instid0(SALU_CYCLE_1)
	s_or_b32 s26, s26, s28
	s_or_b32 exec_lo, exec_lo, s27
	v_mov_b32_e32 v5, 0
	s_and_saveexec_b32 s27, s26
	s_cbranch_execnz .LBB62_693
	s_branch .LBB62_694
.LBB62_915:
	s_mov_b32 s26, -1
	s_mov_b32 s28, 0
.LBB62_916:
                                        ; implicit-def: $vgpr3
.LBB62_917:
	s_and_b32 vcc_lo, exec_lo, s29
	s_cbranch_vccz .LBB62_921
; %bb.918:
	s_cmp_eq_u32 s27, 44
	s_cbranch_scc0 .LBB62_920
; %bb.919:
	s_wait_loadcnt 0x0
	global_load_u8 v3, v[0:1], off
	s_mov_b32 s26, 0
	s_mov_b32 s28, -1
	s_wait_loadcnt 0x0
	v_lshlrev_b32_e32 v4, 23, v3
	v_cmp_ne_u32_e32 vcc_lo, 0, v3
	s_delay_alu instid0(VALU_DEP_2) | instskip(NEXT) | instid1(VALU_DEP_1)
	v_cvt_i32_f32_e32 v4, v4
	v_cndmask_b32_e32 v3, 0, v4, vcc_lo
	s_branch .LBB62_921
.LBB62_920:
	s_mov_b32 s26, -1
                                        ; implicit-def: $vgpr3
.LBB62_921:
	s_mov_b32 s29, 0
.LBB62_922:
	s_delay_alu instid0(SALU_CYCLE_1)
	s_and_b32 vcc_lo, exec_lo, s29
	s_cbranch_vccz .LBB62_926
; %bb.923:
	s_cmp_eq_u32 s27, 29
	s_cbranch_scc0 .LBB62_925
; %bb.924:
	s_wait_loadcnt 0x0
	global_load_b32 v3, v[0:1], off
	s_mov_b32 s28, -1
	s_mov_b32 s26, 0
	s_branch .LBB62_926
.LBB62_925:
	s_mov_b32 s26, -1
                                        ; implicit-def: $vgpr3
.LBB62_926:
	s_mov_b32 s29, 0
.LBB62_927:
	s_delay_alu instid0(SALU_CYCLE_1)
	s_and_b32 vcc_lo, exec_lo, s29
	s_cbranch_vccz .LBB62_943
; %bb.928:
	s_cmp_lt_i32 s27, 27
	s_cbranch_scc1 .LBB62_931
; %bb.929:
	s_cmp_gt_i32 s27, 27
	s_cbranch_scc0 .LBB62_932
; %bb.930:
	s_wait_loadcnt 0x0
	global_load_b32 v3, v[0:1], off
	s_mov_b32 s28, 0
	s_branch .LBB62_933
.LBB62_931:
	s_mov_b32 s28, -1
                                        ; implicit-def: $vgpr3
	s_branch .LBB62_936
.LBB62_932:
	s_mov_b32 s28, -1
                                        ; implicit-def: $vgpr3
.LBB62_933:
	s_delay_alu instid0(SALU_CYCLE_1)
	s_and_not1_b32 vcc_lo, exec_lo, s28
	s_cbranch_vccnz .LBB62_935
; %bb.934:
	s_wait_loadcnt 0x0
	global_load_u16 v3, v[0:1], off
.LBB62_935:
	s_mov_b32 s28, 0
.LBB62_936:
	s_delay_alu instid0(SALU_CYCLE_1)
	s_and_not1_b32 vcc_lo, exec_lo, s28
	s_cbranch_vccnz .LBB62_942
; %bb.937:
	global_load_u8 v4, v[0:1], off
	s_mov_b32 s29, 0
	s_mov_b32 s28, exec_lo
	s_wait_loadcnt 0x0
	v_cmpx_lt_i16_e32 0x7f, v4
	s_xor_b32 s28, exec_lo, s28
	s_cbranch_execz .LBB62_954
; %bb.938:
	v_cmp_ne_u16_e32 vcc_lo, 0x80, v4
	s_and_b32 s29, vcc_lo, exec_lo
	s_and_not1_saveexec_b32 s28, s28
	s_cbranch_execnz .LBB62_955
.LBB62_939:
	s_or_b32 exec_lo, exec_lo, s28
	v_mov_b32_e32 v3, 0
	s_and_saveexec_b32 s28, s29
	s_cbranch_execz .LBB62_941
.LBB62_940:
	v_and_b32_e32 v3, 0xffff, v4
	s_delay_alu instid0(VALU_DEP_1) | instskip(SKIP_1) | instid1(VALU_DEP_2)
	v_and_b32_e32 v5, 7, v3
	v_bfe_u32 v8, v3, 3, 4
	v_clz_i32_u32_e32 v6, v5
	s_delay_alu instid0(VALU_DEP_2) | instskip(NEXT) | instid1(VALU_DEP_2)
	v_cmp_eq_u32_e32 vcc_lo, 0, v8
	v_min_u32_e32 v6, 32, v6
	s_delay_alu instid0(VALU_DEP_1) | instskip(NEXT) | instid1(VALU_DEP_1)
	v_subrev_nc_u32_e32 v7, 28, v6
	v_dual_lshlrev_b32 v3, v7, v3 :: v_dual_sub_nc_u32 v6, 29, v6
	s_delay_alu instid0(VALU_DEP_1) | instskip(NEXT) | instid1(VALU_DEP_1)
	v_dual_lshlrev_b32 v4, 24, v4 :: v_dual_bitop2_b32 v3, 7, v3 bitop3:0x40
	v_dual_cndmask_b32 v6, v8, v6 :: v_dual_cndmask_b32 v3, v5, v3
	s_delay_alu instid0(VALU_DEP_2) | instskip(NEXT) | instid1(VALU_DEP_2)
	v_and_b32_e32 v4, 0x80000000, v4
	v_lshl_add_u32 v5, v6, 23, 0x3b800000
	s_delay_alu instid0(VALU_DEP_3) | instskip(NEXT) | instid1(VALU_DEP_1)
	v_lshlrev_b32_e32 v3, 20, v3
	v_or3_b32 v3, v4, v5, v3
	s_delay_alu instid0(VALU_DEP_1)
	v_cvt_i32_f32_e32 v3, v3
.LBB62_941:
	s_or_b32 exec_lo, exec_lo, s28
.LBB62_942:
	s_mov_b32 s28, -1
.LBB62_943:
	s_mov_b32 s29, 0
.LBB62_944:
	s_delay_alu instid0(SALU_CYCLE_1)
	s_and_b32 vcc_lo, exec_lo, s29
	s_cbranch_vccz .LBB62_977
; %bb.945:
	s_cmp_gt_i32 s27, 22
	s_cbranch_scc0 .LBB62_953
; %bb.946:
	s_cmp_lt_i32 s27, 24
	s_cbranch_scc1 .LBB62_956
; %bb.947:
	s_cmp_gt_i32 s27, 24
	s_cbranch_scc0 .LBB62_957
; %bb.948:
	global_load_u8 v4, v[0:1], off
	s_mov_b32 s29, 0
	s_mov_b32 s28, exec_lo
	s_wait_loadcnt 0x0
	v_cmpx_lt_i16_e32 0x7f, v4
	s_xor_b32 s28, exec_lo, s28
	s_cbranch_execz .LBB62_969
; %bb.949:
	v_cmp_ne_u16_e32 vcc_lo, 0x80, v4
	s_and_b32 s29, vcc_lo, exec_lo
	s_and_not1_saveexec_b32 s28, s28
	s_cbranch_execnz .LBB62_970
.LBB62_950:
	s_or_b32 exec_lo, exec_lo, s28
	v_mov_b32_e32 v3, 0
	s_and_saveexec_b32 s28, s29
	s_cbranch_execz .LBB62_952
.LBB62_951:
	v_and_b32_e32 v3, 0xffff, v4
	s_delay_alu instid0(VALU_DEP_1) | instskip(SKIP_1) | instid1(VALU_DEP_2)
	v_and_b32_e32 v5, 3, v3
	v_bfe_u32 v8, v3, 2, 5
	v_clz_i32_u32_e32 v6, v5
	s_delay_alu instid0(VALU_DEP_2) | instskip(NEXT) | instid1(VALU_DEP_2)
	v_cmp_eq_u32_e32 vcc_lo, 0, v8
	v_min_u32_e32 v6, 32, v6
	s_delay_alu instid0(VALU_DEP_1) | instskip(NEXT) | instid1(VALU_DEP_1)
	v_subrev_nc_u32_e32 v7, 29, v6
	v_dual_lshlrev_b32 v3, v7, v3 :: v_dual_sub_nc_u32 v6, 30, v6
	s_delay_alu instid0(VALU_DEP_1) | instskip(NEXT) | instid1(VALU_DEP_1)
	v_dual_lshlrev_b32 v4, 24, v4 :: v_dual_bitop2_b32 v3, 3, v3 bitop3:0x40
	v_dual_cndmask_b32 v6, v8, v6 :: v_dual_cndmask_b32 v3, v5, v3
	s_delay_alu instid0(VALU_DEP_2) | instskip(NEXT) | instid1(VALU_DEP_2)
	v_and_b32_e32 v4, 0x80000000, v4
	v_lshl_add_u32 v5, v6, 23, 0x37800000
	s_delay_alu instid0(VALU_DEP_3) | instskip(NEXT) | instid1(VALU_DEP_1)
	v_lshlrev_b32_e32 v3, 21, v3
	v_or3_b32 v3, v4, v5, v3
	s_delay_alu instid0(VALU_DEP_1)
	v_cvt_i32_f32_e32 v3, v3
.LBB62_952:
	s_or_b32 exec_lo, exec_lo, s28
	s_mov_b32 s28, 0
	s_branch .LBB62_958
.LBB62_953:
	s_mov_b32 s29, -1
                                        ; implicit-def: $vgpr3
	s_branch .LBB62_964
.LBB62_954:
	s_and_not1_saveexec_b32 s28, s28
	s_cbranch_execz .LBB62_939
.LBB62_955:
	v_cmp_ne_u16_e32 vcc_lo, 0, v4
	s_and_not1_b32 s29, s29, exec_lo
	s_and_b32 s30, vcc_lo, exec_lo
	s_delay_alu instid0(SALU_CYCLE_1)
	s_or_b32 s29, s29, s30
	s_or_b32 exec_lo, exec_lo, s28
	v_mov_b32_e32 v3, 0
	s_and_saveexec_b32 s28, s29
	s_cbranch_execnz .LBB62_940
	s_branch .LBB62_941
.LBB62_956:
	s_mov_b32 s28, -1
                                        ; implicit-def: $vgpr3
	s_branch .LBB62_961
.LBB62_957:
	s_mov_b32 s28, -1
                                        ; implicit-def: $vgpr3
.LBB62_958:
	s_delay_alu instid0(SALU_CYCLE_1)
	s_and_b32 vcc_lo, exec_lo, s28
	s_cbranch_vccz .LBB62_960
; %bb.959:
	s_wait_loadcnt 0x0
	global_load_u8 v3, v[0:1], off
	s_wait_loadcnt 0x0
	v_lshlrev_b32_e32 v3, 24, v3
	s_delay_alu instid0(VALU_DEP_1) | instskip(NEXT) | instid1(VALU_DEP_1)
	v_and_b32_e32 v4, 0x7f000000, v3
	v_clz_i32_u32_e32 v5, v4
	v_cmp_ne_u32_e32 vcc_lo, 0, v4
	v_add_nc_u32_e32 v7, 0x1000000, v4
	s_delay_alu instid0(VALU_DEP_3) | instskip(NEXT) | instid1(VALU_DEP_1)
	v_min_u32_e32 v5, 32, v5
	v_sub_nc_u32_e64 v5, v5, 4 clamp
	s_delay_alu instid0(VALU_DEP_1) | instskip(NEXT) | instid1(VALU_DEP_1)
	v_dual_lshlrev_b32 v6, v5, v4 :: v_dual_lshlrev_b32 v5, 23, v5
	v_lshrrev_b32_e32 v6, 4, v6
	s_delay_alu instid0(VALU_DEP_1) | instskip(NEXT) | instid1(VALU_DEP_1)
	v_dual_sub_nc_u32 v5, v6, v5 :: v_dual_ashrrev_i32 v6, 8, v7
	v_add_nc_u32_e32 v5, 0x3c000000, v5
	s_delay_alu instid0(VALU_DEP_1) | instskip(NEXT) | instid1(VALU_DEP_1)
	v_and_or_b32 v5, 0x7f800000, v6, v5
	v_cndmask_b32_e32 v4, 0, v5, vcc_lo
	s_delay_alu instid0(VALU_DEP_1) | instskip(NEXT) | instid1(VALU_DEP_1)
	v_and_or_b32 v3, 0x80000000, v3, v4
	v_cvt_i32_f32_e32 v3, v3
.LBB62_960:
	s_mov_b32 s28, 0
.LBB62_961:
	s_delay_alu instid0(SALU_CYCLE_1)
	s_and_not1_b32 vcc_lo, exec_lo, s28
	s_cbranch_vccnz .LBB62_963
; %bb.962:
	s_wait_loadcnt 0x0
	global_load_u8 v3, v[0:1], off
	s_wait_loadcnt 0x0
	v_lshlrev_b32_e32 v4, 25, v3
	v_lshlrev_b16 v3, 8, v3
	s_delay_alu instid0(VALU_DEP_1) | instskip(SKIP_1) | instid1(VALU_DEP_2)
	v_and_or_b32 v6, 0x7f00, v3, 0.5
	v_bfe_i32 v3, v3, 0, 16
	v_dual_add_f32 v6, -0.5, v6 :: v_dual_lshrrev_b32 v5, 4, v4
	v_cmp_gt_u32_e32 vcc_lo, 0x8000000, v4
	s_delay_alu instid0(VALU_DEP_2) | instskip(NEXT) | instid1(VALU_DEP_1)
	v_or_b32_e32 v5, 0x70000000, v5
	v_mul_f32_e32 v5, 0x7800000, v5
	s_delay_alu instid0(VALU_DEP_1) | instskip(NEXT) | instid1(VALU_DEP_1)
	v_cndmask_b32_e32 v4, v5, v6, vcc_lo
	v_and_or_b32 v3, 0x80000000, v3, v4
	s_delay_alu instid0(VALU_DEP_1)
	v_cvt_i32_f32_e32 v3, v3
.LBB62_963:
	s_mov_b32 s29, 0
	s_mov_b32 s28, -1
.LBB62_964:
	s_and_not1_b32 vcc_lo, exec_lo, s29
	s_cbranch_vccnz .LBB62_977
; %bb.965:
	s_cmp_gt_i32 s27, 14
	s_cbranch_scc0 .LBB62_968
; %bb.966:
	s_cmp_eq_u32 s27, 15
	s_cbranch_scc0 .LBB62_971
; %bb.967:
	s_wait_loadcnt 0x0
	global_load_u16 v3, v[0:1], off
	s_mov_b32 s28, -1
	s_mov_b32 s26, 0
	s_wait_loadcnt 0x0
	v_lshlrev_b32_e32 v3, 16, v3
	s_delay_alu instid0(VALU_DEP_1)
	v_cvt_i32_f32_e32 v3, v3
	s_branch .LBB62_972
.LBB62_968:
	s_mov_b32 s29, -1
                                        ; implicit-def: $vgpr3
	s_branch .LBB62_973
.LBB62_969:
	s_and_not1_saveexec_b32 s28, s28
	s_cbranch_execz .LBB62_950
.LBB62_970:
	v_cmp_ne_u16_e32 vcc_lo, 0, v4
	s_and_not1_b32 s29, s29, exec_lo
	s_and_b32 s30, vcc_lo, exec_lo
	s_delay_alu instid0(SALU_CYCLE_1)
	s_or_b32 s29, s29, s30
	s_or_b32 exec_lo, exec_lo, s28
	v_mov_b32_e32 v3, 0
	s_and_saveexec_b32 s28, s29
	s_cbranch_execnz .LBB62_951
	s_branch .LBB62_952
.LBB62_971:
	s_mov_b32 s26, -1
                                        ; implicit-def: $vgpr3
.LBB62_972:
	s_mov_b32 s29, 0
.LBB62_973:
	s_delay_alu instid0(SALU_CYCLE_1)
	s_and_b32 vcc_lo, exec_lo, s29
	s_cbranch_vccz .LBB62_977
; %bb.974:
	s_cmp_eq_u32 s27, 11
	s_cbranch_scc0 .LBB62_976
; %bb.975:
	s_wait_loadcnt 0x0
	global_load_u8 v3, v[0:1], off
	s_mov_b32 s26, 0
	s_mov_b32 s28, -1
	s_wait_loadcnt 0x0
	v_cmp_ne_u16_e32 vcc_lo, 0, v3
	v_cndmask_b32_e64 v3, 0, 1, vcc_lo
	s_branch .LBB62_977
.LBB62_976:
	s_mov_b32 s26, -1
                                        ; implicit-def: $vgpr3
.LBB62_977:
	s_mov_b32 s27, 0
.LBB62_978:
	s_delay_alu instid0(SALU_CYCLE_1)
	s_and_b32 vcc_lo, exec_lo, s27
	s_cbranch_vccz .LBB62_1027
; %bb.979:
	s_and_b32 s0, 0xffff, s0
	s_delay_alu instid0(SALU_CYCLE_1)
	s_cmp_lt_i32 s0, 5
	s_cbranch_scc1 .LBB62_984
; %bb.980:
	s_cmp_lt_i32 s0, 8
	s_cbranch_scc1 .LBB62_985
; %bb.981:
	;; [unrolled: 3-line block ×3, first 2 shown]
	s_cmp_gt_i32 s0, 9
	s_cbranch_scc0 .LBB62_987
; %bb.983:
	global_load_b64 v[4:5], v[0:1], off
	s_mov_b32 s27, 0
	s_wait_loadcnt 0x0
	v_cvt_i32_f64_e32 v3, v[4:5]
	s_branch .LBB62_988
.LBB62_984:
	s_mov_b32 s27, -1
                                        ; implicit-def: $vgpr3
	s_branch .LBB62_1006
.LBB62_985:
	s_mov_b32 s27, -1
                                        ; implicit-def: $vgpr3
	s_branch .LBB62_994
.LBB62_986:
	s_mov_b32 s27, -1
                                        ; implicit-def: $vgpr3
	s_branch .LBB62_991
.LBB62_987:
	s_mov_b32 s27, -1
                                        ; implicit-def: $vgpr3
.LBB62_988:
	s_delay_alu instid0(SALU_CYCLE_1)
	s_and_not1_b32 vcc_lo, exec_lo, s27
	s_cbranch_vccnz .LBB62_990
; %bb.989:
	s_wait_loadcnt 0x0
	global_load_b32 v3, v[0:1], off
	s_wait_loadcnt 0x0
	v_cvt_i32_f32_e32 v3, v3
.LBB62_990:
	s_mov_b32 s27, 0
.LBB62_991:
	s_delay_alu instid0(SALU_CYCLE_1)
	s_and_not1_b32 vcc_lo, exec_lo, s27
	s_cbranch_vccnz .LBB62_993
; %bb.992:
	s_wait_loadcnt 0x0
	global_load_b32 v3, v[0:1], off
	s_wait_loadcnt 0x0
	v_cvt_f32_f16_e32 v3, v3
	s_delay_alu instid0(VALU_DEP_1)
	v_cvt_i32_f32_e32 v3, v3
.LBB62_993:
	s_mov_b32 s27, 0
.LBB62_994:
	s_delay_alu instid0(SALU_CYCLE_1)
	s_and_not1_b32 vcc_lo, exec_lo, s27
	s_cbranch_vccnz .LBB62_1005
; %bb.995:
	s_cmp_lt_i32 s0, 6
	s_cbranch_scc1 .LBB62_998
; %bb.996:
	s_cmp_gt_i32 s0, 6
	s_cbranch_scc0 .LBB62_999
; %bb.997:
	global_load_b64 v[4:5], v[0:1], off
	s_mov_b32 s27, 0
	s_wait_loadcnt 0x0
	v_cvt_i32_f64_e32 v3, v[4:5]
	s_branch .LBB62_1000
.LBB62_998:
	s_mov_b32 s27, -1
                                        ; implicit-def: $vgpr3
	s_branch .LBB62_1003
.LBB62_999:
	s_mov_b32 s27, -1
                                        ; implicit-def: $vgpr3
.LBB62_1000:
	s_delay_alu instid0(SALU_CYCLE_1)
	s_and_not1_b32 vcc_lo, exec_lo, s27
	s_cbranch_vccnz .LBB62_1002
; %bb.1001:
	s_wait_loadcnt 0x0
	global_load_b32 v3, v[0:1], off
	s_wait_loadcnt 0x0
	v_cvt_i32_f32_e32 v3, v3
.LBB62_1002:
	s_mov_b32 s27, 0
.LBB62_1003:
	s_delay_alu instid0(SALU_CYCLE_1)
	s_and_not1_b32 vcc_lo, exec_lo, s27
	s_cbranch_vccnz .LBB62_1005
; %bb.1004:
	s_wait_loadcnt 0x0
	global_load_u16 v3, v[0:1], off
	s_wait_loadcnt 0x0
	v_cvt_f32_f16_e32 v3, v3
	s_delay_alu instid0(VALU_DEP_1)
	v_cvt_i32_f32_e32 v3, v3
.LBB62_1005:
	s_mov_b32 s27, 0
.LBB62_1006:
	s_delay_alu instid0(SALU_CYCLE_1)
	s_and_not1_b32 vcc_lo, exec_lo, s27
	s_cbranch_vccnz .LBB62_1026
; %bb.1007:
	s_cmp_lt_i32 s0, 2
	s_cbranch_scc1 .LBB62_1011
; %bb.1008:
	s_cmp_lt_i32 s0, 3
	s_cbranch_scc1 .LBB62_1012
; %bb.1009:
	s_cmp_gt_i32 s0, 3
	s_cbranch_scc0 .LBB62_1013
; %bb.1010:
	s_wait_loadcnt 0x0
	global_load_b32 v3, v[0:1], off
	s_mov_b32 s27, 0
	s_branch .LBB62_1014
.LBB62_1011:
	s_mov_b32 s27, -1
                                        ; implicit-def: $vgpr3
	s_branch .LBB62_1020
.LBB62_1012:
	s_mov_b32 s27, -1
                                        ; implicit-def: $vgpr3
	s_branch .LBB62_1017
.LBB62_1013:
	s_mov_b32 s27, -1
                                        ; implicit-def: $vgpr3
.LBB62_1014:
	s_delay_alu instid0(SALU_CYCLE_1)
	s_and_not1_b32 vcc_lo, exec_lo, s27
	s_cbranch_vccnz .LBB62_1016
; %bb.1015:
	s_wait_loadcnt 0x0
	global_load_b32 v3, v[0:1], off
.LBB62_1016:
	s_mov_b32 s27, 0
.LBB62_1017:
	s_delay_alu instid0(SALU_CYCLE_1)
	s_and_not1_b32 vcc_lo, exec_lo, s27
	s_cbranch_vccnz .LBB62_1019
; %bb.1018:
	s_wait_loadcnt 0x0
	global_load_i16 v3, v[0:1], off
.LBB62_1019:
	s_mov_b32 s27, 0
.LBB62_1020:
	s_delay_alu instid0(SALU_CYCLE_1)
	s_and_not1_b32 vcc_lo, exec_lo, s27
	s_cbranch_vccnz .LBB62_1026
; %bb.1021:
	s_cmp_gt_i32 s0, 0
	s_mov_b32 s0, 0
	s_cbranch_scc0 .LBB62_1023
; %bb.1022:
	s_wait_loadcnt 0x0
	global_load_i8 v3, v[0:1], off
	s_branch .LBB62_1024
.LBB62_1023:
	s_mov_b32 s0, -1
                                        ; implicit-def: $vgpr3
.LBB62_1024:
	s_delay_alu instid0(SALU_CYCLE_1)
	s_and_not1_b32 vcc_lo, exec_lo, s0
	s_cbranch_vccnz .LBB62_1026
; %bb.1025:
	s_wait_loadcnt 0x0
	global_load_u8 v3, v[0:1], off
.LBB62_1026:
	s_mov_b32 s28, -1
.LBB62_1027:
	s_delay_alu instid0(SALU_CYCLE_1)
	s_and_not1_b32 vcc_lo, exec_lo, s28
	s_cbranch_vccnz .LBB62_1041
; %bb.1028:
	s_wait_loadcnt 0x0
	s_delay_alu instid0(VALU_DEP_1) | instskip(SKIP_2) | instid1(VALU_DEP_1)
	v_dual_sub_nc_u32 v0, 0, v3 :: v_dual_sub_nc_u32 v1, 0, v2
	s_mov_b32 s27, 0
	s_mov_b32 s0, exec_lo
	v_max_i32_e32 v4, v3, v0
	v_cmpx_ne_u32_e32 0, v2
	s_cbranch_execz .LBB62_1032
; %bb.1029:
	v_max_i32_e32 v5, v2, v1
.LBB62_1030:                            ; =>This Inner Loop Header: Depth=1
	s_delay_alu instid0(VALU_DEP_1) | instskip(NEXT) | instid1(VALU_DEP_1)
	v_mov_b32_e32 v0, v5
	v_cvt_f32_u32_e32 v5, v0
	s_delay_alu instid0(VALU_DEP_1) | instskip(SKIP_1) | instid1(TRANS32_DEP_1)
	v_rcp_iflag_f32_e32 v5, v5
	v_nop
	v_dual_mul_f32 v5, 0x4f7ffffe, v5 :: v_dual_sub_nc_u32 v6, 0, v0
	s_delay_alu instid0(VALU_DEP_1) | instskip(NEXT) | instid1(VALU_DEP_1)
	v_cvt_u32_f32_e32 v5, v5
	v_mul_lo_u32 v6, v6, v5
	s_delay_alu instid0(VALU_DEP_1) | instskip(NEXT) | instid1(VALU_DEP_1)
	v_mul_hi_u32 v6, v5, v6
	v_add_nc_u32_e32 v5, v5, v6
	s_delay_alu instid0(VALU_DEP_1) | instskip(NEXT) | instid1(VALU_DEP_1)
	v_mul_hi_u32 v5, v4, v5
	v_mul_lo_u32 v5, v5, v0
	s_delay_alu instid0(VALU_DEP_1) | instskip(NEXT) | instid1(VALU_DEP_1)
	v_sub_nc_u32_e32 v4, v4, v5
	v_sub_nc_u32_e32 v5, v4, v0
	v_cmp_ge_u32_e32 vcc_lo, v4, v0
	s_delay_alu instid0(VALU_DEP_2) | instskip(NEXT) | instid1(VALU_DEP_1)
	v_cndmask_b32_e32 v4, v4, v5, vcc_lo
	v_sub_nc_u32_e32 v5, v4, v0
	v_cmp_ge_u32_e32 vcc_lo, v4, v0
	s_delay_alu instid0(VALU_DEP_2) | instskip(SKIP_1) | instid1(VALU_DEP_2)
	v_cndmask_b32_e32 v5, v4, v5, vcc_lo
	v_mov_b32_e32 v4, v0
	v_cmp_eq_u32_e32 vcc_lo, 0, v5
	s_or_b32 s27, vcc_lo, s27
	s_delay_alu instid0(SALU_CYCLE_1)
	s_and_not1_b32 exec_lo, exec_lo, s27
	s_cbranch_execnz .LBB62_1030
; %bb.1031:
	s_or_b32 exec_lo, exec_lo, s27
	v_mov_b32_e32 v4, v0
.LBB62_1032:
	s_or_b32 exec_lo, exec_lo, s0
	v_mov_b32_e32 v0, 0
	s_mov_b32 s0, exec_lo
	s_delay_alu instid0(VALU_DEP_2)
	v_cmpx_ne_u32_e32 0, v4
	s_cbranch_execz .LBB62_1034
; %bb.1033:
	v_dual_sub_nc_u32 v0, 0, v4 :: v_dual_max_i32 v1, v2, v1
	v_xor_b32_e32 v2, v2, v4
	s_delay_alu instid0(VALU_DEP_1) | instskip(NEXT) | instid1(VALU_DEP_1)
	v_dual_ashrrev_i32 v2, 31, v2 :: v_dual_max_i32 v0, v4, v0
	v_cvt_f32_u32_e32 v5, v0
	v_sub_nc_u32_e32 v6, 0, v0
	s_delay_alu instid0(VALU_DEP_2) | instskip(SKIP_1) | instid1(TRANS32_DEP_1)
	v_rcp_iflag_f32_e32 v5, v5
	v_nop
	v_mul_f32_e32 v5, 0x4f7ffffe, v5
	s_delay_alu instid0(VALU_DEP_1) | instskip(NEXT) | instid1(VALU_DEP_1)
	v_cvt_u32_f32_e32 v5, v5
	v_mul_lo_u32 v6, v6, v5
	s_delay_alu instid0(VALU_DEP_1) | instskip(NEXT) | instid1(VALU_DEP_1)
	v_mul_hi_u32 v6, v5, v6
	v_add_nc_u32_e32 v5, v5, v6
	s_delay_alu instid0(VALU_DEP_1) | instskip(NEXT) | instid1(VALU_DEP_1)
	v_mul_hi_u32 v5, v1, v5
	v_mul_lo_u32 v6, v5, v0
	s_delay_alu instid0(VALU_DEP_1) | instskip(NEXT) | instid1(VALU_DEP_1)
	v_dual_sub_nc_u32 v1, v1, v6 :: v_dual_add_nc_u32 v6, 1, v5
	v_cmp_ge_u32_e32 vcc_lo, v1, v0
	s_delay_alu instid0(VALU_DEP_2) | instskip(NEXT) | instid1(VALU_DEP_1)
	v_cndmask_b32_e32 v5, v5, v6, vcc_lo
	v_dual_sub_nc_u32 v7, v1, v0 :: v_dual_add_nc_u32 v4, 1, v5
	s_delay_alu instid0(VALU_DEP_1) | instskip(NEXT) | instid1(VALU_DEP_1)
	v_cndmask_b32_e32 v1, v1, v7, vcc_lo
	v_cmp_ge_u32_e32 vcc_lo, v1, v0
	s_delay_alu instid0(VALU_DEP_3) | instskip(NEXT) | instid1(VALU_DEP_1)
	v_cndmask_b32_e32 v0, v5, v4, vcc_lo
	v_xor_b32_e32 v0, v0, v2
	s_delay_alu instid0(VALU_DEP_1) | instskip(NEXT) | instid1(VALU_DEP_1)
	v_sub_nc_u32_e32 v0, v0, v2
	v_mul_lo_u32 v0, v0, v3
	s_delay_alu instid0(VALU_DEP_1) | instskip(NEXT) | instid1(VALU_DEP_1)
	v_sub_nc_u32_e32 v1, 0, v0
	v_max_i32_e32 v0, v0, v1
.LBB62_1034:
	s_or_b32 exec_lo, exec_lo, s0
	v_mul_lo_u32 v2, v10, s8
	s_and_b32 s27, s11, 0xff
	s_delay_alu instid0(SALU_CYCLE_1) | instskip(NEXT) | instid1(VALU_DEP_1)
	s_cmp_lt_i32 s27, 11
	v_ashrrev_i32_e32 v3, 31, v2
	s_delay_alu instid0(VALU_DEP_1)
	v_add_nc_u64_e32 v[2:3], s[4:5], v[2:3]
	s_cbranch_scc1 .LBB62_1042
; %bb.1035:
	s_and_b32 s28, 0xffff, s27
	s_delay_alu instid0(SALU_CYCLE_1)
	s_cmp_gt_i32 s28, 25
	s_cbranch_scc0 .LBB62_1043
; %bb.1036:
	s_cmp_gt_i32 s28, 28
	s_cbranch_scc0 .LBB62_1044
; %bb.1037:
	;; [unrolled: 3-line block ×4, first 2 shown]
	s_mov_b32 s30, 0
	s_mov_b32 s0, -1
	s_cmp_eq_u32 s28, 46
	s_mov_b32 s29, 0
	s_cbranch_scc0 .LBB62_1047
; %bb.1040:
	v_cvt_f32_u32_e32 v1, v0
	s_mov_b32 s29, -1
	s_mov_b32 s0, 0
	s_delay_alu instid0(VALU_DEP_1) | instskip(NEXT) | instid1(VALU_DEP_1)
	v_bfe_u32 v4, v1, 16, 1
	v_add3_u32 v1, v1, v4, 0x7fff
	s_delay_alu instid0(VALU_DEP_1)
	v_lshrrev_b32_e32 v1, 16, v1
	global_store_b32 v[2:3], v1, off
	s_branch .LBB62_1047
.LBB62_1041:
	s_mov_b32 s28, 0
	s_mov_b32 s0, s21
	s_branch .LBB62_1158
.LBB62_1042:
	s_mov_b32 s28, -1
	s_mov_b32 s29, 0
	s_mov_b32 s0, s21
	s_branch .LBB62_1116
.LBB62_1043:
	s_mov_b32 s30, -1
	s_mov_b32 s29, 0
	s_mov_b32 s0, s21
	s_branch .LBB62_1074
.LBB62_1044:
	s_mov_b32 s30, -1
	s_mov_b32 s29, 0
	s_mov_b32 s0, s21
	s_branch .LBB62_1057
.LBB62_1045:
	s_mov_b32 s30, -1
	s_mov_b32 s29, 0
	s_mov_b32 s0, s21
	s_branch .LBB62_1053
.LBB62_1046:
	s_mov_b32 s30, -1
	s_mov_b32 s29, 0
	s_mov_b32 s0, s21
.LBB62_1047:
	s_and_b32 vcc_lo, exec_lo, s30
	s_cbranch_vccz .LBB62_1052
; %bb.1048:
	s_cmp_eq_u32 s28, 44
	s_mov_b32 s0, -1
	s_cbranch_scc0 .LBB62_1052
; %bb.1049:
	v_cvt_f32_u32_e32 v5, v0
	s_mov_b32 s29, exec_lo
	s_wait_xcnt 0x0
	s_delay_alu instid0(VALU_DEP_1) | instskip(NEXT) | instid1(VALU_DEP_1)
	v_dual_mov_b32 v4, 0xff :: v_dual_lshrrev_b32 v1, 23, v5
	v_cmpx_ne_u32_e32 0xff, v1
; %bb.1050:
	v_and_b32_e32 v4, 0x400000, v5
	v_and_or_b32 v5, 0x3fffff, v5, v1
	s_delay_alu instid0(VALU_DEP_2) | instskip(NEXT) | instid1(VALU_DEP_2)
	v_cmp_ne_u32_e32 vcc_lo, 0, v4
	v_cmp_ne_u32_e64 s0, 0, v5
	s_and_b32 s0, vcc_lo, s0
	s_delay_alu instid0(SALU_CYCLE_1) | instskip(NEXT) | instid1(VALU_DEP_1)
	v_cndmask_b32_e64 v4, 0, 1, s0
	v_add_nc_u32_e32 v4, v1, v4
; %bb.1051:
	s_or_b32 exec_lo, exec_lo, s29
	s_mov_b32 s29, -1
	s_mov_b32 s0, 0
	global_store_b8 v[2:3], v4, off
.LBB62_1052:
	s_mov_b32 s30, 0
.LBB62_1053:
	s_delay_alu instid0(SALU_CYCLE_1)
	s_and_b32 vcc_lo, exec_lo, s30
	s_cbranch_vccz .LBB62_1056
; %bb.1054:
	s_cmp_eq_u32 s28, 29
	s_mov_b32 s0, -1
	s_cbranch_scc0 .LBB62_1056
; %bb.1055:
	s_wait_xcnt 0x0
	v_mov_b32_e32 v1, 0
	s_mov_b32 s29, -1
	s_mov_b32 s0, 0
	s_mov_b32 s30, 0
	global_store_b64 v[2:3], v[0:1], off
	s_branch .LBB62_1057
.LBB62_1056:
	s_mov_b32 s30, 0
.LBB62_1057:
	s_delay_alu instid0(SALU_CYCLE_1)
	s_and_b32 vcc_lo, exec_lo, s30
	s_cbranch_vccz .LBB62_1073
; %bb.1058:
	s_cmp_lt_i32 s28, 27
	s_mov_b32 s29, -1
	s_cbranch_scc1 .LBB62_1064
; %bb.1059:
	s_cmp_gt_i32 s28, 27
	s_cbranch_scc0 .LBB62_1061
; %bb.1060:
	s_mov_b32 s29, 0
	global_store_b32 v[2:3], v0, off
.LBB62_1061:
	s_and_not1_b32 vcc_lo, exec_lo, s29
	s_cbranch_vccnz .LBB62_1063
; %bb.1062:
	global_store_b16 v[2:3], v0, off
.LBB62_1063:
	s_mov_b32 s29, 0
.LBB62_1064:
	s_delay_alu instid0(SALU_CYCLE_1)
	s_and_not1_b32 vcc_lo, exec_lo, s29
	s_cbranch_vccnz .LBB62_1072
; %bb.1065:
	s_wait_xcnt 0x0
	v_cvt_f32_u32_e32 v4, v0
	v_mov_b32_e32 v5, 0x80
	s_mov_b32 s29, exec_lo
	s_delay_alu instid0(VALU_DEP_2)
	v_cmpx_gt_u32_e32 0x43800000, v4
	s_cbranch_execz .LBB62_1071
; %bb.1066:
	s_mov_b32 s30, 0
	s_mov_b32 s31, exec_lo
                                        ; implicit-def: $vgpr1
	v_cmpx_lt_u32_e32 0x3bffffff, v4
	s_xor_b32 s31, exec_lo, s31
	s_cbranch_execz .LBB62_1174
; %bb.1067:
	v_bfe_u32 v1, v4, 20, 1
	s_mov_b32 s30, exec_lo
	s_delay_alu instid0(VALU_DEP_1) | instskip(NEXT) | instid1(VALU_DEP_1)
	v_add3_u32 v1, v4, v1, 0x487ffff
                                        ; implicit-def: $vgpr4
	v_lshrrev_b32_e32 v1, 20, v1
	s_and_not1_saveexec_b32 s31, s31
	s_cbranch_execnz .LBB62_1175
.LBB62_1068:
	s_or_b32 exec_lo, exec_lo, s31
	v_mov_b32_e32 v5, 0
	s_and_saveexec_b32 s31, s30
.LBB62_1069:
	v_mov_b32_e32 v5, v1
.LBB62_1070:
	s_or_b32 exec_lo, exec_lo, s31
.LBB62_1071:
	s_delay_alu instid0(SALU_CYCLE_1)
	s_or_b32 exec_lo, exec_lo, s29
	global_store_b8 v[2:3], v5, off
.LBB62_1072:
	s_mov_b32 s29, -1
.LBB62_1073:
	s_mov_b32 s30, 0
.LBB62_1074:
	s_delay_alu instid0(SALU_CYCLE_1)
	s_and_b32 vcc_lo, exec_lo, s30
	s_cbranch_vccz .LBB62_1115
; %bb.1075:
	s_cmp_gt_i32 s28, 22
	s_mov_b32 s30, -1
	s_cbranch_scc0 .LBB62_1107
; %bb.1076:
	s_cmp_lt_i32 s28, 24
	s_mov_b32 s29, -1
	s_cbranch_scc1 .LBB62_1096
; %bb.1077:
	s_cmp_gt_i32 s28, 24
	s_cbranch_scc0 .LBB62_1085
; %bb.1078:
	s_wait_xcnt 0x0
	v_cvt_f32_u32_e32 v4, v0
	v_mov_b32_e32 v5, 0x80
	s_mov_b32 s29, exec_lo
	s_delay_alu instid0(VALU_DEP_2)
	v_cmpx_gt_u32_e32 0x47800000, v4
	s_cbranch_execz .LBB62_1084
; %bb.1079:
	s_mov_b32 s30, 0
	s_mov_b32 s31, exec_lo
                                        ; implicit-def: $vgpr1
	v_cmpx_lt_u32_e32 0x37ffffff, v4
	s_xor_b32 s31, exec_lo, s31
	s_cbranch_execz .LBB62_2191
; %bb.1080:
	v_bfe_u32 v1, v4, 21, 1
	s_mov_b32 s30, exec_lo
	s_delay_alu instid0(VALU_DEP_1) | instskip(NEXT) | instid1(VALU_DEP_1)
	v_add3_u32 v1, v4, v1, 0x88fffff
                                        ; implicit-def: $vgpr4
	v_lshrrev_b32_e32 v1, 21, v1
	s_and_not1_saveexec_b32 s31, s31
	s_cbranch_execnz .LBB62_2192
.LBB62_1081:
	s_or_b32 exec_lo, exec_lo, s31
	v_mov_b32_e32 v5, 0
	s_and_saveexec_b32 s31, s30
.LBB62_1082:
	v_mov_b32_e32 v5, v1
.LBB62_1083:
	s_or_b32 exec_lo, exec_lo, s31
.LBB62_1084:
	s_delay_alu instid0(SALU_CYCLE_1)
	s_or_b32 exec_lo, exec_lo, s29
	s_mov_b32 s29, 0
	global_store_b8 v[2:3], v5, off
.LBB62_1085:
	s_and_b32 vcc_lo, exec_lo, s29
	s_cbranch_vccz .LBB62_1095
; %bb.1086:
	s_wait_xcnt 0x0
	v_cvt_f32_u32_e32 v4, v0
	s_mov_b32 s29, exec_lo
                                        ; implicit-def: $vgpr1
	s_delay_alu instid0(VALU_DEP_1)
	v_cmpx_gt_u32_e32 0x43f00000, v4
	s_xor_b32 s29, exec_lo, s29
	s_cbranch_execz .LBB62_1092
; %bb.1087:
	s_mov_b32 s30, exec_lo
                                        ; implicit-def: $vgpr1
	v_cmpx_lt_u32_e32 0x3c7fffff, v4
	s_xor_b32 s30, exec_lo, s30
; %bb.1088:
	v_bfe_u32 v1, v4, 20, 1
	s_delay_alu instid0(VALU_DEP_1) | instskip(NEXT) | instid1(VALU_DEP_1)
	v_add3_u32 v1, v4, v1, 0x407ffff
	v_and_b32_e32 v4, 0xff00000, v1
	v_lshrrev_b32_e32 v1, 20, v1
	s_delay_alu instid0(VALU_DEP_2) | instskip(NEXT) | instid1(VALU_DEP_2)
	v_cmp_ne_u32_e32 vcc_lo, 0x7f00000, v4
                                        ; implicit-def: $vgpr4
	v_cndmask_b32_e32 v1, 0x7e, v1, vcc_lo
; %bb.1089:
	s_and_not1_saveexec_b32 s30, s30
; %bb.1090:
	v_add_f32_e32 v1, 0x46800000, v4
; %bb.1091:
	s_or_b32 exec_lo, exec_lo, s30
                                        ; implicit-def: $vgpr4
.LBB62_1092:
	s_and_not1_saveexec_b32 s29, s29
; %bb.1093:
	v_mov_b32_e32 v1, 0x7f
	v_cmp_lt_u32_e32 vcc_lo, 0x7f800000, v4
	s_delay_alu instid0(VALU_DEP_2)
	v_cndmask_b32_e32 v1, 0x7e, v1, vcc_lo
; %bb.1094:
	s_or_b32 exec_lo, exec_lo, s29
	global_store_b8 v[2:3], v1, off
.LBB62_1095:
	s_mov_b32 s29, 0
.LBB62_1096:
	s_delay_alu instid0(SALU_CYCLE_1)
	s_and_not1_b32 vcc_lo, exec_lo, s29
	s_cbranch_vccnz .LBB62_1106
; %bb.1097:
	s_wait_xcnt 0x0
	v_cvt_f32_u32_e32 v4, v0
	s_mov_b32 s29, exec_lo
                                        ; implicit-def: $vgpr1
	s_delay_alu instid0(VALU_DEP_1)
	v_cmpx_gt_u32_e32 0x47800000, v4
	s_xor_b32 s29, exec_lo, s29
	s_cbranch_execz .LBB62_1103
; %bb.1098:
	s_mov_b32 s30, exec_lo
                                        ; implicit-def: $vgpr1
	v_cmpx_lt_u32_e32 0x387fffff, v4
	s_xor_b32 s30, exec_lo, s30
; %bb.1099:
	v_bfe_u32 v1, v4, 21, 1
	s_delay_alu instid0(VALU_DEP_1) | instskip(NEXT) | instid1(VALU_DEP_1)
	v_add3_u32 v1, v4, v1, 0x80fffff
                                        ; implicit-def: $vgpr4
	v_lshrrev_b32_e32 v1, 21, v1
; %bb.1100:
	s_and_not1_saveexec_b32 s30, s30
; %bb.1101:
	v_add_f32_e32 v1, 0x43000000, v4
; %bb.1102:
	s_or_b32 exec_lo, exec_lo, s30
                                        ; implicit-def: $vgpr4
.LBB62_1103:
	s_and_not1_saveexec_b32 s29, s29
; %bb.1104:
	v_mov_b32_e32 v1, 0x7f
	v_cmp_lt_u32_e32 vcc_lo, 0x7f800000, v4
	s_delay_alu instid0(VALU_DEP_2)
	v_cndmask_b32_e32 v1, 0x7c, v1, vcc_lo
; %bb.1105:
	s_or_b32 exec_lo, exec_lo, s29
	global_store_b8 v[2:3], v1, off
.LBB62_1106:
	s_mov_b32 s30, 0
	s_mov_b32 s29, -1
.LBB62_1107:
	s_and_not1_b32 vcc_lo, exec_lo, s30
	s_cbranch_vccnz .LBB62_1115
; %bb.1108:
	s_cmp_gt_i32 s28, 14
	s_mov_b32 s30, -1
	s_cbranch_scc0 .LBB62_1112
; %bb.1109:
	s_cmp_eq_u32 s28, 15
	s_mov_b32 s0, -1
	s_cbranch_scc0 .LBB62_1111
; %bb.1110:
	s_wait_xcnt 0x0
	v_cvt_f32_u32_e32 v1, v0
	s_mov_b32 s29, -1
	s_mov_b32 s0, 0
	s_delay_alu instid0(VALU_DEP_1) | instskip(NEXT) | instid1(VALU_DEP_1)
	v_bfe_u32 v4, v1, 16, 1
	v_add3_u32 v1, v1, v4, 0x7fff
	global_store_d16_hi_b16 v[2:3], v1, off
.LBB62_1111:
	s_mov_b32 s30, 0
.LBB62_1112:
	s_delay_alu instid0(SALU_CYCLE_1)
	s_and_b32 vcc_lo, exec_lo, s30
	s_cbranch_vccz .LBB62_1115
; %bb.1113:
	s_cmp_eq_u32 s28, 11
	s_mov_b32 s0, -1
	s_cbranch_scc0 .LBB62_1115
; %bb.1114:
	v_cmp_ne_u32_e32 vcc_lo, 0, v0
	s_mov_b32 s0, 0
	s_mov_b32 s29, -1
	s_wait_xcnt 0x0
	v_cndmask_b32_e64 v1, 0, 1, vcc_lo
	global_store_b8 v[2:3], v1, off
.LBB62_1115:
	s_mov_b32 s28, 0
.LBB62_1116:
	s_delay_alu instid0(SALU_CYCLE_1)
	s_and_b32 vcc_lo, exec_lo, s28
	s_cbranch_vccz .LBB62_1155
; %bb.1117:
	s_and_b32 s27, 0xffff, s27
	s_mov_b32 s28, -1
	s_cmp_lt_i32 s27, 5
	s_cbranch_scc1 .LBB62_1138
; %bb.1118:
	s_cmp_lt_i32 s27, 8
	s_cbranch_scc1 .LBB62_1128
; %bb.1119:
	;; [unrolled: 3-line block ×3, first 2 shown]
	s_cmp_gt_i32 s27, 9
	s_cbranch_scc0 .LBB62_1122
; %bb.1121:
	s_wait_xcnt 0x0
	v_cvt_f64_u32_e32 v[4:5], v0
	v_mov_b32_e32 v6, 0
	s_mov_b32 s28, 0
	s_delay_alu instid0(VALU_DEP_1)
	v_mov_b32_e32 v7, v6
	global_store_b128 v[2:3], v[4:7], off
.LBB62_1122:
	s_and_not1_b32 vcc_lo, exec_lo, s28
	s_cbranch_vccnz .LBB62_1124
; %bb.1123:
	s_wait_xcnt 0x0
	v_cvt_f32_u32_e32 v4, v0
	v_mov_b32_e32 v5, 0
	global_store_b64 v[2:3], v[4:5], off
.LBB62_1124:
	s_mov_b32 s28, 0
.LBB62_1125:
	s_delay_alu instid0(SALU_CYCLE_1)
	s_and_not1_b32 vcc_lo, exec_lo, s28
	s_cbranch_vccnz .LBB62_1127
; %bb.1126:
	s_wait_xcnt 0x0
	v_cvt_f32_u32_e32 v1, v0
	s_delay_alu instid0(VALU_DEP_1) | instskip(NEXT) | instid1(VALU_DEP_1)
	v_cvt_f16_f32_e32 v1, v1
	v_and_b32_e32 v1, 0xffff, v1
	global_store_b32 v[2:3], v1, off
.LBB62_1127:
	s_mov_b32 s28, 0
.LBB62_1128:
	s_delay_alu instid0(SALU_CYCLE_1)
	s_and_not1_b32 vcc_lo, exec_lo, s28
	s_cbranch_vccnz .LBB62_1137
; %bb.1129:
	s_cmp_lt_i32 s27, 6
	s_mov_b32 s28, -1
	s_cbranch_scc1 .LBB62_1135
; %bb.1130:
	s_cmp_gt_i32 s27, 6
	s_cbranch_scc0 .LBB62_1132
; %bb.1131:
	s_wait_xcnt 0x0
	v_cvt_f64_u32_e32 v[4:5], v0
	s_mov_b32 s28, 0
	global_store_b64 v[2:3], v[4:5], off
.LBB62_1132:
	s_and_not1_b32 vcc_lo, exec_lo, s28
	s_cbranch_vccnz .LBB62_1134
; %bb.1133:
	s_wait_xcnt 0x0
	v_cvt_f32_u32_e32 v1, v0
	global_store_b32 v[2:3], v1, off
.LBB62_1134:
	s_mov_b32 s28, 0
.LBB62_1135:
	s_delay_alu instid0(SALU_CYCLE_1)
	s_and_not1_b32 vcc_lo, exec_lo, s28
	s_cbranch_vccnz .LBB62_1137
; %bb.1136:
	s_wait_xcnt 0x0
	v_cvt_f32_u32_e32 v1, v0
	s_delay_alu instid0(VALU_DEP_1)
	v_cvt_f16_f32_e32 v1, v1
	global_store_b16 v[2:3], v1, off
.LBB62_1137:
	s_mov_b32 s28, 0
.LBB62_1138:
	s_delay_alu instid0(SALU_CYCLE_1)
	s_and_not1_b32 vcc_lo, exec_lo, s28
	s_cbranch_vccnz .LBB62_1154
; %bb.1139:
	s_cmp_lt_i32 s27, 2
	s_mov_b32 s28, -1
	s_cbranch_scc1 .LBB62_1149
; %bb.1140:
	s_cmp_lt_i32 s27, 3
	s_cbranch_scc1 .LBB62_1146
; %bb.1141:
	s_cmp_gt_i32 s27, 3
	s_cbranch_scc0 .LBB62_1143
; %bb.1142:
	s_wait_xcnt 0x0
	v_mov_b32_e32 v1, 0
	s_mov_b32 s28, 0
	global_store_b64 v[2:3], v[0:1], off
.LBB62_1143:
	s_and_not1_b32 vcc_lo, exec_lo, s28
	s_cbranch_vccnz .LBB62_1145
; %bb.1144:
	global_store_b32 v[2:3], v0, off
.LBB62_1145:
	s_mov_b32 s28, 0
.LBB62_1146:
	s_delay_alu instid0(SALU_CYCLE_1)
	s_and_not1_b32 vcc_lo, exec_lo, s28
	s_cbranch_vccnz .LBB62_1148
; %bb.1147:
	global_store_b16 v[2:3], v0, off
.LBB62_1148:
	s_mov_b32 s28, 0
.LBB62_1149:
	s_delay_alu instid0(SALU_CYCLE_1)
	s_and_not1_b32 vcc_lo, exec_lo, s28
	s_cbranch_vccnz .LBB62_1154
; %bb.1150:
	s_cmp_gt_i32 s27, 0
	s_mov_b32 s27, -1
	s_cbranch_scc0 .LBB62_1152
; %bb.1151:
	s_mov_b32 s27, 0
	global_store_b8 v[2:3], v0, off
.LBB62_1152:
	s_and_not1_b32 vcc_lo, exec_lo, s27
	s_cbranch_vccnz .LBB62_1154
; %bb.1153:
	global_store_b8 v[2:3], v0, off
.LBB62_1154:
	s_mov_b32 s29, -1
.LBB62_1155:
	s_delay_alu instid0(SALU_CYCLE_1)
	s_and_not1_b32 vcc_lo, exec_lo, s29
	s_cbranch_vccnz .LBB62_1157
; %bb.1156:
	v_add_nc_u32_e32 v10, 0x80, v10
	s_mov_b32 s28, -1
	s_branch .LBB62_1159
.LBB62_1157:
	s_mov_b32 s28, 0
.LBB62_1158:
                                        ; implicit-def: $vgpr10
.LBB62_1159:
	s_and_not1_b32 s27, s21, exec_lo
	s_and_b32 s0, s0, exec_lo
	s_and_b32 s26, s26, exec_lo
	s_or_b32 s27, s27, s0
	s_and_not1_b32 s0, s22, exec_lo
	s_and_not1_b32 s29, s20, exec_lo
	s_and_b32 s25, s25, exec_lo
	s_or_b32 s26, s0, s26
	s_or_b32 s25, s29, s25
	s_or_not1_b32 s31, s28, exec_lo
.LBB62_1160:
	s_wait_xcnt 0x0
	s_or_b32 exec_lo, exec_lo, s24
	s_mov_b32 s28, 0
	s_mov_b32 s29, 0
	;; [unrolled: 1-line block ×3, first 2 shown]
                                        ; implicit-def: $sgpr0
                                        ; implicit-def: $vgpr0_vgpr1
                                        ; implicit-def: $vgpr4
	s_and_saveexec_b32 s24, s31
	s_cbranch_execz .LBB62_1239
; %bb.1161:
	v_cmp_gt_i32_e32 vcc_lo, s16, v10
	s_mov_b32 s31, s25
	s_mov_b32 s33, 0
                                        ; implicit-def: $sgpr0
                                        ; implicit-def: $vgpr0_vgpr1
                                        ; implicit-def: $vgpr4
	s_and_saveexec_b32 s16, vcc_lo
	s_cbranch_execz .LBB62_1238
; %bb.1162:
	v_mul_lo_u32 v0, v10, s9
	s_and_b32 s0, s13, 0xff
	s_delay_alu instid0(SALU_CYCLE_1) | instskip(NEXT) | instid1(VALU_DEP_1)
	s_cmp_lt_i32 s0, 11
	v_ashrrev_i32_e32 v1, 31, v0
	s_delay_alu instid0(VALU_DEP_1)
	v_add_nc_u64_e32 v[0:1], s[6:7], v[0:1]
	s_cbranch_scc1 .LBB62_1169
; %bb.1163:
	s_and_b32 s29, 0xffff, s0
	s_delay_alu instid0(SALU_CYCLE_1)
	s_cmp_gt_i32 s29, 25
	s_cbranch_scc0 .LBB62_1170
; %bb.1164:
	s_cmp_gt_i32 s29, 28
	s_cbranch_scc0 .LBB62_1171
; %bb.1165:
	;; [unrolled: 3-line block ×4, first 2 shown]
	s_cmp_eq_u32 s29, 46
	s_cbranch_scc0 .LBB62_1176
; %bb.1168:
	s_wait_loadcnt 0x0
	global_load_b32 v2, v[0:1], off
	s_mov_b32 s31, -1
	s_wait_loadcnt 0x0
	v_lshlrev_b32_e32 v2, 16, v2
	s_delay_alu instid0(VALU_DEP_1)
	v_cvt_i32_f32_e32 v4, v2
	s_branch .LBB62_1178
.LBB62_1169:
	s_mov_b32 s29, -1
	s_mov_b32 s31, 0
	s_mov_b32 s28, s25
                                        ; implicit-def: $vgpr4
	s_branch .LBB62_1237
.LBB62_1170:
	s_mov_b32 s33, -1
	s_mov_b32 s31, 0
	s_mov_b32 s28, s25
                                        ; implicit-def: $vgpr4
	s_branch .LBB62_1205
.LBB62_1171:
	s_mov_b32 s33, -1
	s_mov_b32 s31, 0
	s_mov_b32 s28, s25
                                        ; implicit-def: $vgpr4
	s_branch .LBB62_1188
.LBB62_1172:
	s_mov_b32 s33, -1
	s_mov_b32 s31, 0
	s_mov_b32 s28, s25
                                        ; implicit-def: $vgpr4
	s_branch .LBB62_1183
.LBB62_1173:
	s_mov_b32 s33, -1
	s_mov_b32 s31, 0
	s_mov_b32 s28, s25
	s_branch .LBB62_1177
.LBB62_1174:
	s_and_not1_saveexec_b32 s31, s31
	s_cbranch_execz .LBB62_1068
.LBB62_1175:
	v_add_f32_e32 v1, 0x46000000, v4
	s_and_not1_b32 s30, s30, exec_lo
	s_delay_alu instid0(VALU_DEP_1) | instskip(NEXT) | instid1(VALU_DEP_1)
	v_and_b32_e32 v1, 0xff, v1
	v_cmp_ne_u32_e32 vcc_lo, 0, v1
	s_and_b32 s33, vcc_lo, exec_lo
	s_delay_alu instid0(SALU_CYCLE_1)
	s_or_b32 s30, s30, s33
	s_or_b32 exec_lo, exec_lo, s31
	v_mov_b32_e32 v5, 0
	s_and_saveexec_b32 s31, s30
	s_cbranch_execnz .LBB62_1069
	s_branch .LBB62_1070
.LBB62_1176:
	s_mov_b32 s28, -1
	s_mov_b32 s31, 0
.LBB62_1177:
                                        ; implicit-def: $vgpr4
.LBB62_1178:
	s_and_b32 vcc_lo, exec_lo, s33
	s_cbranch_vccz .LBB62_1182
; %bb.1179:
	s_cmp_eq_u32 s29, 44
	s_cbranch_scc0 .LBB62_1181
; %bb.1180:
	s_wait_loadcnt 0x0
	global_load_u8 v2, v[0:1], off
	s_mov_b32 s28, 0
	s_mov_b32 s31, -1
	s_wait_loadcnt 0x0
	v_lshlrev_b32_e32 v3, 23, v2
	v_cmp_ne_u32_e32 vcc_lo, 0, v2
	s_delay_alu instid0(VALU_DEP_2) | instskip(NEXT) | instid1(VALU_DEP_1)
	v_cvt_i32_f32_e32 v3, v3
	v_cndmask_b32_e32 v4, 0, v3, vcc_lo
	s_branch .LBB62_1182
.LBB62_1181:
	s_mov_b32 s28, -1
                                        ; implicit-def: $vgpr4
.LBB62_1182:
	s_mov_b32 s33, 0
.LBB62_1183:
	s_delay_alu instid0(SALU_CYCLE_1)
	s_and_b32 vcc_lo, exec_lo, s33
	s_cbranch_vccz .LBB62_1187
; %bb.1184:
	s_cmp_eq_u32 s29, 29
	s_cbranch_scc0 .LBB62_1186
; %bb.1185:
	global_load_b32 v4, v[0:1], off
	s_mov_b32 s28, 0
	s_mov_b32 s31, -1
	s_branch .LBB62_1187
.LBB62_1186:
	s_mov_b32 s28, -1
                                        ; implicit-def: $vgpr4
.LBB62_1187:
	s_mov_b32 s33, 0
.LBB62_1188:
	s_delay_alu instid0(SALU_CYCLE_1)
	s_and_b32 vcc_lo, exec_lo, s33
	s_cbranch_vccz .LBB62_1204
; %bb.1189:
	s_cmp_lt_i32 s29, 27
	s_cbranch_scc1 .LBB62_1192
; %bb.1190:
	s_cmp_gt_i32 s29, 27
	s_cbranch_scc0 .LBB62_1193
; %bb.1191:
	s_wait_loadcnt 0x0
	global_load_b32 v4, v[0:1], off
	s_mov_b32 s31, 0
	s_branch .LBB62_1194
.LBB62_1192:
	s_mov_b32 s31, -1
                                        ; implicit-def: $vgpr4
	s_branch .LBB62_1197
.LBB62_1193:
	s_mov_b32 s31, -1
                                        ; implicit-def: $vgpr4
.LBB62_1194:
	s_delay_alu instid0(SALU_CYCLE_1)
	s_and_not1_b32 vcc_lo, exec_lo, s31
	s_cbranch_vccnz .LBB62_1196
; %bb.1195:
	s_wait_loadcnt 0x0
	global_load_u16 v4, v[0:1], off
.LBB62_1196:
	s_mov_b32 s31, 0
.LBB62_1197:
	s_delay_alu instid0(SALU_CYCLE_1)
	s_and_not1_b32 vcc_lo, exec_lo, s31
	s_cbranch_vccnz .LBB62_1203
; %bb.1198:
	s_wait_loadcnt 0x0
	global_load_u8 v2, v[0:1], off
	s_mov_b32 s33, 0
	s_mov_b32 s31, exec_lo
	s_wait_loadcnt 0x0
	v_cmpx_lt_i16_e32 0x7f, v2
	s_xor_b32 s31, exec_lo, s31
	s_cbranch_execz .LBB62_1215
; %bb.1199:
	v_cmp_ne_u16_e32 vcc_lo, 0x80, v2
	s_and_b32 s33, vcc_lo, exec_lo
	s_and_not1_saveexec_b32 s31, s31
	s_cbranch_execnz .LBB62_1216
.LBB62_1200:
	s_or_b32 exec_lo, exec_lo, s31
	v_mov_b32_e32 v4, 0
	s_and_saveexec_b32 s31, s33
	s_cbranch_execz .LBB62_1202
.LBB62_1201:
	v_and_b32_e32 v3, 0xffff, v2
	s_delay_alu instid0(VALU_DEP_1) | instskip(SKIP_1) | instid1(VALU_DEP_2)
	v_and_b32_e32 v4, 7, v3
	v_bfe_u32 v7, v3, 3, 4
	v_clz_i32_u32_e32 v5, v4
	s_delay_alu instid0(VALU_DEP_2) | instskip(NEXT) | instid1(VALU_DEP_2)
	v_cmp_eq_u32_e32 vcc_lo, 0, v7
	v_min_u32_e32 v5, 32, v5
	s_delay_alu instid0(VALU_DEP_1) | instskip(NEXT) | instid1(VALU_DEP_1)
	v_subrev_nc_u32_e32 v6, 28, v5
	v_dual_lshlrev_b32 v3, v6, v3 :: v_dual_sub_nc_u32 v5, 29, v5
	s_delay_alu instid0(VALU_DEP_1) | instskip(NEXT) | instid1(VALU_DEP_1)
	v_dual_lshlrev_b32 v2, 24, v2 :: v_dual_bitop2_b32 v3, 7, v3 bitop3:0x40
	v_dual_cndmask_b32 v5, v7, v5, vcc_lo :: v_dual_cndmask_b32 v3, v4, v3, vcc_lo
	s_delay_alu instid0(VALU_DEP_2) | instskip(NEXT) | instid1(VALU_DEP_2)
	v_and_b32_e32 v2, 0x80000000, v2
	v_lshl_add_u32 v4, v5, 23, 0x3b800000
	s_delay_alu instid0(VALU_DEP_3) | instskip(NEXT) | instid1(VALU_DEP_1)
	v_lshlrev_b32_e32 v3, 20, v3
	v_or3_b32 v2, v2, v4, v3
	s_delay_alu instid0(VALU_DEP_1)
	v_cvt_i32_f32_e32 v4, v2
.LBB62_1202:
	s_or_b32 exec_lo, exec_lo, s31
.LBB62_1203:
	s_mov_b32 s31, -1
.LBB62_1204:
	s_mov_b32 s33, 0
.LBB62_1205:
	s_delay_alu instid0(SALU_CYCLE_1)
	s_and_b32 vcc_lo, exec_lo, s33
	s_cbranch_vccz .LBB62_1236
; %bb.1206:
	s_cmp_gt_i32 s29, 22
	s_cbranch_scc0 .LBB62_1214
; %bb.1207:
	s_cmp_lt_i32 s29, 24
	s_cbranch_scc1 .LBB62_1217
; %bb.1208:
	s_cmp_gt_i32 s29, 24
	s_cbranch_scc0 .LBB62_1218
; %bb.1209:
	s_wait_loadcnt 0x0
	global_load_u8 v2, v[0:1], off
	s_mov_b32 s31, 0
	s_mov_b32 s30, exec_lo
	s_wait_loadcnt 0x0
	v_cmpx_lt_i16_e32 0x7f, v2
	s_xor_b32 s30, exec_lo, s30
	s_cbranch_execz .LBB62_1230
; %bb.1210:
	v_cmp_ne_u16_e32 vcc_lo, 0x80, v2
	s_and_b32 s31, vcc_lo, exec_lo
	s_and_not1_saveexec_b32 s30, s30
	s_cbranch_execnz .LBB62_1231
.LBB62_1211:
	s_or_b32 exec_lo, exec_lo, s30
	v_mov_b32_e32 v4, 0
	s_and_saveexec_b32 s30, s31
	s_cbranch_execz .LBB62_1213
.LBB62_1212:
	v_and_b32_e32 v3, 0xffff, v2
	s_delay_alu instid0(VALU_DEP_1) | instskip(SKIP_1) | instid1(VALU_DEP_2)
	v_and_b32_e32 v4, 3, v3
	v_bfe_u32 v7, v3, 2, 5
	v_clz_i32_u32_e32 v5, v4
	s_delay_alu instid0(VALU_DEP_2) | instskip(NEXT) | instid1(VALU_DEP_2)
	v_cmp_eq_u32_e32 vcc_lo, 0, v7
	v_min_u32_e32 v5, 32, v5
	s_delay_alu instid0(VALU_DEP_1) | instskip(NEXT) | instid1(VALU_DEP_1)
	v_subrev_nc_u32_e32 v6, 29, v5
	v_dual_lshlrev_b32 v3, v6, v3 :: v_dual_sub_nc_u32 v5, 30, v5
	s_delay_alu instid0(VALU_DEP_1) | instskip(NEXT) | instid1(VALU_DEP_1)
	v_dual_lshlrev_b32 v2, 24, v2 :: v_dual_bitop2_b32 v3, 3, v3 bitop3:0x40
	v_dual_cndmask_b32 v5, v7, v5, vcc_lo :: v_dual_cndmask_b32 v3, v4, v3, vcc_lo
	s_delay_alu instid0(VALU_DEP_2) | instskip(NEXT) | instid1(VALU_DEP_2)
	v_and_b32_e32 v2, 0x80000000, v2
	v_lshl_add_u32 v4, v5, 23, 0x37800000
	s_delay_alu instid0(VALU_DEP_3) | instskip(NEXT) | instid1(VALU_DEP_1)
	v_lshlrev_b32_e32 v3, 21, v3
	v_or3_b32 v2, v2, v4, v3
	s_delay_alu instid0(VALU_DEP_1)
	v_cvt_i32_f32_e32 v4, v2
.LBB62_1213:
	s_or_b32 exec_lo, exec_lo, s30
	s_mov_b32 s30, 0
	s_branch .LBB62_1219
.LBB62_1214:
	s_mov_b32 s30, -1
                                        ; implicit-def: $vgpr4
	s_branch .LBB62_1225
.LBB62_1215:
	s_and_not1_saveexec_b32 s31, s31
	s_cbranch_execz .LBB62_1200
.LBB62_1216:
	v_cmp_ne_u16_e32 vcc_lo, 0, v2
	s_and_not1_b32 s33, s33, exec_lo
	s_and_b32 s34, vcc_lo, exec_lo
	s_delay_alu instid0(SALU_CYCLE_1)
	s_or_b32 s33, s33, s34
	s_or_b32 exec_lo, exec_lo, s31
	v_mov_b32_e32 v4, 0
	s_and_saveexec_b32 s31, s33
	s_cbranch_execnz .LBB62_1201
	s_branch .LBB62_1202
.LBB62_1217:
	s_mov_b32 s30, -1
                                        ; implicit-def: $vgpr4
	s_branch .LBB62_1222
.LBB62_1218:
	s_mov_b32 s30, -1
                                        ; implicit-def: $vgpr4
.LBB62_1219:
	s_delay_alu instid0(SALU_CYCLE_1)
	s_and_b32 vcc_lo, exec_lo, s30
	s_cbranch_vccz .LBB62_1221
; %bb.1220:
	s_wait_loadcnt 0x0
	global_load_u8 v2, v[0:1], off
	s_wait_loadcnt 0x0
	v_lshlrev_b32_e32 v2, 24, v2
	s_delay_alu instid0(VALU_DEP_1) | instskip(NEXT) | instid1(VALU_DEP_1)
	v_and_b32_e32 v3, 0x7f000000, v2
	v_clz_i32_u32_e32 v4, v3
	v_cmp_ne_u32_e32 vcc_lo, 0, v3
	v_add_nc_u32_e32 v6, 0x1000000, v3
	s_delay_alu instid0(VALU_DEP_3) | instskip(NEXT) | instid1(VALU_DEP_1)
	v_min_u32_e32 v4, 32, v4
	v_sub_nc_u32_e64 v4, v4, 4 clamp
	s_delay_alu instid0(VALU_DEP_1) | instskip(NEXT) | instid1(VALU_DEP_1)
	v_dual_lshlrev_b32 v5, v4, v3 :: v_dual_lshlrev_b32 v4, 23, v4
	v_lshrrev_b32_e32 v5, 4, v5
	s_delay_alu instid0(VALU_DEP_1) | instskip(NEXT) | instid1(VALU_DEP_1)
	v_dual_sub_nc_u32 v4, v5, v4 :: v_dual_ashrrev_i32 v5, 8, v6
	v_add_nc_u32_e32 v4, 0x3c000000, v4
	s_delay_alu instid0(VALU_DEP_1) | instskip(NEXT) | instid1(VALU_DEP_1)
	v_and_or_b32 v4, 0x7f800000, v5, v4
	v_cndmask_b32_e32 v3, 0, v4, vcc_lo
	s_delay_alu instid0(VALU_DEP_1) | instskip(NEXT) | instid1(VALU_DEP_1)
	v_and_or_b32 v2, 0x80000000, v2, v3
	v_cvt_i32_f32_e32 v4, v2
.LBB62_1221:
	s_mov_b32 s30, 0
.LBB62_1222:
	s_delay_alu instid0(SALU_CYCLE_1)
	s_and_not1_b32 vcc_lo, exec_lo, s30
	s_cbranch_vccnz .LBB62_1224
; %bb.1223:
	s_wait_loadcnt 0x0
	global_load_u8 v2, v[0:1], off
	s_wait_loadcnt 0x0
	v_lshlrev_b32_e32 v3, 25, v2
	v_lshlrev_b16 v2, 8, v2
	s_delay_alu instid0(VALU_DEP_1) | instskip(SKIP_1) | instid1(VALU_DEP_2)
	v_and_or_b32 v5, 0x7f00, v2, 0.5
	v_bfe_i32 v2, v2, 0, 16
	v_dual_add_f32 v5, -0.5, v5 :: v_dual_lshrrev_b32 v4, 4, v3
	v_cmp_gt_u32_e32 vcc_lo, 0x8000000, v3
	s_delay_alu instid0(VALU_DEP_2) | instskip(NEXT) | instid1(VALU_DEP_1)
	v_or_b32_e32 v4, 0x70000000, v4
	v_mul_f32_e32 v4, 0x7800000, v4
	s_delay_alu instid0(VALU_DEP_1) | instskip(NEXT) | instid1(VALU_DEP_1)
	v_cndmask_b32_e32 v3, v4, v5, vcc_lo
	v_and_or_b32 v2, 0x80000000, v2, v3
	s_delay_alu instid0(VALU_DEP_1)
	v_cvt_i32_f32_e32 v4, v2
.LBB62_1224:
	s_mov_b32 s30, 0
	s_mov_b32 s31, -1
.LBB62_1225:
	s_and_not1_b32 vcc_lo, exec_lo, s30
	s_mov_b32 s30, 0
	s_cbranch_vccnz .LBB62_1236
; %bb.1226:
	s_cmp_gt_i32 s29, 14
	s_cbranch_scc0 .LBB62_1229
; %bb.1227:
	s_cmp_eq_u32 s29, 15
	s_cbranch_scc0 .LBB62_1232
; %bb.1228:
	s_wait_loadcnt 0x0
	global_load_u16 v2, v[0:1], off
	s_mov_b32 s28, 0
	s_mov_b32 s31, -1
	s_wait_loadcnt 0x0
	v_lshlrev_b32_e32 v2, 16, v2
	s_delay_alu instid0(VALU_DEP_1)
	v_cvt_i32_f32_e32 v4, v2
	s_branch .LBB62_1234
.LBB62_1229:
	s_mov_b32 s30, -1
	s_branch .LBB62_1233
.LBB62_1230:
	s_and_not1_saveexec_b32 s30, s30
	s_cbranch_execz .LBB62_1211
.LBB62_1231:
	v_cmp_ne_u16_e32 vcc_lo, 0, v2
	s_and_not1_b32 s31, s31, exec_lo
	s_and_b32 s33, vcc_lo, exec_lo
	s_delay_alu instid0(SALU_CYCLE_1)
	s_or_b32 s31, s31, s33
	s_or_b32 exec_lo, exec_lo, s30
	v_mov_b32_e32 v4, 0
	s_and_saveexec_b32 s30, s31
	s_cbranch_execnz .LBB62_1212
	s_branch .LBB62_1213
.LBB62_1232:
	s_mov_b32 s28, -1
.LBB62_1233:
                                        ; implicit-def: $vgpr4
.LBB62_1234:
	s_and_b32 vcc_lo, exec_lo, s30
	s_mov_b32 s30, 0
	s_cbranch_vccz .LBB62_1236
; %bb.1235:
	s_cmp_lg_u32 s29, 11
	s_mov_b32 s30, -1
	s_cselect_b32 s29, -1, 0
	s_and_not1_b32 s28, s28, exec_lo
	s_and_b32 s29, s29, exec_lo
	s_delay_alu instid0(SALU_CYCLE_1)
	s_or_b32 s28, s28, s29
.LBB62_1236:
	s_mov_b32 s29, 0
.LBB62_1237:
	s_and_b32 s33, s31, exec_lo
	s_and_not1_b32 s31, s25, exec_lo
	s_and_b32 s34, s28, exec_lo
	s_and_b32 s29, s29, exec_lo
	s_and_b32 s28, s30, exec_lo
	s_or_b32 s31, s31, s34
.LBB62_1238:
	s_wait_xcnt 0x0
	s_or_b32 exec_lo, exec_lo, s16
	s_delay_alu instid0(SALU_CYCLE_1)
	s_and_not1_b32 s16, s25, exec_lo
	s_and_b32 s25, s31, exec_lo
	s_and_b32 s30, s33, exec_lo
	s_and_b32 s29, s29, exec_lo
	s_and_b32 s28, s28, exec_lo
	s_or_b32 s25, s16, s25
.LBB62_1239:
	s_or_b32 exec_lo, exec_lo, s24
	s_delay_alu instid0(SALU_CYCLE_1)
	s_and_not1_b32 s16, s21, exec_lo
	s_and_b32 s21, s27, exec_lo
	s_and_not1_b32 s22, s22, exec_lo
	s_and_b32 s24, s26, exec_lo
	s_or_b32 s21, s16, s21
	s_and_not1_b32 s16, s20, exec_lo
	s_and_b32 s20, s25, exec_lo
	s_or_b32 s22, s22, s24
	s_and_b32 s27, s30, exec_lo
	s_and_b32 s26, s29, exec_lo
	;; [unrolled: 1-line block ×3, first 2 shown]
	s_or_b32 s20, s16, s20
.LBB62_1240:
	s_or_b32 exec_lo, exec_lo, s23
	s_delay_alu instid0(SALU_CYCLE_1)
	s_and_not1_b32 s15, s15, exec_lo
	s_and_b32 s16, s21, exec_lo
	s_and_not1_b32 s17, s17, exec_lo
	s_and_b32 s21, s22, exec_lo
	s_or_b32 s15, s15, s16
	s_and_not1_b32 s16, s18, exec_lo
	s_and_b32 s18, s20, exec_lo
	s_or_b32 s17, s17, s21
	s_and_b32 s21, s27, exec_lo
	s_and_b32 s22, s26, exec_lo
	s_and_b32 s20, s24, exec_lo
	s_or_b32 s18, s16, s18
	s_or_b32 exec_lo, exec_lo, s19
	s_mov_b32 s16, 0
	s_and_saveexec_b32 s19, s18
	s_cbranch_execz .LBB62_390
.LBB62_1241:
	s_mov_b32 s16, exec_lo
	s_and_not1_b32 s20, s20, exec_lo
	s_trap 2
	s_or_b32 exec_lo, exec_lo, s19
	s_and_saveexec_b32 s18, s20
	s_delay_alu instid0(SALU_CYCLE_1)
	s_xor_b32 s18, exec_lo, s18
	s_cbranch_execnz .LBB62_391
.LBB62_1242:
	s_or_b32 exec_lo, exec_lo, s18
	s_and_saveexec_b32 s18, s22
	s_cbranch_execz .LBB62_1288
.LBB62_1243:
	s_sext_i32_i16 s19, s0
	s_delay_alu instid0(SALU_CYCLE_1)
	s_cmp_lt_i32 s19, 5
	s_cbranch_scc1 .LBB62_1248
; %bb.1244:
	s_cmp_lt_i32 s19, 8
	s_cbranch_scc1 .LBB62_1249
; %bb.1245:
	;; [unrolled: 3-line block ×3, first 2 shown]
	s_cmp_gt_i32 s19, 9
	s_cbranch_scc0 .LBB62_1251
; %bb.1247:
	s_wait_loadcnt 0x0
	global_load_b64 v[2:3], v[0:1], off
	s_mov_b32 s19, 0
	s_wait_loadcnt 0x0
	v_cvt_i32_f64_e32 v4, v[2:3]
	s_branch .LBB62_1252
.LBB62_1248:
                                        ; implicit-def: $vgpr4
	s_branch .LBB62_1269
.LBB62_1249:
                                        ; implicit-def: $vgpr4
	s_branch .LBB62_1258
.LBB62_1250:
	s_mov_b32 s19, -1
                                        ; implicit-def: $vgpr4
	s_branch .LBB62_1255
.LBB62_1251:
	s_mov_b32 s19, -1
                                        ; implicit-def: $vgpr4
.LBB62_1252:
	s_delay_alu instid0(SALU_CYCLE_1)
	s_and_not1_b32 vcc_lo, exec_lo, s19
	s_cbranch_vccnz .LBB62_1254
; %bb.1253:
	s_wait_loadcnt 0x0
	global_load_b32 v2, v[0:1], off
	s_wait_loadcnt 0x0
	v_cvt_i32_f32_e32 v4, v2
.LBB62_1254:
	s_mov_b32 s19, 0
.LBB62_1255:
	s_delay_alu instid0(SALU_CYCLE_1)
	s_and_not1_b32 vcc_lo, exec_lo, s19
	s_cbranch_vccnz .LBB62_1257
; %bb.1256:
	s_wait_loadcnt 0x0
	global_load_b32 v2, v[0:1], off
	s_wait_loadcnt 0x0
	v_cvt_f32_f16_e32 v2, v2
	s_delay_alu instid0(VALU_DEP_1)
	v_cvt_i32_f32_e32 v4, v2
.LBB62_1257:
	s_cbranch_execnz .LBB62_1268
.LBB62_1258:
	s_sext_i32_i16 s19, s0
	s_delay_alu instid0(SALU_CYCLE_1)
	s_cmp_lt_i32 s19, 6
	s_cbranch_scc1 .LBB62_1261
; %bb.1259:
	s_cmp_gt_i32 s19, 6
	s_cbranch_scc0 .LBB62_1262
; %bb.1260:
	s_wait_loadcnt 0x0
	global_load_b64 v[2:3], v[0:1], off
	s_mov_b32 s19, 0
	s_wait_loadcnt 0x0
	v_cvt_i32_f64_e32 v4, v[2:3]
	s_branch .LBB62_1263
.LBB62_1261:
	s_mov_b32 s19, -1
                                        ; implicit-def: $vgpr4
	s_branch .LBB62_1266
.LBB62_1262:
	s_mov_b32 s19, -1
                                        ; implicit-def: $vgpr4
.LBB62_1263:
	s_delay_alu instid0(SALU_CYCLE_1)
	s_and_not1_b32 vcc_lo, exec_lo, s19
	s_cbranch_vccnz .LBB62_1265
; %bb.1264:
	s_wait_loadcnt 0x0
	global_load_b32 v2, v[0:1], off
	s_wait_loadcnt 0x0
	v_cvt_i32_f32_e32 v4, v2
.LBB62_1265:
	s_mov_b32 s19, 0
.LBB62_1266:
	s_delay_alu instid0(SALU_CYCLE_1)
	s_and_not1_b32 vcc_lo, exec_lo, s19
	s_cbranch_vccnz .LBB62_1268
; %bb.1267:
	s_wait_loadcnt 0x0
	global_load_u16 v2, v[0:1], off
	s_wait_loadcnt 0x0
	v_cvt_f32_f16_e32 v2, v2
	s_delay_alu instid0(VALU_DEP_1)
	v_cvt_i32_f32_e32 v4, v2
.LBB62_1268:
	s_cbranch_execnz .LBB62_1287
.LBB62_1269:
	s_sext_i32_i16 s19, s0
	s_delay_alu instid0(SALU_CYCLE_1)
	s_cmp_lt_i32 s19, 2
	s_cbranch_scc1 .LBB62_1273
; %bb.1270:
	s_cmp_lt_i32 s19, 3
	s_cbranch_scc1 .LBB62_1274
; %bb.1271:
	s_cmp_gt_i32 s19, 3
	s_cbranch_scc0 .LBB62_1275
; %bb.1272:
	s_wait_loadcnt 0x0
	global_load_b32 v4, v[0:1], off
	s_mov_b32 s19, 0
	s_branch .LBB62_1276
.LBB62_1273:
                                        ; implicit-def: $vgpr4
	s_branch .LBB62_1282
.LBB62_1274:
	s_mov_b32 s19, -1
                                        ; implicit-def: $vgpr4
	s_branch .LBB62_1279
.LBB62_1275:
	s_mov_b32 s19, -1
                                        ; implicit-def: $vgpr4
.LBB62_1276:
	s_delay_alu instid0(SALU_CYCLE_1)
	s_and_not1_b32 vcc_lo, exec_lo, s19
	s_cbranch_vccnz .LBB62_1278
; %bb.1277:
	s_wait_loadcnt 0x0
	global_load_b32 v4, v[0:1], off
.LBB62_1278:
	s_mov_b32 s19, 0
.LBB62_1279:
	s_delay_alu instid0(SALU_CYCLE_1)
	s_and_not1_b32 vcc_lo, exec_lo, s19
	s_cbranch_vccnz .LBB62_1281
; %bb.1280:
	s_wait_loadcnt 0x0
	global_load_i16 v4, v[0:1], off
.LBB62_1281:
	s_cbranch_execnz .LBB62_1287
.LBB62_1282:
	s_sext_i32_i16 s0, s0
	s_delay_alu instid0(SALU_CYCLE_1)
	s_cmp_gt_i32 s0, 0
	s_mov_b32 s0, 0
	s_cbranch_scc0 .LBB62_1284
; %bb.1283:
	s_wait_loadcnt 0x0
	global_load_i8 v4, v[0:1], off
	s_branch .LBB62_1285
.LBB62_1284:
	s_mov_b32 s0, -1
                                        ; implicit-def: $vgpr4
.LBB62_1285:
	s_delay_alu instid0(SALU_CYCLE_1)
	s_and_not1_b32 vcc_lo, exec_lo, s0
	s_cbranch_vccnz .LBB62_1287
; %bb.1286:
	s_wait_loadcnt 0x0
	global_load_u8 v4, v[0:1], off
.LBB62_1287:
	s_or_b32 s21, s21, exec_lo
.LBB62_1288:
	s_wait_xcnt 0x0
	s_or_b32 exec_lo, exec_lo, s18
	s_mov_b32 s19, 0
	s_mov_b32 s22, 0
	;; [unrolled: 1-line block ×3, first 2 shown]
                                        ; implicit-def: $sgpr0
                                        ; implicit-def: $vgpr0_vgpr1
                                        ; implicit-def: $vgpr5
	s_and_saveexec_b32 s18, s21
	s_cbranch_execz .LBB62_1296
; %bb.1289:
	v_mul_lo_u32 v0, v10, s10
	s_and_b32 s0, s1, 0xff
	s_delay_alu instid0(SALU_CYCLE_1) | instskip(NEXT) | instid1(VALU_DEP_1)
	s_cmp_lt_i32 s0, 11
	v_ashrrev_i32_e32 v1, 31, v0
	s_delay_alu instid0(VALU_DEP_1)
	v_add_nc_u64_e32 v[0:1], s[2:3], v[0:1]
	s_cbranch_scc1 .LBB62_1299
; %bb.1290:
	s_and_b32 s20, 0xffff, s0
	s_mov_b32 s21, 0
	s_cmp_gt_i32 s20, 25
	s_cbranch_scc0 .LBB62_1300
; %bb.1291:
	s_cmp_gt_i32 s20, 28
	s_cbranch_scc0 .LBB62_1301
; %bb.1292:
	;; [unrolled: 3-line block ×4, first 2 shown]
	s_cmp_eq_u32 s20, 46
	s_mov_b32 s23, 0
	s_cbranch_scc0 .LBB62_1304
; %bb.1295:
	s_wait_loadcnt 0x0
	global_load_b32 v2, v[0:1], off
	s_mov_b32 s22, -1
	s_wait_loadcnt 0x0
	v_lshlrev_b32_e32 v2, 16, v2
	s_delay_alu instid0(VALU_DEP_1)
	v_cvt_i32_f32_e32 v5, v2
	s_branch .LBB62_1306
.LBB62_1296:
	s_or_b32 exec_lo, exec_lo, s18
	s_and_saveexec_b32 s18, s17
	s_cbranch_execnz .LBB62_1365
.LBB62_1297:
	s_or_b32 exec_lo, exec_lo, s18
	s_and_saveexec_b32 s17, s19
	s_delay_alu instid0(SALU_CYCLE_1)
	s_xor_b32 s17, exec_lo, s17
	s_cbranch_execz .LBB62_1366
.LBB62_1298:
	s_wait_loadcnt 0x0
	global_load_u8 v2, v[0:1], off
	s_or_b32 s20, s20, exec_lo
	s_wait_loadcnt 0x0
	v_cmp_ne_u16_e32 vcc_lo, 0, v2
	v_cndmask_b32_e64 v5, 0, 1, vcc_lo
	s_wait_xcnt 0x0
	s_or_b32 exec_lo, exec_lo, s17
	s_and_saveexec_b32 s17, s22
	s_cbranch_execz .LBB62_1412
	s_branch .LBB62_1367
.LBB62_1299:
	s_mov_b32 s23, -1
	s_mov_b32 s21, 0
	s_mov_b32 s19, s17
                                        ; implicit-def: $vgpr5
	s_branch .LBB62_1364
.LBB62_1300:
	s_mov_b32 s19, s17
                                        ; implicit-def: $vgpr5
	s_cbranch_execnz .LBB62_1333
	s_branch .LBB62_1363
.LBB62_1301:
	s_mov_b32 s23, -1
	s_mov_b32 s19, s17
                                        ; implicit-def: $vgpr5
	s_branch .LBB62_1316
.LBB62_1302:
	s_mov_b32 s23, -1
	s_mov_b32 s19, s17
                                        ; implicit-def: $vgpr5
	s_branch .LBB62_1311
.LBB62_1303:
	s_mov_b32 s23, -1
	s_mov_b32 s19, s17
	s_branch .LBB62_1305
.LBB62_1304:
	s_mov_b32 s19, -1
.LBB62_1305:
                                        ; implicit-def: $vgpr5
.LBB62_1306:
	s_and_b32 vcc_lo, exec_lo, s23
	s_cbranch_vccz .LBB62_1310
; %bb.1307:
	s_cmp_eq_u32 s20, 44
	s_cbranch_scc0 .LBB62_1309
; %bb.1308:
	s_wait_loadcnt 0x0
	global_load_u8 v2, v[0:1], off
	s_mov_b32 s19, 0
	s_mov_b32 s22, -1
	s_wait_loadcnt 0x0
	v_lshlrev_b32_e32 v3, 23, v2
	v_cmp_ne_u32_e32 vcc_lo, 0, v2
	s_delay_alu instid0(VALU_DEP_2) | instskip(NEXT) | instid1(VALU_DEP_1)
	v_cvt_i32_f32_e32 v3, v3
	v_cndmask_b32_e32 v5, 0, v3, vcc_lo
	s_branch .LBB62_1310
.LBB62_1309:
	s_mov_b32 s19, -1
                                        ; implicit-def: $vgpr5
.LBB62_1310:
	s_mov_b32 s23, 0
.LBB62_1311:
	s_delay_alu instid0(SALU_CYCLE_1)
	s_and_b32 vcc_lo, exec_lo, s23
	s_cbranch_vccz .LBB62_1315
; %bb.1312:
	s_cmp_eq_u32 s20, 29
	s_cbranch_scc0 .LBB62_1314
; %bb.1313:
	global_load_b32 v5, v[0:1], off
	s_mov_b32 s19, 0
	s_mov_b32 s22, -1
	s_branch .LBB62_1315
.LBB62_1314:
	s_mov_b32 s19, -1
                                        ; implicit-def: $vgpr5
.LBB62_1315:
	s_mov_b32 s23, 0
.LBB62_1316:
	s_delay_alu instid0(SALU_CYCLE_1)
	s_and_b32 vcc_lo, exec_lo, s23
	s_cbranch_vccz .LBB62_1332
; %bb.1317:
	s_cmp_lt_i32 s20, 27
	s_cbranch_scc1 .LBB62_1320
; %bb.1318:
	s_cmp_gt_i32 s20, 27
	s_cbranch_scc0 .LBB62_1321
; %bb.1319:
	s_wait_loadcnt 0x0
	global_load_b32 v5, v[0:1], off
	s_mov_b32 s22, 0
	s_branch .LBB62_1322
.LBB62_1320:
	s_mov_b32 s22, -1
                                        ; implicit-def: $vgpr5
	s_branch .LBB62_1325
.LBB62_1321:
	s_mov_b32 s22, -1
                                        ; implicit-def: $vgpr5
.LBB62_1322:
	s_delay_alu instid0(SALU_CYCLE_1)
	s_and_not1_b32 vcc_lo, exec_lo, s22
	s_cbranch_vccnz .LBB62_1324
; %bb.1323:
	s_wait_loadcnt 0x0
	global_load_u16 v5, v[0:1], off
.LBB62_1324:
	s_mov_b32 s22, 0
.LBB62_1325:
	s_delay_alu instid0(SALU_CYCLE_1)
	s_and_not1_b32 vcc_lo, exec_lo, s22
	s_cbranch_vccnz .LBB62_1331
; %bb.1326:
	s_wait_loadcnt 0x0
	global_load_u8 v2, v[0:1], off
	s_mov_b32 s23, 0
	s_mov_b32 s22, exec_lo
	s_wait_loadcnt 0x0
	v_cmpx_lt_i16_e32 0x7f, v2
	s_xor_b32 s22, exec_lo, s22
	s_cbranch_execz .LBB62_1342
; %bb.1327:
	v_cmp_ne_u16_e32 vcc_lo, 0x80, v2
	s_and_b32 s23, vcc_lo, exec_lo
	s_and_not1_saveexec_b32 s22, s22
	s_cbranch_execnz .LBB62_1343
.LBB62_1328:
	s_or_b32 exec_lo, exec_lo, s22
	v_mov_b32_e32 v5, 0
	s_and_saveexec_b32 s22, s23
	s_cbranch_execz .LBB62_1330
.LBB62_1329:
	v_and_b32_e32 v3, 0xffff, v2
	s_delay_alu instid0(VALU_DEP_1) | instskip(SKIP_1) | instid1(VALU_DEP_2)
	v_and_b32_e32 v5, 7, v3
	v_bfe_u32 v8, v3, 3, 4
	v_clz_i32_u32_e32 v6, v5
	s_delay_alu instid0(VALU_DEP_2) | instskip(NEXT) | instid1(VALU_DEP_2)
	v_cmp_eq_u32_e32 vcc_lo, 0, v8
	v_min_u32_e32 v6, 32, v6
	s_delay_alu instid0(VALU_DEP_1) | instskip(NEXT) | instid1(VALU_DEP_1)
	v_subrev_nc_u32_e32 v7, 28, v6
	v_dual_lshlrev_b32 v3, v7, v3 :: v_dual_sub_nc_u32 v6, 29, v6
	s_delay_alu instid0(VALU_DEP_1) | instskip(NEXT) | instid1(VALU_DEP_1)
	v_dual_lshlrev_b32 v2, 24, v2 :: v_dual_bitop2_b32 v3, 7, v3 bitop3:0x40
	v_dual_cndmask_b32 v3, v5, v3 :: v_dual_cndmask_b32 v6, v8, v6
	s_delay_alu instid0(VALU_DEP_2) | instskip(NEXT) | instid1(VALU_DEP_2)
	v_and_b32_e32 v2, 0x80000000, v2
	v_lshlrev_b32_e32 v3, 20, v3
	s_delay_alu instid0(VALU_DEP_3) | instskip(NEXT) | instid1(VALU_DEP_1)
	v_lshl_add_u32 v5, v6, 23, 0x3b800000
	v_or3_b32 v2, v2, v5, v3
	s_delay_alu instid0(VALU_DEP_1)
	v_cvt_i32_f32_e32 v5, v2
.LBB62_1330:
	s_or_b32 exec_lo, exec_lo, s22
.LBB62_1331:
	s_mov_b32 s22, -1
.LBB62_1332:
	s_branch .LBB62_1363
.LBB62_1333:
	s_cmp_gt_i32 s20, 22
	s_cbranch_scc0 .LBB62_1341
; %bb.1334:
	s_cmp_lt_i32 s20, 24
	s_cbranch_scc1 .LBB62_1344
; %bb.1335:
	s_cmp_gt_i32 s20, 24
	s_cbranch_scc0 .LBB62_1345
; %bb.1336:
	s_wait_loadcnt 0x0
	global_load_u8 v2, v[0:1], off
	s_mov_b32 s22, 0
	s_mov_b32 s21, exec_lo
	s_wait_loadcnt 0x0
	v_cmpx_lt_i16_e32 0x7f, v2
	s_xor_b32 s21, exec_lo, s21
	s_cbranch_execz .LBB62_1357
; %bb.1337:
	v_cmp_ne_u16_e32 vcc_lo, 0x80, v2
	s_and_b32 s22, vcc_lo, exec_lo
	s_and_not1_saveexec_b32 s21, s21
	s_cbranch_execnz .LBB62_1358
.LBB62_1338:
	s_or_b32 exec_lo, exec_lo, s21
	v_mov_b32_e32 v5, 0
	s_and_saveexec_b32 s21, s22
	s_cbranch_execz .LBB62_1340
.LBB62_1339:
	v_and_b32_e32 v3, 0xffff, v2
	s_delay_alu instid0(VALU_DEP_1) | instskip(SKIP_1) | instid1(VALU_DEP_2)
	v_and_b32_e32 v5, 3, v3
	v_bfe_u32 v8, v3, 2, 5
	v_clz_i32_u32_e32 v6, v5
	s_delay_alu instid0(VALU_DEP_2) | instskip(NEXT) | instid1(VALU_DEP_2)
	v_cmp_eq_u32_e32 vcc_lo, 0, v8
	v_min_u32_e32 v6, 32, v6
	s_delay_alu instid0(VALU_DEP_1) | instskip(NEXT) | instid1(VALU_DEP_1)
	v_subrev_nc_u32_e32 v7, 29, v6
	v_dual_lshlrev_b32 v3, v7, v3 :: v_dual_sub_nc_u32 v6, 30, v6
	s_delay_alu instid0(VALU_DEP_1) | instskip(NEXT) | instid1(VALU_DEP_1)
	v_dual_lshlrev_b32 v2, 24, v2 :: v_dual_bitop2_b32 v3, 3, v3 bitop3:0x40
	v_dual_cndmask_b32 v3, v5, v3 :: v_dual_cndmask_b32 v6, v8, v6
	s_delay_alu instid0(VALU_DEP_2) | instskip(NEXT) | instid1(VALU_DEP_2)
	v_and_b32_e32 v2, 0x80000000, v2
	v_lshlrev_b32_e32 v3, 21, v3
	s_delay_alu instid0(VALU_DEP_3) | instskip(NEXT) | instid1(VALU_DEP_1)
	v_lshl_add_u32 v5, v6, 23, 0x37800000
	v_or3_b32 v2, v2, v5, v3
	s_delay_alu instid0(VALU_DEP_1)
	v_cvt_i32_f32_e32 v5, v2
.LBB62_1340:
	s_or_b32 exec_lo, exec_lo, s21
	s_mov_b32 s21, 0
	s_branch .LBB62_1346
.LBB62_1341:
	s_mov_b32 s21, -1
                                        ; implicit-def: $vgpr5
	s_branch .LBB62_1352
.LBB62_1342:
	s_and_not1_saveexec_b32 s22, s22
	s_cbranch_execz .LBB62_1328
.LBB62_1343:
	v_cmp_ne_u16_e32 vcc_lo, 0, v2
	s_and_not1_b32 s23, s23, exec_lo
	s_and_b32 s24, vcc_lo, exec_lo
	s_delay_alu instid0(SALU_CYCLE_1)
	s_or_b32 s23, s23, s24
	s_or_b32 exec_lo, exec_lo, s22
	v_mov_b32_e32 v5, 0
	s_and_saveexec_b32 s22, s23
	s_cbranch_execnz .LBB62_1329
	s_branch .LBB62_1330
.LBB62_1344:
	s_mov_b32 s21, -1
                                        ; implicit-def: $vgpr5
	s_branch .LBB62_1349
.LBB62_1345:
	s_mov_b32 s21, -1
                                        ; implicit-def: $vgpr5
.LBB62_1346:
	s_delay_alu instid0(SALU_CYCLE_1)
	s_and_b32 vcc_lo, exec_lo, s21
	s_cbranch_vccz .LBB62_1348
; %bb.1347:
	s_wait_loadcnt 0x0
	global_load_u8 v2, v[0:1], off
	s_wait_loadcnt 0x0
	v_lshlrev_b32_e32 v2, 24, v2
	s_delay_alu instid0(VALU_DEP_1) | instskip(NEXT) | instid1(VALU_DEP_1)
	v_and_b32_e32 v3, 0x7f000000, v2
	v_clz_i32_u32_e32 v5, v3
	v_add_nc_u32_e32 v7, 0x1000000, v3
	v_cmp_ne_u32_e32 vcc_lo, 0, v3
	s_delay_alu instid0(VALU_DEP_3) | instskip(NEXT) | instid1(VALU_DEP_1)
	v_min_u32_e32 v5, 32, v5
	v_sub_nc_u32_e64 v5, v5, 4 clamp
	s_delay_alu instid0(VALU_DEP_1) | instskip(NEXT) | instid1(VALU_DEP_1)
	v_dual_lshlrev_b32 v6, v5, v3 :: v_dual_lshlrev_b32 v5, 23, v5
	v_lshrrev_b32_e32 v6, 4, v6
	s_delay_alu instid0(VALU_DEP_1) | instskip(NEXT) | instid1(VALU_DEP_1)
	v_dual_sub_nc_u32 v5, v6, v5 :: v_dual_ashrrev_i32 v6, 8, v7
	v_add_nc_u32_e32 v5, 0x3c000000, v5
	s_delay_alu instid0(VALU_DEP_1) | instskip(NEXT) | instid1(VALU_DEP_1)
	v_and_or_b32 v5, 0x7f800000, v6, v5
	v_cndmask_b32_e32 v3, 0, v5, vcc_lo
	s_delay_alu instid0(VALU_DEP_1) | instskip(NEXT) | instid1(VALU_DEP_1)
	v_and_or_b32 v2, 0x80000000, v2, v3
	v_cvt_i32_f32_e32 v5, v2
.LBB62_1348:
	s_mov_b32 s21, 0
.LBB62_1349:
	s_delay_alu instid0(SALU_CYCLE_1)
	s_and_not1_b32 vcc_lo, exec_lo, s21
	s_cbranch_vccnz .LBB62_1351
; %bb.1350:
	s_wait_loadcnt 0x0
	global_load_u8 v2, v[0:1], off
	s_wait_loadcnt 0x0
	v_lshlrev_b32_e32 v3, 25, v2
	v_lshlrev_b16 v2, 8, v2
	s_delay_alu instid0(VALU_DEP_2) | instskip(NEXT) | instid1(VALU_DEP_2)
	v_cmp_gt_u32_e32 vcc_lo, 0x8000000, v3
	v_and_or_b32 v6, 0x7f00, v2, 0.5
	v_lshrrev_b32_e32 v5, 4, v3
	v_bfe_i32 v2, v2, 0, 16
	s_delay_alu instid0(VALU_DEP_3) | instskip(NEXT) | instid1(VALU_DEP_3)
	v_add_f32_e32 v6, -0.5, v6
	v_or_b32_e32 v5, 0x70000000, v5
	s_delay_alu instid0(VALU_DEP_1) | instskip(NEXT) | instid1(VALU_DEP_1)
	v_mul_f32_e32 v5, 0x7800000, v5
	v_cndmask_b32_e32 v3, v5, v6, vcc_lo
	s_delay_alu instid0(VALU_DEP_1) | instskip(NEXT) | instid1(VALU_DEP_1)
	v_and_or_b32 v2, 0x80000000, v2, v3
	v_cvt_i32_f32_e32 v5, v2
.LBB62_1351:
	s_mov_b32 s21, 0
	s_mov_b32 s22, -1
.LBB62_1352:
	s_and_not1_b32 vcc_lo, exec_lo, s21
	s_mov_b32 s21, 0
	s_cbranch_vccnz .LBB62_1363
; %bb.1353:
	s_cmp_gt_i32 s20, 14
	s_cbranch_scc0 .LBB62_1356
; %bb.1354:
	s_cmp_eq_u32 s20, 15
	s_cbranch_scc0 .LBB62_1359
; %bb.1355:
	s_wait_loadcnt 0x0
	global_load_u16 v2, v[0:1], off
	s_mov_b32 s19, 0
	s_mov_b32 s22, -1
	s_wait_loadcnt 0x0
	v_lshlrev_b32_e32 v2, 16, v2
	s_delay_alu instid0(VALU_DEP_1)
	v_cvt_i32_f32_e32 v5, v2
	s_branch .LBB62_1361
.LBB62_1356:
	s_mov_b32 s21, -1
	s_branch .LBB62_1360
.LBB62_1357:
	s_and_not1_saveexec_b32 s21, s21
	s_cbranch_execz .LBB62_1338
.LBB62_1358:
	v_cmp_ne_u16_e32 vcc_lo, 0, v2
	s_and_not1_b32 s22, s22, exec_lo
	s_and_b32 s23, vcc_lo, exec_lo
	s_delay_alu instid0(SALU_CYCLE_1)
	s_or_b32 s22, s22, s23
	s_or_b32 exec_lo, exec_lo, s21
	v_mov_b32_e32 v5, 0
	s_and_saveexec_b32 s21, s22
	s_cbranch_execnz .LBB62_1339
	s_branch .LBB62_1340
.LBB62_1359:
	s_mov_b32 s19, -1
.LBB62_1360:
                                        ; implicit-def: $vgpr5
.LBB62_1361:
	s_and_b32 vcc_lo, exec_lo, s21
	s_mov_b32 s21, 0
	s_cbranch_vccz .LBB62_1363
; %bb.1362:
	s_cmp_lg_u32 s20, 11
	s_mov_b32 s21, -1
	s_cselect_b32 s20, -1, 0
	s_and_not1_b32 s19, s19, exec_lo
	s_and_b32 s20, s20, exec_lo
	s_delay_alu instid0(SALU_CYCLE_1)
	s_or_b32 s19, s19, s20
.LBB62_1363:
	s_mov_b32 s23, 0
.LBB62_1364:
	s_and_b32 s20, s22, exec_lo
	s_and_b32 s22, s23, exec_lo
	s_and_not1_b32 s17, s17, exec_lo
	s_and_b32 s23, s19, exec_lo
	s_and_b32 s19, s21, exec_lo
	s_or_b32 s17, s17, s23
	s_wait_xcnt 0x0
	s_or_b32 exec_lo, exec_lo, s18
	s_and_saveexec_b32 s18, s17
	s_cbranch_execz .LBB62_1297
.LBB62_1365:
	s_or_b32 s16, s16, exec_lo
	s_and_not1_b32 s19, s19, exec_lo
	s_trap 2
	s_or_b32 exec_lo, exec_lo, s18
	s_and_saveexec_b32 s17, s19
	s_delay_alu instid0(SALU_CYCLE_1)
	s_xor_b32 s17, exec_lo, s17
	s_cbranch_execnz .LBB62_1298
.LBB62_1366:
	s_or_b32 exec_lo, exec_lo, s17
	s_and_saveexec_b32 s17, s22
	s_cbranch_execz .LBB62_1412
.LBB62_1367:
	s_sext_i32_i16 s18, s0
	s_delay_alu instid0(SALU_CYCLE_1)
	s_cmp_lt_i32 s18, 5
	s_cbranch_scc1 .LBB62_1372
; %bb.1368:
	s_cmp_lt_i32 s18, 8
	s_cbranch_scc1 .LBB62_1373
; %bb.1369:
	;; [unrolled: 3-line block ×3, first 2 shown]
	s_cmp_gt_i32 s18, 9
	s_cbranch_scc0 .LBB62_1375
; %bb.1371:
	s_wait_loadcnt 0x0
	global_load_b64 v[2:3], v[0:1], off
	s_mov_b32 s18, 0
	s_wait_loadcnt 0x0
	v_cvt_i32_f64_e32 v5, v[2:3]
	s_branch .LBB62_1376
.LBB62_1372:
                                        ; implicit-def: $vgpr5
	s_branch .LBB62_1393
.LBB62_1373:
                                        ; implicit-def: $vgpr5
	s_branch .LBB62_1382
.LBB62_1374:
	s_mov_b32 s18, -1
                                        ; implicit-def: $vgpr5
	s_branch .LBB62_1379
.LBB62_1375:
	s_mov_b32 s18, -1
                                        ; implicit-def: $vgpr5
.LBB62_1376:
	s_delay_alu instid0(SALU_CYCLE_1)
	s_and_not1_b32 vcc_lo, exec_lo, s18
	s_cbranch_vccnz .LBB62_1378
; %bb.1377:
	s_wait_loadcnt 0x0
	global_load_b32 v2, v[0:1], off
	s_wait_loadcnt 0x0
	v_cvt_i32_f32_e32 v5, v2
.LBB62_1378:
	s_mov_b32 s18, 0
.LBB62_1379:
	s_delay_alu instid0(SALU_CYCLE_1)
	s_and_not1_b32 vcc_lo, exec_lo, s18
	s_cbranch_vccnz .LBB62_1381
; %bb.1380:
	s_wait_loadcnt 0x0
	global_load_b32 v2, v[0:1], off
	s_wait_loadcnt 0x0
	v_cvt_f32_f16_e32 v2, v2
	s_delay_alu instid0(VALU_DEP_1)
	v_cvt_i32_f32_e32 v5, v2
.LBB62_1381:
	s_cbranch_execnz .LBB62_1392
.LBB62_1382:
	s_sext_i32_i16 s18, s0
	s_delay_alu instid0(SALU_CYCLE_1)
	s_cmp_lt_i32 s18, 6
	s_cbranch_scc1 .LBB62_1385
; %bb.1383:
	s_cmp_gt_i32 s18, 6
	s_cbranch_scc0 .LBB62_1386
; %bb.1384:
	s_wait_loadcnt 0x0
	global_load_b64 v[2:3], v[0:1], off
	s_mov_b32 s18, 0
	s_wait_loadcnt 0x0
	v_cvt_i32_f64_e32 v5, v[2:3]
	s_branch .LBB62_1387
.LBB62_1385:
	s_mov_b32 s18, -1
                                        ; implicit-def: $vgpr5
	s_branch .LBB62_1390
.LBB62_1386:
	s_mov_b32 s18, -1
                                        ; implicit-def: $vgpr5
.LBB62_1387:
	s_delay_alu instid0(SALU_CYCLE_1)
	s_and_not1_b32 vcc_lo, exec_lo, s18
	s_cbranch_vccnz .LBB62_1389
; %bb.1388:
	s_wait_loadcnt 0x0
	global_load_b32 v2, v[0:1], off
	s_wait_loadcnt 0x0
	v_cvt_i32_f32_e32 v5, v2
.LBB62_1389:
	s_mov_b32 s18, 0
.LBB62_1390:
	s_delay_alu instid0(SALU_CYCLE_1)
	s_and_not1_b32 vcc_lo, exec_lo, s18
	s_cbranch_vccnz .LBB62_1392
; %bb.1391:
	s_wait_loadcnt 0x0
	global_load_u16 v2, v[0:1], off
	s_wait_loadcnt 0x0
	v_cvt_f32_f16_e32 v2, v2
	s_delay_alu instid0(VALU_DEP_1)
	v_cvt_i32_f32_e32 v5, v2
.LBB62_1392:
	s_cbranch_execnz .LBB62_1411
.LBB62_1393:
	s_sext_i32_i16 s18, s0
	s_delay_alu instid0(SALU_CYCLE_1)
	s_cmp_lt_i32 s18, 2
	s_cbranch_scc1 .LBB62_1397
; %bb.1394:
	s_cmp_lt_i32 s18, 3
	s_cbranch_scc1 .LBB62_1398
; %bb.1395:
	s_cmp_gt_i32 s18, 3
	s_cbranch_scc0 .LBB62_1399
; %bb.1396:
	s_wait_loadcnt 0x0
	global_load_b32 v5, v[0:1], off
	s_mov_b32 s18, 0
	s_branch .LBB62_1400
.LBB62_1397:
                                        ; implicit-def: $vgpr5
	s_branch .LBB62_1406
.LBB62_1398:
	s_mov_b32 s18, -1
                                        ; implicit-def: $vgpr5
	s_branch .LBB62_1403
.LBB62_1399:
	s_mov_b32 s18, -1
                                        ; implicit-def: $vgpr5
.LBB62_1400:
	s_delay_alu instid0(SALU_CYCLE_1)
	s_and_not1_b32 vcc_lo, exec_lo, s18
	s_cbranch_vccnz .LBB62_1402
; %bb.1401:
	s_wait_loadcnt 0x0
	global_load_b32 v5, v[0:1], off
.LBB62_1402:
	s_mov_b32 s18, 0
.LBB62_1403:
	s_delay_alu instid0(SALU_CYCLE_1)
	s_and_not1_b32 vcc_lo, exec_lo, s18
	s_cbranch_vccnz .LBB62_1405
; %bb.1404:
	s_wait_loadcnt 0x0
	global_load_i16 v5, v[0:1], off
.LBB62_1405:
	s_cbranch_execnz .LBB62_1411
.LBB62_1406:
	s_sext_i32_i16 s0, s0
	s_delay_alu instid0(SALU_CYCLE_1)
	s_cmp_gt_i32 s0, 0
	s_mov_b32 s0, 0
	s_cbranch_scc0 .LBB62_1408
; %bb.1407:
	s_wait_loadcnt 0x0
	global_load_i8 v5, v[0:1], off
	s_branch .LBB62_1409
.LBB62_1408:
	s_mov_b32 s0, -1
                                        ; implicit-def: $vgpr5
.LBB62_1409:
	s_delay_alu instid0(SALU_CYCLE_1)
	s_and_not1_b32 vcc_lo, exec_lo, s0
	s_cbranch_vccnz .LBB62_1411
; %bb.1410:
	s_wait_loadcnt 0x0
	global_load_u8 v5, v[0:1], off
.LBB62_1411:
	s_or_b32 s20, s20, exec_lo
.LBB62_1412:
	s_wait_xcnt 0x0
	s_or_b32 exec_lo, exec_lo, s17
	s_mov_b32 s0, 0
	s_mov_b32 s19, 0
                                        ; implicit-def: $sgpr17
                                        ; implicit-def: $vgpr2_vgpr3
                                        ; implicit-def: $vgpr0
	s_and_saveexec_b32 s18, s20
	s_cbranch_execz .LBB62_1426
; %bb.1413:
	s_wait_loadcnt 0x0
	s_delay_alu instid0(VALU_DEP_1) | instskip(SKIP_2) | instid1(VALU_DEP_1)
	v_dual_sub_nc_u32 v0, 0, v5 :: v_dual_sub_nc_u32 v1, 0, v4
	s_mov_b32 s17, 0
	s_mov_b32 s0, exec_lo
	v_max_i32_e32 v2, v5, v0
	v_cmpx_ne_u32_e32 0, v4
	s_cbranch_execz .LBB62_1417
; %bb.1414:
	v_max_i32_e32 v3, v4, v1
.LBB62_1415:                            ; =>This Inner Loop Header: Depth=1
	s_delay_alu instid0(VALU_DEP_1) | instskip(NEXT) | instid1(VALU_DEP_1)
	v_mov_b32_e32 v0, v3
	v_cvt_f32_u32_e32 v3, v0
	s_delay_alu instid0(VALU_DEP_1) | instskip(SKIP_1) | instid1(TRANS32_DEP_1)
	v_rcp_iflag_f32_e32 v3, v3
	v_nop
	v_dual_mul_f32 v3, 0x4f7ffffe, v3 :: v_dual_sub_nc_u32 v6, 0, v0
	s_delay_alu instid0(VALU_DEP_1) | instskip(NEXT) | instid1(VALU_DEP_1)
	v_cvt_u32_f32_e32 v3, v3
	v_mul_lo_u32 v6, v6, v3
	s_delay_alu instid0(VALU_DEP_1) | instskip(NEXT) | instid1(VALU_DEP_1)
	v_mul_hi_u32 v6, v3, v6
	v_add_nc_u32_e32 v3, v3, v6
	s_delay_alu instid0(VALU_DEP_1) | instskip(NEXT) | instid1(VALU_DEP_1)
	v_mul_hi_u32 v3, v2, v3
	v_mul_lo_u32 v3, v3, v0
	s_delay_alu instid0(VALU_DEP_1) | instskip(NEXT) | instid1(VALU_DEP_1)
	v_sub_nc_u32_e32 v2, v2, v3
	v_sub_nc_u32_e32 v3, v2, v0
	v_cmp_ge_u32_e32 vcc_lo, v2, v0
	s_delay_alu instid0(VALU_DEP_2) | instskip(NEXT) | instid1(VALU_DEP_1)
	v_cndmask_b32_e32 v2, v2, v3, vcc_lo
	v_sub_nc_u32_e32 v3, v2, v0
	v_cmp_ge_u32_e32 vcc_lo, v2, v0
	s_delay_alu instid0(VALU_DEP_2) | instskip(NEXT) | instid1(VALU_DEP_1)
	v_dual_cndmask_b32 v3, v2, v3 :: v_dual_mov_b32 v2, v0
	v_cmp_eq_u32_e32 vcc_lo, 0, v3
	s_or_b32 s17, vcc_lo, s17
	s_delay_alu instid0(SALU_CYCLE_1)
	s_and_not1_b32 exec_lo, exec_lo, s17
	s_cbranch_execnz .LBB62_1415
; %bb.1416:
	s_or_b32 exec_lo, exec_lo, s17
	v_mov_b32_e32 v2, v0
.LBB62_1417:
	s_or_b32 exec_lo, exec_lo, s0
	v_mov_b32_e32 v0, 0
	s_mov_b32 s0, exec_lo
	s_delay_alu instid0(VALU_DEP_2)
	v_cmpx_ne_u32_e32 0, v2
	s_cbranch_execz .LBB62_1419
; %bb.1418:
	v_dual_sub_nc_u32 v0, 0, v2 :: v_dual_max_i32 v1, v4, v1
	s_delay_alu instid0(VALU_DEP_1) | instskip(NEXT) | instid1(VALU_DEP_1)
	v_max_i32_e32 v0, v2, v0
	v_cvt_f32_u32_e32 v3, v0
	v_sub_nc_u32_e32 v6, 0, v0
	s_delay_alu instid0(VALU_DEP_2) | instskip(SKIP_1) | instid1(TRANS32_DEP_1)
	v_rcp_iflag_f32_e32 v3, v3
	v_nop
	v_mul_f32_e32 v3, 0x4f7ffffe, v3
	s_delay_alu instid0(VALU_DEP_1) | instskip(NEXT) | instid1(VALU_DEP_1)
	v_cvt_u32_f32_e32 v3, v3
	v_mul_lo_u32 v6, v6, v3
	s_delay_alu instid0(VALU_DEP_1) | instskip(NEXT) | instid1(VALU_DEP_1)
	v_mul_hi_u32 v6, v3, v6
	v_add_nc_u32_e32 v3, v3, v6
	s_delay_alu instid0(VALU_DEP_1) | instskip(NEXT) | instid1(VALU_DEP_1)
	v_mul_hi_u32 v3, v1, v3
	v_mul_lo_u32 v6, v3, v0
	s_delay_alu instid0(VALU_DEP_1) | instskip(NEXT) | instid1(VALU_DEP_1)
	v_dual_sub_nc_u32 v1, v1, v6 :: v_dual_add_nc_u32 v6, 1, v3
	v_cmp_ge_u32_e32 vcc_lo, v1, v0
	s_delay_alu instid0(VALU_DEP_2) | instskip(NEXT) | instid1(VALU_DEP_1)
	v_dual_sub_nc_u32 v7, v1, v0 :: v_dual_cndmask_b32 v3, v3, v6, vcc_lo
	v_dual_cndmask_b32 v1, v1, v7, vcc_lo :: v_dual_bitop2_b32 v2, v4, v2 bitop3:0x14
	s_delay_alu instid0(VALU_DEP_1) | instskip(NEXT) | instid1(VALU_DEP_2)
	v_dual_add_nc_u32 v4, 1, v3 :: v_dual_ashrrev_i32 v2, 31, v2
	v_cmp_ge_u32_e32 vcc_lo, v1, v0
	s_delay_alu instid0(VALU_DEP_2) | instskip(NEXT) | instid1(VALU_DEP_1)
	v_cndmask_b32_e32 v0, v3, v4, vcc_lo
	v_xor_b32_e32 v0, v0, v2
	s_delay_alu instid0(VALU_DEP_1) | instskip(NEXT) | instid1(VALU_DEP_1)
	v_sub_nc_u32_e32 v0, v0, v2
	v_mul_lo_u32 v0, v0, v5
	s_delay_alu instid0(VALU_DEP_1) | instskip(NEXT) | instid1(VALU_DEP_1)
	v_sub_nc_u32_e32 v1, 0, v0
	v_max_i32_e32 v0, v0, v1
.LBB62_1419:
	s_or_b32 exec_lo, exec_lo, s0
	v_mul_lo_u32 v2, v10, s8
	s_and_b32 s17, s11, 0xff
	s_delay_alu instid0(SALU_CYCLE_1) | instskip(NEXT) | instid1(VALU_DEP_1)
	s_cmp_lt_i32 s17, 11
	v_ashrrev_i32_e32 v3, 31, v2
	s_delay_alu instid0(VALU_DEP_1)
	v_add_nc_u64_e32 v[2:3], s[4:5], v[2:3]
	s_cbranch_scc1 .LBB62_1429
; %bb.1420:
	s_and_b32 s19, 0xffff, s17
	s_mov_b32 s20, -1
	s_cmp_gt_i32 s19, 25
	s_mov_b32 s0, s15
	s_cbranch_scc0 .LBB62_1457
; %bb.1421:
	s_cmp_gt_i32 s19, 28
	s_mov_b32 s0, s15
	s_cbranch_scc0 .LBB62_1441
; %bb.1422:
	;; [unrolled: 4-line block ×4, first 2 shown]
	s_cmp_eq_u32 s19, 46
	s_mov_b32 s0, -1
	s_cbranch_scc0 .LBB62_1430
; %bb.1425:
	v_cvt_f32_u32_e32 v1, v0
	s_mov_b32 s0, 0
	s_mov_b32 s20, 0
	s_delay_alu instid0(VALU_DEP_1) | instskip(NEXT) | instid1(VALU_DEP_1)
	v_bfe_u32 v4, v1, 16, 1
	v_add3_u32 v1, v1, v4, 0x7fff
	s_delay_alu instid0(VALU_DEP_1)
	v_lshrrev_b32_e32 v1, 16, v1
	global_store_b32 v[2:3], v1, off
	s_branch .LBB62_1431
.LBB62_1426:
	s_or_b32 exec_lo, exec_lo, s18
	s_and_saveexec_b32 s18, s15
	s_cbranch_execnz .LBB62_1499
.LBB62_1427:
	s_or_b32 exec_lo, exec_lo, s18
	s_and_saveexec_b32 s15, s0
	s_delay_alu instid0(SALU_CYCLE_1)
	s_xor_b32 s0, exec_lo, s15
	s_cbranch_execz .LBB62_1500
.LBB62_1428:
	v_cmp_ne_u32_e32 vcc_lo, 0, v0
	v_cndmask_b32_e64 v1, 0, 1, vcc_lo
	s_wait_loadcnt 0x0
	global_store_b8 v[2:3], v1, off
	s_wait_xcnt 0x0
	s_or_b32 exec_lo, exec_lo, s0
	s_and_saveexec_b32 s0, s19
	s_delay_alu instid0(SALU_CYCLE_1)
	s_xor_b32 s0, exec_lo, s0
	s_cbranch_execz .LBB62_1538
	s_branch .LBB62_1501
.LBB62_1429:
	s_mov_b32 s21, 0
	s_mov_b32 s20, -1
	s_mov_b32 s0, s15
	s_branch .LBB62_1498
.LBB62_1430:
	s_mov_b32 s20, 0
.LBB62_1431:
	s_delay_alu instid0(SALU_CYCLE_1)
	s_and_b32 vcc_lo, exec_lo, s20
	s_cbranch_vccz .LBB62_1436
; %bb.1432:
	s_cmp_eq_u32 s19, 44
	s_mov_b32 s0, -1
	s_cbranch_scc0 .LBB62_1436
; %bb.1433:
	v_cvt_f32_u32_e32 v5, v0
	s_mov_b32 s20, exec_lo
	s_wait_xcnt 0x0
	s_delay_alu instid0(VALU_DEP_1) | instskip(NEXT) | instid1(VALU_DEP_1)
	v_dual_mov_b32 v4, 0xff :: v_dual_lshrrev_b32 v1, 23, v5
	v_cmpx_ne_u32_e32 0xff, v1
; %bb.1434:
	v_and_b32_e32 v4, 0x400000, v5
	v_and_or_b32 v5, 0x3fffff, v5, v1
	s_delay_alu instid0(VALU_DEP_2) | instskip(NEXT) | instid1(VALU_DEP_2)
	v_cmp_ne_u32_e32 vcc_lo, 0, v4
	v_cmp_ne_u32_e64 s0, 0, v5
	s_and_b32 s0, vcc_lo, s0
	s_delay_alu instid0(SALU_CYCLE_1) | instskip(NEXT) | instid1(VALU_DEP_1)
	v_cndmask_b32_e64 v4, 0, 1, s0
	v_add_nc_u32_e32 v4, v1, v4
; %bb.1435:
	s_or_b32 exec_lo, exec_lo, s20
	s_mov_b32 s0, 0
	global_store_b8 v[2:3], v4, off
.LBB62_1436:
	s_mov_b32 s20, 0
.LBB62_1437:
	s_delay_alu instid0(SALU_CYCLE_1)
	s_and_b32 vcc_lo, exec_lo, s20
	s_cbranch_vccz .LBB62_1440
; %bb.1438:
	s_cmp_eq_u32 s19, 29
	s_mov_b32 s0, -1
	s_cbranch_scc0 .LBB62_1440
; %bb.1439:
	s_wait_xcnt 0x0
	v_mov_b32_e32 v1, 0
	s_mov_b32 s0, 0
	s_mov_b32 s20, 0
	global_store_b64 v[2:3], v[0:1], off
	s_branch .LBB62_1441
.LBB62_1440:
	s_mov_b32 s20, 0
.LBB62_1441:
	s_delay_alu instid0(SALU_CYCLE_1)
	s_and_b32 vcc_lo, exec_lo, s20
	s_cbranch_vccz .LBB62_1456
; %bb.1442:
	s_cmp_lt_i32 s19, 27
	s_mov_b32 s20, -1
	s_cbranch_scc1 .LBB62_1448
; %bb.1443:
	s_cmp_gt_i32 s19, 27
	s_cbranch_scc0 .LBB62_1445
; %bb.1444:
	s_mov_b32 s20, 0
	global_store_b32 v[2:3], v0, off
.LBB62_1445:
	s_and_not1_b32 vcc_lo, exec_lo, s20
	s_cbranch_vccnz .LBB62_1447
; %bb.1446:
	global_store_b16 v[2:3], v0, off
.LBB62_1447:
	s_mov_b32 s20, 0
.LBB62_1448:
	s_delay_alu instid0(SALU_CYCLE_1)
	s_and_not1_b32 vcc_lo, exec_lo, s20
	s_cbranch_vccnz .LBB62_1456
; %bb.1449:
	s_wait_xcnt 0x0
	v_cvt_f32_u32_e32 v4, v0
	v_mov_b32_e32 v5, 0x80
	s_mov_b32 s20, exec_lo
	s_delay_alu instid0(VALU_DEP_2)
	v_cmpx_gt_u32_e32 0x43800000, v4
	s_cbranch_execz .LBB62_1455
; %bb.1450:
	s_mov_b32 s21, 0
	s_mov_b32 s22, exec_lo
                                        ; implicit-def: $vgpr1
	v_cmpx_lt_u32_e32 0x3bffffff, v4
	s_xor_b32 s22, exec_lo, s22
	s_cbranch_execz .LBB62_1553
; %bb.1451:
	v_bfe_u32 v1, v4, 20, 1
	s_mov_b32 s21, exec_lo
	s_delay_alu instid0(VALU_DEP_1) | instskip(NEXT) | instid1(VALU_DEP_1)
	v_add3_u32 v1, v4, v1, 0x487ffff
                                        ; implicit-def: $vgpr4
	v_lshrrev_b32_e32 v1, 20, v1
	s_and_not1_saveexec_b32 s22, s22
	s_cbranch_execnz .LBB62_1554
.LBB62_1452:
	s_or_b32 exec_lo, exec_lo, s22
	v_mov_b32_e32 v5, 0
	s_and_saveexec_b32 s22, s21
.LBB62_1453:
	v_mov_b32_e32 v5, v1
.LBB62_1454:
	s_or_b32 exec_lo, exec_lo, s22
.LBB62_1455:
	s_delay_alu instid0(SALU_CYCLE_1)
	s_or_b32 exec_lo, exec_lo, s20
	global_store_b8 v[2:3], v5, off
.LBB62_1456:
	s_mov_b32 s20, 0
.LBB62_1457:
	s_delay_alu instid0(SALU_CYCLE_1)
	s_and_b32 vcc_lo, exec_lo, s20
	s_mov_b32 s20, 0
	s_cbranch_vccz .LBB62_1497
; %bb.1458:
	s_cmp_gt_i32 s19, 22
	s_mov_b32 s21, -1
	s_cbranch_scc0 .LBB62_1490
; %bb.1459:
	s_cmp_lt_i32 s19, 24
	s_cbranch_scc1 .LBB62_1479
; %bb.1460:
	s_cmp_gt_i32 s19, 24
	s_cbranch_scc0 .LBB62_1468
; %bb.1461:
	s_wait_xcnt 0x0
	v_cvt_f32_u32_e32 v4, v0
	v_mov_b32_e32 v5, 0x80
	s_mov_b32 s21, exec_lo
	s_delay_alu instid0(VALU_DEP_2)
	v_cmpx_gt_u32_e32 0x47800000, v4
	s_cbranch_execz .LBB62_1467
; %bb.1462:
	s_mov_b32 s22, 0
	s_mov_b32 s23, exec_lo
                                        ; implicit-def: $vgpr1
	v_cmpx_lt_u32_e32 0x37ffffff, v4
	s_xor_b32 s23, exec_lo, s23
	s_cbranch_execz .LBB62_1674
; %bb.1463:
	v_bfe_u32 v1, v4, 21, 1
	s_mov_b32 s22, exec_lo
	s_delay_alu instid0(VALU_DEP_1) | instskip(NEXT) | instid1(VALU_DEP_1)
	v_add3_u32 v1, v4, v1, 0x88fffff
                                        ; implicit-def: $vgpr4
	v_lshrrev_b32_e32 v1, 21, v1
	s_and_not1_saveexec_b32 s23, s23
	s_cbranch_execnz .LBB62_1675
.LBB62_1464:
	s_or_b32 exec_lo, exec_lo, s23
	v_mov_b32_e32 v5, 0
	s_and_saveexec_b32 s23, s22
.LBB62_1465:
	v_mov_b32_e32 v5, v1
.LBB62_1466:
	s_or_b32 exec_lo, exec_lo, s23
.LBB62_1467:
	s_delay_alu instid0(SALU_CYCLE_1)
	s_or_b32 exec_lo, exec_lo, s21
	s_mov_b32 s21, 0
	global_store_b8 v[2:3], v5, off
.LBB62_1468:
	s_and_b32 vcc_lo, exec_lo, s21
	s_cbranch_vccz .LBB62_1478
; %bb.1469:
	s_wait_xcnt 0x0
	v_cvt_f32_u32_e32 v4, v0
	s_mov_b32 s21, exec_lo
                                        ; implicit-def: $vgpr1
	s_delay_alu instid0(VALU_DEP_1)
	v_cmpx_gt_u32_e32 0x43f00000, v4
	s_xor_b32 s21, exec_lo, s21
	s_cbranch_execz .LBB62_1475
; %bb.1470:
	s_mov_b32 s22, exec_lo
                                        ; implicit-def: $vgpr1
	v_cmpx_lt_u32_e32 0x3c7fffff, v4
	s_xor_b32 s22, exec_lo, s22
; %bb.1471:
	v_bfe_u32 v1, v4, 20, 1
	s_delay_alu instid0(VALU_DEP_1) | instskip(NEXT) | instid1(VALU_DEP_1)
	v_add3_u32 v1, v4, v1, 0x407ffff
	v_and_b32_e32 v4, 0xff00000, v1
	v_lshrrev_b32_e32 v1, 20, v1
	s_delay_alu instid0(VALU_DEP_2) | instskip(NEXT) | instid1(VALU_DEP_2)
	v_cmp_ne_u32_e32 vcc_lo, 0x7f00000, v4
                                        ; implicit-def: $vgpr4
	v_cndmask_b32_e32 v1, 0x7e, v1, vcc_lo
; %bb.1472:
	s_and_not1_saveexec_b32 s22, s22
; %bb.1473:
	v_add_f32_e32 v1, 0x46800000, v4
; %bb.1474:
	s_or_b32 exec_lo, exec_lo, s22
                                        ; implicit-def: $vgpr4
.LBB62_1475:
	s_and_not1_saveexec_b32 s21, s21
; %bb.1476:
	v_mov_b32_e32 v1, 0x7f
	v_cmp_lt_u32_e32 vcc_lo, 0x7f800000, v4
	s_delay_alu instid0(VALU_DEP_2)
	v_cndmask_b32_e32 v1, 0x7e, v1, vcc_lo
; %bb.1477:
	s_or_b32 exec_lo, exec_lo, s21
	global_store_b8 v[2:3], v1, off
.LBB62_1478:
	s_mov_b32 s21, 0
.LBB62_1479:
	s_delay_alu instid0(SALU_CYCLE_1)
	s_and_not1_b32 vcc_lo, exec_lo, s21
	s_cbranch_vccnz .LBB62_1489
; %bb.1480:
	s_wait_xcnt 0x0
	v_cvt_f32_u32_e32 v4, v0
	s_mov_b32 s21, exec_lo
                                        ; implicit-def: $vgpr1
	s_delay_alu instid0(VALU_DEP_1)
	v_cmpx_gt_u32_e32 0x47800000, v4
	s_xor_b32 s21, exec_lo, s21
	s_cbranch_execz .LBB62_1486
; %bb.1481:
	s_mov_b32 s22, exec_lo
                                        ; implicit-def: $vgpr1
	v_cmpx_lt_u32_e32 0x387fffff, v4
	s_xor_b32 s22, exec_lo, s22
; %bb.1482:
	v_bfe_u32 v1, v4, 21, 1
	s_delay_alu instid0(VALU_DEP_1) | instskip(NEXT) | instid1(VALU_DEP_1)
	v_add3_u32 v1, v4, v1, 0x80fffff
                                        ; implicit-def: $vgpr4
	v_lshrrev_b32_e32 v1, 21, v1
; %bb.1483:
	s_and_not1_saveexec_b32 s22, s22
; %bb.1484:
	v_add_f32_e32 v1, 0x43000000, v4
; %bb.1485:
	s_or_b32 exec_lo, exec_lo, s22
                                        ; implicit-def: $vgpr4
.LBB62_1486:
	s_and_not1_saveexec_b32 s21, s21
; %bb.1487:
	v_mov_b32_e32 v1, 0x7f
	v_cmp_lt_u32_e32 vcc_lo, 0x7f800000, v4
	s_delay_alu instid0(VALU_DEP_2)
	v_cndmask_b32_e32 v1, 0x7c, v1, vcc_lo
; %bb.1488:
	s_or_b32 exec_lo, exec_lo, s21
	global_store_b8 v[2:3], v1, off
.LBB62_1489:
	s_mov_b32 s21, 0
.LBB62_1490:
	s_delay_alu instid0(SALU_CYCLE_1)
	s_and_not1_b32 vcc_lo, exec_lo, s21
	s_mov_b32 s21, 0
	s_cbranch_vccnz .LBB62_1498
; %bb.1491:
	s_cmp_gt_i32 s19, 14
	s_mov_b32 s21, -1
	s_cbranch_scc0 .LBB62_1495
; %bb.1492:
	s_cmp_eq_u32 s19, 15
	s_mov_b32 s0, -1
	s_cbranch_scc0 .LBB62_1494
; %bb.1493:
	s_wait_xcnt 0x0
	v_cvt_f32_u32_e32 v1, v0
	s_mov_b32 s0, 0
	s_delay_alu instid0(VALU_DEP_1) | instskip(NEXT) | instid1(VALU_DEP_1)
	v_bfe_u32 v4, v1, 16, 1
	v_add3_u32 v1, v1, v4, 0x7fff
	global_store_d16_hi_b16 v[2:3], v1, off
.LBB62_1494:
	s_mov_b32 s21, 0
.LBB62_1495:
	s_delay_alu instid0(SALU_CYCLE_1)
	s_and_b32 vcc_lo, exec_lo, s21
	s_mov_b32 s21, 0
	s_cbranch_vccz .LBB62_1498
; %bb.1496:
	s_cmp_lg_u32 s19, 11
	s_mov_b32 s21, -1
	s_cselect_b32 s19, -1, 0
	s_and_not1_b32 s0, s0, exec_lo
	s_and_b32 s19, s19, exec_lo
	s_delay_alu instid0(SALU_CYCLE_1)
	s_or_b32 s0, s0, s19
	s_branch .LBB62_1498
.LBB62_1497:
	s_mov_b32 s21, 0
.LBB62_1498:
	s_and_b32 s19, s20, exec_lo
	s_and_not1_b32 s15, s15, exec_lo
	s_and_b32 s20, s0, exec_lo
	s_and_b32 s0, s21, exec_lo
	s_or_b32 s15, s15, s20
	s_wait_xcnt 0x0
	s_or_b32 exec_lo, exec_lo, s18
	s_and_saveexec_b32 s18, s15
	s_cbranch_execz .LBB62_1427
.LBB62_1499:
	s_or_b32 s16, s16, exec_lo
	s_and_not1_b32 s0, s0, exec_lo
	s_trap 2
	s_or_b32 exec_lo, exec_lo, s18
	s_and_saveexec_b32 s15, s0
	s_delay_alu instid0(SALU_CYCLE_1)
	s_xor_b32 s0, exec_lo, s15
	s_cbranch_execnz .LBB62_1428
.LBB62_1500:
	s_or_b32 exec_lo, exec_lo, s0
	s_and_saveexec_b32 s0, s19
	s_delay_alu instid0(SALU_CYCLE_1)
	s_xor_b32 s0, exec_lo, s0
	s_cbranch_execz .LBB62_1538
.LBB62_1501:
	s_sext_i32_i16 s18, s17
	s_mov_b32 s15, -1
	s_cmp_lt_i32 s18, 5
	s_cbranch_scc1 .LBB62_1522
; %bb.1502:
	s_cmp_lt_i32 s18, 8
	s_cbranch_scc1 .LBB62_1512
; %bb.1503:
	;; [unrolled: 3-line block ×3, first 2 shown]
	s_cmp_gt_i32 s18, 9
	s_cbranch_scc0 .LBB62_1506
; %bb.1505:
	s_wait_loadcnt 0x0
	v_cvt_f64_u32_e32 v[4:5], v0
	v_mov_b32_e32 v6, 0
	s_mov_b32 s15, 0
	s_delay_alu instid0(VALU_DEP_1)
	v_mov_b32_e32 v7, v6
	global_store_b128 v[2:3], v[4:7], off
.LBB62_1506:
	s_and_not1_b32 vcc_lo, exec_lo, s15
	s_cbranch_vccnz .LBB62_1508
; %bb.1507:
	s_wait_loadcnt 0x0
	v_cvt_f32_u32_e32 v4, v0
	v_mov_b32_e32 v5, 0
	global_store_b64 v[2:3], v[4:5], off
.LBB62_1508:
	s_mov_b32 s15, 0
.LBB62_1509:
	s_delay_alu instid0(SALU_CYCLE_1)
	s_and_not1_b32 vcc_lo, exec_lo, s15
	s_cbranch_vccnz .LBB62_1511
; %bb.1510:
	v_cvt_f32_u32_e32 v1, v0
	s_delay_alu instid0(VALU_DEP_1) | instskip(NEXT) | instid1(VALU_DEP_1)
	v_cvt_f16_f32_e32 v1, v1
	v_and_b32_e32 v1, 0xffff, v1
	s_wait_loadcnt 0x0
	global_store_b32 v[2:3], v1, off
.LBB62_1511:
	s_mov_b32 s15, 0
.LBB62_1512:
	s_delay_alu instid0(SALU_CYCLE_1)
	s_and_not1_b32 vcc_lo, exec_lo, s15
	s_cbranch_vccnz .LBB62_1521
; %bb.1513:
	s_sext_i32_i16 s18, s17
	s_mov_b32 s15, -1
	s_cmp_lt_i32 s18, 6
	s_cbranch_scc1 .LBB62_1519
; %bb.1514:
	s_cmp_gt_i32 s18, 6
	s_cbranch_scc0 .LBB62_1516
; %bb.1515:
	s_wait_loadcnt 0x0
	v_cvt_f64_u32_e32 v[4:5], v0
	s_mov_b32 s15, 0
	global_store_b64 v[2:3], v[4:5], off
.LBB62_1516:
	s_and_not1_b32 vcc_lo, exec_lo, s15
	s_cbranch_vccnz .LBB62_1518
; %bb.1517:
	s_wait_xcnt 0x0
	v_cvt_f32_u32_e32 v1, v0
	s_wait_loadcnt 0x0
	global_store_b32 v[2:3], v1, off
.LBB62_1518:
	s_mov_b32 s15, 0
.LBB62_1519:
	s_delay_alu instid0(SALU_CYCLE_1)
	s_and_not1_b32 vcc_lo, exec_lo, s15
	s_cbranch_vccnz .LBB62_1521
; %bb.1520:
	s_wait_xcnt 0x0
	v_cvt_f32_u32_e32 v1, v0
	s_delay_alu instid0(VALU_DEP_1)
	v_cvt_f16_f32_e32 v1, v1
	s_wait_loadcnt 0x0
	global_store_b16 v[2:3], v1, off
.LBB62_1521:
	s_mov_b32 s15, 0
.LBB62_1522:
	s_delay_alu instid0(SALU_CYCLE_1)
	s_and_not1_b32 vcc_lo, exec_lo, s15
	s_cbranch_vccnz .LBB62_1538
; %bb.1523:
	s_sext_i32_i16 s18, s17
	s_mov_b32 s15, -1
	s_cmp_lt_i32 s18, 2
	s_cbranch_scc1 .LBB62_1533
; %bb.1524:
	s_cmp_lt_i32 s18, 3
	s_cbranch_scc1 .LBB62_1530
; %bb.1525:
	s_cmp_gt_i32 s18, 3
	s_cbranch_scc0 .LBB62_1527
; %bb.1526:
	s_wait_xcnt 0x0
	v_mov_b32_e32 v1, 0
	s_mov_b32 s15, 0
	s_wait_loadcnt 0x0
	global_store_b64 v[2:3], v[0:1], off
.LBB62_1527:
	s_and_not1_b32 vcc_lo, exec_lo, s15
	s_cbranch_vccnz .LBB62_1529
; %bb.1528:
	s_wait_loadcnt 0x0
	global_store_b32 v[2:3], v0, off
.LBB62_1529:
	s_mov_b32 s15, 0
.LBB62_1530:
	s_delay_alu instid0(SALU_CYCLE_1)
	s_and_not1_b32 vcc_lo, exec_lo, s15
	s_cbranch_vccnz .LBB62_1532
; %bb.1531:
	s_wait_loadcnt 0x0
	global_store_b16 v[2:3], v0, off
.LBB62_1532:
	s_mov_b32 s15, 0
.LBB62_1533:
	s_delay_alu instid0(SALU_CYCLE_1)
	s_and_not1_b32 vcc_lo, exec_lo, s15
	s_cbranch_vccnz .LBB62_1538
; %bb.1534:
	s_sext_i32_i16 s15, s17
	s_delay_alu instid0(SALU_CYCLE_1)
	s_cmp_gt_i32 s15, 0
	s_mov_b32 s15, -1
	s_cbranch_scc0 .LBB62_1536
; %bb.1535:
	s_mov_b32 s15, 0
	s_wait_loadcnt 0x0
	global_store_b8 v[2:3], v0, off
.LBB62_1536:
	s_and_not1_b32 vcc_lo, exec_lo, s15
	s_cbranch_vccnz .LBB62_1538
; %bb.1537:
	s_wait_loadcnt 0x0
	global_store_b8 v[2:3], v0, off
.LBB62_1538:
	s_wait_xcnt 0x0
	s_or_b32 exec_lo, exec_lo, s0
	s_delay_alu instid0(SALU_CYCLE_1)
	s_and_b32 s15, s16, exec_lo
                                        ; implicit-def: $vgpr10
.LBB62_1539:
	s_or_saveexec_b32 s14, s14
	s_mov_b32 s0, 0
                                        ; implicit-def: $sgpr16
                                        ; implicit-def: $vgpr0_vgpr1
                                        ; implicit-def: $vgpr6
	s_xor_b32 exec_lo, exec_lo, s14
	s_cbranch_execz .LBB62_2653
; %bb.1540:
	s_wait_loadcnt 0x0
	v_mul_lo_u32 v2, s9, v10
	s_and_b32 s0, s13, 0xff
	s_delay_alu instid0(SALU_CYCLE_1) | instskip(NEXT) | instid1(VALU_DEP_1)
	s_cmp_lt_i32 s0, 11
	v_ashrrev_i32_e32 v3, 31, v2
	s_delay_alu instid0(VALU_DEP_1)
	v_add_nc_u64_e32 v[0:1], s[6:7], v[2:3]
	s_cbranch_scc1 .LBB62_1547
; %bb.1541:
	s_and_b32 s12, 0xffff, s0
	s_mov_b32 s16, 0
	s_cmp_gt_i32 s12, 25
	s_cbranch_scc0 .LBB62_1549
; %bb.1542:
	s_cmp_gt_i32 s12, 28
	s_cbranch_scc0 .LBB62_1550
; %bb.1543:
	;; [unrolled: 3-line block ×4, first 2 shown]
	s_cmp_eq_u32 s12, 46
	s_mov_b32 s18, 0
	s_cbranch_scc0 .LBB62_1555
; %bb.1546:
	global_load_b32 v3, v[0:1], off
	s_mov_b32 s13, 0
	s_mov_b32 s17, -1
	s_wait_loadcnt 0x0
	v_lshlrev_b32_e32 v3, 16, v3
	s_delay_alu instid0(VALU_DEP_1)
	v_cvt_i32_f32_e32 v3, v3
	s_branch .LBB62_1557
.LBB62_1547:
	s_mov_b32 s17, 0
	s_mov_b32 s12, s15
                                        ; implicit-def: $vgpr3
	s_cbranch_execnz .LBB62_1615
.LBB62_1548:
	s_and_not1_b32 vcc_lo, exec_lo, s17
	s_cbranch_vccz .LBB62_1660
	s_branch .LBB62_2651
.LBB62_1549:
	s_mov_b32 s17, 0
	s_mov_b32 s13, 0
                                        ; implicit-def: $vgpr3
	s_cbranch_execnz .LBB62_1582
	s_branch .LBB62_1611
.LBB62_1550:
	s_mov_b32 s17, 0
	s_mov_b32 s13, 0
                                        ; implicit-def: $vgpr3
	s_cbranch_execz .LBB62_1581
	s_branch .LBB62_1566
.LBB62_1551:
	s_mov_b32 s17, 0
	s_mov_b32 s13, 0
                                        ; implicit-def: $vgpr3
	s_cbranch_execnz .LBB62_1562
	s_branch .LBB62_1565
.LBB62_1552:
	s_mov_b32 s18, -1
	s_mov_b32 s17, 0
	s_mov_b32 s13, 0
	s_branch .LBB62_1556
.LBB62_1553:
	s_and_not1_saveexec_b32 s22, s22
	s_cbranch_execz .LBB62_1452
.LBB62_1554:
	v_add_f32_e32 v1, 0x46000000, v4
	s_and_not1_b32 s21, s21, exec_lo
	s_delay_alu instid0(VALU_DEP_1) | instskip(NEXT) | instid1(VALU_DEP_1)
	v_and_b32_e32 v1, 0xff, v1
	v_cmp_ne_u32_e32 vcc_lo, 0, v1
	s_and_b32 s23, vcc_lo, exec_lo
	s_delay_alu instid0(SALU_CYCLE_1)
	s_or_b32 s21, s21, s23
	s_or_b32 exec_lo, exec_lo, s22
	v_mov_b32_e32 v5, 0
	s_and_saveexec_b32 s22, s21
	s_cbranch_execnz .LBB62_1453
	s_branch .LBB62_1454
.LBB62_1555:
	s_mov_b32 s13, -1
	s_mov_b32 s17, 0
.LBB62_1556:
                                        ; implicit-def: $vgpr3
.LBB62_1557:
	s_and_b32 vcc_lo, exec_lo, s18
	s_cbranch_vccz .LBB62_1560
; %bb.1558:
	s_cmp_eq_u32 s12, 44
	s_cbranch_scc0 .LBB62_1561
; %bb.1559:
	global_load_u8 v3, v[0:1], off
	s_mov_b32 s13, 0
	s_mov_b32 s17, -1
	s_wait_loadcnt 0x0
	v_lshlrev_b32_e32 v4, 23, v3
	v_cmp_ne_u32_e32 vcc_lo, 0, v3
	s_delay_alu instid0(VALU_DEP_2) | instskip(NEXT) | instid1(VALU_DEP_1)
	v_cvt_i32_f32_e32 v4, v4
	v_cndmask_b32_e32 v3, 0, v4, vcc_lo
.LBB62_1560:
	s_branch .LBB62_1565
.LBB62_1561:
	s_mov_b32 s13, -1
                                        ; implicit-def: $vgpr3
	s_branch .LBB62_1565
.LBB62_1562:
	s_cmp_eq_u32 s12, 29
	s_cbranch_scc0 .LBB62_1564
; %bb.1563:
	global_load_b32 v3, v[0:1], off
	s_mov_b32 s13, 0
	s_mov_b32 s17, -1
	s_branch .LBB62_1565
.LBB62_1564:
	s_mov_b32 s13, -1
                                        ; implicit-def: $vgpr3
.LBB62_1565:
	s_branch .LBB62_1581
.LBB62_1566:
	s_cmp_lt_i32 s12, 27
	s_cbranch_scc1 .LBB62_1569
; %bb.1567:
	s_cmp_gt_i32 s12, 27
	s_cbranch_scc0 .LBB62_1570
; %bb.1568:
	s_wait_loadcnt 0x0
	global_load_b32 v3, v[0:1], off
	s_mov_b32 s17, 0
	s_branch .LBB62_1571
.LBB62_1569:
	s_mov_b32 s17, -1
                                        ; implicit-def: $vgpr3
	s_branch .LBB62_1574
.LBB62_1570:
	s_mov_b32 s17, -1
                                        ; implicit-def: $vgpr3
.LBB62_1571:
	s_delay_alu instid0(SALU_CYCLE_1)
	s_and_not1_b32 vcc_lo, exec_lo, s17
	s_cbranch_vccnz .LBB62_1573
; %bb.1572:
	s_wait_loadcnt 0x0
	global_load_u16 v3, v[0:1], off
.LBB62_1573:
	s_mov_b32 s17, 0
.LBB62_1574:
	s_delay_alu instid0(SALU_CYCLE_1)
	s_and_not1_b32 vcc_lo, exec_lo, s17
	s_cbranch_vccnz .LBB62_1580
; %bb.1575:
	global_load_u8 v4, v[0:1], off
	s_mov_b32 s18, 0
	s_mov_b32 s17, exec_lo
	s_wait_loadcnt 0x0
	v_cmpx_lt_i16_e32 0x7f, v4
	s_xor_b32 s17, exec_lo, s17
	s_cbranch_execz .LBB62_1591
; %bb.1576:
	v_cmp_ne_u16_e32 vcc_lo, 0x80, v4
	s_and_b32 s18, vcc_lo, exec_lo
	s_and_not1_saveexec_b32 s17, s17
	s_cbranch_execnz .LBB62_1592
.LBB62_1577:
	s_or_b32 exec_lo, exec_lo, s17
	v_mov_b32_e32 v3, 0
	s_and_saveexec_b32 s17, s18
	s_cbranch_execz .LBB62_1579
.LBB62_1578:
	v_and_b32_e32 v3, 0xffff, v4
	s_delay_alu instid0(VALU_DEP_1) | instskip(SKIP_1) | instid1(VALU_DEP_2)
	v_and_b32_e32 v5, 7, v3
	v_bfe_u32 v8, v3, 3, 4
	v_clz_i32_u32_e32 v6, v5
	s_delay_alu instid0(VALU_DEP_2) | instskip(NEXT) | instid1(VALU_DEP_2)
	v_cmp_eq_u32_e32 vcc_lo, 0, v8
	v_min_u32_e32 v6, 32, v6
	s_delay_alu instid0(VALU_DEP_1) | instskip(NEXT) | instid1(VALU_DEP_1)
	v_subrev_nc_u32_e32 v7, 28, v6
	v_dual_lshlrev_b32 v3, v7, v3 :: v_dual_sub_nc_u32 v6, 29, v6
	s_delay_alu instid0(VALU_DEP_1) | instskip(NEXT) | instid1(VALU_DEP_1)
	v_dual_lshlrev_b32 v4, 24, v4 :: v_dual_bitop2_b32 v3, 7, v3 bitop3:0x40
	v_dual_cndmask_b32 v6, v8, v6 :: v_dual_cndmask_b32 v3, v5, v3
	s_delay_alu instid0(VALU_DEP_2) | instskip(NEXT) | instid1(VALU_DEP_2)
	v_and_b32_e32 v4, 0x80000000, v4
	v_lshl_add_u32 v5, v6, 23, 0x3b800000
	s_delay_alu instid0(VALU_DEP_3) | instskip(NEXT) | instid1(VALU_DEP_1)
	v_lshlrev_b32_e32 v3, 20, v3
	v_or3_b32 v3, v4, v5, v3
	s_delay_alu instid0(VALU_DEP_1)
	v_cvt_i32_f32_e32 v3, v3
.LBB62_1579:
	s_or_b32 exec_lo, exec_lo, s17
.LBB62_1580:
	s_mov_b32 s17, -1
.LBB62_1581:
	s_branch .LBB62_1611
.LBB62_1582:
	s_cmp_gt_i32 s12, 22
	s_cbranch_scc0 .LBB62_1590
; %bb.1583:
	s_cmp_lt_i32 s12, 24
	s_cbranch_scc1 .LBB62_1593
; %bb.1584:
	s_cmp_gt_i32 s12, 24
	s_cbranch_scc0 .LBB62_1594
; %bb.1585:
	global_load_u8 v4, v[0:1], off
	s_mov_b32 s17, 0
	s_mov_b32 s16, exec_lo
	s_wait_loadcnt 0x0
	v_cmpx_lt_i16_e32 0x7f, v4
	s_xor_b32 s16, exec_lo, s16
	s_cbranch_execz .LBB62_1605
; %bb.1586:
	v_cmp_ne_u16_e32 vcc_lo, 0x80, v4
	s_and_b32 s17, vcc_lo, exec_lo
	s_and_not1_saveexec_b32 s16, s16
	s_cbranch_execnz .LBB62_1606
.LBB62_1587:
	s_or_b32 exec_lo, exec_lo, s16
	v_mov_b32_e32 v3, 0
	s_and_saveexec_b32 s16, s17
	s_cbranch_execz .LBB62_1589
.LBB62_1588:
	v_and_b32_e32 v3, 0xffff, v4
	s_delay_alu instid0(VALU_DEP_1) | instskip(SKIP_1) | instid1(VALU_DEP_2)
	v_and_b32_e32 v5, 3, v3
	v_bfe_u32 v8, v3, 2, 5
	v_clz_i32_u32_e32 v6, v5
	s_delay_alu instid0(VALU_DEP_2) | instskip(NEXT) | instid1(VALU_DEP_2)
	v_cmp_eq_u32_e32 vcc_lo, 0, v8
	v_min_u32_e32 v6, 32, v6
	s_delay_alu instid0(VALU_DEP_1) | instskip(NEXT) | instid1(VALU_DEP_1)
	v_subrev_nc_u32_e32 v7, 29, v6
	v_dual_lshlrev_b32 v3, v7, v3 :: v_dual_sub_nc_u32 v6, 30, v6
	s_delay_alu instid0(VALU_DEP_1) | instskip(NEXT) | instid1(VALU_DEP_1)
	v_dual_lshlrev_b32 v4, 24, v4 :: v_dual_bitop2_b32 v3, 3, v3 bitop3:0x40
	v_dual_cndmask_b32 v6, v8, v6 :: v_dual_cndmask_b32 v3, v5, v3
	s_delay_alu instid0(VALU_DEP_2) | instskip(NEXT) | instid1(VALU_DEP_2)
	v_and_b32_e32 v4, 0x80000000, v4
	v_lshl_add_u32 v5, v6, 23, 0x37800000
	s_delay_alu instid0(VALU_DEP_3) | instskip(NEXT) | instid1(VALU_DEP_1)
	v_lshlrev_b32_e32 v3, 21, v3
	v_or3_b32 v3, v4, v5, v3
	s_delay_alu instid0(VALU_DEP_1)
	v_cvt_i32_f32_e32 v3, v3
.LBB62_1589:
	s_or_b32 exec_lo, exec_lo, s16
	s_mov_b32 s16, 0
	s_branch .LBB62_1595
.LBB62_1590:
                                        ; implicit-def: $vgpr3
	s_mov_b32 s16, 0
	s_branch .LBB62_1601
.LBB62_1591:
	s_and_not1_saveexec_b32 s17, s17
	s_cbranch_execz .LBB62_1577
.LBB62_1592:
	v_cmp_ne_u16_e32 vcc_lo, 0, v4
	s_and_not1_b32 s18, s18, exec_lo
	s_and_b32 s19, vcc_lo, exec_lo
	s_delay_alu instid0(SALU_CYCLE_1)
	s_or_b32 s18, s18, s19
	s_or_b32 exec_lo, exec_lo, s17
	v_mov_b32_e32 v3, 0
	s_and_saveexec_b32 s17, s18
	s_cbranch_execnz .LBB62_1578
	s_branch .LBB62_1579
.LBB62_1593:
	s_mov_b32 s16, -1
                                        ; implicit-def: $vgpr3
	s_branch .LBB62_1598
.LBB62_1594:
	s_mov_b32 s16, -1
                                        ; implicit-def: $vgpr3
.LBB62_1595:
	s_delay_alu instid0(SALU_CYCLE_1)
	s_and_b32 vcc_lo, exec_lo, s16
	s_cbranch_vccz .LBB62_1597
; %bb.1596:
	s_wait_loadcnt 0x0
	global_load_u8 v3, v[0:1], off
	s_wait_loadcnt 0x0
	v_lshlrev_b32_e32 v3, 24, v3
	s_delay_alu instid0(VALU_DEP_1) | instskip(NEXT) | instid1(VALU_DEP_1)
	v_and_b32_e32 v4, 0x7f000000, v3
	v_clz_i32_u32_e32 v5, v4
	v_cmp_ne_u32_e32 vcc_lo, 0, v4
	v_add_nc_u32_e32 v7, 0x1000000, v4
	s_delay_alu instid0(VALU_DEP_3) | instskip(NEXT) | instid1(VALU_DEP_1)
	v_min_u32_e32 v5, 32, v5
	v_sub_nc_u32_e64 v5, v5, 4 clamp
	s_delay_alu instid0(VALU_DEP_1) | instskip(NEXT) | instid1(VALU_DEP_1)
	v_dual_lshlrev_b32 v6, v5, v4 :: v_dual_lshlrev_b32 v5, 23, v5
	v_lshrrev_b32_e32 v6, 4, v6
	s_delay_alu instid0(VALU_DEP_1) | instskip(NEXT) | instid1(VALU_DEP_1)
	v_dual_sub_nc_u32 v5, v6, v5 :: v_dual_ashrrev_i32 v6, 8, v7
	v_add_nc_u32_e32 v5, 0x3c000000, v5
	s_delay_alu instid0(VALU_DEP_1) | instskip(NEXT) | instid1(VALU_DEP_1)
	v_and_or_b32 v5, 0x7f800000, v6, v5
	v_cndmask_b32_e32 v4, 0, v5, vcc_lo
	s_delay_alu instid0(VALU_DEP_1) | instskip(NEXT) | instid1(VALU_DEP_1)
	v_and_or_b32 v3, 0x80000000, v3, v4
	v_cvt_i32_f32_e32 v3, v3
.LBB62_1597:
	s_mov_b32 s16, 0
.LBB62_1598:
	s_delay_alu instid0(SALU_CYCLE_1)
	s_and_not1_b32 vcc_lo, exec_lo, s16
	s_cbranch_vccnz .LBB62_1600
; %bb.1599:
	s_wait_loadcnt 0x0
	global_load_u8 v3, v[0:1], off
	s_wait_loadcnt 0x0
	v_lshlrev_b32_e32 v4, 25, v3
	v_lshlrev_b16 v3, 8, v3
	s_delay_alu instid0(VALU_DEP_1) | instskip(SKIP_1) | instid1(VALU_DEP_2)
	v_and_or_b32 v6, 0x7f00, v3, 0.5
	v_bfe_i32 v3, v3, 0, 16
	v_dual_add_f32 v6, -0.5, v6 :: v_dual_lshrrev_b32 v5, 4, v4
	v_cmp_gt_u32_e32 vcc_lo, 0x8000000, v4
	s_delay_alu instid0(VALU_DEP_2) | instskip(NEXT) | instid1(VALU_DEP_1)
	v_or_b32_e32 v5, 0x70000000, v5
	v_mul_f32_e32 v5, 0x7800000, v5
	s_delay_alu instid0(VALU_DEP_1) | instskip(NEXT) | instid1(VALU_DEP_1)
	v_cndmask_b32_e32 v4, v5, v6, vcc_lo
	v_and_or_b32 v3, 0x80000000, v3, v4
	s_delay_alu instid0(VALU_DEP_1)
	v_cvt_i32_f32_e32 v3, v3
.LBB62_1600:
	s_mov_b32 s17, -1
	s_mov_b32 s16, 0
	s_cbranch_execnz .LBB62_1611
.LBB62_1601:
	s_cmp_gt_i32 s12, 14
	s_cbranch_scc0 .LBB62_1604
; %bb.1602:
	s_cmp_eq_u32 s12, 15
	s_cbranch_scc0 .LBB62_1607
; %bb.1603:
	s_wait_loadcnt 0x0
	global_load_u16 v3, v[0:1], off
	s_mov_b32 s13, 0
	s_mov_b32 s17, -1
	s_wait_loadcnt 0x0
	v_lshlrev_b32_e32 v3, 16, v3
	s_delay_alu instid0(VALU_DEP_1)
	v_cvt_i32_f32_e32 v3, v3
	s_branch .LBB62_1609
.LBB62_1604:
	s_mov_b32 s16, -1
	s_branch .LBB62_1608
.LBB62_1605:
	s_and_not1_saveexec_b32 s16, s16
	s_cbranch_execz .LBB62_1587
.LBB62_1606:
	v_cmp_ne_u16_e32 vcc_lo, 0, v4
	s_and_not1_b32 s17, s17, exec_lo
	s_and_b32 s18, vcc_lo, exec_lo
	s_delay_alu instid0(SALU_CYCLE_1)
	s_or_b32 s17, s17, s18
	s_or_b32 exec_lo, exec_lo, s16
	v_mov_b32_e32 v3, 0
	s_and_saveexec_b32 s16, s17
	s_cbranch_execnz .LBB62_1588
	s_branch .LBB62_1589
.LBB62_1607:
	s_mov_b32 s13, -1
.LBB62_1608:
                                        ; implicit-def: $vgpr3
.LBB62_1609:
	s_and_b32 vcc_lo, exec_lo, s16
	s_mov_b32 s16, 0
	s_cbranch_vccz .LBB62_1611
; %bb.1610:
	s_cmp_lg_u32 s12, 11
	s_mov_b32 s16, -1
	s_cselect_b32 s13, -1, 0
.LBB62_1611:
	s_delay_alu instid0(SALU_CYCLE_1)
	s_and_b32 vcc_lo, exec_lo, s13
	s_mov_b32 s12, s15
	s_cbranch_vccnz .LBB62_1672
; %bb.1612:
	s_and_not1_b32 vcc_lo, exec_lo, s16
	s_cbranch_vccnz .LBB62_1614
.LBB62_1613:
	s_wait_loadcnt 0x0
	global_load_u8 v3, v[0:1], off
	s_mov_b32 s17, -1
	s_wait_loadcnt 0x0
	v_cmp_ne_u16_e32 vcc_lo, 0, v3
	v_cndmask_b32_e64 v3, 0, 1, vcc_lo
.LBB62_1614:
	s_branch .LBB62_1548
.LBB62_1615:
	s_and_b32 s13, 0xffff, s0
	s_delay_alu instid0(SALU_CYCLE_1)
	s_cmp_lt_i32 s13, 5
	s_cbranch_scc1 .LBB62_1620
; %bb.1616:
	s_cmp_lt_i32 s13, 8
	s_cbranch_scc1 .LBB62_1621
; %bb.1617:
	s_cmp_lt_i32 s13, 9
	s_cbranch_scc1 .LBB62_1622
; %bb.1618:
	s_cmp_gt_i32 s13, 9
	s_cbranch_scc0 .LBB62_1623
; %bb.1619:
	global_load_b64 v[4:5], v[0:1], off
	s_mov_b32 s16, 0
	s_wait_loadcnt 0x0
	v_cvt_i32_f64_e32 v3, v[4:5]
	s_branch .LBB62_1624
.LBB62_1620:
                                        ; implicit-def: $vgpr3
	s_branch .LBB62_1641
.LBB62_1621:
                                        ; implicit-def: $vgpr3
	s_branch .LBB62_1630
.LBB62_1622:
	s_mov_b32 s16, -1
                                        ; implicit-def: $vgpr3
	s_branch .LBB62_1627
.LBB62_1623:
	s_mov_b32 s16, -1
                                        ; implicit-def: $vgpr3
.LBB62_1624:
	s_delay_alu instid0(SALU_CYCLE_1)
	s_and_not1_b32 vcc_lo, exec_lo, s16
	s_cbranch_vccnz .LBB62_1626
; %bb.1625:
	s_wait_loadcnt 0x0
	global_load_b32 v3, v[0:1], off
	s_wait_loadcnt 0x0
	v_cvt_i32_f32_e32 v3, v3
.LBB62_1626:
	s_mov_b32 s16, 0
.LBB62_1627:
	s_delay_alu instid0(SALU_CYCLE_1)
	s_and_not1_b32 vcc_lo, exec_lo, s16
	s_cbranch_vccnz .LBB62_1629
; %bb.1628:
	s_wait_loadcnt 0x0
	global_load_b32 v3, v[0:1], off
	s_wait_loadcnt 0x0
	v_cvt_f32_f16_e32 v3, v3
	s_delay_alu instid0(VALU_DEP_1)
	v_cvt_i32_f32_e32 v3, v3
.LBB62_1629:
	s_cbranch_execnz .LBB62_1640
.LBB62_1630:
	s_cmp_lt_i32 s13, 6
	s_cbranch_scc1 .LBB62_1633
; %bb.1631:
	s_cmp_gt_i32 s13, 6
	s_cbranch_scc0 .LBB62_1634
; %bb.1632:
	global_load_b64 v[4:5], v[0:1], off
	s_mov_b32 s16, 0
	s_wait_loadcnt 0x0
	v_cvt_i32_f64_e32 v3, v[4:5]
	s_branch .LBB62_1635
.LBB62_1633:
	s_mov_b32 s16, -1
                                        ; implicit-def: $vgpr3
	s_branch .LBB62_1638
.LBB62_1634:
	s_mov_b32 s16, -1
                                        ; implicit-def: $vgpr3
.LBB62_1635:
	s_delay_alu instid0(SALU_CYCLE_1)
	s_and_not1_b32 vcc_lo, exec_lo, s16
	s_cbranch_vccnz .LBB62_1637
; %bb.1636:
	s_wait_loadcnt 0x0
	global_load_b32 v3, v[0:1], off
	s_wait_loadcnt 0x0
	v_cvt_i32_f32_e32 v3, v3
.LBB62_1637:
	s_mov_b32 s16, 0
.LBB62_1638:
	s_delay_alu instid0(SALU_CYCLE_1)
	s_and_not1_b32 vcc_lo, exec_lo, s16
	s_cbranch_vccnz .LBB62_1640
; %bb.1639:
	s_wait_loadcnt 0x0
	global_load_u16 v3, v[0:1], off
	s_wait_loadcnt 0x0
	v_cvt_f32_f16_e32 v3, v3
	s_delay_alu instid0(VALU_DEP_1)
	v_cvt_i32_f32_e32 v3, v3
.LBB62_1640:
	s_cbranch_execnz .LBB62_1659
.LBB62_1641:
	s_cmp_lt_i32 s13, 2
	s_cbranch_scc1 .LBB62_1645
; %bb.1642:
	s_cmp_lt_i32 s13, 3
	s_cbranch_scc1 .LBB62_1646
; %bb.1643:
	s_cmp_gt_i32 s13, 3
	s_cbranch_scc0 .LBB62_1647
; %bb.1644:
	s_wait_loadcnt 0x0
	global_load_b32 v3, v[0:1], off
	s_mov_b32 s16, 0
	s_branch .LBB62_1648
.LBB62_1645:
                                        ; implicit-def: $vgpr3
	s_branch .LBB62_1654
.LBB62_1646:
	s_mov_b32 s16, -1
                                        ; implicit-def: $vgpr3
	s_branch .LBB62_1651
.LBB62_1647:
	s_mov_b32 s16, -1
                                        ; implicit-def: $vgpr3
.LBB62_1648:
	s_delay_alu instid0(SALU_CYCLE_1)
	s_and_not1_b32 vcc_lo, exec_lo, s16
	s_cbranch_vccnz .LBB62_1650
; %bb.1649:
	s_wait_loadcnt 0x0
	global_load_b32 v3, v[0:1], off
.LBB62_1650:
	s_mov_b32 s16, 0
.LBB62_1651:
	s_delay_alu instid0(SALU_CYCLE_1)
	s_and_not1_b32 vcc_lo, exec_lo, s16
	s_cbranch_vccnz .LBB62_1653
; %bb.1652:
	s_wait_loadcnt 0x0
	global_load_i16 v3, v[0:1], off
.LBB62_1653:
	s_cbranch_execnz .LBB62_1659
.LBB62_1654:
	s_cmp_gt_i32 s13, 0
	s_mov_b32 s13, 0
	s_cbranch_scc0 .LBB62_1656
; %bb.1655:
	s_wait_loadcnt 0x0
	global_load_i8 v3, v[0:1], off
	s_branch .LBB62_1657
.LBB62_1656:
	s_mov_b32 s13, -1
                                        ; implicit-def: $vgpr3
.LBB62_1657:
	s_delay_alu instid0(SALU_CYCLE_1)
	s_and_not1_b32 vcc_lo, exec_lo, s13
	s_cbranch_vccnz .LBB62_1659
; %bb.1658:
	s_wait_loadcnt 0x0
	global_load_u8 v3, v[0:1], off
.LBB62_1659:
.LBB62_1660:
	v_mul_lo_u32 v4, s10, v10
	s_and_b32 s1, s1, 0xff
	s_delay_alu instid0(SALU_CYCLE_1) | instskip(NEXT) | instid1(VALU_DEP_1)
	s_cmp_lt_i32 s1, 11
	v_ashrrev_i32_e32 v5, 31, v4
	s_wait_xcnt 0x0
	s_delay_alu instid0(VALU_DEP_1)
	v_add_nc_u64_e32 v[0:1], s[2:3], v[4:5]
	s_cbranch_scc1 .LBB62_1667
; %bb.1661:
	s_and_b32 s13, 0xffff, s1
	s_mov_b32 s17, 0
	s_cmp_gt_i32 s13, 25
	s_cbranch_scc0 .LBB62_1669
; %bb.1662:
	s_cmp_gt_i32 s13, 28
	s_cbranch_scc0 .LBB62_1670
; %bb.1663:
	s_cmp_gt_i32 s13, 43
	s_cbranch_scc0 .LBB62_1671
; %bb.1664:
	s_cmp_gt_i32 s13, 45
	s_cbranch_scc0 .LBB62_1673
; %bb.1665:
	s_cmp_eq_u32 s13, 46
	s_mov_b32 s19, 0
	s_cbranch_scc0 .LBB62_1676
; %bb.1666:
	global_load_b32 v5, v[0:1], off
	s_mov_b32 s16, 0
	s_mov_b32 s18, -1
	s_wait_loadcnt 0x0
	v_lshlrev_b32_e32 v5, 16, v5
	s_delay_alu instid0(VALU_DEP_1)
	v_cvt_i32_f32_e32 v5, v5
	s_branch .LBB62_1678
.LBB62_1667:
	s_mov_b32 s18, 0
                                        ; implicit-def: $vgpr5
	s_cbranch_execnz .LBB62_1739
.LBB62_1668:
	s_and_not1_b32 vcc_lo, exec_lo, s18
	s_cbranch_vccnz .LBB62_2651
	s_branch .LBB62_1786
.LBB62_1669:
	s_mov_b32 s18, 0
	s_mov_b32 s16, 0
                                        ; implicit-def: $vgpr5
	s_cbranch_execnz .LBB62_1705
	s_branch .LBB62_1735
.LBB62_1670:
	s_mov_b32 s19, -1
	s_mov_b32 s18, 0
	s_mov_b32 s16, 0
                                        ; implicit-def: $vgpr5
	s_branch .LBB62_1688
.LBB62_1671:
	s_mov_b32 s19, -1
	s_mov_b32 s18, 0
	s_mov_b32 s16, 0
                                        ; implicit-def: $vgpr5
	s_branch .LBB62_1683
.LBB62_1672:
	s_or_b32 s12, s15, exec_lo
	s_trap 2
	s_cbranch_execz .LBB62_1613
	s_branch .LBB62_1614
.LBB62_1673:
	s_mov_b32 s19, -1
	s_mov_b32 s18, 0
	s_mov_b32 s16, 0
	s_branch .LBB62_1677
.LBB62_1674:
	s_and_not1_saveexec_b32 s23, s23
	s_cbranch_execz .LBB62_1464
.LBB62_1675:
	v_add_f32_e32 v1, 0x42800000, v4
	s_and_not1_b32 s22, s22, exec_lo
	s_delay_alu instid0(VALU_DEP_1) | instskip(NEXT) | instid1(VALU_DEP_1)
	v_and_b32_e32 v1, 0xff, v1
	v_cmp_ne_u32_e32 vcc_lo, 0, v1
	s_and_b32 s24, vcc_lo, exec_lo
	s_delay_alu instid0(SALU_CYCLE_1)
	s_or_b32 s22, s22, s24
	s_or_b32 exec_lo, exec_lo, s23
	v_mov_b32_e32 v5, 0
	s_and_saveexec_b32 s23, s22
	s_cbranch_execnz .LBB62_1465
	s_branch .LBB62_1466
.LBB62_1676:
	s_mov_b32 s16, -1
	s_mov_b32 s18, 0
.LBB62_1677:
                                        ; implicit-def: $vgpr5
.LBB62_1678:
	s_and_b32 vcc_lo, exec_lo, s19
	s_cbranch_vccz .LBB62_1682
; %bb.1679:
	s_cmp_eq_u32 s13, 44
	s_cbranch_scc0 .LBB62_1681
; %bb.1680:
	global_load_u8 v5, v[0:1], off
	s_mov_b32 s16, 0
	s_mov_b32 s18, -1
	s_wait_loadcnt 0x0
	v_lshlrev_b32_e32 v6, 23, v5
	v_cmp_ne_u32_e32 vcc_lo, 0, v5
	s_delay_alu instid0(VALU_DEP_2) | instskip(NEXT) | instid1(VALU_DEP_1)
	v_cvt_i32_f32_e32 v6, v6
	v_cndmask_b32_e32 v5, 0, v6, vcc_lo
	s_branch .LBB62_1682
.LBB62_1681:
	s_mov_b32 s16, -1
                                        ; implicit-def: $vgpr5
.LBB62_1682:
	s_mov_b32 s19, 0
.LBB62_1683:
	s_delay_alu instid0(SALU_CYCLE_1)
	s_and_b32 vcc_lo, exec_lo, s19
	s_cbranch_vccz .LBB62_1687
; %bb.1684:
	s_cmp_eq_u32 s13, 29
	s_cbranch_scc0 .LBB62_1686
; %bb.1685:
	global_load_b32 v5, v[0:1], off
	s_mov_b32 s16, 0
	s_mov_b32 s18, -1
	s_branch .LBB62_1687
.LBB62_1686:
	s_mov_b32 s16, -1
                                        ; implicit-def: $vgpr5
.LBB62_1687:
	s_mov_b32 s19, 0
.LBB62_1688:
	s_delay_alu instid0(SALU_CYCLE_1)
	s_and_b32 vcc_lo, exec_lo, s19
	s_cbranch_vccz .LBB62_1704
; %bb.1689:
	s_cmp_lt_i32 s13, 27
	s_cbranch_scc1 .LBB62_1692
; %bb.1690:
	s_cmp_gt_i32 s13, 27
	s_cbranch_scc0 .LBB62_1693
; %bb.1691:
	s_wait_loadcnt 0x0
	global_load_b32 v5, v[0:1], off
	s_mov_b32 s18, 0
	s_branch .LBB62_1694
.LBB62_1692:
	s_mov_b32 s18, -1
                                        ; implicit-def: $vgpr5
	s_branch .LBB62_1697
.LBB62_1693:
	s_mov_b32 s18, -1
                                        ; implicit-def: $vgpr5
.LBB62_1694:
	s_delay_alu instid0(SALU_CYCLE_1)
	s_and_not1_b32 vcc_lo, exec_lo, s18
	s_cbranch_vccnz .LBB62_1696
; %bb.1695:
	s_wait_loadcnt 0x0
	global_load_u16 v5, v[0:1], off
.LBB62_1696:
	s_mov_b32 s18, 0
.LBB62_1697:
	s_delay_alu instid0(SALU_CYCLE_1)
	s_and_not1_b32 vcc_lo, exec_lo, s18
	s_cbranch_vccnz .LBB62_1703
; %bb.1698:
	global_load_u8 v6, v[0:1], off
	s_mov_b32 s19, 0
	s_mov_b32 s18, exec_lo
	s_wait_loadcnt 0x0
	v_cmpx_lt_i16_e32 0x7f, v6
	s_xor_b32 s18, exec_lo, s18
	s_cbranch_execz .LBB62_1714
; %bb.1699:
	v_cmp_ne_u16_e32 vcc_lo, 0x80, v6
	s_and_b32 s19, vcc_lo, exec_lo
	s_and_not1_saveexec_b32 s18, s18
	s_cbranch_execnz .LBB62_1715
.LBB62_1700:
	s_or_b32 exec_lo, exec_lo, s18
	v_mov_b32_e32 v5, 0
	s_and_saveexec_b32 s18, s19
	s_cbranch_execz .LBB62_1702
.LBB62_1701:
	v_and_b32_e32 v5, 0xffff, v6
	s_delay_alu instid0(VALU_DEP_1) | instskip(SKIP_1) | instid1(VALU_DEP_2)
	v_and_b32_e32 v7, 7, v5
	v_bfe_u32 v11, v5, 3, 4
	v_clz_i32_u32_e32 v8, v7
	s_delay_alu instid0(VALU_DEP_2) | instskip(NEXT) | instid1(VALU_DEP_2)
	v_cmp_eq_u32_e32 vcc_lo, 0, v11
	v_min_u32_e32 v8, 32, v8
	s_delay_alu instid0(VALU_DEP_1) | instskip(NEXT) | instid1(VALU_DEP_1)
	v_subrev_nc_u32_e32 v9, 28, v8
	v_dual_lshlrev_b32 v5, v9, v5 :: v_dual_sub_nc_u32 v8, 29, v8
	s_delay_alu instid0(VALU_DEP_1) | instskip(NEXT) | instid1(VALU_DEP_2)
	v_dual_lshlrev_b32 v6, 24, v6 :: v_dual_bitop2_b32 v5, 7, v5 bitop3:0x40
	v_cndmask_b32_e32 v8, v11, v8, vcc_lo
	s_delay_alu instid0(VALU_DEP_2) | instskip(NEXT) | instid1(VALU_DEP_3)
	v_cndmask_b32_e32 v5, v7, v5, vcc_lo
	v_and_b32_e32 v6, 0x80000000, v6
	s_delay_alu instid0(VALU_DEP_3) | instskip(NEXT) | instid1(VALU_DEP_3)
	v_lshl_add_u32 v7, v8, 23, 0x3b800000
	v_lshlrev_b32_e32 v5, 20, v5
	s_delay_alu instid0(VALU_DEP_1) | instskip(NEXT) | instid1(VALU_DEP_1)
	v_or3_b32 v5, v6, v7, v5
	v_cvt_i32_f32_e32 v5, v5
.LBB62_1702:
	s_or_b32 exec_lo, exec_lo, s18
.LBB62_1703:
	s_mov_b32 s18, -1
.LBB62_1704:
	s_branch .LBB62_1735
.LBB62_1705:
	s_cmp_gt_i32 s13, 22
	s_cbranch_scc0 .LBB62_1713
; %bb.1706:
	s_cmp_lt_i32 s13, 24
	s_cbranch_scc1 .LBB62_1716
; %bb.1707:
	s_cmp_gt_i32 s13, 24
	s_cbranch_scc0 .LBB62_1717
; %bb.1708:
	global_load_u8 v6, v[0:1], off
	s_mov_b32 s18, 0
	s_mov_b32 s17, exec_lo
	s_wait_loadcnt 0x0
	v_cmpx_lt_i16_e32 0x7f, v6
	s_xor_b32 s17, exec_lo, s17
	s_cbranch_execz .LBB62_1729
; %bb.1709:
	v_cmp_ne_u16_e32 vcc_lo, 0x80, v6
	s_and_b32 s18, vcc_lo, exec_lo
	s_and_not1_saveexec_b32 s17, s17
	s_cbranch_execnz .LBB62_1730
.LBB62_1710:
	s_or_b32 exec_lo, exec_lo, s17
	v_mov_b32_e32 v5, 0
	s_and_saveexec_b32 s17, s18
	s_cbranch_execz .LBB62_1712
.LBB62_1711:
	v_and_b32_e32 v5, 0xffff, v6
	s_delay_alu instid0(VALU_DEP_1) | instskip(SKIP_1) | instid1(VALU_DEP_2)
	v_and_b32_e32 v7, 3, v5
	v_bfe_u32 v11, v5, 2, 5
	v_clz_i32_u32_e32 v8, v7
	s_delay_alu instid0(VALU_DEP_2) | instskip(NEXT) | instid1(VALU_DEP_2)
	v_cmp_eq_u32_e32 vcc_lo, 0, v11
	v_min_u32_e32 v8, 32, v8
	s_delay_alu instid0(VALU_DEP_1) | instskip(NEXT) | instid1(VALU_DEP_1)
	v_subrev_nc_u32_e32 v9, 29, v8
	v_dual_lshlrev_b32 v5, v9, v5 :: v_dual_sub_nc_u32 v8, 30, v8
	s_delay_alu instid0(VALU_DEP_1) | instskip(NEXT) | instid1(VALU_DEP_2)
	v_dual_lshlrev_b32 v6, 24, v6 :: v_dual_bitop2_b32 v5, 3, v5 bitop3:0x40
	v_cndmask_b32_e32 v8, v11, v8, vcc_lo
	s_delay_alu instid0(VALU_DEP_2) | instskip(NEXT) | instid1(VALU_DEP_3)
	v_cndmask_b32_e32 v5, v7, v5, vcc_lo
	v_and_b32_e32 v6, 0x80000000, v6
	s_delay_alu instid0(VALU_DEP_3) | instskip(NEXT) | instid1(VALU_DEP_3)
	v_lshl_add_u32 v7, v8, 23, 0x37800000
	v_lshlrev_b32_e32 v5, 21, v5
	s_delay_alu instid0(VALU_DEP_1) | instskip(NEXT) | instid1(VALU_DEP_1)
	v_or3_b32 v5, v6, v7, v5
	v_cvt_i32_f32_e32 v5, v5
.LBB62_1712:
	s_or_b32 exec_lo, exec_lo, s17
	s_mov_b32 s17, 0
	s_branch .LBB62_1718
.LBB62_1713:
	s_mov_b32 s17, -1
                                        ; implicit-def: $vgpr5
	s_branch .LBB62_1724
.LBB62_1714:
	s_and_not1_saveexec_b32 s18, s18
	s_cbranch_execz .LBB62_1700
.LBB62_1715:
	v_cmp_ne_u16_e32 vcc_lo, 0, v6
	s_and_not1_b32 s19, s19, exec_lo
	s_and_b32 s20, vcc_lo, exec_lo
	s_delay_alu instid0(SALU_CYCLE_1)
	s_or_b32 s19, s19, s20
	s_or_b32 exec_lo, exec_lo, s18
	v_mov_b32_e32 v5, 0
	s_and_saveexec_b32 s18, s19
	s_cbranch_execnz .LBB62_1701
	s_branch .LBB62_1702
.LBB62_1716:
	s_mov_b32 s17, -1
                                        ; implicit-def: $vgpr5
	s_branch .LBB62_1721
.LBB62_1717:
	s_mov_b32 s17, -1
                                        ; implicit-def: $vgpr5
.LBB62_1718:
	s_delay_alu instid0(SALU_CYCLE_1)
	s_and_b32 vcc_lo, exec_lo, s17
	s_cbranch_vccz .LBB62_1720
; %bb.1719:
	s_wait_loadcnt 0x0
	global_load_u8 v5, v[0:1], off
	s_wait_loadcnt 0x0
	v_lshlrev_b32_e32 v5, 24, v5
	s_delay_alu instid0(VALU_DEP_1) | instskip(NEXT) | instid1(VALU_DEP_1)
	v_and_b32_e32 v6, 0x7f000000, v5
	v_clz_i32_u32_e32 v7, v6
	v_cmp_ne_u32_e32 vcc_lo, 0, v6
	v_add_nc_u32_e32 v9, 0x1000000, v6
	s_delay_alu instid0(VALU_DEP_3) | instskip(NEXT) | instid1(VALU_DEP_1)
	v_min_u32_e32 v7, 32, v7
	v_sub_nc_u32_e64 v7, v7, 4 clamp
	s_delay_alu instid0(VALU_DEP_1) | instskip(NEXT) | instid1(VALU_DEP_1)
	v_dual_lshlrev_b32 v8, v7, v6 :: v_dual_lshlrev_b32 v7, 23, v7
	v_lshrrev_b32_e32 v8, 4, v8
	s_delay_alu instid0(VALU_DEP_1) | instskip(NEXT) | instid1(VALU_DEP_1)
	v_dual_sub_nc_u32 v7, v8, v7 :: v_dual_ashrrev_i32 v8, 8, v9
	v_add_nc_u32_e32 v7, 0x3c000000, v7
	s_delay_alu instid0(VALU_DEP_1) | instskip(NEXT) | instid1(VALU_DEP_1)
	v_and_or_b32 v7, 0x7f800000, v8, v7
	v_cndmask_b32_e32 v6, 0, v7, vcc_lo
	s_delay_alu instid0(VALU_DEP_1) | instskip(NEXT) | instid1(VALU_DEP_1)
	v_and_or_b32 v5, 0x80000000, v5, v6
	v_cvt_i32_f32_e32 v5, v5
.LBB62_1720:
	s_mov_b32 s17, 0
.LBB62_1721:
	s_delay_alu instid0(SALU_CYCLE_1)
	s_and_not1_b32 vcc_lo, exec_lo, s17
	s_cbranch_vccnz .LBB62_1723
; %bb.1722:
	s_wait_loadcnt 0x0
	global_load_u8 v5, v[0:1], off
	s_wait_loadcnt 0x0
	v_lshlrev_b32_e32 v6, 25, v5
	v_lshlrev_b16 v5, 8, v5
	s_delay_alu instid0(VALU_DEP_1) | instskip(SKIP_1) | instid1(VALU_DEP_2)
	v_and_or_b32 v8, 0x7f00, v5, 0.5
	v_bfe_i32 v5, v5, 0, 16
	v_dual_add_f32 v8, -0.5, v8 :: v_dual_lshrrev_b32 v7, 4, v6
	v_cmp_gt_u32_e32 vcc_lo, 0x8000000, v6
	s_delay_alu instid0(VALU_DEP_2) | instskip(NEXT) | instid1(VALU_DEP_1)
	v_or_b32_e32 v7, 0x70000000, v7
	v_mul_f32_e32 v7, 0x7800000, v7
	s_delay_alu instid0(VALU_DEP_1) | instskip(NEXT) | instid1(VALU_DEP_1)
	v_cndmask_b32_e32 v6, v7, v8, vcc_lo
	v_and_or_b32 v5, 0x80000000, v5, v6
	s_delay_alu instid0(VALU_DEP_1)
	v_cvt_i32_f32_e32 v5, v5
.LBB62_1723:
	s_mov_b32 s17, 0
	s_mov_b32 s18, -1
.LBB62_1724:
	s_and_not1_b32 vcc_lo, exec_lo, s17
	s_mov_b32 s17, 0
	s_cbranch_vccnz .LBB62_1735
; %bb.1725:
	s_cmp_gt_i32 s13, 14
	s_cbranch_scc0 .LBB62_1728
; %bb.1726:
	s_cmp_eq_u32 s13, 15
	s_cbranch_scc0 .LBB62_1731
; %bb.1727:
	s_wait_loadcnt 0x0
	global_load_u16 v5, v[0:1], off
	s_mov_b32 s16, 0
	s_mov_b32 s18, -1
	s_wait_loadcnt 0x0
	v_lshlrev_b32_e32 v5, 16, v5
	s_delay_alu instid0(VALU_DEP_1)
	v_cvt_i32_f32_e32 v5, v5
	s_branch .LBB62_1733
.LBB62_1728:
	s_mov_b32 s17, -1
	s_branch .LBB62_1732
.LBB62_1729:
	s_and_not1_saveexec_b32 s17, s17
	s_cbranch_execz .LBB62_1710
.LBB62_1730:
	v_cmp_ne_u16_e32 vcc_lo, 0, v6
	s_and_not1_b32 s18, s18, exec_lo
	s_and_b32 s19, vcc_lo, exec_lo
	s_delay_alu instid0(SALU_CYCLE_1)
	s_or_b32 s18, s18, s19
	s_or_b32 exec_lo, exec_lo, s17
	v_mov_b32_e32 v5, 0
	s_and_saveexec_b32 s17, s18
	s_cbranch_execnz .LBB62_1711
	s_branch .LBB62_1712
.LBB62_1731:
	s_mov_b32 s16, -1
.LBB62_1732:
                                        ; implicit-def: $vgpr5
.LBB62_1733:
	s_and_b32 vcc_lo, exec_lo, s17
	s_mov_b32 s17, 0
	s_cbranch_vccz .LBB62_1735
; %bb.1734:
	s_cmp_lg_u32 s13, 11
	s_mov_b32 s17, -1
	s_cselect_b32 s16, -1, 0
.LBB62_1735:
	s_delay_alu instid0(SALU_CYCLE_1)
	s_and_b32 vcc_lo, exec_lo, s16
	s_cbranch_vccnz .LBB62_1804
; %bb.1736:
	s_and_not1_b32 vcc_lo, exec_lo, s17
	s_cbranch_vccnz .LBB62_1738
.LBB62_1737:
	s_wait_loadcnt 0x0
	global_load_u8 v5, v[0:1], off
	s_mov_b32 s18, -1
	s_wait_loadcnt 0x0
	v_cmp_ne_u16_e32 vcc_lo, 0, v5
	v_cndmask_b32_e64 v5, 0, 1, vcc_lo
.LBB62_1738:
	s_branch .LBB62_1668
.LBB62_1739:
	s_and_b32 s13, 0xffff, s1
	s_delay_alu instid0(SALU_CYCLE_1)
	s_cmp_lt_i32 s13, 5
	s_cbranch_scc1 .LBB62_1744
; %bb.1740:
	s_cmp_lt_i32 s13, 8
	s_cbranch_scc1 .LBB62_1745
; %bb.1741:
	;; [unrolled: 3-line block ×3, first 2 shown]
	s_cmp_gt_i32 s13, 9
	s_cbranch_scc0 .LBB62_1747
; %bb.1743:
	global_load_b64 v[6:7], v[0:1], off
	s_mov_b32 s16, 0
	s_wait_loadcnt 0x0
	v_cvt_i32_f64_e32 v5, v[6:7]
	s_branch .LBB62_1748
.LBB62_1744:
                                        ; implicit-def: $vgpr5
	s_branch .LBB62_1766
.LBB62_1745:
	s_mov_b32 s16, -1
                                        ; implicit-def: $vgpr5
	s_branch .LBB62_1754
.LBB62_1746:
	s_mov_b32 s16, -1
                                        ; implicit-def: $vgpr5
	s_branch .LBB62_1751
.LBB62_1747:
	s_mov_b32 s16, -1
                                        ; implicit-def: $vgpr5
.LBB62_1748:
	s_delay_alu instid0(SALU_CYCLE_1)
	s_and_not1_b32 vcc_lo, exec_lo, s16
	s_cbranch_vccnz .LBB62_1750
; %bb.1749:
	s_wait_loadcnt 0x0
	global_load_b32 v5, v[0:1], off
	s_wait_loadcnt 0x0
	v_cvt_i32_f32_e32 v5, v5
.LBB62_1750:
	s_mov_b32 s16, 0
.LBB62_1751:
	s_delay_alu instid0(SALU_CYCLE_1)
	s_and_not1_b32 vcc_lo, exec_lo, s16
	s_cbranch_vccnz .LBB62_1753
; %bb.1752:
	s_wait_loadcnt 0x0
	global_load_b32 v5, v[0:1], off
	s_wait_loadcnt 0x0
	v_cvt_f32_f16_e32 v5, v5
	s_delay_alu instid0(VALU_DEP_1)
	v_cvt_i32_f32_e32 v5, v5
.LBB62_1753:
	s_mov_b32 s16, 0
.LBB62_1754:
	s_delay_alu instid0(SALU_CYCLE_1)
	s_and_not1_b32 vcc_lo, exec_lo, s16
	s_cbranch_vccnz .LBB62_1765
; %bb.1755:
	s_cmp_lt_i32 s13, 6
	s_cbranch_scc1 .LBB62_1758
; %bb.1756:
	s_cmp_gt_i32 s13, 6
	s_cbranch_scc0 .LBB62_1759
; %bb.1757:
	global_load_b64 v[6:7], v[0:1], off
	s_mov_b32 s16, 0
	s_wait_loadcnt 0x0
	v_cvt_i32_f64_e32 v5, v[6:7]
	s_branch .LBB62_1760
.LBB62_1758:
	s_mov_b32 s16, -1
                                        ; implicit-def: $vgpr5
	s_branch .LBB62_1763
.LBB62_1759:
	s_mov_b32 s16, -1
                                        ; implicit-def: $vgpr5
.LBB62_1760:
	s_delay_alu instid0(SALU_CYCLE_1)
	s_and_not1_b32 vcc_lo, exec_lo, s16
	s_cbranch_vccnz .LBB62_1762
; %bb.1761:
	s_wait_loadcnt 0x0
	global_load_b32 v5, v[0:1], off
	s_wait_loadcnt 0x0
	v_cvt_i32_f32_e32 v5, v5
.LBB62_1762:
	s_mov_b32 s16, 0
.LBB62_1763:
	s_delay_alu instid0(SALU_CYCLE_1)
	s_and_not1_b32 vcc_lo, exec_lo, s16
	s_cbranch_vccnz .LBB62_1765
; %bb.1764:
	s_wait_loadcnt 0x0
	global_load_u16 v5, v[0:1], off
	s_wait_loadcnt 0x0
	v_cvt_f32_f16_e32 v5, v5
	s_delay_alu instid0(VALU_DEP_1)
	v_cvt_i32_f32_e32 v5, v5
.LBB62_1765:
	s_cbranch_execnz .LBB62_1785
.LBB62_1766:
	s_cmp_lt_i32 s13, 2
	s_cbranch_scc1 .LBB62_1770
; %bb.1767:
	s_cmp_lt_i32 s13, 3
	s_cbranch_scc1 .LBB62_1771
; %bb.1768:
	s_cmp_gt_i32 s13, 3
	s_cbranch_scc0 .LBB62_1772
; %bb.1769:
	s_wait_loadcnt 0x0
	global_load_b32 v5, v[0:1], off
	s_mov_b32 s16, 0
	s_branch .LBB62_1773
.LBB62_1770:
	s_mov_b32 s16, -1
                                        ; implicit-def: $vgpr5
	s_branch .LBB62_1779
.LBB62_1771:
	s_mov_b32 s16, -1
                                        ; implicit-def: $vgpr5
	s_branch .LBB62_1776
.LBB62_1772:
	s_mov_b32 s16, -1
                                        ; implicit-def: $vgpr5
.LBB62_1773:
	s_delay_alu instid0(SALU_CYCLE_1)
	s_and_not1_b32 vcc_lo, exec_lo, s16
	s_cbranch_vccnz .LBB62_1775
; %bb.1774:
	s_wait_loadcnt 0x0
	global_load_b32 v5, v[0:1], off
.LBB62_1775:
	s_mov_b32 s16, 0
.LBB62_1776:
	s_delay_alu instid0(SALU_CYCLE_1)
	s_and_not1_b32 vcc_lo, exec_lo, s16
	s_cbranch_vccnz .LBB62_1778
; %bb.1777:
	s_wait_loadcnt 0x0
	global_load_i16 v5, v[0:1], off
.LBB62_1778:
	s_mov_b32 s16, 0
.LBB62_1779:
	s_delay_alu instid0(SALU_CYCLE_1)
	s_and_not1_b32 vcc_lo, exec_lo, s16
	s_cbranch_vccnz .LBB62_1785
; %bb.1780:
	s_cmp_gt_i32 s13, 0
	s_mov_b32 s13, 0
	s_cbranch_scc0 .LBB62_1782
; %bb.1781:
	s_wait_loadcnt 0x0
	global_load_i8 v5, v[0:1], off
	s_branch .LBB62_1783
.LBB62_1782:
	s_mov_b32 s13, -1
                                        ; implicit-def: $vgpr5
.LBB62_1783:
	s_delay_alu instid0(SALU_CYCLE_1)
	s_and_not1_b32 vcc_lo, exec_lo, s13
	s_cbranch_vccnz .LBB62_1785
; %bb.1784:
	s_wait_loadcnt 0x0
	global_load_u8 v5, v[0:1], off
.LBB62_1785:
.LBB62_1786:
	s_wait_loadcnt 0x0
	s_delay_alu instid0(VALU_DEP_1) | instskip(SKIP_2) | instid1(VALU_DEP_1)
	v_dual_sub_nc_u32 v0, 0, v5 :: v_dual_sub_nc_u32 v1, 0, v3
	s_mov_b32 s16, 0
	s_mov_b32 s13, exec_lo
	v_max_i32_e32 v6, v5, v0
	v_cmpx_ne_u32_e32 0, v3
	s_cbranch_execz .LBB62_1790
; %bb.1787:
	v_max_i32_e32 v7, v3, v1
.LBB62_1788:                            ; =>This Inner Loop Header: Depth=1
	s_delay_alu instid0(VALU_DEP_1) | instskip(NEXT) | instid1(VALU_DEP_1)
	v_mov_b32_e32 v0, v7
	v_cvt_f32_u32_e32 v7, v0
	s_delay_alu instid0(VALU_DEP_1) | instskip(SKIP_1) | instid1(TRANS32_DEP_1)
	v_rcp_iflag_f32_e32 v7, v7
	v_nop
	v_dual_mul_f32 v7, 0x4f7ffffe, v7 :: v_dual_sub_nc_u32 v8, 0, v0
	s_delay_alu instid0(VALU_DEP_1) | instskip(NEXT) | instid1(VALU_DEP_1)
	v_cvt_u32_f32_e32 v7, v7
	v_mul_lo_u32 v8, v8, v7
	s_delay_alu instid0(VALU_DEP_1) | instskip(NEXT) | instid1(VALU_DEP_1)
	v_mul_hi_u32 v8, v7, v8
	v_add_nc_u32_e32 v7, v7, v8
	s_delay_alu instid0(VALU_DEP_1) | instskip(NEXT) | instid1(VALU_DEP_1)
	v_mul_hi_u32 v7, v6, v7
	v_mul_lo_u32 v7, v7, v0
	s_delay_alu instid0(VALU_DEP_1) | instskip(NEXT) | instid1(VALU_DEP_1)
	v_sub_nc_u32_e32 v6, v6, v7
	v_sub_nc_u32_e32 v7, v6, v0
	v_cmp_ge_u32_e32 vcc_lo, v6, v0
	s_delay_alu instid0(VALU_DEP_2) | instskip(NEXT) | instid1(VALU_DEP_1)
	v_cndmask_b32_e32 v6, v6, v7, vcc_lo
	v_sub_nc_u32_e32 v7, v6, v0
	v_cmp_ge_u32_e32 vcc_lo, v6, v0
	s_delay_alu instid0(VALU_DEP_2) | instskip(NEXT) | instid1(VALU_DEP_1)
	v_dual_cndmask_b32 v7, v6, v7 :: v_dual_mov_b32 v6, v0
	v_cmp_eq_u32_e32 vcc_lo, 0, v7
	s_or_b32 s16, vcc_lo, s16
	s_delay_alu instid0(SALU_CYCLE_1)
	s_and_not1_b32 exec_lo, exec_lo, s16
	s_cbranch_execnz .LBB62_1788
; %bb.1789:
	s_or_b32 exec_lo, exec_lo, s16
	v_mov_b32_e32 v6, v0
.LBB62_1790:
	s_or_b32 exec_lo, exec_lo, s13
	v_mov_b32_e32 v0, 0
	s_mov_b32 s13, exec_lo
	s_delay_alu instid0(VALU_DEP_2)
	v_cmpx_ne_u32_e32 0, v6
	s_cbranch_execz .LBB62_1792
; %bb.1791:
	v_dual_sub_nc_u32 v0, 0, v6 :: v_dual_max_i32 v1, v3, v1
	v_xor_b32_e32 v3, v3, v6
	s_delay_alu instid0(VALU_DEP_2) | instskip(NEXT) | instid1(VALU_DEP_1)
	v_max_i32_e32 v0, v6, v0
	v_cvt_f32_u32_e32 v7, v0
	v_sub_nc_u32_e32 v8, 0, v0
	s_delay_alu instid0(VALU_DEP_2) | instskip(SKIP_1) | instid1(TRANS32_DEP_1)
	v_rcp_iflag_f32_e32 v7, v7
	v_nop
	v_mul_f32_e32 v7, 0x4f7ffffe, v7
	s_delay_alu instid0(VALU_DEP_1) | instskip(NEXT) | instid1(VALU_DEP_1)
	v_cvt_u32_f32_e32 v7, v7
	v_mul_lo_u32 v8, v8, v7
	s_delay_alu instid0(VALU_DEP_1) | instskip(NEXT) | instid1(VALU_DEP_1)
	v_mul_hi_u32 v8, v7, v8
	v_add_nc_u32_e32 v7, v7, v8
	s_delay_alu instid0(VALU_DEP_1) | instskip(NEXT) | instid1(VALU_DEP_1)
	v_mul_hi_u32 v7, v1, v7
	v_mul_lo_u32 v8, v7, v0
	s_delay_alu instid0(VALU_DEP_1) | instskip(NEXT) | instid1(VALU_DEP_1)
	v_dual_sub_nc_u32 v1, v1, v8 :: v_dual_add_nc_u32 v8, 1, v7
	v_sub_nc_u32_e32 v9, v1, v0
	v_cmp_ge_u32_e32 vcc_lo, v1, v0
	s_delay_alu instid0(VALU_DEP_2) | instskip(NEXT) | instid1(VALU_DEP_1)
	v_dual_cndmask_b32 v7, v7, v8, vcc_lo :: v_dual_cndmask_b32 v1, v1, v9, vcc_lo
	v_add_nc_u32_e32 v6, 1, v7
	s_delay_alu instid0(VALU_DEP_2) | instskip(NEXT) | instid1(VALU_DEP_2)
	v_cmp_ge_u32_e32 vcc_lo, v1, v0
	v_dual_cndmask_b32 v0, v7, v6 :: v_dual_ashrrev_i32 v3, 31, v3
	s_delay_alu instid0(VALU_DEP_1) | instskip(NEXT) | instid1(VALU_DEP_1)
	v_xor_b32_e32 v0, v0, v3
	v_sub_nc_u32_e32 v0, v0, v3
	s_delay_alu instid0(VALU_DEP_1) | instskip(NEXT) | instid1(VALU_DEP_1)
	v_mul_lo_u32 v0, v0, v5
	v_sub_nc_u32_e32 v1, 0, v0
	s_delay_alu instid0(VALU_DEP_1)
	v_max_i32_e32 v0, v0, v1
.LBB62_1792:
	s_or_b32 exec_lo, exec_lo, s13
	s_lshl_b32 s9, s9, 7
	s_cmp_lt_i32 s0, 11
	v_add_nc_u32_e32 v6, s9, v2
	s_delay_alu instid0(VALU_DEP_1) | instskip(NEXT) | instid1(VALU_DEP_1)
	v_ashrrev_i32_e32 v7, 31, v6
	v_add_nc_u64_e32 v[2:3], s[6:7], v[6:7]
	s_cbranch_scc1 .LBB62_1799
; %bb.1793:
	s_and_b32 s13, 0xffff, s0
	s_mov_b32 s17, 0
	s_cmp_gt_i32 s13, 25
	s_cbranch_scc0 .LBB62_1801
; %bb.1794:
	s_cmp_gt_i32 s13, 28
	s_cbranch_scc0 .LBB62_1802
; %bb.1795:
	;; [unrolled: 3-line block ×4, first 2 shown]
	s_cmp_eq_u32 s13, 46
	s_mov_b32 s19, 0
	s_cbranch_scc0 .LBB62_1806
; %bb.1798:
	global_load_b32 v1, v[2:3], off
	s_mov_b32 s16, 0
	s_mov_b32 s18, -1
	s_wait_loadcnt 0x0
	v_lshlrev_b32_e32 v1, 16, v1
	s_delay_alu instid0(VALU_DEP_1)
	v_cvt_i32_f32_e32 v1, v1
	s_branch .LBB62_1808
.LBB62_1799:
	s_mov_b32 s18, 0
                                        ; implicit-def: $vgpr1
	s_cbranch_execnz .LBB62_1870
.LBB62_1800:
	s_and_not1_b32 vcc_lo, exec_lo, s18
	s_cbranch_vccnz .LBB62_2651
	s_branch .LBB62_1918
.LBB62_1801:
	s_mov_b32 s19, -1
	s_mov_b32 s18, 0
	s_mov_b32 s16, 0
                                        ; implicit-def: $vgpr1
	s_branch .LBB62_1835
.LBB62_1802:
	s_mov_b32 s19, -1
	s_mov_b32 s18, 0
	s_mov_b32 s16, 0
                                        ; implicit-def: $vgpr1
	s_branch .LBB62_1818
.LBB62_1803:
	s_mov_b32 s19, -1
	s_mov_b32 s18, 0
	s_mov_b32 s16, 0
                                        ; implicit-def: $vgpr1
	s_branch .LBB62_1813
.LBB62_1804:
	s_or_b32 s12, s12, exec_lo
	s_trap 2
	s_cbranch_execz .LBB62_1737
	s_branch .LBB62_1738
.LBB62_1805:
	s_mov_b32 s19, -1
	s_mov_b32 s18, 0
	s_mov_b32 s16, 0
	s_branch .LBB62_1807
.LBB62_1806:
	s_mov_b32 s16, -1
	s_mov_b32 s18, 0
.LBB62_1807:
                                        ; implicit-def: $vgpr1
.LBB62_1808:
	s_and_b32 vcc_lo, exec_lo, s19
	s_cbranch_vccz .LBB62_1812
; %bb.1809:
	s_cmp_eq_u32 s13, 44
	s_cbranch_scc0 .LBB62_1811
; %bb.1810:
	global_load_u8 v1, v[2:3], off
	s_mov_b32 s16, 0
	s_mov_b32 s18, -1
	s_wait_loadcnt 0x0
	v_lshlrev_b32_e32 v5, 23, v1
	v_cmp_ne_u32_e32 vcc_lo, 0, v1
	s_delay_alu instid0(VALU_DEP_2) | instskip(NEXT) | instid1(VALU_DEP_1)
	v_cvt_i32_f32_e32 v5, v5
	v_cndmask_b32_e32 v1, 0, v5, vcc_lo
	s_branch .LBB62_1812
.LBB62_1811:
	s_mov_b32 s16, -1
                                        ; implicit-def: $vgpr1
.LBB62_1812:
	s_mov_b32 s19, 0
.LBB62_1813:
	s_delay_alu instid0(SALU_CYCLE_1)
	s_and_b32 vcc_lo, exec_lo, s19
	s_cbranch_vccz .LBB62_1817
; %bb.1814:
	s_cmp_eq_u32 s13, 29
	s_cbranch_scc0 .LBB62_1816
; %bb.1815:
	global_load_b32 v1, v[2:3], off
	s_mov_b32 s16, 0
	s_mov_b32 s18, -1
	s_branch .LBB62_1817
.LBB62_1816:
	s_mov_b32 s16, -1
                                        ; implicit-def: $vgpr1
.LBB62_1817:
	s_mov_b32 s19, 0
.LBB62_1818:
	s_delay_alu instid0(SALU_CYCLE_1)
	s_and_b32 vcc_lo, exec_lo, s19
	s_cbranch_vccz .LBB62_1834
; %bb.1819:
	s_cmp_lt_i32 s13, 27
	s_cbranch_scc1 .LBB62_1822
; %bb.1820:
	s_cmp_gt_i32 s13, 27
	s_cbranch_scc0 .LBB62_1823
; %bb.1821:
	s_wait_loadcnt 0x0
	global_load_b32 v1, v[2:3], off
	s_mov_b32 s18, 0
	s_branch .LBB62_1824
.LBB62_1822:
	s_mov_b32 s18, -1
                                        ; implicit-def: $vgpr1
	s_branch .LBB62_1827
.LBB62_1823:
	s_mov_b32 s18, -1
                                        ; implicit-def: $vgpr1
.LBB62_1824:
	s_delay_alu instid0(SALU_CYCLE_1)
	s_and_not1_b32 vcc_lo, exec_lo, s18
	s_cbranch_vccnz .LBB62_1826
; %bb.1825:
	s_wait_loadcnt 0x0
	global_load_u16 v1, v[2:3], off
.LBB62_1826:
	s_mov_b32 s18, 0
.LBB62_1827:
	s_delay_alu instid0(SALU_CYCLE_1)
	s_and_not1_b32 vcc_lo, exec_lo, s18
	s_cbranch_vccnz .LBB62_1833
; %bb.1828:
	global_load_u8 v5, v[2:3], off
	s_mov_b32 s19, 0
	s_mov_b32 s18, exec_lo
	s_wait_loadcnt 0x0
	v_cmpx_lt_i16_e32 0x7f, v5
	s_xor_b32 s18, exec_lo, s18
	s_cbranch_execz .LBB62_1845
; %bb.1829:
	v_cmp_ne_u16_e32 vcc_lo, 0x80, v5
	s_and_b32 s19, vcc_lo, exec_lo
	s_and_not1_saveexec_b32 s18, s18
	s_cbranch_execnz .LBB62_1846
.LBB62_1830:
	s_or_b32 exec_lo, exec_lo, s18
	v_mov_b32_e32 v1, 0
	s_and_saveexec_b32 s18, s19
	s_cbranch_execz .LBB62_1832
.LBB62_1831:
	v_and_b32_e32 v1, 0xffff, v5
	s_delay_alu instid0(VALU_DEP_1) | instskip(SKIP_1) | instid1(VALU_DEP_2)
	v_and_b32_e32 v7, 7, v1
	v_bfe_u32 v11, v1, 3, 4
	v_clz_i32_u32_e32 v8, v7
	s_delay_alu instid0(VALU_DEP_2) | instskip(NEXT) | instid1(VALU_DEP_2)
	v_cmp_eq_u32_e32 vcc_lo, 0, v11
	v_min_u32_e32 v8, 32, v8
	s_delay_alu instid0(VALU_DEP_1) | instskip(NEXT) | instid1(VALU_DEP_1)
	v_subrev_nc_u32_e32 v9, 28, v8
	v_dual_lshlrev_b32 v1, v9, v1 :: v_dual_sub_nc_u32 v8, 29, v8
	s_delay_alu instid0(VALU_DEP_1) | instskip(NEXT) | instid1(VALU_DEP_2)
	v_and_b32_e32 v1, 7, v1
	v_dual_cndmask_b32 v8, v11, v8 :: v_dual_lshlrev_b32 v5, 24, v5
	s_delay_alu instid0(VALU_DEP_2) | instskip(NEXT) | instid1(VALU_DEP_2)
	v_cndmask_b32_e32 v1, v7, v1, vcc_lo
	v_and_b32_e32 v5, 0x80000000, v5
	s_delay_alu instid0(VALU_DEP_3) | instskip(NEXT) | instid1(VALU_DEP_3)
	v_lshl_add_u32 v7, v8, 23, 0x3b800000
	v_lshlrev_b32_e32 v1, 20, v1
	s_delay_alu instid0(VALU_DEP_1) | instskip(NEXT) | instid1(VALU_DEP_1)
	v_or3_b32 v1, v5, v7, v1
	v_cvt_i32_f32_e32 v1, v1
.LBB62_1832:
	s_or_b32 exec_lo, exec_lo, s18
.LBB62_1833:
	s_mov_b32 s18, -1
.LBB62_1834:
	s_mov_b32 s19, 0
.LBB62_1835:
	s_delay_alu instid0(SALU_CYCLE_1)
	s_and_b32 vcc_lo, exec_lo, s19
	s_cbranch_vccz .LBB62_1866
; %bb.1836:
	s_cmp_gt_i32 s13, 22
	s_cbranch_scc0 .LBB62_1844
; %bb.1837:
	s_cmp_lt_i32 s13, 24
	s_cbranch_scc1 .LBB62_1847
; %bb.1838:
	s_cmp_gt_i32 s13, 24
	s_cbranch_scc0 .LBB62_1848
; %bb.1839:
	global_load_u8 v5, v[2:3], off
	s_mov_b32 s18, 0
	s_mov_b32 s17, exec_lo
	s_wait_loadcnt 0x0
	v_cmpx_lt_i16_e32 0x7f, v5
	s_xor_b32 s17, exec_lo, s17
	s_cbranch_execz .LBB62_1860
; %bb.1840:
	v_cmp_ne_u16_e32 vcc_lo, 0x80, v5
	s_and_b32 s18, vcc_lo, exec_lo
	s_and_not1_saveexec_b32 s17, s17
	s_cbranch_execnz .LBB62_1861
.LBB62_1841:
	s_or_b32 exec_lo, exec_lo, s17
	v_mov_b32_e32 v1, 0
	s_and_saveexec_b32 s17, s18
	s_cbranch_execz .LBB62_1843
.LBB62_1842:
	v_and_b32_e32 v1, 0xffff, v5
	s_delay_alu instid0(VALU_DEP_1) | instskip(SKIP_1) | instid1(VALU_DEP_2)
	v_and_b32_e32 v7, 3, v1
	v_bfe_u32 v11, v1, 2, 5
	v_clz_i32_u32_e32 v8, v7
	s_delay_alu instid0(VALU_DEP_2) | instskip(NEXT) | instid1(VALU_DEP_2)
	v_cmp_eq_u32_e32 vcc_lo, 0, v11
	v_min_u32_e32 v8, 32, v8
	s_delay_alu instid0(VALU_DEP_1) | instskip(NEXT) | instid1(VALU_DEP_1)
	v_subrev_nc_u32_e32 v9, 29, v8
	v_dual_lshlrev_b32 v1, v9, v1 :: v_dual_sub_nc_u32 v8, 30, v8
	s_delay_alu instid0(VALU_DEP_1) | instskip(NEXT) | instid1(VALU_DEP_2)
	v_and_b32_e32 v1, 3, v1
	v_dual_cndmask_b32 v8, v11, v8 :: v_dual_lshlrev_b32 v5, 24, v5
	s_delay_alu instid0(VALU_DEP_2) | instskip(NEXT) | instid1(VALU_DEP_2)
	v_cndmask_b32_e32 v1, v7, v1, vcc_lo
	v_and_b32_e32 v5, 0x80000000, v5
	s_delay_alu instid0(VALU_DEP_3) | instskip(NEXT) | instid1(VALU_DEP_3)
	v_lshl_add_u32 v7, v8, 23, 0x37800000
	v_lshlrev_b32_e32 v1, 21, v1
	s_delay_alu instid0(VALU_DEP_1) | instskip(NEXT) | instid1(VALU_DEP_1)
	v_or3_b32 v1, v5, v7, v1
	v_cvt_i32_f32_e32 v1, v1
.LBB62_1843:
	s_or_b32 exec_lo, exec_lo, s17
	s_mov_b32 s17, 0
	s_branch .LBB62_1849
.LBB62_1844:
	s_mov_b32 s17, -1
                                        ; implicit-def: $vgpr1
	s_branch .LBB62_1855
.LBB62_1845:
	s_and_not1_saveexec_b32 s18, s18
	s_cbranch_execz .LBB62_1830
.LBB62_1846:
	v_cmp_ne_u16_e32 vcc_lo, 0, v5
	s_and_not1_b32 s19, s19, exec_lo
	s_and_b32 s20, vcc_lo, exec_lo
	s_delay_alu instid0(SALU_CYCLE_1)
	s_or_b32 s19, s19, s20
	s_or_b32 exec_lo, exec_lo, s18
	v_mov_b32_e32 v1, 0
	s_and_saveexec_b32 s18, s19
	s_cbranch_execnz .LBB62_1831
	s_branch .LBB62_1832
.LBB62_1847:
	s_mov_b32 s17, -1
                                        ; implicit-def: $vgpr1
	s_branch .LBB62_1852
.LBB62_1848:
	s_mov_b32 s17, -1
                                        ; implicit-def: $vgpr1
.LBB62_1849:
	s_delay_alu instid0(SALU_CYCLE_1)
	s_and_b32 vcc_lo, exec_lo, s17
	s_cbranch_vccz .LBB62_1851
; %bb.1850:
	s_wait_loadcnt 0x0
	global_load_u8 v1, v[2:3], off
	s_wait_loadcnt 0x0
	v_lshlrev_b32_e32 v1, 24, v1
	s_delay_alu instid0(VALU_DEP_1) | instskip(NEXT) | instid1(VALU_DEP_1)
	v_and_b32_e32 v5, 0x7f000000, v1
	v_clz_i32_u32_e32 v7, v5
	v_add_nc_u32_e32 v9, 0x1000000, v5
	v_cmp_ne_u32_e32 vcc_lo, 0, v5
	s_delay_alu instid0(VALU_DEP_3) | instskip(NEXT) | instid1(VALU_DEP_1)
	v_min_u32_e32 v7, 32, v7
	v_sub_nc_u32_e64 v7, v7, 4 clamp
	s_delay_alu instid0(VALU_DEP_1) | instskip(NEXT) | instid1(VALU_DEP_1)
	v_dual_lshlrev_b32 v8, v7, v5 :: v_dual_lshlrev_b32 v7, 23, v7
	v_lshrrev_b32_e32 v8, 4, v8
	s_delay_alu instid0(VALU_DEP_1) | instskip(NEXT) | instid1(VALU_DEP_1)
	v_dual_sub_nc_u32 v7, v8, v7 :: v_dual_ashrrev_i32 v8, 8, v9
	v_add_nc_u32_e32 v7, 0x3c000000, v7
	s_delay_alu instid0(VALU_DEP_1) | instskip(NEXT) | instid1(VALU_DEP_1)
	v_and_or_b32 v7, 0x7f800000, v8, v7
	v_cndmask_b32_e32 v5, 0, v7, vcc_lo
	s_delay_alu instid0(VALU_DEP_1) | instskip(NEXT) | instid1(VALU_DEP_1)
	v_and_or_b32 v1, 0x80000000, v1, v5
	v_cvt_i32_f32_e32 v1, v1
.LBB62_1851:
	s_mov_b32 s17, 0
.LBB62_1852:
	s_delay_alu instid0(SALU_CYCLE_1)
	s_and_not1_b32 vcc_lo, exec_lo, s17
	s_cbranch_vccnz .LBB62_1854
; %bb.1853:
	s_wait_loadcnt 0x0
	global_load_u8 v1, v[2:3], off
	s_wait_loadcnt 0x0
	v_lshlrev_b32_e32 v5, 25, v1
	v_lshlrev_b16 v1, 8, v1
	s_delay_alu instid0(VALU_DEP_1) | instskip(SKIP_1) | instid1(VALU_DEP_2)
	v_and_or_b32 v8, 0x7f00, v1, 0.5
	v_bfe_i32 v1, v1, 0, 16
	v_dual_add_f32 v8, -0.5, v8 :: v_dual_lshrrev_b32 v7, 4, v5
	v_cmp_gt_u32_e32 vcc_lo, 0x8000000, v5
	s_delay_alu instid0(VALU_DEP_2) | instskip(NEXT) | instid1(VALU_DEP_1)
	v_or_b32_e32 v7, 0x70000000, v7
	v_mul_f32_e32 v7, 0x7800000, v7
	s_delay_alu instid0(VALU_DEP_1) | instskip(NEXT) | instid1(VALU_DEP_1)
	v_cndmask_b32_e32 v5, v7, v8, vcc_lo
	v_and_or_b32 v1, 0x80000000, v1, v5
	s_delay_alu instid0(VALU_DEP_1)
	v_cvt_i32_f32_e32 v1, v1
.LBB62_1854:
	s_mov_b32 s17, 0
	s_mov_b32 s18, -1
.LBB62_1855:
	s_and_not1_b32 vcc_lo, exec_lo, s17
	s_mov_b32 s17, 0
	s_cbranch_vccnz .LBB62_1866
; %bb.1856:
	s_cmp_gt_i32 s13, 14
	s_cbranch_scc0 .LBB62_1859
; %bb.1857:
	s_cmp_eq_u32 s13, 15
	s_cbranch_scc0 .LBB62_1862
; %bb.1858:
	s_wait_loadcnt 0x0
	global_load_u16 v1, v[2:3], off
	s_mov_b32 s16, 0
	s_mov_b32 s18, -1
	s_wait_loadcnt 0x0
	v_lshlrev_b32_e32 v1, 16, v1
	s_delay_alu instid0(VALU_DEP_1)
	v_cvt_i32_f32_e32 v1, v1
	s_branch .LBB62_1864
.LBB62_1859:
	s_mov_b32 s17, -1
	s_branch .LBB62_1863
.LBB62_1860:
	s_and_not1_saveexec_b32 s17, s17
	s_cbranch_execz .LBB62_1841
.LBB62_1861:
	v_cmp_ne_u16_e32 vcc_lo, 0, v5
	s_and_not1_b32 s18, s18, exec_lo
	s_and_b32 s19, vcc_lo, exec_lo
	s_delay_alu instid0(SALU_CYCLE_1)
	s_or_b32 s18, s18, s19
	s_or_b32 exec_lo, exec_lo, s17
	v_mov_b32_e32 v1, 0
	s_and_saveexec_b32 s17, s18
	s_cbranch_execnz .LBB62_1842
	s_branch .LBB62_1843
.LBB62_1862:
	s_mov_b32 s16, -1
.LBB62_1863:
                                        ; implicit-def: $vgpr1
.LBB62_1864:
	s_and_b32 vcc_lo, exec_lo, s17
	s_mov_b32 s17, 0
	s_cbranch_vccz .LBB62_1866
; %bb.1865:
	s_cmp_lg_u32 s13, 11
	s_mov_b32 s17, -1
	s_cselect_b32 s16, -1, 0
.LBB62_1866:
	s_delay_alu instid0(SALU_CYCLE_1)
	s_and_b32 vcc_lo, exec_lo, s16
	s_cbranch_vccnz .LBB62_1929
; %bb.1867:
	s_and_not1_b32 vcc_lo, exec_lo, s17
	s_cbranch_vccnz .LBB62_1869
.LBB62_1868:
	s_wait_loadcnt 0x0
	global_load_u8 v1, v[2:3], off
	s_mov_b32 s18, -1
	s_wait_loadcnt 0x0
	v_cmp_ne_u16_e32 vcc_lo, 0, v1
	v_cndmask_b32_e64 v1, 0, 1, vcc_lo
.LBB62_1869:
	s_branch .LBB62_1800
.LBB62_1870:
	s_and_b32 s13, 0xffff, s0
	s_delay_alu instid0(SALU_CYCLE_1)
	s_cmp_lt_i32 s13, 5
	s_cbranch_scc1 .LBB62_1875
; %bb.1871:
	s_cmp_lt_i32 s13, 8
	s_cbranch_scc1 .LBB62_1876
; %bb.1872:
	;; [unrolled: 3-line block ×3, first 2 shown]
	s_cmp_gt_i32 s13, 9
	s_cbranch_scc0 .LBB62_1878
; %bb.1874:
	global_load_b64 v[8:9], v[2:3], off
	s_mov_b32 s16, 0
	s_wait_loadcnt 0x0
	v_cvt_i32_f64_e32 v1, v[8:9]
	s_branch .LBB62_1879
.LBB62_1875:
	s_mov_b32 s16, -1
                                        ; implicit-def: $vgpr1
	s_branch .LBB62_1897
.LBB62_1876:
	s_mov_b32 s16, -1
                                        ; implicit-def: $vgpr1
	s_branch .LBB62_1885
.LBB62_1877:
	s_mov_b32 s16, -1
                                        ; implicit-def: $vgpr1
	s_branch .LBB62_1882
.LBB62_1878:
	s_mov_b32 s16, -1
                                        ; implicit-def: $vgpr1
.LBB62_1879:
	s_delay_alu instid0(SALU_CYCLE_1)
	s_and_not1_b32 vcc_lo, exec_lo, s16
	s_cbranch_vccnz .LBB62_1881
; %bb.1880:
	s_wait_loadcnt 0x0
	global_load_b32 v1, v[2:3], off
	s_wait_loadcnt 0x0
	v_cvt_i32_f32_e32 v1, v1
.LBB62_1881:
	s_mov_b32 s16, 0
.LBB62_1882:
	s_delay_alu instid0(SALU_CYCLE_1)
	s_and_not1_b32 vcc_lo, exec_lo, s16
	s_cbranch_vccnz .LBB62_1884
; %bb.1883:
	s_wait_loadcnt 0x0
	global_load_b32 v1, v[2:3], off
	s_wait_loadcnt 0x0
	v_cvt_f32_f16_e32 v1, v1
	s_delay_alu instid0(VALU_DEP_1)
	v_cvt_i32_f32_e32 v1, v1
.LBB62_1884:
	s_mov_b32 s16, 0
.LBB62_1885:
	s_delay_alu instid0(SALU_CYCLE_1)
	s_and_not1_b32 vcc_lo, exec_lo, s16
	s_cbranch_vccnz .LBB62_1896
; %bb.1886:
	s_cmp_lt_i32 s13, 6
	s_cbranch_scc1 .LBB62_1889
; %bb.1887:
	s_cmp_gt_i32 s13, 6
	s_cbranch_scc0 .LBB62_1890
; %bb.1888:
	global_load_b64 v[8:9], v[2:3], off
	s_mov_b32 s16, 0
	s_wait_loadcnt 0x0
	v_cvt_i32_f64_e32 v1, v[8:9]
	s_branch .LBB62_1891
.LBB62_1889:
	s_mov_b32 s16, -1
                                        ; implicit-def: $vgpr1
	s_branch .LBB62_1894
.LBB62_1890:
	s_mov_b32 s16, -1
                                        ; implicit-def: $vgpr1
.LBB62_1891:
	s_delay_alu instid0(SALU_CYCLE_1)
	s_and_not1_b32 vcc_lo, exec_lo, s16
	s_cbranch_vccnz .LBB62_1893
; %bb.1892:
	s_wait_loadcnt 0x0
	global_load_b32 v1, v[2:3], off
	s_wait_loadcnt 0x0
	v_cvt_i32_f32_e32 v1, v1
.LBB62_1893:
	s_mov_b32 s16, 0
.LBB62_1894:
	s_delay_alu instid0(SALU_CYCLE_1)
	s_and_not1_b32 vcc_lo, exec_lo, s16
	s_cbranch_vccnz .LBB62_1896
; %bb.1895:
	s_wait_loadcnt 0x0
	global_load_u16 v1, v[2:3], off
	s_wait_loadcnt 0x0
	v_cvt_f32_f16_e32 v1, v1
	s_delay_alu instid0(VALU_DEP_1)
	v_cvt_i32_f32_e32 v1, v1
.LBB62_1896:
	s_mov_b32 s16, 0
.LBB62_1897:
	s_delay_alu instid0(SALU_CYCLE_1)
	s_and_not1_b32 vcc_lo, exec_lo, s16
	s_cbranch_vccnz .LBB62_1917
; %bb.1898:
	s_cmp_lt_i32 s13, 2
	s_cbranch_scc1 .LBB62_1902
; %bb.1899:
	s_cmp_lt_i32 s13, 3
	s_cbranch_scc1 .LBB62_1903
; %bb.1900:
	s_cmp_gt_i32 s13, 3
	s_cbranch_scc0 .LBB62_1904
; %bb.1901:
	s_wait_loadcnt 0x0
	global_load_b32 v1, v[2:3], off
	s_mov_b32 s16, 0
	s_branch .LBB62_1905
.LBB62_1902:
	s_mov_b32 s16, -1
                                        ; implicit-def: $vgpr1
	s_branch .LBB62_1911
.LBB62_1903:
	s_mov_b32 s16, -1
                                        ; implicit-def: $vgpr1
	s_branch .LBB62_1908
.LBB62_1904:
	s_mov_b32 s16, -1
                                        ; implicit-def: $vgpr1
.LBB62_1905:
	s_delay_alu instid0(SALU_CYCLE_1)
	s_and_not1_b32 vcc_lo, exec_lo, s16
	s_cbranch_vccnz .LBB62_1907
; %bb.1906:
	s_wait_loadcnt 0x0
	global_load_b32 v1, v[2:3], off
.LBB62_1907:
	s_mov_b32 s16, 0
.LBB62_1908:
	s_delay_alu instid0(SALU_CYCLE_1)
	s_and_not1_b32 vcc_lo, exec_lo, s16
	s_cbranch_vccnz .LBB62_1910
; %bb.1909:
	s_wait_loadcnt 0x0
	global_load_i16 v1, v[2:3], off
.LBB62_1910:
	s_mov_b32 s16, 0
.LBB62_1911:
	s_delay_alu instid0(SALU_CYCLE_1)
	s_and_not1_b32 vcc_lo, exec_lo, s16
	s_cbranch_vccnz .LBB62_1917
; %bb.1912:
	s_cmp_gt_i32 s13, 0
	s_mov_b32 s13, 0
	s_cbranch_scc0 .LBB62_1914
; %bb.1913:
	s_wait_loadcnt 0x0
	global_load_i8 v1, v[2:3], off
	s_branch .LBB62_1915
.LBB62_1914:
	s_mov_b32 s13, -1
                                        ; implicit-def: $vgpr1
.LBB62_1915:
	s_delay_alu instid0(SALU_CYCLE_1)
	s_and_not1_b32 vcc_lo, exec_lo, s13
	s_cbranch_vccnz .LBB62_1917
; %bb.1916:
	s_wait_loadcnt 0x0
	global_load_u8 v1, v[2:3], off
.LBB62_1917:
.LBB62_1918:
	s_lshl_b32 s10, s10, 7
	s_cmp_lt_i32 s1, 11
	v_add_nc_u32_e32 v4, s10, v4
	s_delay_alu instid0(VALU_DEP_1) | instskip(SKIP_1) | instid1(VALU_DEP_1)
	v_ashrrev_i32_e32 v5, 31, v4
	s_wait_xcnt 0x0
	v_add_nc_u64_e32 v[2:3], s[2:3], v[4:5]
	s_cbranch_scc1 .LBB62_1925
; %bb.1919:
	s_and_b32 s13, 0xffff, s1
	s_mov_b32 s17, 0
	s_cmp_gt_i32 s13, 25
	s_cbranch_scc0 .LBB62_1926
; %bb.1920:
	s_cmp_gt_i32 s13, 28
	s_cbranch_scc0 .LBB62_1927
; %bb.1921:
	;; [unrolled: 3-line block ×4, first 2 shown]
	s_cmp_eq_u32 s13, 46
	s_mov_b32 s19, 0
	s_cbranch_scc0 .LBB62_1931
; %bb.1924:
	global_load_b32 v5, v[2:3], off
	s_mov_b32 s16, 0
	s_mov_b32 s18, -1
	s_wait_loadcnt 0x0
	v_lshlrev_b32_e32 v5, 16, v5
	s_delay_alu instid0(VALU_DEP_1)
	v_cvt_i32_f32_e32 v5, v5
	s_branch .LBB62_1933
.LBB62_1925:
	s_mov_b32 s13, -1
	s_mov_b32 s18, 0
                                        ; implicit-def: $vgpr5
	s_branch .LBB62_1995
.LBB62_1926:
	s_mov_b32 s19, -1
	s_mov_b32 s18, 0
	s_mov_b32 s16, 0
                                        ; implicit-def: $vgpr5
	s_branch .LBB62_1960
.LBB62_1927:
	s_mov_b32 s19, -1
	s_mov_b32 s18, 0
	s_mov_b32 s16, 0
                                        ; implicit-def: $vgpr5
	s_branch .LBB62_1943
.LBB62_1928:
	s_mov_b32 s19, -1
	s_mov_b32 s18, 0
	s_mov_b32 s16, 0
                                        ; implicit-def: $vgpr5
	s_branch .LBB62_1938
.LBB62_1929:
	s_or_b32 s12, s12, exec_lo
	s_trap 2
	s_cbranch_execz .LBB62_1868
	s_branch .LBB62_1869
.LBB62_1930:
	s_mov_b32 s19, -1
	s_mov_b32 s18, 0
	s_mov_b32 s16, 0
	s_branch .LBB62_1932
.LBB62_1931:
	s_mov_b32 s16, -1
	s_mov_b32 s18, 0
.LBB62_1932:
                                        ; implicit-def: $vgpr5
.LBB62_1933:
	s_and_b32 vcc_lo, exec_lo, s19
	s_cbranch_vccz .LBB62_1937
; %bb.1934:
	s_cmp_eq_u32 s13, 44
	s_cbranch_scc0 .LBB62_1936
; %bb.1935:
	global_load_u8 v5, v[2:3], off
	s_mov_b32 s16, 0
	s_mov_b32 s18, -1
	s_wait_loadcnt 0x0
	v_lshlrev_b32_e32 v7, 23, v5
	v_cmp_ne_u32_e32 vcc_lo, 0, v5
	s_delay_alu instid0(VALU_DEP_2) | instskip(NEXT) | instid1(VALU_DEP_1)
	v_cvt_i32_f32_e32 v7, v7
	v_cndmask_b32_e32 v5, 0, v7, vcc_lo
	s_branch .LBB62_1937
.LBB62_1936:
	s_mov_b32 s16, -1
                                        ; implicit-def: $vgpr5
.LBB62_1937:
	s_mov_b32 s19, 0
.LBB62_1938:
	s_delay_alu instid0(SALU_CYCLE_1)
	s_and_b32 vcc_lo, exec_lo, s19
	s_cbranch_vccz .LBB62_1942
; %bb.1939:
	s_cmp_eq_u32 s13, 29
	s_cbranch_scc0 .LBB62_1941
; %bb.1940:
	global_load_b32 v5, v[2:3], off
	s_mov_b32 s16, 0
	s_mov_b32 s18, -1
	s_branch .LBB62_1942
.LBB62_1941:
	s_mov_b32 s16, -1
                                        ; implicit-def: $vgpr5
.LBB62_1942:
	s_mov_b32 s19, 0
.LBB62_1943:
	s_delay_alu instid0(SALU_CYCLE_1)
	s_and_b32 vcc_lo, exec_lo, s19
	s_cbranch_vccz .LBB62_1959
; %bb.1944:
	s_cmp_lt_i32 s13, 27
	s_cbranch_scc1 .LBB62_1947
; %bb.1945:
	s_cmp_gt_i32 s13, 27
	s_cbranch_scc0 .LBB62_1948
; %bb.1946:
	s_wait_loadcnt 0x0
	global_load_b32 v5, v[2:3], off
	s_mov_b32 s18, 0
	s_branch .LBB62_1949
.LBB62_1947:
	s_mov_b32 s18, -1
                                        ; implicit-def: $vgpr5
	s_branch .LBB62_1952
.LBB62_1948:
	s_mov_b32 s18, -1
                                        ; implicit-def: $vgpr5
.LBB62_1949:
	s_delay_alu instid0(SALU_CYCLE_1)
	s_and_not1_b32 vcc_lo, exec_lo, s18
	s_cbranch_vccnz .LBB62_1951
; %bb.1950:
	s_wait_loadcnt 0x0
	global_load_u16 v5, v[2:3], off
.LBB62_1951:
	s_mov_b32 s18, 0
.LBB62_1952:
	s_delay_alu instid0(SALU_CYCLE_1)
	s_and_not1_b32 vcc_lo, exec_lo, s18
	s_cbranch_vccnz .LBB62_1958
; %bb.1953:
	global_load_u8 v7, v[2:3], off
	s_mov_b32 s19, 0
	s_mov_b32 s18, exec_lo
	s_wait_loadcnt 0x0
	v_cmpx_lt_i16_e32 0x7f, v7
	s_xor_b32 s18, exec_lo, s18
	s_cbranch_execz .LBB62_1970
; %bb.1954:
	v_cmp_ne_u16_e32 vcc_lo, 0x80, v7
	s_and_b32 s19, vcc_lo, exec_lo
	s_and_not1_saveexec_b32 s18, s18
	s_cbranch_execnz .LBB62_1971
.LBB62_1955:
	s_or_b32 exec_lo, exec_lo, s18
	v_mov_b32_e32 v5, 0
	s_and_saveexec_b32 s18, s19
	s_cbranch_execz .LBB62_1957
.LBB62_1956:
	v_and_b32_e32 v5, 0xffff, v7
	s_delay_alu instid0(VALU_DEP_1) | instskip(SKIP_1) | instid1(VALU_DEP_2)
	v_dual_lshlrev_b32 v7, 24, v7 :: v_dual_bitop2_b32 v8, 7, v5 bitop3:0x40
	v_bfe_u32 v12, v5, 3, 4
	v_and_b32_e32 v7, 0x80000000, v7
	s_delay_alu instid0(VALU_DEP_3) | instskip(NEXT) | instid1(VALU_DEP_3)
	v_clz_i32_u32_e32 v9, v8
	v_cmp_eq_u32_e32 vcc_lo, 0, v12
	s_delay_alu instid0(VALU_DEP_2) | instskip(NEXT) | instid1(VALU_DEP_1)
	v_min_u32_e32 v9, 32, v9
	v_subrev_nc_u32_e32 v11, 28, v9
	v_sub_nc_u32_e32 v9, 29, v9
	s_delay_alu instid0(VALU_DEP_2) | instskip(NEXT) | instid1(VALU_DEP_2)
	v_lshlrev_b32_e32 v5, v11, v5
	v_cndmask_b32_e32 v9, v12, v9, vcc_lo
	s_delay_alu instid0(VALU_DEP_2) | instskip(NEXT) | instid1(VALU_DEP_1)
	v_and_b32_e32 v5, 7, v5
	v_cndmask_b32_e32 v5, v8, v5, vcc_lo
	s_delay_alu instid0(VALU_DEP_3) | instskip(NEXT) | instid1(VALU_DEP_2)
	v_lshl_add_u32 v8, v9, 23, 0x3b800000
	v_lshlrev_b32_e32 v5, 20, v5
	s_delay_alu instid0(VALU_DEP_1) | instskip(NEXT) | instid1(VALU_DEP_1)
	v_or3_b32 v5, v7, v8, v5
	v_cvt_i32_f32_e32 v5, v5
.LBB62_1957:
	s_or_b32 exec_lo, exec_lo, s18
.LBB62_1958:
	s_mov_b32 s18, -1
.LBB62_1959:
	s_mov_b32 s19, 0
.LBB62_1960:
	s_delay_alu instid0(SALU_CYCLE_1)
	s_and_b32 vcc_lo, exec_lo, s19
	s_cbranch_vccz .LBB62_1991
; %bb.1961:
	s_cmp_gt_i32 s13, 22
	s_cbranch_scc0 .LBB62_1969
; %bb.1962:
	s_cmp_lt_i32 s13, 24
	s_cbranch_scc1 .LBB62_1972
; %bb.1963:
	s_cmp_gt_i32 s13, 24
	s_cbranch_scc0 .LBB62_1973
; %bb.1964:
	global_load_u8 v7, v[2:3], off
	s_mov_b32 s18, 0
	s_mov_b32 s17, exec_lo
	s_wait_loadcnt 0x0
	v_cmpx_lt_i16_e32 0x7f, v7
	s_xor_b32 s17, exec_lo, s17
	s_cbranch_execz .LBB62_1985
; %bb.1965:
	v_cmp_ne_u16_e32 vcc_lo, 0x80, v7
	s_and_b32 s18, vcc_lo, exec_lo
	s_and_not1_saveexec_b32 s17, s17
	s_cbranch_execnz .LBB62_1986
.LBB62_1966:
	s_or_b32 exec_lo, exec_lo, s17
	v_mov_b32_e32 v5, 0
	s_and_saveexec_b32 s17, s18
	s_cbranch_execz .LBB62_1968
.LBB62_1967:
	v_and_b32_e32 v5, 0xffff, v7
	s_delay_alu instid0(VALU_DEP_1) | instskip(SKIP_1) | instid1(VALU_DEP_2)
	v_dual_lshlrev_b32 v7, 24, v7 :: v_dual_bitop2_b32 v8, 3, v5 bitop3:0x40
	v_bfe_u32 v12, v5, 2, 5
	v_and_b32_e32 v7, 0x80000000, v7
	s_delay_alu instid0(VALU_DEP_3) | instskip(NEXT) | instid1(VALU_DEP_3)
	v_clz_i32_u32_e32 v9, v8
	v_cmp_eq_u32_e32 vcc_lo, 0, v12
	s_delay_alu instid0(VALU_DEP_2) | instskip(NEXT) | instid1(VALU_DEP_1)
	v_min_u32_e32 v9, 32, v9
	v_subrev_nc_u32_e32 v11, 29, v9
	v_sub_nc_u32_e32 v9, 30, v9
	s_delay_alu instid0(VALU_DEP_2) | instskip(NEXT) | instid1(VALU_DEP_2)
	v_lshlrev_b32_e32 v5, v11, v5
	v_cndmask_b32_e32 v9, v12, v9, vcc_lo
	s_delay_alu instid0(VALU_DEP_2) | instskip(NEXT) | instid1(VALU_DEP_1)
	v_and_b32_e32 v5, 3, v5
	v_cndmask_b32_e32 v5, v8, v5, vcc_lo
	s_delay_alu instid0(VALU_DEP_3) | instskip(NEXT) | instid1(VALU_DEP_2)
	v_lshl_add_u32 v8, v9, 23, 0x37800000
	v_lshlrev_b32_e32 v5, 21, v5
	s_delay_alu instid0(VALU_DEP_1) | instskip(NEXT) | instid1(VALU_DEP_1)
	v_or3_b32 v5, v7, v8, v5
	v_cvt_i32_f32_e32 v5, v5
.LBB62_1968:
	s_or_b32 exec_lo, exec_lo, s17
	s_mov_b32 s17, 0
	s_branch .LBB62_1974
.LBB62_1969:
	s_mov_b32 s17, -1
                                        ; implicit-def: $vgpr5
	s_branch .LBB62_1980
.LBB62_1970:
	s_and_not1_saveexec_b32 s18, s18
	s_cbranch_execz .LBB62_1955
.LBB62_1971:
	v_cmp_ne_u16_e32 vcc_lo, 0, v7
	s_and_not1_b32 s19, s19, exec_lo
	s_and_b32 s20, vcc_lo, exec_lo
	s_delay_alu instid0(SALU_CYCLE_1)
	s_or_b32 s19, s19, s20
	s_or_b32 exec_lo, exec_lo, s18
	v_mov_b32_e32 v5, 0
	s_and_saveexec_b32 s18, s19
	s_cbranch_execnz .LBB62_1956
	s_branch .LBB62_1957
.LBB62_1972:
	s_mov_b32 s17, -1
                                        ; implicit-def: $vgpr5
	s_branch .LBB62_1977
.LBB62_1973:
	s_mov_b32 s17, -1
                                        ; implicit-def: $vgpr5
.LBB62_1974:
	s_delay_alu instid0(SALU_CYCLE_1)
	s_and_b32 vcc_lo, exec_lo, s17
	s_cbranch_vccz .LBB62_1976
; %bb.1975:
	s_wait_loadcnt 0x0
	global_load_u8 v5, v[2:3], off
	s_wait_loadcnt 0x0
	v_lshlrev_b32_e32 v5, 24, v5
	s_delay_alu instid0(VALU_DEP_1) | instskip(NEXT) | instid1(VALU_DEP_1)
	v_and_b32_e32 v7, 0x7f000000, v5
	v_clz_i32_u32_e32 v8, v7
	v_add_nc_u32_e32 v11, 0x1000000, v7
	v_cmp_ne_u32_e32 vcc_lo, 0, v7
	s_delay_alu instid0(VALU_DEP_3) | instskip(NEXT) | instid1(VALU_DEP_1)
	v_min_u32_e32 v8, 32, v8
	v_sub_nc_u32_e64 v8, v8, 4 clamp
	s_delay_alu instid0(VALU_DEP_1) | instskip(NEXT) | instid1(VALU_DEP_1)
	v_dual_lshlrev_b32 v9, v8, v7 :: v_dual_lshlrev_b32 v8, 23, v8
	v_lshrrev_b32_e32 v9, 4, v9
	s_delay_alu instid0(VALU_DEP_1) | instskip(NEXT) | instid1(VALU_DEP_1)
	v_dual_sub_nc_u32 v8, v9, v8 :: v_dual_ashrrev_i32 v9, 8, v11
	v_add_nc_u32_e32 v8, 0x3c000000, v8
	s_delay_alu instid0(VALU_DEP_1) | instskip(NEXT) | instid1(VALU_DEP_1)
	v_and_or_b32 v8, 0x7f800000, v9, v8
	v_cndmask_b32_e32 v7, 0, v8, vcc_lo
	s_delay_alu instid0(VALU_DEP_1) | instskip(NEXT) | instid1(VALU_DEP_1)
	v_and_or_b32 v5, 0x80000000, v5, v7
	v_cvt_i32_f32_e32 v5, v5
.LBB62_1976:
	s_mov_b32 s17, 0
.LBB62_1977:
	s_delay_alu instid0(SALU_CYCLE_1)
	s_and_not1_b32 vcc_lo, exec_lo, s17
	s_cbranch_vccnz .LBB62_1979
; %bb.1978:
	s_wait_loadcnt 0x0
	global_load_u8 v5, v[2:3], off
	s_wait_loadcnt 0x0
	v_lshlrev_b32_e32 v7, 25, v5
	v_lshlrev_b16 v5, 8, v5
	s_delay_alu instid0(VALU_DEP_1) | instskip(NEXT) | instid1(VALU_DEP_3)
	v_and_or_b32 v9, 0x7f00, v5, 0.5
	v_lshrrev_b32_e32 v8, 4, v7
	v_bfe_i32 v5, v5, 0, 16
	s_delay_alu instid0(VALU_DEP_3) | instskip(NEXT) | instid1(VALU_DEP_3)
	v_add_f32_e32 v9, -0.5, v9
	v_or_b32_e32 v8, 0x70000000, v8
	s_delay_alu instid0(VALU_DEP_1) | instskip(SKIP_1) | instid1(VALU_DEP_2)
	v_mul_f32_e32 v8, 0x7800000, v8
	v_cmp_gt_u32_e32 vcc_lo, 0x8000000, v7
	v_cndmask_b32_e32 v7, v8, v9, vcc_lo
	s_delay_alu instid0(VALU_DEP_1) | instskip(NEXT) | instid1(VALU_DEP_1)
	v_and_or_b32 v5, 0x80000000, v5, v7
	v_cvt_i32_f32_e32 v5, v5
.LBB62_1979:
	s_mov_b32 s17, 0
	s_mov_b32 s18, -1
.LBB62_1980:
	s_and_not1_b32 vcc_lo, exec_lo, s17
	s_mov_b32 s17, 0
	s_cbranch_vccnz .LBB62_1991
; %bb.1981:
	s_cmp_gt_i32 s13, 14
	s_cbranch_scc0 .LBB62_1984
; %bb.1982:
	s_cmp_eq_u32 s13, 15
	s_cbranch_scc0 .LBB62_1987
; %bb.1983:
	s_wait_loadcnt 0x0
	global_load_u16 v5, v[2:3], off
	s_mov_b32 s16, 0
	s_mov_b32 s18, -1
	s_wait_loadcnt 0x0
	v_lshlrev_b32_e32 v5, 16, v5
	s_delay_alu instid0(VALU_DEP_1)
	v_cvt_i32_f32_e32 v5, v5
	s_branch .LBB62_1989
.LBB62_1984:
	s_mov_b32 s17, -1
	s_branch .LBB62_1988
.LBB62_1985:
	s_and_not1_saveexec_b32 s17, s17
	s_cbranch_execz .LBB62_1966
.LBB62_1986:
	v_cmp_ne_u16_e32 vcc_lo, 0, v7
	s_and_not1_b32 s18, s18, exec_lo
	s_and_b32 s19, vcc_lo, exec_lo
	s_delay_alu instid0(SALU_CYCLE_1)
	s_or_b32 s18, s18, s19
	s_or_b32 exec_lo, exec_lo, s17
	v_mov_b32_e32 v5, 0
	s_and_saveexec_b32 s17, s18
	s_cbranch_execnz .LBB62_1967
	s_branch .LBB62_1968
.LBB62_1987:
	s_mov_b32 s16, -1
.LBB62_1988:
                                        ; implicit-def: $vgpr5
.LBB62_1989:
	s_and_b32 vcc_lo, exec_lo, s17
	s_mov_b32 s17, 0
	s_cbranch_vccz .LBB62_1991
; %bb.1990:
	s_cmp_lg_u32 s13, 11
	s_mov_b32 s17, -1
	s_cselect_b32 s16, -1, 0
.LBB62_1991:
	s_delay_alu instid0(SALU_CYCLE_1)
	s_and_b32 vcc_lo, exec_lo, s16
	s_cbranch_vccnz .LBB62_2062
; %bb.1992:
	s_and_not1_b32 vcc_lo, exec_lo, s17
	s_cbranch_vccnz .LBB62_1994
.LBB62_1993:
	s_wait_loadcnt 0x0
	global_load_u8 v5, v[2:3], off
	s_mov_b32 s18, -1
	s_wait_loadcnt 0x0
	v_cmp_ne_u16_e32 vcc_lo, 0, v5
	v_cndmask_b32_e64 v5, 0, 1, vcc_lo
.LBB62_1994:
	s_mov_b32 s13, 0
.LBB62_1995:
	s_delay_alu instid0(SALU_CYCLE_1)
	s_and_b32 vcc_lo, exec_lo, s13
	s_cbranch_vccz .LBB62_2044
; %bb.1996:
	s_and_b32 s13, 0xffff, s1
	s_delay_alu instid0(SALU_CYCLE_1)
	s_cmp_lt_i32 s13, 5
	s_cbranch_scc1 .LBB62_2001
; %bb.1997:
	s_cmp_lt_i32 s13, 8
	s_cbranch_scc1 .LBB62_2002
; %bb.1998:
	;; [unrolled: 3-line block ×3, first 2 shown]
	s_cmp_gt_i32 s13, 9
	s_cbranch_scc0 .LBB62_2004
; %bb.2000:
	global_load_b64 v[8:9], v[2:3], off
	s_mov_b32 s16, 0
	s_wait_loadcnt 0x0
	v_cvt_i32_f64_e32 v5, v[8:9]
	s_branch .LBB62_2005
.LBB62_2001:
	s_mov_b32 s16, -1
                                        ; implicit-def: $vgpr5
	s_branch .LBB62_2023
.LBB62_2002:
	s_mov_b32 s16, -1
                                        ; implicit-def: $vgpr5
	s_branch .LBB62_2011
.LBB62_2003:
	s_mov_b32 s16, -1
                                        ; implicit-def: $vgpr5
	s_branch .LBB62_2008
.LBB62_2004:
	s_mov_b32 s16, -1
                                        ; implicit-def: $vgpr5
.LBB62_2005:
	s_delay_alu instid0(SALU_CYCLE_1)
	s_and_not1_b32 vcc_lo, exec_lo, s16
	s_cbranch_vccnz .LBB62_2007
; %bb.2006:
	s_wait_loadcnt 0x0
	global_load_b32 v5, v[2:3], off
	s_wait_loadcnt 0x0
	v_cvt_i32_f32_e32 v5, v5
.LBB62_2007:
	s_mov_b32 s16, 0
.LBB62_2008:
	s_delay_alu instid0(SALU_CYCLE_1)
	s_and_not1_b32 vcc_lo, exec_lo, s16
	s_cbranch_vccnz .LBB62_2010
; %bb.2009:
	s_wait_loadcnt 0x0
	global_load_b32 v5, v[2:3], off
	s_wait_loadcnt 0x0
	v_cvt_f32_f16_e32 v5, v5
	s_delay_alu instid0(VALU_DEP_1)
	v_cvt_i32_f32_e32 v5, v5
.LBB62_2010:
	s_mov_b32 s16, 0
.LBB62_2011:
	s_delay_alu instid0(SALU_CYCLE_1)
	s_and_not1_b32 vcc_lo, exec_lo, s16
	s_cbranch_vccnz .LBB62_2022
; %bb.2012:
	s_cmp_lt_i32 s13, 6
	s_cbranch_scc1 .LBB62_2015
; %bb.2013:
	s_cmp_gt_i32 s13, 6
	s_cbranch_scc0 .LBB62_2016
; %bb.2014:
	global_load_b64 v[8:9], v[2:3], off
	s_mov_b32 s16, 0
	s_wait_loadcnt 0x0
	v_cvt_i32_f64_e32 v5, v[8:9]
	s_branch .LBB62_2017
.LBB62_2015:
	s_mov_b32 s16, -1
                                        ; implicit-def: $vgpr5
	s_branch .LBB62_2020
.LBB62_2016:
	s_mov_b32 s16, -1
                                        ; implicit-def: $vgpr5
.LBB62_2017:
	s_delay_alu instid0(SALU_CYCLE_1)
	s_and_not1_b32 vcc_lo, exec_lo, s16
	s_cbranch_vccnz .LBB62_2019
; %bb.2018:
	s_wait_loadcnt 0x0
	global_load_b32 v5, v[2:3], off
	s_wait_loadcnt 0x0
	v_cvt_i32_f32_e32 v5, v5
.LBB62_2019:
	s_mov_b32 s16, 0
.LBB62_2020:
	s_delay_alu instid0(SALU_CYCLE_1)
	s_and_not1_b32 vcc_lo, exec_lo, s16
	s_cbranch_vccnz .LBB62_2022
; %bb.2021:
	s_wait_loadcnt 0x0
	global_load_u16 v5, v[2:3], off
	s_wait_loadcnt 0x0
	v_cvt_f32_f16_e32 v5, v5
	s_delay_alu instid0(VALU_DEP_1)
	v_cvt_i32_f32_e32 v5, v5
.LBB62_2022:
	s_mov_b32 s16, 0
.LBB62_2023:
	s_delay_alu instid0(SALU_CYCLE_1)
	s_and_not1_b32 vcc_lo, exec_lo, s16
	s_cbranch_vccnz .LBB62_2043
; %bb.2024:
	s_cmp_lt_i32 s13, 2
	s_cbranch_scc1 .LBB62_2028
; %bb.2025:
	s_cmp_lt_i32 s13, 3
	s_cbranch_scc1 .LBB62_2029
; %bb.2026:
	s_cmp_gt_i32 s13, 3
	s_cbranch_scc0 .LBB62_2030
; %bb.2027:
	s_wait_loadcnt 0x0
	global_load_b32 v5, v[2:3], off
	s_mov_b32 s16, 0
	s_branch .LBB62_2031
.LBB62_2028:
	s_mov_b32 s16, -1
                                        ; implicit-def: $vgpr5
	s_branch .LBB62_2037
.LBB62_2029:
	s_mov_b32 s16, -1
                                        ; implicit-def: $vgpr5
	s_branch .LBB62_2034
.LBB62_2030:
	s_mov_b32 s16, -1
                                        ; implicit-def: $vgpr5
.LBB62_2031:
	s_delay_alu instid0(SALU_CYCLE_1)
	s_and_not1_b32 vcc_lo, exec_lo, s16
	s_cbranch_vccnz .LBB62_2033
; %bb.2032:
	s_wait_loadcnt 0x0
	global_load_b32 v5, v[2:3], off
.LBB62_2033:
	s_mov_b32 s16, 0
.LBB62_2034:
	s_delay_alu instid0(SALU_CYCLE_1)
	s_and_not1_b32 vcc_lo, exec_lo, s16
	s_cbranch_vccnz .LBB62_2036
; %bb.2035:
	s_wait_loadcnt 0x0
	global_load_i16 v5, v[2:3], off
.LBB62_2036:
	s_mov_b32 s16, 0
.LBB62_2037:
	s_delay_alu instid0(SALU_CYCLE_1)
	s_and_not1_b32 vcc_lo, exec_lo, s16
	s_cbranch_vccnz .LBB62_2043
; %bb.2038:
	s_cmp_gt_i32 s13, 0
	s_mov_b32 s13, 0
	s_cbranch_scc0 .LBB62_2040
; %bb.2039:
	s_wait_loadcnt 0x0
	global_load_i8 v5, v[2:3], off
	s_branch .LBB62_2041
.LBB62_2040:
	s_mov_b32 s13, -1
                                        ; implicit-def: $vgpr5
.LBB62_2041:
	s_delay_alu instid0(SALU_CYCLE_1)
	s_and_not1_b32 vcc_lo, exec_lo, s13
	s_cbranch_vccnz .LBB62_2043
; %bb.2042:
	s_wait_loadcnt 0x0
	global_load_u8 v5, v[2:3], off
.LBB62_2043:
	s_mov_b32 s18, -1
.LBB62_2044:
	s_delay_alu instid0(SALU_CYCLE_1)
	s_and_not1_b32 vcc_lo, exec_lo, s18
	s_cbranch_vccnz .LBB62_2651
; %bb.2045:
	s_wait_loadcnt 0x0
	s_delay_alu instid0(VALU_DEP_1) | instskip(SKIP_2) | instid1(VALU_DEP_1)
	v_sub_nc_u32_e32 v2, 0, v5
	s_mov_b32 s16, 0
	s_mov_b32 s13, exec_lo
	v_dual_sub_nc_u32 v3, 0, v1 :: v_dual_max_i32 v7, v5, v2
	v_cmpx_ne_u32_e32 0, v1
	s_cbranch_execz .LBB62_2049
; %bb.2046:
	s_delay_alu instid0(VALU_DEP_2)
	v_max_i32_e32 v8, v1, v3
.LBB62_2047:                            ; =>This Inner Loop Header: Depth=1
	s_delay_alu instid0(VALU_DEP_1) | instskip(NEXT) | instid1(VALU_DEP_1)
	v_mov_b32_e32 v2, v8
	v_cvt_f32_u32_e32 v8, v2
	v_sub_nc_u32_e32 v9, 0, v2
	s_delay_alu instid0(VALU_DEP_2) | instskip(SKIP_1) | instid1(TRANS32_DEP_1)
	v_rcp_iflag_f32_e32 v8, v8
	v_nop
	v_mul_f32_e32 v8, 0x4f7ffffe, v8
	s_delay_alu instid0(VALU_DEP_1) | instskip(NEXT) | instid1(VALU_DEP_1)
	v_cvt_u32_f32_e32 v8, v8
	v_mul_lo_u32 v9, v9, v8
	s_delay_alu instid0(VALU_DEP_1) | instskip(NEXT) | instid1(VALU_DEP_1)
	v_mul_hi_u32 v9, v8, v9
	v_add_nc_u32_e32 v8, v8, v9
	s_delay_alu instid0(VALU_DEP_1) | instskip(NEXT) | instid1(VALU_DEP_1)
	v_mul_hi_u32 v8, v7, v8
	v_mul_lo_u32 v8, v8, v2
	s_delay_alu instid0(VALU_DEP_1) | instskip(NEXT) | instid1(VALU_DEP_1)
	v_sub_nc_u32_e32 v7, v7, v8
	v_sub_nc_u32_e32 v8, v7, v2
	v_cmp_ge_u32_e32 vcc_lo, v7, v2
	s_delay_alu instid0(VALU_DEP_2) | instskip(NEXT) | instid1(VALU_DEP_1)
	v_cndmask_b32_e32 v7, v7, v8, vcc_lo
	v_sub_nc_u32_e32 v8, v7, v2
	v_cmp_ge_u32_e32 vcc_lo, v7, v2
	s_delay_alu instid0(VALU_DEP_2) | instskip(NEXT) | instid1(VALU_DEP_1)
	v_dual_cndmask_b32 v8, v7, v8 :: v_dual_mov_b32 v7, v2
	v_cmp_eq_u32_e32 vcc_lo, 0, v8
	s_or_b32 s16, vcc_lo, s16
	s_delay_alu instid0(SALU_CYCLE_1)
	s_and_not1_b32 exec_lo, exec_lo, s16
	s_cbranch_execnz .LBB62_2047
; %bb.2048:
	s_or_b32 exec_lo, exec_lo, s16
	v_mov_b32_e32 v7, v2
.LBB62_2049:
	s_or_b32 exec_lo, exec_lo, s13
	v_mov_b32_e32 v2, 0
	s_mov_b32 s13, exec_lo
	s_delay_alu instid0(VALU_DEP_2)
	v_cmpx_ne_u32_e32 0, v7
	s_cbranch_execz .LBB62_2051
; %bb.2050:
	v_sub_nc_u32_e32 v2, 0, v7
	v_max_i32_e32 v3, v1, v3
	v_xor_b32_e32 v1, v1, v7
	s_delay_alu instid0(VALU_DEP_1) | instskip(NEXT) | instid1(VALU_DEP_1)
	v_dual_ashrrev_i32 v1, 31, v1 :: v_dual_max_i32 v2, v7, v2
	v_cvt_f32_u32_e32 v8, v2
	v_sub_nc_u32_e32 v9, 0, v2
	s_delay_alu instid0(VALU_DEP_2) | instskip(SKIP_1) | instid1(TRANS32_DEP_1)
	v_rcp_iflag_f32_e32 v8, v8
	v_nop
	v_mul_f32_e32 v8, 0x4f7ffffe, v8
	s_delay_alu instid0(VALU_DEP_1) | instskip(NEXT) | instid1(VALU_DEP_1)
	v_cvt_u32_f32_e32 v8, v8
	v_mul_lo_u32 v9, v9, v8
	s_delay_alu instid0(VALU_DEP_1) | instskip(NEXT) | instid1(VALU_DEP_1)
	v_mul_hi_u32 v9, v8, v9
	v_add_nc_u32_e32 v8, v8, v9
	s_delay_alu instid0(VALU_DEP_1) | instskip(NEXT) | instid1(VALU_DEP_1)
	v_mul_hi_u32 v8, v3, v8
	v_mul_lo_u32 v9, v8, v2
	s_delay_alu instid0(VALU_DEP_1) | instskip(NEXT) | instid1(VALU_DEP_1)
	v_dual_sub_nc_u32 v3, v3, v9 :: v_dual_add_nc_u32 v9, 1, v8
	v_cmp_ge_u32_e32 vcc_lo, v3, v2
	s_delay_alu instid0(VALU_DEP_2) | instskip(NEXT) | instid1(VALU_DEP_1)
	v_dual_cndmask_b32 v8, v8, v9 :: v_dual_sub_nc_u32 v11, v3, v2
	v_dual_add_nc_u32 v7, 1, v8 :: v_dual_cndmask_b32 v3, v3, v11, vcc_lo
	s_delay_alu instid0(VALU_DEP_1) | instskip(NEXT) | instid1(VALU_DEP_2)
	v_cmp_ge_u32_e32 vcc_lo, v3, v2
	v_cndmask_b32_e32 v2, v8, v7, vcc_lo
	s_delay_alu instid0(VALU_DEP_1) | instskip(NEXT) | instid1(VALU_DEP_1)
	v_xor_b32_e32 v2, v2, v1
	v_sub_nc_u32_e32 v1, v2, v1
	s_delay_alu instid0(VALU_DEP_1) | instskip(NEXT) | instid1(VALU_DEP_1)
	v_mul_lo_u32 v1, v1, v5
	v_sub_nc_u32_e32 v2, 0, v1
	s_delay_alu instid0(VALU_DEP_1)
	v_max_i32_e32 v2, v1, v2
.LBB62_2051:
	s_or_b32 exec_lo, exec_lo, s13
	v_add_nc_u32_e32 v6, s9, v6
	s_cmp_lt_i32 s0, 11
	s_delay_alu instid0(VALU_DEP_1) | instskip(NEXT) | instid1(VALU_DEP_1)
	v_ashrrev_i32_e32 v7, 31, v6
	v_add_nc_u64_e32 v[8:9], s[6:7], v[6:7]
	s_cbranch_scc1 .LBB62_2058
; %bb.2052:
	s_and_b32 s13, 0xffff, s0
	s_mov_b32 s17, 0
	s_cmp_gt_i32 s13, 25
	s_cbranch_scc0 .LBB62_2059
; %bb.2053:
	s_cmp_gt_i32 s13, 28
	s_cbranch_scc0 .LBB62_2060
; %bb.2054:
	;; [unrolled: 3-line block ×4, first 2 shown]
	s_cmp_eq_u32 s13, 46
	s_mov_b32 s19, 0
	s_cbranch_scc0 .LBB62_2064
; %bb.2057:
	global_load_b32 v1, v[8:9], off
	s_mov_b32 s16, 0
	s_mov_b32 s18, -1
	s_wait_loadcnt 0x0
	v_lshlrev_b32_e32 v1, 16, v1
	s_delay_alu instid0(VALU_DEP_1)
	v_cvt_i32_f32_e32 v1, v1
	s_branch .LBB62_2066
.LBB62_2058:
	s_mov_b32 s13, -1
	s_mov_b32 s18, 0
                                        ; implicit-def: $vgpr1
	s_branch .LBB62_2128
.LBB62_2059:
	s_mov_b32 s19, -1
	s_mov_b32 s18, 0
	s_mov_b32 s16, 0
                                        ; implicit-def: $vgpr1
	s_branch .LBB62_2093
.LBB62_2060:
	s_mov_b32 s19, -1
	s_mov_b32 s18, 0
	s_mov_b32 s16, 0
                                        ; implicit-def: $vgpr1
	s_branch .LBB62_2076
.LBB62_2061:
	s_mov_b32 s19, -1
	s_mov_b32 s18, 0
	s_mov_b32 s16, 0
                                        ; implicit-def: $vgpr1
	s_branch .LBB62_2071
.LBB62_2062:
	s_or_b32 s12, s12, exec_lo
	s_trap 2
	s_cbranch_execz .LBB62_1993
	s_branch .LBB62_1994
.LBB62_2063:
	s_mov_b32 s19, -1
	s_mov_b32 s18, 0
	s_mov_b32 s16, 0
	s_branch .LBB62_2065
.LBB62_2064:
	s_mov_b32 s16, -1
	s_mov_b32 s18, 0
.LBB62_2065:
                                        ; implicit-def: $vgpr1
.LBB62_2066:
	s_and_b32 vcc_lo, exec_lo, s19
	s_cbranch_vccz .LBB62_2070
; %bb.2067:
	s_cmp_eq_u32 s13, 44
	s_cbranch_scc0 .LBB62_2069
; %bb.2068:
	global_load_u8 v1, v[8:9], off
	s_mov_b32 s16, 0
	s_mov_b32 s18, -1
	s_wait_loadcnt 0x0
	v_lshlrev_b32_e32 v3, 23, v1
	v_cmp_ne_u32_e32 vcc_lo, 0, v1
	s_delay_alu instid0(VALU_DEP_2) | instskip(NEXT) | instid1(VALU_DEP_1)
	v_cvt_i32_f32_e32 v3, v3
	v_cndmask_b32_e32 v1, 0, v3, vcc_lo
	s_branch .LBB62_2070
.LBB62_2069:
	s_mov_b32 s16, -1
                                        ; implicit-def: $vgpr1
.LBB62_2070:
	s_mov_b32 s19, 0
.LBB62_2071:
	s_delay_alu instid0(SALU_CYCLE_1)
	s_and_b32 vcc_lo, exec_lo, s19
	s_cbranch_vccz .LBB62_2075
; %bb.2072:
	s_cmp_eq_u32 s13, 29
	s_cbranch_scc0 .LBB62_2074
; %bb.2073:
	global_load_b32 v1, v[8:9], off
	s_mov_b32 s16, 0
	s_mov_b32 s18, -1
	s_branch .LBB62_2075
.LBB62_2074:
	s_mov_b32 s16, -1
                                        ; implicit-def: $vgpr1
.LBB62_2075:
	s_mov_b32 s19, 0
.LBB62_2076:
	s_delay_alu instid0(SALU_CYCLE_1)
	s_and_b32 vcc_lo, exec_lo, s19
	s_cbranch_vccz .LBB62_2092
; %bb.2077:
	s_cmp_lt_i32 s13, 27
	s_cbranch_scc1 .LBB62_2080
; %bb.2078:
	s_cmp_gt_i32 s13, 27
	s_cbranch_scc0 .LBB62_2081
; %bb.2079:
	s_wait_loadcnt 0x0
	global_load_b32 v1, v[8:9], off
	s_mov_b32 s18, 0
	s_branch .LBB62_2082
.LBB62_2080:
	s_mov_b32 s18, -1
                                        ; implicit-def: $vgpr1
	s_branch .LBB62_2085
.LBB62_2081:
	s_mov_b32 s18, -1
                                        ; implicit-def: $vgpr1
.LBB62_2082:
	s_delay_alu instid0(SALU_CYCLE_1)
	s_and_not1_b32 vcc_lo, exec_lo, s18
	s_cbranch_vccnz .LBB62_2084
; %bb.2083:
	s_wait_loadcnt 0x0
	global_load_u16 v1, v[8:9], off
.LBB62_2084:
	s_mov_b32 s18, 0
.LBB62_2085:
	s_delay_alu instid0(SALU_CYCLE_1)
	s_and_not1_b32 vcc_lo, exec_lo, s18
	s_cbranch_vccnz .LBB62_2091
; %bb.2086:
	global_load_u8 v3, v[8:9], off
	s_mov_b32 s19, 0
	s_mov_b32 s18, exec_lo
	s_wait_loadcnt 0x0
	v_cmpx_lt_i16_e32 0x7f, v3
	s_xor_b32 s18, exec_lo, s18
	s_cbranch_execz .LBB62_2103
; %bb.2087:
	v_cmp_ne_u16_e32 vcc_lo, 0x80, v3
	s_and_b32 s19, vcc_lo, exec_lo
	s_and_not1_saveexec_b32 s18, s18
	s_cbranch_execnz .LBB62_2104
.LBB62_2088:
	s_or_b32 exec_lo, exec_lo, s18
	v_mov_b32_e32 v1, 0
	s_and_saveexec_b32 s18, s19
	s_cbranch_execz .LBB62_2090
.LBB62_2089:
	v_and_b32_e32 v1, 0xffff, v3
	s_delay_alu instid0(VALU_DEP_1) | instskip(SKIP_1) | instid1(VALU_DEP_2)
	v_and_b32_e32 v5, 7, v1
	v_bfe_u32 v12, v1, 3, 4
	v_clz_i32_u32_e32 v7, v5
	s_delay_alu instid0(VALU_DEP_2) | instskip(NEXT) | instid1(VALU_DEP_2)
	v_cmp_eq_u32_e32 vcc_lo, 0, v12
	v_min_u32_e32 v7, 32, v7
	s_delay_alu instid0(VALU_DEP_1) | instskip(NEXT) | instid1(VALU_DEP_1)
	v_subrev_nc_u32_e32 v11, 28, v7
	v_dual_lshlrev_b32 v1, v11, v1 :: v_dual_sub_nc_u32 v7, 29, v7
	s_delay_alu instid0(VALU_DEP_1) | instskip(NEXT) | instid1(VALU_DEP_1)
	v_dual_lshlrev_b32 v3, 24, v3 :: v_dual_bitop2_b32 v1, 7, v1 bitop3:0x40
	v_dual_cndmask_b32 v1, v5, v1, vcc_lo :: v_dual_cndmask_b32 v7, v12, v7, vcc_lo
	s_delay_alu instid0(VALU_DEP_2) | instskip(NEXT) | instid1(VALU_DEP_2)
	v_and_b32_e32 v3, 0x80000000, v3
	v_lshlrev_b32_e32 v1, 20, v1
	s_delay_alu instid0(VALU_DEP_3) | instskip(NEXT) | instid1(VALU_DEP_1)
	v_lshl_add_u32 v5, v7, 23, 0x3b800000
	v_or3_b32 v1, v3, v5, v1
	s_delay_alu instid0(VALU_DEP_1)
	v_cvt_i32_f32_e32 v1, v1
.LBB62_2090:
	s_or_b32 exec_lo, exec_lo, s18
.LBB62_2091:
	s_mov_b32 s18, -1
.LBB62_2092:
	s_mov_b32 s19, 0
.LBB62_2093:
	s_delay_alu instid0(SALU_CYCLE_1)
	s_and_b32 vcc_lo, exec_lo, s19
	s_cbranch_vccz .LBB62_2124
; %bb.2094:
	s_cmp_gt_i32 s13, 22
	s_cbranch_scc0 .LBB62_2102
; %bb.2095:
	s_cmp_lt_i32 s13, 24
	s_cbranch_scc1 .LBB62_2105
; %bb.2096:
	s_cmp_gt_i32 s13, 24
	s_cbranch_scc0 .LBB62_2106
; %bb.2097:
	global_load_u8 v3, v[8:9], off
	s_mov_b32 s18, 0
	s_mov_b32 s17, exec_lo
	s_wait_loadcnt 0x0
	v_cmpx_lt_i16_e32 0x7f, v3
	s_xor_b32 s17, exec_lo, s17
	s_cbranch_execz .LBB62_2118
; %bb.2098:
	v_cmp_ne_u16_e32 vcc_lo, 0x80, v3
	s_and_b32 s18, vcc_lo, exec_lo
	s_and_not1_saveexec_b32 s17, s17
	s_cbranch_execnz .LBB62_2119
.LBB62_2099:
	s_or_b32 exec_lo, exec_lo, s17
	v_mov_b32_e32 v1, 0
	s_and_saveexec_b32 s17, s18
	s_cbranch_execz .LBB62_2101
.LBB62_2100:
	v_and_b32_e32 v1, 0xffff, v3
	s_delay_alu instid0(VALU_DEP_1) | instskip(SKIP_1) | instid1(VALU_DEP_2)
	v_and_b32_e32 v5, 3, v1
	v_bfe_u32 v12, v1, 2, 5
	v_clz_i32_u32_e32 v7, v5
	s_delay_alu instid0(VALU_DEP_2) | instskip(NEXT) | instid1(VALU_DEP_2)
	v_cmp_eq_u32_e32 vcc_lo, 0, v12
	v_min_u32_e32 v7, 32, v7
	s_delay_alu instid0(VALU_DEP_1) | instskip(NEXT) | instid1(VALU_DEP_1)
	v_subrev_nc_u32_e32 v11, 29, v7
	v_dual_lshlrev_b32 v1, v11, v1 :: v_dual_sub_nc_u32 v7, 30, v7
	s_delay_alu instid0(VALU_DEP_1) | instskip(NEXT) | instid1(VALU_DEP_1)
	v_dual_lshlrev_b32 v3, 24, v3 :: v_dual_bitop2_b32 v1, 3, v1 bitop3:0x40
	v_dual_cndmask_b32 v1, v5, v1, vcc_lo :: v_dual_cndmask_b32 v7, v12, v7, vcc_lo
	s_delay_alu instid0(VALU_DEP_2) | instskip(NEXT) | instid1(VALU_DEP_2)
	v_and_b32_e32 v3, 0x80000000, v3
	v_lshlrev_b32_e32 v1, 21, v1
	s_delay_alu instid0(VALU_DEP_3) | instskip(NEXT) | instid1(VALU_DEP_1)
	v_lshl_add_u32 v5, v7, 23, 0x37800000
	v_or3_b32 v1, v3, v5, v1
	s_delay_alu instid0(VALU_DEP_1)
	v_cvt_i32_f32_e32 v1, v1
.LBB62_2101:
	s_or_b32 exec_lo, exec_lo, s17
	s_mov_b32 s17, 0
	s_branch .LBB62_2107
.LBB62_2102:
	s_mov_b32 s17, -1
                                        ; implicit-def: $vgpr1
	s_branch .LBB62_2113
.LBB62_2103:
	s_and_not1_saveexec_b32 s18, s18
	s_cbranch_execz .LBB62_2088
.LBB62_2104:
	v_cmp_ne_u16_e32 vcc_lo, 0, v3
	s_and_not1_b32 s19, s19, exec_lo
	s_and_b32 s20, vcc_lo, exec_lo
	s_delay_alu instid0(SALU_CYCLE_1)
	s_or_b32 s19, s19, s20
	s_or_b32 exec_lo, exec_lo, s18
	v_mov_b32_e32 v1, 0
	s_and_saveexec_b32 s18, s19
	s_cbranch_execnz .LBB62_2089
	s_branch .LBB62_2090
.LBB62_2105:
	s_mov_b32 s17, -1
                                        ; implicit-def: $vgpr1
	s_branch .LBB62_2110
.LBB62_2106:
	s_mov_b32 s17, -1
                                        ; implicit-def: $vgpr1
.LBB62_2107:
	s_delay_alu instid0(SALU_CYCLE_1)
	s_and_b32 vcc_lo, exec_lo, s17
	s_cbranch_vccz .LBB62_2109
; %bb.2108:
	s_wait_loadcnt 0x0
	global_load_u8 v1, v[8:9], off
	s_wait_loadcnt 0x0
	v_lshlrev_b32_e32 v1, 24, v1
	s_delay_alu instid0(VALU_DEP_1) | instskip(NEXT) | instid1(VALU_DEP_1)
	v_and_b32_e32 v3, 0x7f000000, v1
	v_clz_i32_u32_e32 v5, v3
	v_add_nc_u32_e32 v11, 0x1000000, v3
	v_cmp_ne_u32_e32 vcc_lo, 0, v3
	s_delay_alu instid0(VALU_DEP_3) | instskip(NEXT) | instid1(VALU_DEP_1)
	v_min_u32_e32 v5, 32, v5
	v_sub_nc_u32_e64 v5, v5, 4 clamp
	s_delay_alu instid0(VALU_DEP_1) | instskip(NEXT) | instid1(VALU_DEP_1)
	v_dual_lshlrev_b32 v7, v5, v3 :: v_dual_lshlrev_b32 v5, 23, v5
	v_lshrrev_b32_e32 v7, 4, v7
	s_delay_alu instid0(VALU_DEP_1) | instskip(NEXT) | instid1(VALU_DEP_1)
	v_dual_sub_nc_u32 v5, v7, v5 :: v_dual_ashrrev_i32 v7, 8, v11
	v_add_nc_u32_e32 v5, 0x3c000000, v5
	s_delay_alu instid0(VALU_DEP_1) | instskip(NEXT) | instid1(VALU_DEP_1)
	v_and_or_b32 v5, 0x7f800000, v7, v5
	v_cndmask_b32_e32 v3, 0, v5, vcc_lo
	s_delay_alu instid0(VALU_DEP_1) | instskip(NEXT) | instid1(VALU_DEP_1)
	v_and_or_b32 v1, 0x80000000, v1, v3
	v_cvt_i32_f32_e32 v1, v1
.LBB62_2109:
	s_mov_b32 s17, 0
.LBB62_2110:
	s_delay_alu instid0(SALU_CYCLE_1)
	s_and_not1_b32 vcc_lo, exec_lo, s17
	s_cbranch_vccnz .LBB62_2112
; %bb.2111:
	s_wait_loadcnt 0x0
	global_load_u8 v1, v[8:9], off
	s_wait_loadcnt 0x0
	v_lshlrev_b32_e32 v3, 25, v1
	v_lshlrev_b16 v1, 8, v1
	s_delay_alu instid0(VALU_DEP_1) | instskip(SKIP_1) | instid1(VALU_DEP_2)
	v_and_or_b32 v7, 0x7f00, v1, 0.5
	v_bfe_i32 v1, v1, 0, 16
	v_add_f32_e32 v7, -0.5, v7
	v_lshrrev_b32_e32 v5, 4, v3
	v_cmp_gt_u32_e32 vcc_lo, 0x8000000, v3
	s_delay_alu instid0(VALU_DEP_2) | instskip(NEXT) | instid1(VALU_DEP_1)
	v_or_b32_e32 v5, 0x70000000, v5
	v_mul_f32_e32 v5, 0x7800000, v5
	s_delay_alu instid0(VALU_DEP_1) | instskip(NEXT) | instid1(VALU_DEP_1)
	v_cndmask_b32_e32 v3, v5, v7, vcc_lo
	v_and_or_b32 v1, 0x80000000, v1, v3
	s_delay_alu instid0(VALU_DEP_1)
	v_cvt_i32_f32_e32 v1, v1
.LBB62_2112:
	s_mov_b32 s17, 0
	s_mov_b32 s18, -1
.LBB62_2113:
	s_and_not1_b32 vcc_lo, exec_lo, s17
	s_mov_b32 s17, 0
	s_cbranch_vccnz .LBB62_2124
; %bb.2114:
	s_cmp_gt_i32 s13, 14
	s_cbranch_scc0 .LBB62_2117
; %bb.2115:
	s_cmp_eq_u32 s13, 15
	s_cbranch_scc0 .LBB62_2120
; %bb.2116:
	s_wait_loadcnt 0x0
	global_load_u16 v1, v[8:9], off
	s_mov_b32 s16, 0
	s_mov_b32 s18, -1
	s_wait_loadcnt 0x0
	v_lshlrev_b32_e32 v1, 16, v1
	s_delay_alu instid0(VALU_DEP_1)
	v_cvt_i32_f32_e32 v1, v1
	s_branch .LBB62_2122
.LBB62_2117:
	s_mov_b32 s17, -1
	s_branch .LBB62_2121
.LBB62_2118:
	s_and_not1_saveexec_b32 s17, s17
	s_cbranch_execz .LBB62_2099
.LBB62_2119:
	v_cmp_ne_u16_e32 vcc_lo, 0, v3
	s_and_not1_b32 s18, s18, exec_lo
	s_and_b32 s19, vcc_lo, exec_lo
	s_delay_alu instid0(SALU_CYCLE_1)
	s_or_b32 s18, s18, s19
	s_or_b32 exec_lo, exec_lo, s17
	v_mov_b32_e32 v1, 0
	s_and_saveexec_b32 s17, s18
	s_cbranch_execnz .LBB62_2100
	s_branch .LBB62_2101
.LBB62_2120:
	s_mov_b32 s16, -1
.LBB62_2121:
                                        ; implicit-def: $vgpr1
.LBB62_2122:
	s_and_b32 vcc_lo, exec_lo, s17
	s_mov_b32 s17, 0
	s_cbranch_vccz .LBB62_2124
; %bb.2123:
	s_cmp_lg_u32 s13, 11
	s_mov_b32 s17, -1
	s_cselect_b32 s16, -1, 0
.LBB62_2124:
	s_delay_alu instid0(SALU_CYCLE_1)
	s_and_b32 vcc_lo, exec_lo, s16
	s_cbranch_vccnz .LBB62_2189
; %bb.2125:
	s_and_not1_b32 vcc_lo, exec_lo, s17
	s_cbranch_vccnz .LBB62_2127
.LBB62_2126:
	s_wait_loadcnt 0x0
	global_load_u8 v1, v[8:9], off
	s_mov_b32 s18, -1
	s_wait_loadcnt 0x0
	v_cmp_ne_u16_e32 vcc_lo, 0, v1
	v_cndmask_b32_e64 v1, 0, 1, vcc_lo
.LBB62_2127:
	s_mov_b32 s13, 0
.LBB62_2128:
	s_delay_alu instid0(SALU_CYCLE_1)
	s_and_b32 vcc_lo, exec_lo, s13
	s_cbranch_vccz .LBB62_2177
; %bb.2129:
	s_and_b32 s13, 0xffff, s0
	s_delay_alu instid0(SALU_CYCLE_1)
	s_cmp_lt_i32 s13, 5
	s_cbranch_scc1 .LBB62_2134
; %bb.2130:
	s_cmp_lt_i32 s13, 8
	s_cbranch_scc1 .LBB62_2135
; %bb.2131:
	;; [unrolled: 3-line block ×3, first 2 shown]
	s_cmp_gt_i32 s13, 9
	s_cbranch_scc0 .LBB62_2137
; %bb.2133:
	global_load_b64 v[12:13], v[8:9], off
	s_mov_b32 s16, 0
	s_wait_loadcnt 0x0
	v_cvt_i32_f64_e32 v1, v[12:13]
	s_branch .LBB62_2138
.LBB62_2134:
	s_mov_b32 s16, -1
                                        ; implicit-def: $vgpr1
	s_branch .LBB62_2156
.LBB62_2135:
	s_mov_b32 s16, -1
                                        ; implicit-def: $vgpr1
	s_branch .LBB62_2144
.LBB62_2136:
	s_mov_b32 s16, -1
                                        ; implicit-def: $vgpr1
	s_branch .LBB62_2141
.LBB62_2137:
	s_mov_b32 s16, -1
                                        ; implicit-def: $vgpr1
.LBB62_2138:
	s_delay_alu instid0(SALU_CYCLE_1)
	s_and_not1_b32 vcc_lo, exec_lo, s16
	s_cbranch_vccnz .LBB62_2140
; %bb.2139:
	s_wait_loadcnt 0x0
	global_load_b32 v1, v[8:9], off
	s_wait_loadcnt 0x0
	v_cvt_i32_f32_e32 v1, v1
.LBB62_2140:
	s_mov_b32 s16, 0
.LBB62_2141:
	s_delay_alu instid0(SALU_CYCLE_1)
	s_and_not1_b32 vcc_lo, exec_lo, s16
	s_cbranch_vccnz .LBB62_2143
; %bb.2142:
	s_wait_loadcnt 0x0
	global_load_b32 v1, v[8:9], off
	s_wait_loadcnt 0x0
	v_cvt_f32_f16_e32 v1, v1
	s_delay_alu instid0(VALU_DEP_1)
	v_cvt_i32_f32_e32 v1, v1
.LBB62_2143:
	s_mov_b32 s16, 0
.LBB62_2144:
	s_delay_alu instid0(SALU_CYCLE_1)
	s_and_not1_b32 vcc_lo, exec_lo, s16
	s_cbranch_vccnz .LBB62_2155
; %bb.2145:
	s_cmp_lt_i32 s13, 6
	s_cbranch_scc1 .LBB62_2148
; %bb.2146:
	s_cmp_gt_i32 s13, 6
	s_cbranch_scc0 .LBB62_2149
; %bb.2147:
	global_load_b64 v[12:13], v[8:9], off
	s_mov_b32 s16, 0
	s_wait_loadcnt 0x0
	v_cvt_i32_f64_e32 v1, v[12:13]
	s_branch .LBB62_2150
.LBB62_2148:
	s_mov_b32 s16, -1
                                        ; implicit-def: $vgpr1
	s_branch .LBB62_2153
.LBB62_2149:
	s_mov_b32 s16, -1
                                        ; implicit-def: $vgpr1
.LBB62_2150:
	s_delay_alu instid0(SALU_CYCLE_1)
	s_and_not1_b32 vcc_lo, exec_lo, s16
	s_cbranch_vccnz .LBB62_2152
; %bb.2151:
	s_wait_loadcnt 0x0
	global_load_b32 v1, v[8:9], off
	s_wait_loadcnt 0x0
	v_cvt_i32_f32_e32 v1, v1
.LBB62_2152:
	s_mov_b32 s16, 0
.LBB62_2153:
	s_delay_alu instid0(SALU_CYCLE_1)
	s_and_not1_b32 vcc_lo, exec_lo, s16
	s_cbranch_vccnz .LBB62_2155
; %bb.2154:
	s_wait_loadcnt 0x0
	global_load_u16 v1, v[8:9], off
	s_wait_loadcnt 0x0
	v_cvt_f32_f16_e32 v1, v1
	s_delay_alu instid0(VALU_DEP_1)
	v_cvt_i32_f32_e32 v1, v1
.LBB62_2155:
	s_mov_b32 s16, 0
.LBB62_2156:
	s_delay_alu instid0(SALU_CYCLE_1)
	s_and_not1_b32 vcc_lo, exec_lo, s16
	s_cbranch_vccnz .LBB62_2176
; %bb.2157:
	s_cmp_lt_i32 s13, 2
	s_cbranch_scc1 .LBB62_2161
; %bb.2158:
	s_cmp_lt_i32 s13, 3
	s_cbranch_scc1 .LBB62_2162
; %bb.2159:
	s_cmp_gt_i32 s13, 3
	s_cbranch_scc0 .LBB62_2163
; %bb.2160:
	s_wait_loadcnt 0x0
	global_load_b32 v1, v[8:9], off
	s_mov_b32 s16, 0
	s_branch .LBB62_2164
.LBB62_2161:
	s_mov_b32 s16, -1
                                        ; implicit-def: $vgpr1
	s_branch .LBB62_2170
.LBB62_2162:
	s_mov_b32 s16, -1
                                        ; implicit-def: $vgpr1
	s_branch .LBB62_2167
.LBB62_2163:
	s_mov_b32 s16, -1
                                        ; implicit-def: $vgpr1
.LBB62_2164:
	s_delay_alu instid0(SALU_CYCLE_1)
	s_and_not1_b32 vcc_lo, exec_lo, s16
	s_cbranch_vccnz .LBB62_2166
; %bb.2165:
	s_wait_loadcnt 0x0
	global_load_b32 v1, v[8:9], off
.LBB62_2166:
	s_mov_b32 s16, 0
.LBB62_2167:
	s_delay_alu instid0(SALU_CYCLE_1)
	s_and_not1_b32 vcc_lo, exec_lo, s16
	s_cbranch_vccnz .LBB62_2169
; %bb.2168:
	s_wait_loadcnt 0x0
	global_load_i16 v1, v[8:9], off
.LBB62_2169:
	s_mov_b32 s16, 0
.LBB62_2170:
	s_delay_alu instid0(SALU_CYCLE_1)
	s_and_not1_b32 vcc_lo, exec_lo, s16
	s_cbranch_vccnz .LBB62_2176
; %bb.2171:
	s_cmp_gt_i32 s13, 0
	s_mov_b32 s13, 0
	s_cbranch_scc0 .LBB62_2173
; %bb.2172:
	s_wait_loadcnt 0x0
	global_load_i8 v1, v[8:9], off
	s_branch .LBB62_2174
.LBB62_2173:
	s_mov_b32 s13, -1
                                        ; implicit-def: $vgpr1
.LBB62_2174:
	s_delay_alu instid0(SALU_CYCLE_1)
	s_and_not1_b32 vcc_lo, exec_lo, s13
	s_cbranch_vccnz .LBB62_2176
; %bb.2175:
	s_wait_loadcnt 0x0
	global_load_u8 v1, v[8:9], off
.LBB62_2176:
	s_mov_b32 s18, -1
.LBB62_2177:
	s_delay_alu instid0(SALU_CYCLE_1)
	s_and_not1_b32 vcc_lo, exec_lo, s18
	s_cbranch_vccnz .LBB62_2651
; %bb.2178:
	s_wait_xcnt 0x0
	v_add_nc_u32_e32 v8, s10, v4
	s_cmp_lt_i32 s1, 11
	s_delay_alu instid0(VALU_DEP_1) | instskip(NEXT) | instid1(VALU_DEP_1)
	v_ashrrev_i32_e32 v9, 31, v8
	v_add_nc_u64_e32 v[4:5], s[2:3], v[8:9]
	s_cbranch_scc1 .LBB62_2185
; %bb.2179:
	s_and_b32 s13, 0xffff, s1
	s_mov_b32 s17, 0
	s_cmp_gt_i32 s13, 25
	s_cbranch_scc0 .LBB62_2186
; %bb.2180:
	s_cmp_gt_i32 s13, 28
	s_cbranch_scc0 .LBB62_2187
; %bb.2181:
	;; [unrolled: 3-line block ×4, first 2 shown]
	s_cmp_eq_u32 s13, 46
	s_mov_b32 s19, 0
	s_cbranch_scc0 .LBB62_2193
; %bb.2184:
	global_load_b32 v3, v[4:5], off
	s_mov_b32 s16, 0
	s_mov_b32 s18, -1
	s_wait_loadcnt 0x0
	v_lshlrev_b32_e32 v3, 16, v3
	s_delay_alu instid0(VALU_DEP_1)
	v_cvt_i32_f32_e32 v3, v3
	s_branch .LBB62_2195
.LBB62_2185:
	s_mov_b32 s13, -1
	s_mov_b32 s18, 0
                                        ; implicit-def: $vgpr3
	s_branch .LBB62_2257
.LBB62_2186:
	s_mov_b32 s19, -1
	s_mov_b32 s18, 0
	s_mov_b32 s16, 0
                                        ; implicit-def: $vgpr3
	s_branch .LBB62_2222
.LBB62_2187:
	s_mov_b32 s19, -1
	s_mov_b32 s18, 0
	s_mov_b32 s16, 0
                                        ; implicit-def: $vgpr3
	s_branch .LBB62_2205
.LBB62_2188:
	s_mov_b32 s19, -1
	s_mov_b32 s18, 0
	s_mov_b32 s16, 0
                                        ; implicit-def: $vgpr3
	s_branch .LBB62_2200
.LBB62_2189:
	s_or_b32 s12, s12, exec_lo
	s_trap 2
	s_cbranch_execz .LBB62_2126
	s_branch .LBB62_2127
.LBB62_2190:
	s_mov_b32 s19, -1
	s_mov_b32 s18, 0
	s_mov_b32 s16, 0
	s_branch .LBB62_2194
.LBB62_2191:
	s_and_not1_saveexec_b32 s31, s31
	s_cbranch_execz .LBB62_1081
.LBB62_2192:
	v_add_f32_e32 v1, 0x42800000, v4
	s_and_not1_b32 s30, s30, exec_lo
	s_delay_alu instid0(VALU_DEP_1) | instskip(NEXT) | instid1(VALU_DEP_1)
	v_and_b32_e32 v1, 0xff, v1
	v_cmp_ne_u32_e32 vcc_lo, 0, v1
	s_and_b32 s33, vcc_lo, exec_lo
	s_delay_alu instid0(SALU_CYCLE_1)
	s_or_b32 s30, s30, s33
	s_or_b32 exec_lo, exec_lo, s31
	v_mov_b32_e32 v5, 0
	s_and_saveexec_b32 s31, s30
	s_cbranch_execnz .LBB62_1082
	s_branch .LBB62_1083
.LBB62_2193:
	s_mov_b32 s16, -1
	s_mov_b32 s18, 0
.LBB62_2194:
                                        ; implicit-def: $vgpr3
.LBB62_2195:
	s_and_b32 vcc_lo, exec_lo, s19
	s_cbranch_vccz .LBB62_2199
; %bb.2196:
	s_cmp_eq_u32 s13, 44
	s_cbranch_scc0 .LBB62_2198
; %bb.2197:
	global_load_u8 v3, v[4:5], off
	s_mov_b32 s16, 0
	s_mov_b32 s18, -1
	s_wait_loadcnt 0x0
	v_lshlrev_b32_e32 v7, 23, v3
	v_cmp_ne_u32_e32 vcc_lo, 0, v3
	s_delay_alu instid0(VALU_DEP_2) | instskip(NEXT) | instid1(VALU_DEP_1)
	v_cvt_i32_f32_e32 v7, v7
	v_cndmask_b32_e32 v3, 0, v7, vcc_lo
	s_branch .LBB62_2199
.LBB62_2198:
	s_mov_b32 s16, -1
                                        ; implicit-def: $vgpr3
.LBB62_2199:
	s_mov_b32 s19, 0
.LBB62_2200:
	s_delay_alu instid0(SALU_CYCLE_1)
	s_and_b32 vcc_lo, exec_lo, s19
	s_cbranch_vccz .LBB62_2204
; %bb.2201:
	s_cmp_eq_u32 s13, 29
	s_cbranch_scc0 .LBB62_2203
; %bb.2202:
	global_load_b32 v3, v[4:5], off
	s_mov_b32 s16, 0
	s_mov_b32 s18, -1
	s_branch .LBB62_2204
.LBB62_2203:
	s_mov_b32 s16, -1
                                        ; implicit-def: $vgpr3
.LBB62_2204:
	s_mov_b32 s19, 0
.LBB62_2205:
	s_delay_alu instid0(SALU_CYCLE_1)
	s_and_b32 vcc_lo, exec_lo, s19
	s_cbranch_vccz .LBB62_2221
; %bb.2206:
	s_cmp_lt_i32 s13, 27
	s_cbranch_scc1 .LBB62_2209
; %bb.2207:
	s_cmp_gt_i32 s13, 27
	s_cbranch_scc0 .LBB62_2210
; %bb.2208:
	s_wait_loadcnt 0x0
	global_load_b32 v3, v[4:5], off
	s_mov_b32 s18, 0
	s_branch .LBB62_2211
.LBB62_2209:
	s_mov_b32 s18, -1
                                        ; implicit-def: $vgpr3
	s_branch .LBB62_2214
.LBB62_2210:
	s_mov_b32 s18, -1
                                        ; implicit-def: $vgpr3
.LBB62_2211:
	s_delay_alu instid0(SALU_CYCLE_1)
	s_and_not1_b32 vcc_lo, exec_lo, s18
	s_cbranch_vccnz .LBB62_2213
; %bb.2212:
	s_wait_loadcnt 0x0
	global_load_u16 v3, v[4:5], off
.LBB62_2213:
	s_mov_b32 s18, 0
.LBB62_2214:
	s_delay_alu instid0(SALU_CYCLE_1)
	s_and_not1_b32 vcc_lo, exec_lo, s18
	s_cbranch_vccnz .LBB62_2220
; %bb.2215:
	global_load_u8 v7, v[4:5], off
	s_mov_b32 s19, 0
	s_mov_b32 s18, exec_lo
	s_wait_loadcnt 0x0
	v_cmpx_lt_i16_e32 0x7f, v7
	s_xor_b32 s18, exec_lo, s18
	s_cbranch_execz .LBB62_2232
; %bb.2216:
	v_cmp_ne_u16_e32 vcc_lo, 0x80, v7
	s_and_b32 s19, vcc_lo, exec_lo
	s_and_not1_saveexec_b32 s18, s18
	s_cbranch_execnz .LBB62_2233
.LBB62_2217:
	s_or_b32 exec_lo, exec_lo, s18
	v_mov_b32_e32 v3, 0
	s_and_saveexec_b32 s18, s19
	s_cbranch_execz .LBB62_2219
.LBB62_2218:
	v_and_b32_e32 v3, 0xffff, v7
	v_lshlrev_b32_e32 v7, 24, v7
	s_delay_alu instid0(VALU_DEP_2) | instskip(SKIP_1) | instid1(VALU_DEP_3)
	v_and_b32_e32 v9, 7, v3
	v_bfe_u32 v13, v3, 3, 4
	v_and_b32_e32 v7, 0x80000000, v7
	s_delay_alu instid0(VALU_DEP_3) | instskip(NEXT) | instid1(VALU_DEP_3)
	v_clz_i32_u32_e32 v11, v9
	v_cmp_eq_u32_e32 vcc_lo, 0, v13
	s_delay_alu instid0(VALU_DEP_2) | instskip(NEXT) | instid1(VALU_DEP_1)
	v_min_u32_e32 v11, 32, v11
	v_subrev_nc_u32_e32 v12, 28, v11
	v_sub_nc_u32_e32 v11, 29, v11
	s_delay_alu instid0(VALU_DEP_2) | instskip(NEXT) | instid1(VALU_DEP_2)
	v_lshlrev_b32_e32 v3, v12, v3
	v_cndmask_b32_e32 v11, v13, v11, vcc_lo
	s_delay_alu instid0(VALU_DEP_2) | instskip(NEXT) | instid1(VALU_DEP_1)
	v_and_b32_e32 v3, 7, v3
	v_cndmask_b32_e32 v3, v9, v3, vcc_lo
	s_delay_alu instid0(VALU_DEP_3) | instskip(NEXT) | instid1(VALU_DEP_2)
	v_lshl_add_u32 v9, v11, 23, 0x3b800000
	v_lshlrev_b32_e32 v3, 20, v3
	s_delay_alu instid0(VALU_DEP_1) | instskip(NEXT) | instid1(VALU_DEP_1)
	v_or3_b32 v3, v7, v9, v3
	v_cvt_i32_f32_e32 v3, v3
.LBB62_2219:
	s_or_b32 exec_lo, exec_lo, s18
.LBB62_2220:
	s_mov_b32 s18, -1
.LBB62_2221:
	s_mov_b32 s19, 0
.LBB62_2222:
	s_delay_alu instid0(SALU_CYCLE_1)
	s_and_b32 vcc_lo, exec_lo, s19
	s_cbranch_vccz .LBB62_2253
; %bb.2223:
	s_cmp_gt_i32 s13, 22
	s_cbranch_scc0 .LBB62_2231
; %bb.2224:
	s_cmp_lt_i32 s13, 24
	s_cbranch_scc1 .LBB62_2234
; %bb.2225:
	s_cmp_gt_i32 s13, 24
	s_cbranch_scc0 .LBB62_2235
; %bb.2226:
	global_load_u8 v7, v[4:5], off
	s_mov_b32 s18, 0
	s_mov_b32 s17, exec_lo
	s_wait_loadcnt 0x0
	v_cmpx_lt_i16_e32 0x7f, v7
	s_xor_b32 s17, exec_lo, s17
	s_cbranch_execz .LBB62_2247
; %bb.2227:
	v_cmp_ne_u16_e32 vcc_lo, 0x80, v7
	s_and_b32 s18, vcc_lo, exec_lo
	s_and_not1_saveexec_b32 s17, s17
	s_cbranch_execnz .LBB62_2248
.LBB62_2228:
	s_or_b32 exec_lo, exec_lo, s17
	v_mov_b32_e32 v3, 0
	s_and_saveexec_b32 s17, s18
	s_cbranch_execz .LBB62_2230
.LBB62_2229:
	v_and_b32_e32 v3, 0xffff, v7
	v_lshlrev_b32_e32 v7, 24, v7
	s_delay_alu instid0(VALU_DEP_2) | instskip(SKIP_1) | instid1(VALU_DEP_3)
	v_and_b32_e32 v9, 3, v3
	v_bfe_u32 v13, v3, 2, 5
	v_and_b32_e32 v7, 0x80000000, v7
	s_delay_alu instid0(VALU_DEP_3) | instskip(NEXT) | instid1(VALU_DEP_3)
	v_clz_i32_u32_e32 v11, v9
	v_cmp_eq_u32_e32 vcc_lo, 0, v13
	s_delay_alu instid0(VALU_DEP_2) | instskip(NEXT) | instid1(VALU_DEP_1)
	v_min_u32_e32 v11, 32, v11
	v_subrev_nc_u32_e32 v12, 29, v11
	v_sub_nc_u32_e32 v11, 30, v11
	s_delay_alu instid0(VALU_DEP_2) | instskip(NEXT) | instid1(VALU_DEP_2)
	v_lshlrev_b32_e32 v3, v12, v3
	v_cndmask_b32_e32 v11, v13, v11, vcc_lo
	s_delay_alu instid0(VALU_DEP_2) | instskip(NEXT) | instid1(VALU_DEP_1)
	v_and_b32_e32 v3, 3, v3
	v_cndmask_b32_e32 v3, v9, v3, vcc_lo
	s_delay_alu instid0(VALU_DEP_3) | instskip(NEXT) | instid1(VALU_DEP_2)
	v_lshl_add_u32 v9, v11, 23, 0x37800000
	v_lshlrev_b32_e32 v3, 21, v3
	s_delay_alu instid0(VALU_DEP_1) | instskip(NEXT) | instid1(VALU_DEP_1)
	v_or3_b32 v3, v7, v9, v3
	v_cvt_i32_f32_e32 v3, v3
.LBB62_2230:
	s_or_b32 exec_lo, exec_lo, s17
	s_mov_b32 s17, 0
	s_branch .LBB62_2236
.LBB62_2231:
	s_mov_b32 s17, -1
                                        ; implicit-def: $vgpr3
	s_branch .LBB62_2242
.LBB62_2232:
	s_and_not1_saveexec_b32 s18, s18
	s_cbranch_execz .LBB62_2217
.LBB62_2233:
	v_cmp_ne_u16_e32 vcc_lo, 0, v7
	s_and_not1_b32 s19, s19, exec_lo
	s_and_b32 s20, vcc_lo, exec_lo
	s_delay_alu instid0(SALU_CYCLE_1)
	s_or_b32 s19, s19, s20
	s_or_b32 exec_lo, exec_lo, s18
	v_mov_b32_e32 v3, 0
	s_and_saveexec_b32 s18, s19
	s_cbranch_execnz .LBB62_2218
	s_branch .LBB62_2219
.LBB62_2234:
	s_mov_b32 s17, -1
                                        ; implicit-def: $vgpr3
	s_branch .LBB62_2239
.LBB62_2235:
	s_mov_b32 s17, -1
                                        ; implicit-def: $vgpr3
.LBB62_2236:
	s_delay_alu instid0(SALU_CYCLE_1)
	s_and_b32 vcc_lo, exec_lo, s17
	s_cbranch_vccz .LBB62_2238
; %bb.2237:
	s_wait_loadcnt 0x0
	global_load_u8 v3, v[4:5], off
	s_wait_loadcnt 0x0
	v_lshlrev_b32_e32 v3, 24, v3
	s_delay_alu instid0(VALU_DEP_1) | instskip(NEXT) | instid1(VALU_DEP_1)
	v_and_b32_e32 v7, 0x7f000000, v3
	v_clz_i32_u32_e32 v9, v7
	v_cmp_ne_u32_e32 vcc_lo, 0, v7
	v_add_nc_u32_e32 v12, 0x1000000, v7
	s_delay_alu instid0(VALU_DEP_3) | instskip(NEXT) | instid1(VALU_DEP_1)
	v_min_u32_e32 v9, 32, v9
	v_sub_nc_u32_e64 v9, v9, 4 clamp
	s_delay_alu instid0(VALU_DEP_1) | instskip(NEXT) | instid1(VALU_DEP_1)
	v_dual_lshlrev_b32 v11, v9, v7 :: v_dual_lshlrev_b32 v9, 23, v9
	v_lshrrev_b32_e32 v11, 4, v11
	s_delay_alu instid0(VALU_DEP_1) | instskip(NEXT) | instid1(VALU_DEP_1)
	v_dual_sub_nc_u32 v9, v11, v9 :: v_dual_ashrrev_i32 v11, 8, v12
	v_add_nc_u32_e32 v9, 0x3c000000, v9
	s_delay_alu instid0(VALU_DEP_1) | instskip(NEXT) | instid1(VALU_DEP_1)
	v_and_or_b32 v9, 0x7f800000, v11, v9
	v_cndmask_b32_e32 v7, 0, v9, vcc_lo
	s_delay_alu instid0(VALU_DEP_1) | instskip(NEXT) | instid1(VALU_DEP_1)
	v_and_or_b32 v3, 0x80000000, v3, v7
	v_cvt_i32_f32_e32 v3, v3
.LBB62_2238:
	s_mov_b32 s17, 0
.LBB62_2239:
	s_delay_alu instid0(SALU_CYCLE_1)
	s_and_not1_b32 vcc_lo, exec_lo, s17
	s_cbranch_vccnz .LBB62_2241
; %bb.2240:
	s_wait_loadcnt 0x0
	global_load_u8 v3, v[4:5], off
	s_wait_loadcnt 0x0
	v_lshlrev_b32_e32 v7, 25, v3
	v_lshlrev_b16 v3, 8, v3
	s_delay_alu instid0(VALU_DEP_2) | instskip(NEXT) | instid1(VALU_DEP_2)
	v_lshrrev_b32_e32 v9, 4, v7
	v_and_or_b32 v11, 0x7f00, v3, 0.5
	v_cmp_gt_u32_e32 vcc_lo, 0x8000000, v7
	v_bfe_i32 v3, v3, 0, 16
	s_delay_alu instid0(VALU_DEP_4) | instskip(NEXT) | instid1(VALU_DEP_4)
	v_or_b32_e32 v9, 0x70000000, v9
	v_add_f32_e32 v11, -0.5, v11
	s_delay_alu instid0(VALU_DEP_2) | instskip(NEXT) | instid1(VALU_DEP_1)
	v_mul_f32_e32 v9, 0x7800000, v9
	v_cndmask_b32_e32 v7, v9, v11, vcc_lo
	s_delay_alu instid0(VALU_DEP_1) | instskip(NEXT) | instid1(VALU_DEP_1)
	v_and_or_b32 v3, 0x80000000, v3, v7
	v_cvt_i32_f32_e32 v3, v3
.LBB62_2241:
	s_mov_b32 s17, 0
	s_mov_b32 s18, -1
.LBB62_2242:
	s_and_not1_b32 vcc_lo, exec_lo, s17
	s_mov_b32 s17, 0
	s_cbranch_vccnz .LBB62_2253
; %bb.2243:
	s_cmp_gt_i32 s13, 14
	s_cbranch_scc0 .LBB62_2246
; %bb.2244:
	s_cmp_eq_u32 s13, 15
	s_cbranch_scc0 .LBB62_2249
; %bb.2245:
	s_wait_loadcnt 0x0
	global_load_u16 v3, v[4:5], off
	s_mov_b32 s16, 0
	s_mov_b32 s18, -1
	s_wait_loadcnt 0x0
	v_lshlrev_b32_e32 v3, 16, v3
	s_delay_alu instid0(VALU_DEP_1)
	v_cvt_i32_f32_e32 v3, v3
	s_branch .LBB62_2251
.LBB62_2246:
	s_mov_b32 s17, -1
	s_branch .LBB62_2250
.LBB62_2247:
	s_and_not1_saveexec_b32 s17, s17
	s_cbranch_execz .LBB62_2228
.LBB62_2248:
	v_cmp_ne_u16_e32 vcc_lo, 0, v7
	s_and_not1_b32 s18, s18, exec_lo
	s_and_b32 s19, vcc_lo, exec_lo
	s_delay_alu instid0(SALU_CYCLE_1)
	s_or_b32 s18, s18, s19
	s_or_b32 exec_lo, exec_lo, s17
	v_mov_b32_e32 v3, 0
	s_and_saveexec_b32 s17, s18
	s_cbranch_execnz .LBB62_2229
	s_branch .LBB62_2230
.LBB62_2249:
	s_mov_b32 s16, -1
.LBB62_2250:
                                        ; implicit-def: $vgpr3
.LBB62_2251:
	s_and_b32 vcc_lo, exec_lo, s17
	s_mov_b32 s17, 0
	s_cbranch_vccz .LBB62_2253
; %bb.2252:
	s_cmp_lg_u32 s13, 11
	s_mov_b32 s17, -1
	s_cselect_b32 s16, -1, 0
.LBB62_2253:
	s_delay_alu instid0(SALU_CYCLE_1)
	s_and_b32 vcc_lo, exec_lo, s16
	s_cbranch_vccnz .LBB62_2324
; %bb.2254:
	s_and_not1_b32 vcc_lo, exec_lo, s17
	s_cbranch_vccnz .LBB62_2256
.LBB62_2255:
	s_wait_loadcnt 0x0
	global_load_u8 v3, v[4:5], off
	s_mov_b32 s18, -1
	s_wait_loadcnt 0x0
	v_cmp_ne_u16_e32 vcc_lo, 0, v3
	v_cndmask_b32_e64 v3, 0, 1, vcc_lo
.LBB62_2256:
	s_mov_b32 s13, 0
.LBB62_2257:
	s_delay_alu instid0(SALU_CYCLE_1)
	s_and_b32 vcc_lo, exec_lo, s13
	s_cbranch_vccz .LBB62_2306
; %bb.2258:
	s_and_b32 s13, 0xffff, s1
	s_delay_alu instid0(SALU_CYCLE_1)
	s_cmp_lt_i32 s13, 5
	s_cbranch_scc1 .LBB62_2263
; %bb.2259:
	s_cmp_lt_i32 s13, 8
	s_cbranch_scc1 .LBB62_2264
; %bb.2260:
	;; [unrolled: 3-line block ×3, first 2 shown]
	s_cmp_gt_i32 s13, 9
	s_cbranch_scc0 .LBB62_2266
; %bb.2262:
	global_load_b64 v[12:13], v[4:5], off
	s_mov_b32 s16, 0
	s_wait_loadcnt 0x0
	v_cvt_i32_f64_e32 v3, v[12:13]
	s_branch .LBB62_2267
.LBB62_2263:
	s_mov_b32 s16, -1
                                        ; implicit-def: $vgpr3
	s_branch .LBB62_2285
.LBB62_2264:
	s_mov_b32 s16, -1
                                        ; implicit-def: $vgpr3
	s_branch .LBB62_2273
.LBB62_2265:
	s_mov_b32 s16, -1
                                        ; implicit-def: $vgpr3
	s_branch .LBB62_2270
.LBB62_2266:
	s_mov_b32 s16, -1
                                        ; implicit-def: $vgpr3
.LBB62_2267:
	s_delay_alu instid0(SALU_CYCLE_1)
	s_and_not1_b32 vcc_lo, exec_lo, s16
	s_cbranch_vccnz .LBB62_2269
; %bb.2268:
	s_wait_loadcnt 0x0
	global_load_b32 v3, v[4:5], off
	s_wait_loadcnt 0x0
	v_cvt_i32_f32_e32 v3, v3
.LBB62_2269:
	s_mov_b32 s16, 0
.LBB62_2270:
	s_delay_alu instid0(SALU_CYCLE_1)
	s_and_not1_b32 vcc_lo, exec_lo, s16
	s_cbranch_vccnz .LBB62_2272
; %bb.2271:
	s_wait_loadcnt 0x0
	global_load_b32 v3, v[4:5], off
	s_wait_loadcnt 0x0
	v_cvt_f32_f16_e32 v3, v3
	s_delay_alu instid0(VALU_DEP_1)
	v_cvt_i32_f32_e32 v3, v3
.LBB62_2272:
	s_mov_b32 s16, 0
.LBB62_2273:
	s_delay_alu instid0(SALU_CYCLE_1)
	s_and_not1_b32 vcc_lo, exec_lo, s16
	s_cbranch_vccnz .LBB62_2284
; %bb.2274:
	s_cmp_lt_i32 s13, 6
	s_cbranch_scc1 .LBB62_2277
; %bb.2275:
	s_cmp_gt_i32 s13, 6
	s_cbranch_scc0 .LBB62_2278
; %bb.2276:
	global_load_b64 v[12:13], v[4:5], off
	s_mov_b32 s16, 0
	s_wait_loadcnt 0x0
	v_cvt_i32_f64_e32 v3, v[12:13]
	s_branch .LBB62_2279
.LBB62_2277:
	s_mov_b32 s16, -1
                                        ; implicit-def: $vgpr3
	s_branch .LBB62_2282
.LBB62_2278:
	s_mov_b32 s16, -1
                                        ; implicit-def: $vgpr3
.LBB62_2279:
	s_delay_alu instid0(SALU_CYCLE_1)
	s_and_not1_b32 vcc_lo, exec_lo, s16
	s_cbranch_vccnz .LBB62_2281
; %bb.2280:
	s_wait_loadcnt 0x0
	global_load_b32 v3, v[4:5], off
	s_wait_loadcnt 0x0
	v_cvt_i32_f32_e32 v3, v3
.LBB62_2281:
	s_mov_b32 s16, 0
.LBB62_2282:
	s_delay_alu instid0(SALU_CYCLE_1)
	s_and_not1_b32 vcc_lo, exec_lo, s16
	s_cbranch_vccnz .LBB62_2284
; %bb.2283:
	s_wait_loadcnt 0x0
	global_load_u16 v3, v[4:5], off
	s_wait_loadcnt 0x0
	v_cvt_f32_f16_e32 v3, v3
	s_delay_alu instid0(VALU_DEP_1)
	v_cvt_i32_f32_e32 v3, v3
.LBB62_2284:
	s_mov_b32 s16, 0
.LBB62_2285:
	s_delay_alu instid0(SALU_CYCLE_1)
	s_and_not1_b32 vcc_lo, exec_lo, s16
	s_cbranch_vccnz .LBB62_2305
; %bb.2286:
	s_cmp_lt_i32 s13, 2
	s_cbranch_scc1 .LBB62_2290
; %bb.2287:
	s_cmp_lt_i32 s13, 3
	s_cbranch_scc1 .LBB62_2291
; %bb.2288:
	s_cmp_gt_i32 s13, 3
	s_cbranch_scc0 .LBB62_2292
; %bb.2289:
	s_wait_loadcnt 0x0
	global_load_b32 v3, v[4:5], off
	s_mov_b32 s16, 0
	s_branch .LBB62_2293
.LBB62_2290:
	s_mov_b32 s16, -1
                                        ; implicit-def: $vgpr3
	s_branch .LBB62_2299
.LBB62_2291:
	s_mov_b32 s16, -1
                                        ; implicit-def: $vgpr3
	s_branch .LBB62_2296
.LBB62_2292:
	s_mov_b32 s16, -1
                                        ; implicit-def: $vgpr3
.LBB62_2293:
	s_delay_alu instid0(SALU_CYCLE_1)
	s_and_not1_b32 vcc_lo, exec_lo, s16
	s_cbranch_vccnz .LBB62_2295
; %bb.2294:
	s_wait_loadcnt 0x0
	global_load_b32 v3, v[4:5], off
.LBB62_2295:
	s_mov_b32 s16, 0
.LBB62_2296:
	s_delay_alu instid0(SALU_CYCLE_1)
	s_and_not1_b32 vcc_lo, exec_lo, s16
	s_cbranch_vccnz .LBB62_2298
; %bb.2297:
	s_wait_loadcnt 0x0
	global_load_i16 v3, v[4:5], off
.LBB62_2298:
	s_mov_b32 s16, 0
.LBB62_2299:
	s_delay_alu instid0(SALU_CYCLE_1)
	s_and_not1_b32 vcc_lo, exec_lo, s16
	s_cbranch_vccnz .LBB62_2305
; %bb.2300:
	s_cmp_gt_i32 s13, 0
	s_mov_b32 s13, 0
	s_cbranch_scc0 .LBB62_2302
; %bb.2301:
	s_wait_loadcnt 0x0
	global_load_i8 v3, v[4:5], off
	s_branch .LBB62_2303
.LBB62_2302:
	s_mov_b32 s13, -1
                                        ; implicit-def: $vgpr3
.LBB62_2303:
	s_delay_alu instid0(SALU_CYCLE_1)
	s_and_not1_b32 vcc_lo, exec_lo, s13
	s_cbranch_vccnz .LBB62_2305
; %bb.2304:
	s_wait_loadcnt 0x0
	global_load_u8 v3, v[4:5], off
.LBB62_2305:
	s_mov_b32 s18, -1
.LBB62_2306:
	s_delay_alu instid0(SALU_CYCLE_1)
	s_and_not1_b32 vcc_lo, exec_lo, s18
	s_cbranch_vccnz .LBB62_2651
; %bb.2307:
	s_wait_loadcnt 0x0
	s_delay_alu instid0(VALU_DEP_1) | instskip(SKIP_2) | instid1(VALU_DEP_1)
	v_dual_sub_nc_u32 v4, 0, v3 :: v_dual_sub_nc_u32 v5, 0, v1
	s_mov_b32 s16, 0
	s_mov_b32 s13, exec_lo
	v_max_i32_e32 v7, v3, v4
	v_cmpx_ne_u32_e32 0, v1
	s_cbranch_execz .LBB62_2311
; %bb.2308:
	v_max_i32_e32 v9, v1, v5
.LBB62_2309:                            ; =>This Inner Loop Header: Depth=1
	s_delay_alu instid0(VALU_DEP_1) | instskip(NEXT) | instid1(VALU_DEP_1)
	v_mov_b32_e32 v4, v9
	v_cvt_f32_u32_e32 v9, v4
	s_delay_alu instid0(VALU_DEP_1) | instskip(SKIP_1) | instid1(TRANS32_DEP_1)
	v_rcp_iflag_f32_e32 v9, v9
	v_nop
	v_mul_f32_e32 v9, 0x4f7ffffe, v9
	v_sub_nc_u32_e32 v11, 0, v4
	s_delay_alu instid0(VALU_DEP_2) | instskip(NEXT) | instid1(VALU_DEP_1)
	v_cvt_u32_f32_e32 v9, v9
	v_mul_lo_u32 v11, v11, v9
	s_delay_alu instid0(VALU_DEP_1) | instskip(NEXT) | instid1(VALU_DEP_1)
	v_mul_hi_u32 v11, v9, v11
	v_add_nc_u32_e32 v9, v9, v11
	s_delay_alu instid0(VALU_DEP_1) | instskip(NEXT) | instid1(VALU_DEP_1)
	v_mul_hi_u32 v9, v7, v9
	v_mul_lo_u32 v9, v9, v4
	s_delay_alu instid0(VALU_DEP_1) | instskip(NEXT) | instid1(VALU_DEP_1)
	v_sub_nc_u32_e32 v7, v7, v9
	v_sub_nc_u32_e32 v9, v7, v4
	v_cmp_ge_u32_e32 vcc_lo, v7, v4
	s_delay_alu instid0(VALU_DEP_2) | instskip(NEXT) | instid1(VALU_DEP_1)
	v_cndmask_b32_e32 v7, v7, v9, vcc_lo
	v_sub_nc_u32_e32 v9, v7, v4
	v_cmp_ge_u32_e32 vcc_lo, v7, v4
	s_delay_alu instid0(VALU_DEP_2) | instskip(NEXT) | instid1(VALU_DEP_1)
	v_dual_cndmask_b32 v9, v7, v9, vcc_lo :: v_dual_mov_b32 v7, v4
	v_cmp_eq_u32_e32 vcc_lo, 0, v9
	s_or_b32 s16, vcc_lo, s16
	s_delay_alu instid0(SALU_CYCLE_1)
	s_and_not1_b32 exec_lo, exec_lo, s16
	s_cbranch_execnz .LBB62_2309
; %bb.2310:
	s_or_b32 exec_lo, exec_lo, s16
	v_mov_b32_e32 v7, v4
.LBB62_2311:
	s_or_b32 exec_lo, exec_lo, s13
	v_mov_b32_e32 v4, 0
	s_mov_b32 s13, exec_lo
	s_delay_alu instid0(VALU_DEP_2)
	v_cmpx_ne_u32_e32 0, v7
	s_cbranch_execz .LBB62_2313
; %bb.2312:
	v_dual_sub_nc_u32 v4, 0, v7 :: v_dual_max_i32 v5, v1, v5
	v_xor_b32_e32 v1, v1, v7
	s_delay_alu instid0(VALU_DEP_1) | instskip(NEXT) | instid1(VALU_DEP_1)
	v_dual_ashrrev_i32 v1, 31, v1 :: v_dual_max_i32 v4, v7, v4
	v_cvt_f32_u32_e32 v9, v4
	v_sub_nc_u32_e32 v11, 0, v4
	s_delay_alu instid0(VALU_DEP_2) | instskip(SKIP_1) | instid1(TRANS32_DEP_1)
	v_rcp_iflag_f32_e32 v9, v9
	v_nop
	v_mul_f32_e32 v9, 0x4f7ffffe, v9
	s_delay_alu instid0(VALU_DEP_1) | instskip(NEXT) | instid1(VALU_DEP_1)
	v_cvt_u32_f32_e32 v9, v9
	v_mul_lo_u32 v11, v11, v9
	s_delay_alu instid0(VALU_DEP_1) | instskip(NEXT) | instid1(VALU_DEP_1)
	v_mul_hi_u32 v11, v9, v11
	v_add_nc_u32_e32 v9, v9, v11
	s_delay_alu instid0(VALU_DEP_1) | instskip(NEXT) | instid1(VALU_DEP_1)
	v_mul_hi_u32 v9, v5, v9
	v_mul_lo_u32 v11, v9, v4
	s_delay_alu instid0(VALU_DEP_1) | instskip(NEXT) | instid1(VALU_DEP_1)
	v_dual_sub_nc_u32 v5, v5, v11 :: v_dual_add_nc_u32 v11, 1, v9
	v_cmp_ge_u32_e32 vcc_lo, v5, v4
	s_delay_alu instid0(VALU_DEP_2) | instskip(NEXT) | instid1(VALU_DEP_1)
	v_cndmask_b32_e32 v9, v9, v11, vcc_lo
	v_dual_sub_nc_u32 v12, v5, v4 :: v_dual_add_nc_u32 v7, 1, v9
	s_delay_alu instid0(VALU_DEP_1) | instskip(NEXT) | instid1(VALU_DEP_1)
	v_cndmask_b32_e32 v5, v5, v12, vcc_lo
	v_cmp_ge_u32_e32 vcc_lo, v5, v4
	s_delay_alu instid0(VALU_DEP_3) | instskip(NEXT) | instid1(VALU_DEP_1)
	v_cndmask_b32_e32 v4, v9, v7, vcc_lo
	v_xor_b32_e32 v4, v4, v1
	s_delay_alu instid0(VALU_DEP_1) | instskip(NEXT) | instid1(VALU_DEP_1)
	v_sub_nc_u32_e32 v1, v4, v1
	v_mul_lo_u32 v1, v1, v3
	s_delay_alu instid0(VALU_DEP_1) | instskip(NEXT) | instid1(VALU_DEP_1)
	v_sub_nc_u32_e32 v3, 0, v1
	v_max_i32_e32 v4, v1, v3
.LBB62_2313:
	s_or_b32 exec_lo, exec_lo, s13
	v_add_nc_u32_e32 v6, s9, v6
	s_cmp_lt_i32 s0, 11
	s_delay_alu instid0(VALU_DEP_1) | instskip(NEXT) | instid1(VALU_DEP_1)
	v_ashrrev_i32_e32 v7, 31, v6
	v_add_nc_u64_e32 v[6:7], s[6:7], v[6:7]
	s_cbranch_scc1 .LBB62_2320
; %bb.2314:
	s_and_b32 s6, 0xffff, s0
	s_mov_b32 s9, 0
	s_cmp_gt_i32 s6, 25
	s_cbranch_scc0 .LBB62_2321
; %bb.2315:
	s_cmp_gt_i32 s6, 28
	s_cbranch_scc0 .LBB62_2322
; %bb.2316:
	;; [unrolled: 3-line block ×4, first 2 shown]
	s_cmp_eq_u32 s6, 46
	s_mov_b32 s16, 0
	s_cbranch_scc0 .LBB62_2326
; %bb.2319:
	global_load_b32 v1, v[6:7], off
	s_mov_b32 s7, 0
	s_mov_b32 s13, -1
	s_wait_loadcnt 0x0
	v_lshlrev_b32_e32 v1, 16, v1
	s_delay_alu instid0(VALU_DEP_1)
	v_cvt_i32_f32_e32 v1, v1
	s_branch .LBB62_2328
.LBB62_2320:
	s_mov_b32 s6, -1
	s_mov_b32 s13, 0
                                        ; implicit-def: $vgpr1
	s_branch .LBB62_2390
.LBB62_2321:
	s_mov_b32 s16, -1
	s_mov_b32 s13, 0
	s_mov_b32 s7, 0
                                        ; implicit-def: $vgpr1
	s_branch .LBB62_2355
.LBB62_2322:
	s_mov_b32 s16, -1
	s_mov_b32 s13, 0
	s_mov_b32 s7, 0
                                        ; implicit-def: $vgpr1
	s_branch .LBB62_2338
.LBB62_2323:
	s_mov_b32 s16, -1
	s_mov_b32 s13, 0
	s_mov_b32 s7, 0
                                        ; implicit-def: $vgpr1
	s_branch .LBB62_2333
.LBB62_2324:
	s_or_b32 s12, s12, exec_lo
	s_trap 2
	s_cbranch_execz .LBB62_2255
	s_branch .LBB62_2256
.LBB62_2325:
	s_mov_b32 s16, -1
	s_mov_b32 s13, 0
	s_mov_b32 s7, 0
	s_branch .LBB62_2327
.LBB62_2326:
	s_mov_b32 s7, -1
	s_mov_b32 s13, 0
.LBB62_2327:
                                        ; implicit-def: $vgpr1
.LBB62_2328:
	s_and_b32 vcc_lo, exec_lo, s16
	s_cbranch_vccz .LBB62_2332
; %bb.2329:
	s_cmp_eq_u32 s6, 44
	s_cbranch_scc0 .LBB62_2331
; %bb.2330:
	global_load_u8 v1, v[6:7], off
	s_mov_b32 s7, 0
	s_mov_b32 s13, -1
	s_wait_loadcnt 0x0
	v_lshlrev_b32_e32 v3, 23, v1
	v_cmp_ne_u32_e32 vcc_lo, 0, v1
	s_delay_alu instid0(VALU_DEP_2) | instskip(NEXT) | instid1(VALU_DEP_1)
	v_cvt_i32_f32_e32 v3, v3
	v_cndmask_b32_e32 v1, 0, v3, vcc_lo
	s_branch .LBB62_2332
.LBB62_2331:
	s_mov_b32 s7, -1
                                        ; implicit-def: $vgpr1
.LBB62_2332:
	s_mov_b32 s16, 0
.LBB62_2333:
	s_delay_alu instid0(SALU_CYCLE_1)
	s_and_b32 vcc_lo, exec_lo, s16
	s_cbranch_vccz .LBB62_2337
; %bb.2334:
	s_cmp_eq_u32 s6, 29
	s_cbranch_scc0 .LBB62_2336
; %bb.2335:
	global_load_b32 v1, v[6:7], off
	s_mov_b32 s7, 0
	s_mov_b32 s13, -1
	s_branch .LBB62_2337
.LBB62_2336:
	s_mov_b32 s7, -1
                                        ; implicit-def: $vgpr1
.LBB62_2337:
	s_mov_b32 s16, 0
.LBB62_2338:
	s_delay_alu instid0(SALU_CYCLE_1)
	s_and_b32 vcc_lo, exec_lo, s16
	s_cbranch_vccz .LBB62_2354
; %bb.2339:
	s_cmp_lt_i32 s6, 27
	s_cbranch_scc1 .LBB62_2342
; %bb.2340:
	s_cmp_gt_i32 s6, 27
	s_cbranch_scc0 .LBB62_2343
; %bb.2341:
	s_wait_loadcnt 0x0
	global_load_b32 v1, v[6:7], off
	s_mov_b32 s13, 0
	s_branch .LBB62_2344
.LBB62_2342:
	s_mov_b32 s13, -1
                                        ; implicit-def: $vgpr1
	s_branch .LBB62_2347
.LBB62_2343:
	s_mov_b32 s13, -1
                                        ; implicit-def: $vgpr1
.LBB62_2344:
	s_delay_alu instid0(SALU_CYCLE_1)
	s_and_not1_b32 vcc_lo, exec_lo, s13
	s_cbranch_vccnz .LBB62_2346
; %bb.2345:
	s_wait_loadcnt 0x0
	global_load_u16 v1, v[6:7], off
.LBB62_2346:
	s_mov_b32 s13, 0
.LBB62_2347:
	s_delay_alu instid0(SALU_CYCLE_1)
	s_and_not1_b32 vcc_lo, exec_lo, s13
	s_cbranch_vccnz .LBB62_2353
; %bb.2348:
	global_load_u8 v3, v[6:7], off
	s_mov_b32 s16, 0
	s_mov_b32 s13, exec_lo
	s_wait_loadcnt 0x0
	v_cmpx_lt_i16_e32 0x7f, v3
	s_xor_b32 s13, exec_lo, s13
	s_cbranch_execz .LBB62_2365
; %bb.2349:
	v_cmp_ne_u16_e32 vcc_lo, 0x80, v3
	s_and_b32 s16, vcc_lo, exec_lo
	s_and_not1_saveexec_b32 s13, s13
	s_cbranch_execnz .LBB62_2366
.LBB62_2350:
	s_or_b32 exec_lo, exec_lo, s13
	v_mov_b32_e32 v1, 0
	s_and_saveexec_b32 s13, s16
	s_cbranch_execz .LBB62_2352
.LBB62_2351:
	v_and_b32_e32 v1, 0xffff, v3
	s_delay_alu instid0(VALU_DEP_1) | instskip(SKIP_1) | instid1(VALU_DEP_2)
	v_dual_lshlrev_b32 v3, 24, v3 :: v_dual_bitop2_b32 v5, 7, v1 bitop3:0x40
	v_bfe_u32 v12, v1, 3, 4
	v_and_b32_e32 v3, 0x80000000, v3
	s_delay_alu instid0(VALU_DEP_3) | instskip(NEXT) | instid1(VALU_DEP_3)
	v_clz_i32_u32_e32 v9, v5
	v_cmp_eq_u32_e32 vcc_lo, 0, v12
	s_delay_alu instid0(VALU_DEP_2) | instskip(NEXT) | instid1(VALU_DEP_1)
	v_min_u32_e32 v9, 32, v9
	v_subrev_nc_u32_e32 v11, 28, v9
	v_sub_nc_u32_e32 v9, 29, v9
	s_delay_alu instid0(VALU_DEP_2) | instskip(NEXT) | instid1(VALU_DEP_2)
	v_lshlrev_b32_e32 v1, v11, v1
	v_cndmask_b32_e32 v9, v12, v9, vcc_lo
	s_delay_alu instid0(VALU_DEP_2) | instskip(NEXT) | instid1(VALU_DEP_1)
	v_and_b32_e32 v1, 7, v1
	v_cndmask_b32_e32 v1, v5, v1, vcc_lo
	s_delay_alu instid0(VALU_DEP_3) | instskip(NEXT) | instid1(VALU_DEP_2)
	v_lshl_add_u32 v5, v9, 23, 0x3b800000
	v_lshlrev_b32_e32 v1, 20, v1
	s_delay_alu instid0(VALU_DEP_1) | instskip(NEXT) | instid1(VALU_DEP_1)
	v_or3_b32 v1, v3, v5, v1
	v_cvt_i32_f32_e32 v1, v1
.LBB62_2352:
	s_or_b32 exec_lo, exec_lo, s13
.LBB62_2353:
	s_mov_b32 s13, -1
.LBB62_2354:
	s_mov_b32 s16, 0
.LBB62_2355:
	s_delay_alu instid0(SALU_CYCLE_1)
	s_and_b32 vcc_lo, exec_lo, s16
	s_cbranch_vccz .LBB62_2386
; %bb.2356:
	s_cmp_gt_i32 s6, 22
	s_cbranch_scc0 .LBB62_2364
; %bb.2357:
	s_cmp_lt_i32 s6, 24
	s_cbranch_scc1 .LBB62_2367
; %bb.2358:
	s_cmp_gt_i32 s6, 24
	s_cbranch_scc0 .LBB62_2368
; %bb.2359:
	global_load_u8 v3, v[6:7], off
	s_mov_b32 s13, 0
	s_mov_b32 s9, exec_lo
	s_wait_loadcnt 0x0
	v_cmpx_lt_i16_e32 0x7f, v3
	s_xor_b32 s9, exec_lo, s9
	s_cbranch_execz .LBB62_2380
; %bb.2360:
	v_cmp_ne_u16_e32 vcc_lo, 0x80, v3
	s_and_b32 s13, vcc_lo, exec_lo
	s_and_not1_saveexec_b32 s9, s9
	s_cbranch_execnz .LBB62_2381
.LBB62_2361:
	s_or_b32 exec_lo, exec_lo, s9
	v_mov_b32_e32 v1, 0
	s_and_saveexec_b32 s9, s13
	s_cbranch_execz .LBB62_2363
.LBB62_2362:
	v_and_b32_e32 v1, 0xffff, v3
	s_delay_alu instid0(VALU_DEP_1) | instskip(SKIP_1) | instid1(VALU_DEP_2)
	v_dual_lshlrev_b32 v3, 24, v3 :: v_dual_bitop2_b32 v5, 3, v1 bitop3:0x40
	v_bfe_u32 v12, v1, 2, 5
	v_and_b32_e32 v3, 0x80000000, v3
	s_delay_alu instid0(VALU_DEP_3) | instskip(NEXT) | instid1(VALU_DEP_3)
	v_clz_i32_u32_e32 v9, v5
	v_cmp_eq_u32_e32 vcc_lo, 0, v12
	s_delay_alu instid0(VALU_DEP_2) | instskip(NEXT) | instid1(VALU_DEP_1)
	v_min_u32_e32 v9, 32, v9
	v_subrev_nc_u32_e32 v11, 29, v9
	v_sub_nc_u32_e32 v9, 30, v9
	s_delay_alu instid0(VALU_DEP_2) | instskip(NEXT) | instid1(VALU_DEP_2)
	v_lshlrev_b32_e32 v1, v11, v1
	v_cndmask_b32_e32 v9, v12, v9, vcc_lo
	s_delay_alu instid0(VALU_DEP_2) | instskip(NEXT) | instid1(VALU_DEP_1)
	v_and_b32_e32 v1, 3, v1
	v_cndmask_b32_e32 v1, v5, v1, vcc_lo
	s_delay_alu instid0(VALU_DEP_3) | instskip(NEXT) | instid1(VALU_DEP_2)
	v_lshl_add_u32 v5, v9, 23, 0x37800000
	v_lshlrev_b32_e32 v1, 21, v1
	s_delay_alu instid0(VALU_DEP_1) | instskip(NEXT) | instid1(VALU_DEP_1)
	v_or3_b32 v1, v3, v5, v1
	v_cvt_i32_f32_e32 v1, v1
.LBB62_2363:
	s_or_b32 exec_lo, exec_lo, s9
	s_mov_b32 s9, 0
	s_branch .LBB62_2369
.LBB62_2364:
	s_mov_b32 s9, -1
                                        ; implicit-def: $vgpr1
	s_branch .LBB62_2375
.LBB62_2365:
	s_and_not1_saveexec_b32 s13, s13
	s_cbranch_execz .LBB62_2350
.LBB62_2366:
	v_cmp_ne_u16_e32 vcc_lo, 0, v3
	s_and_not1_b32 s16, s16, exec_lo
	s_and_b32 s17, vcc_lo, exec_lo
	s_delay_alu instid0(SALU_CYCLE_1)
	s_or_b32 s16, s16, s17
	s_or_b32 exec_lo, exec_lo, s13
	v_mov_b32_e32 v1, 0
	s_and_saveexec_b32 s13, s16
	s_cbranch_execnz .LBB62_2351
	s_branch .LBB62_2352
.LBB62_2367:
	s_mov_b32 s9, -1
                                        ; implicit-def: $vgpr1
	s_branch .LBB62_2372
.LBB62_2368:
	s_mov_b32 s9, -1
                                        ; implicit-def: $vgpr1
.LBB62_2369:
	s_delay_alu instid0(SALU_CYCLE_1)
	s_and_b32 vcc_lo, exec_lo, s9
	s_cbranch_vccz .LBB62_2371
; %bb.2370:
	s_wait_loadcnt 0x0
	global_load_u8 v1, v[6:7], off
	s_wait_loadcnt 0x0
	v_lshlrev_b32_e32 v1, 24, v1
	s_delay_alu instid0(VALU_DEP_1) | instskip(NEXT) | instid1(VALU_DEP_1)
	v_and_b32_e32 v3, 0x7f000000, v1
	v_clz_i32_u32_e32 v5, v3
	v_add_nc_u32_e32 v11, 0x1000000, v3
	v_cmp_ne_u32_e32 vcc_lo, 0, v3
	s_delay_alu instid0(VALU_DEP_3) | instskip(NEXT) | instid1(VALU_DEP_1)
	v_min_u32_e32 v5, 32, v5
	v_sub_nc_u32_e64 v5, v5, 4 clamp
	s_delay_alu instid0(VALU_DEP_1) | instskip(NEXT) | instid1(VALU_DEP_1)
	v_dual_lshlrev_b32 v9, v5, v3 :: v_dual_lshlrev_b32 v5, 23, v5
	v_lshrrev_b32_e32 v9, 4, v9
	s_delay_alu instid0(VALU_DEP_1) | instskip(NEXT) | instid1(VALU_DEP_1)
	v_dual_sub_nc_u32 v5, v9, v5 :: v_dual_ashrrev_i32 v9, 8, v11
	v_add_nc_u32_e32 v5, 0x3c000000, v5
	s_delay_alu instid0(VALU_DEP_1) | instskip(NEXT) | instid1(VALU_DEP_1)
	v_and_or_b32 v5, 0x7f800000, v9, v5
	v_cndmask_b32_e32 v3, 0, v5, vcc_lo
	s_delay_alu instid0(VALU_DEP_1) | instskip(NEXT) | instid1(VALU_DEP_1)
	v_and_or_b32 v1, 0x80000000, v1, v3
	v_cvt_i32_f32_e32 v1, v1
.LBB62_2371:
	s_mov_b32 s9, 0
.LBB62_2372:
	s_delay_alu instid0(SALU_CYCLE_1)
	s_and_not1_b32 vcc_lo, exec_lo, s9
	s_cbranch_vccnz .LBB62_2374
; %bb.2373:
	s_wait_loadcnt 0x0
	global_load_u8 v1, v[6:7], off
	s_wait_loadcnt 0x0
	v_lshlrev_b32_e32 v3, 25, v1
	v_lshlrev_b16 v1, 8, v1
	s_delay_alu instid0(VALU_DEP_2) | instskip(NEXT) | instid1(VALU_DEP_2)
	v_cmp_gt_u32_e32 vcc_lo, 0x8000000, v3
	v_and_or_b32 v9, 0x7f00, v1, 0.5
	v_lshrrev_b32_e32 v5, 4, v3
	v_bfe_i32 v1, v1, 0, 16
	s_delay_alu instid0(VALU_DEP_3) | instskip(NEXT) | instid1(VALU_DEP_3)
	v_add_f32_e32 v9, -0.5, v9
	v_or_b32_e32 v5, 0x70000000, v5
	s_delay_alu instid0(VALU_DEP_1) | instskip(NEXT) | instid1(VALU_DEP_1)
	v_mul_f32_e32 v5, 0x7800000, v5
	v_cndmask_b32_e32 v3, v5, v9, vcc_lo
	s_delay_alu instid0(VALU_DEP_1) | instskip(NEXT) | instid1(VALU_DEP_1)
	v_and_or_b32 v1, 0x80000000, v1, v3
	v_cvt_i32_f32_e32 v1, v1
.LBB62_2374:
	s_mov_b32 s9, 0
	s_mov_b32 s13, -1
.LBB62_2375:
	s_and_not1_b32 vcc_lo, exec_lo, s9
	s_mov_b32 s9, 0
	s_cbranch_vccnz .LBB62_2386
; %bb.2376:
	s_cmp_gt_i32 s6, 14
	s_cbranch_scc0 .LBB62_2379
; %bb.2377:
	s_cmp_eq_u32 s6, 15
	s_cbranch_scc0 .LBB62_2382
; %bb.2378:
	s_wait_loadcnt 0x0
	global_load_u16 v1, v[6:7], off
	s_mov_b32 s7, 0
	s_mov_b32 s13, -1
	s_wait_loadcnt 0x0
	v_lshlrev_b32_e32 v1, 16, v1
	s_delay_alu instid0(VALU_DEP_1)
	v_cvt_i32_f32_e32 v1, v1
	s_branch .LBB62_2384
.LBB62_2379:
	s_mov_b32 s9, -1
	s_branch .LBB62_2383
.LBB62_2380:
	s_and_not1_saveexec_b32 s9, s9
	s_cbranch_execz .LBB62_2361
.LBB62_2381:
	v_cmp_ne_u16_e32 vcc_lo, 0, v3
	s_and_not1_b32 s13, s13, exec_lo
	s_and_b32 s16, vcc_lo, exec_lo
	s_delay_alu instid0(SALU_CYCLE_1)
	s_or_b32 s13, s13, s16
	s_or_b32 exec_lo, exec_lo, s9
	v_mov_b32_e32 v1, 0
	s_and_saveexec_b32 s9, s13
	s_cbranch_execnz .LBB62_2362
	s_branch .LBB62_2363
.LBB62_2382:
	s_mov_b32 s7, -1
.LBB62_2383:
                                        ; implicit-def: $vgpr1
.LBB62_2384:
	s_and_b32 vcc_lo, exec_lo, s9
	s_mov_b32 s9, 0
	s_cbranch_vccz .LBB62_2386
; %bb.2385:
	s_cmp_lg_u32 s6, 11
	s_mov_b32 s9, -1
	s_cselect_b32 s7, -1, 0
.LBB62_2386:
	s_delay_alu instid0(SALU_CYCLE_1)
	s_and_b32 vcc_lo, exec_lo, s7
	s_cbranch_vccnz .LBB62_2451
; %bb.2387:
	s_and_not1_b32 vcc_lo, exec_lo, s9
	s_cbranch_vccnz .LBB62_2389
.LBB62_2388:
	s_wait_loadcnt 0x0
	global_load_u8 v1, v[6:7], off
	s_mov_b32 s13, -1
	s_wait_loadcnt 0x0
	v_cmp_ne_u16_e32 vcc_lo, 0, v1
	v_cndmask_b32_e64 v1, 0, 1, vcc_lo
.LBB62_2389:
	s_mov_b32 s6, 0
.LBB62_2390:
	s_delay_alu instid0(SALU_CYCLE_1)
	s_and_b32 vcc_lo, exec_lo, s6
	s_cbranch_vccz .LBB62_2439
; %bb.2391:
	s_and_b32 s0, 0xffff, s0
	s_delay_alu instid0(SALU_CYCLE_1)
	s_cmp_lt_i32 s0, 5
	s_cbranch_scc1 .LBB62_2396
; %bb.2392:
	s_cmp_lt_i32 s0, 8
	s_cbranch_scc1 .LBB62_2397
; %bb.2393:
	;; [unrolled: 3-line block ×3, first 2 shown]
	s_cmp_gt_i32 s0, 9
	s_cbranch_scc0 .LBB62_2399
; %bb.2395:
	global_load_b64 v[12:13], v[6:7], off
	s_mov_b32 s6, 0
	s_wait_loadcnt 0x0
	v_cvt_i32_f64_e32 v1, v[12:13]
	s_branch .LBB62_2400
.LBB62_2396:
	s_mov_b32 s6, -1
                                        ; implicit-def: $vgpr1
	s_branch .LBB62_2418
.LBB62_2397:
	s_mov_b32 s6, -1
                                        ; implicit-def: $vgpr1
	s_branch .LBB62_2406
.LBB62_2398:
	s_mov_b32 s6, -1
                                        ; implicit-def: $vgpr1
	s_branch .LBB62_2403
.LBB62_2399:
	s_mov_b32 s6, -1
                                        ; implicit-def: $vgpr1
.LBB62_2400:
	s_delay_alu instid0(SALU_CYCLE_1)
	s_and_not1_b32 vcc_lo, exec_lo, s6
	s_cbranch_vccnz .LBB62_2402
; %bb.2401:
	s_wait_loadcnt 0x0
	global_load_b32 v1, v[6:7], off
	s_wait_loadcnt 0x0
	v_cvt_i32_f32_e32 v1, v1
.LBB62_2402:
	s_mov_b32 s6, 0
.LBB62_2403:
	s_delay_alu instid0(SALU_CYCLE_1)
	s_and_not1_b32 vcc_lo, exec_lo, s6
	s_cbranch_vccnz .LBB62_2405
; %bb.2404:
	s_wait_loadcnt 0x0
	global_load_b32 v1, v[6:7], off
	s_wait_loadcnt 0x0
	v_cvt_f32_f16_e32 v1, v1
	s_delay_alu instid0(VALU_DEP_1)
	v_cvt_i32_f32_e32 v1, v1
.LBB62_2405:
	s_mov_b32 s6, 0
.LBB62_2406:
	s_delay_alu instid0(SALU_CYCLE_1)
	s_and_not1_b32 vcc_lo, exec_lo, s6
	s_cbranch_vccnz .LBB62_2417
; %bb.2407:
	s_cmp_lt_i32 s0, 6
	s_cbranch_scc1 .LBB62_2410
; %bb.2408:
	s_cmp_gt_i32 s0, 6
	s_cbranch_scc0 .LBB62_2411
; %bb.2409:
	global_load_b64 v[12:13], v[6:7], off
	s_mov_b32 s6, 0
	s_wait_loadcnt 0x0
	v_cvt_i32_f64_e32 v1, v[12:13]
	s_branch .LBB62_2412
.LBB62_2410:
	s_mov_b32 s6, -1
                                        ; implicit-def: $vgpr1
	s_branch .LBB62_2415
.LBB62_2411:
	s_mov_b32 s6, -1
                                        ; implicit-def: $vgpr1
.LBB62_2412:
	s_delay_alu instid0(SALU_CYCLE_1)
	s_and_not1_b32 vcc_lo, exec_lo, s6
	s_cbranch_vccnz .LBB62_2414
; %bb.2413:
	s_wait_loadcnt 0x0
	global_load_b32 v1, v[6:7], off
	s_wait_loadcnt 0x0
	v_cvt_i32_f32_e32 v1, v1
.LBB62_2414:
	s_mov_b32 s6, 0
.LBB62_2415:
	s_delay_alu instid0(SALU_CYCLE_1)
	s_and_not1_b32 vcc_lo, exec_lo, s6
	s_cbranch_vccnz .LBB62_2417
; %bb.2416:
	s_wait_loadcnt 0x0
	global_load_u16 v1, v[6:7], off
	s_wait_loadcnt 0x0
	v_cvt_f32_f16_e32 v1, v1
	s_delay_alu instid0(VALU_DEP_1)
	v_cvt_i32_f32_e32 v1, v1
.LBB62_2417:
	s_mov_b32 s6, 0
.LBB62_2418:
	s_delay_alu instid0(SALU_CYCLE_1)
	s_and_not1_b32 vcc_lo, exec_lo, s6
	s_cbranch_vccnz .LBB62_2438
; %bb.2419:
	s_cmp_lt_i32 s0, 2
	s_cbranch_scc1 .LBB62_2423
; %bb.2420:
	s_cmp_lt_i32 s0, 3
	s_cbranch_scc1 .LBB62_2424
; %bb.2421:
	s_cmp_gt_i32 s0, 3
	s_cbranch_scc0 .LBB62_2425
; %bb.2422:
	s_wait_loadcnt 0x0
	global_load_b32 v1, v[6:7], off
	s_mov_b32 s6, 0
	s_branch .LBB62_2426
.LBB62_2423:
	s_mov_b32 s6, -1
                                        ; implicit-def: $vgpr1
	s_branch .LBB62_2432
.LBB62_2424:
	s_mov_b32 s6, -1
                                        ; implicit-def: $vgpr1
	s_branch .LBB62_2429
.LBB62_2425:
	s_mov_b32 s6, -1
                                        ; implicit-def: $vgpr1
.LBB62_2426:
	s_delay_alu instid0(SALU_CYCLE_1)
	s_and_not1_b32 vcc_lo, exec_lo, s6
	s_cbranch_vccnz .LBB62_2428
; %bb.2427:
	s_wait_loadcnt 0x0
	global_load_b32 v1, v[6:7], off
.LBB62_2428:
	s_mov_b32 s6, 0
.LBB62_2429:
	s_delay_alu instid0(SALU_CYCLE_1)
	s_and_not1_b32 vcc_lo, exec_lo, s6
	s_cbranch_vccnz .LBB62_2431
; %bb.2430:
	s_wait_loadcnt 0x0
	global_load_i16 v1, v[6:7], off
.LBB62_2431:
	s_mov_b32 s6, 0
.LBB62_2432:
	s_delay_alu instid0(SALU_CYCLE_1)
	s_and_not1_b32 vcc_lo, exec_lo, s6
	s_cbranch_vccnz .LBB62_2438
; %bb.2433:
	s_cmp_gt_i32 s0, 0
	s_mov_b32 s0, 0
	s_cbranch_scc0 .LBB62_2435
; %bb.2434:
	s_wait_loadcnt 0x0
	global_load_i8 v1, v[6:7], off
	s_branch .LBB62_2436
.LBB62_2435:
	s_mov_b32 s0, -1
                                        ; implicit-def: $vgpr1
.LBB62_2436:
	s_delay_alu instid0(SALU_CYCLE_1)
	s_and_not1_b32 vcc_lo, exec_lo, s0
	s_cbranch_vccnz .LBB62_2438
; %bb.2437:
	s_wait_loadcnt 0x0
	global_load_u8 v1, v[6:7], off
.LBB62_2438:
	s_mov_b32 s13, -1
.LBB62_2439:
	s_delay_alu instid0(SALU_CYCLE_1)
	s_and_not1_b32 vcc_lo, exec_lo, s13
	s_cbranch_vccnz .LBB62_2651
; %bb.2440:
	s_wait_xcnt 0x0
	v_add_nc_u32_e32 v6, s10, v8
	s_cmp_lt_i32 s1, 11
	s_delay_alu instid0(VALU_DEP_1) | instskip(NEXT) | instid1(VALU_DEP_1)
	v_ashrrev_i32_e32 v7, 31, v6
	v_add_nc_u64_e32 v[6:7], s[2:3], v[6:7]
	s_cbranch_scc1 .LBB62_2447
; %bb.2441:
	s_and_b32 s0, 0xffff, s1
	s_mov_b32 s3, 0
	s_cmp_gt_i32 s0, 25
	s_cbranch_scc0 .LBB62_2448
; %bb.2442:
	s_cmp_gt_i32 s0, 28
	s_cbranch_scc0 .LBB62_2449
; %bb.2443:
	;; [unrolled: 3-line block ×4, first 2 shown]
	s_cmp_eq_u32 s0, 46
	s_mov_b32 s7, 0
	s_cbranch_scc0 .LBB62_2453
; %bb.2446:
	global_load_b32 v3, v[6:7], off
	s_mov_b32 s2, 0
	s_mov_b32 s6, -1
	s_wait_loadcnt 0x0
	v_lshlrev_b32_e32 v3, 16, v3
	s_delay_alu instid0(VALU_DEP_1)
	v_cvt_i32_f32_e32 v3, v3
	s_branch .LBB62_2455
.LBB62_2447:
	s_mov_b32 s0, -1
	s_mov_b32 s6, 0
                                        ; implicit-def: $vgpr3
	s_branch .LBB62_2517
.LBB62_2448:
	s_mov_b32 s7, -1
	s_mov_b32 s6, 0
	s_mov_b32 s2, 0
                                        ; implicit-def: $vgpr3
	s_branch .LBB62_2482
.LBB62_2449:
	s_mov_b32 s7, -1
	s_mov_b32 s6, 0
	s_mov_b32 s2, 0
                                        ; implicit-def: $vgpr3
	s_branch .LBB62_2465
.LBB62_2450:
	s_mov_b32 s7, -1
	s_mov_b32 s6, 0
	s_mov_b32 s2, 0
                                        ; implicit-def: $vgpr3
	s_branch .LBB62_2460
.LBB62_2451:
	s_or_b32 s12, s12, exec_lo
	s_trap 2
	s_cbranch_execz .LBB62_2388
	s_branch .LBB62_2389
.LBB62_2452:
	s_mov_b32 s7, -1
	s_mov_b32 s6, 0
	s_mov_b32 s2, 0
	s_branch .LBB62_2454
.LBB62_2453:
	s_mov_b32 s2, -1
	s_mov_b32 s6, 0
.LBB62_2454:
                                        ; implicit-def: $vgpr3
.LBB62_2455:
	s_and_b32 vcc_lo, exec_lo, s7
	s_cbranch_vccz .LBB62_2459
; %bb.2456:
	s_cmp_eq_u32 s0, 44
	s_cbranch_scc0 .LBB62_2458
; %bb.2457:
	global_load_u8 v3, v[6:7], off
	s_mov_b32 s2, 0
	s_mov_b32 s6, -1
	s_wait_loadcnt 0x0
	v_lshlrev_b32_e32 v5, 23, v3
	v_cmp_ne_u32_e32 vcc_lo, 0, v3
	s_delay_alu instid0(VALU_DEP_2) | instskip(NEXT) | instid1(VALU_DEP_1)
	v_cvt_i32_f32_e32 v5, v5
	v_cndmask_b32_e32 v3, 0, v5, vcc_lo
	s_branch .LBB62_2459
.LBB62_2458:
	s_mov_b32 s2, -1
                                        ; implicit-def: $vgpr3
.LBB62_2459:
	s_mov_b32 s7, 0
.LBB62_2460:
	s_delay_alu instid0(SALU_CYCLE_1)
	s_and_b32 vcc_lo, exec_lo, s7
	s_cbranch_vccz .LBB62_2464
; %bb.2461:
	s_cmp_eq_u32 s0, 29
	s_cbranch_scc0 .LBB62_2463
; %bb.2462:
	global_load_b32 v3, v[6:7], off
	s_mov_b32 s2, 0
	s_mov_b32 s6, -1
	s_branch .LBB62_2464
.LBB62_2463:
	s_mov_b32 s2, -1
                                        ; implicit-def: $vgpr3
.LBB62_2464:
	s_mov_b32 s7, 0
.LBB62_2465:
	s_delay_alu instid0(SALU_CYCLE_1)
	s_and_b32 vcc_lo, exec_lo, s7
	s_cbranch_vccz .LBB62_2481
; %bb.2466:
	s_cmp_lt_i32 s0, 27
	s_cbranch_scc1 .LBB62_2469
; %bb.2467:
	s_cmp_gt_i32 s0, 27
	s_cbranch_scc0 .LBB62_2470
; %bb.2468:
	s_wait_loadcnt 0x0
	global_load_b32 v3, v[6:7], off
	s_mov_b32 s6, 0
	s_branch .LBB62_2471
.LBB62_2469:
	s_mov_b32 s6, -1
                                        ; implicit-def: $vgpr3
	s_branch .LBB62_2474
.LBB62_2470:
	s_mov_b32 s6, -1
                                        ; implicit-def: $vgpr3
.LBB62_2471:
	s_delay_alu instid0(SALU_CYCLE_1)
	s_and_not1_b32 vcc_lo, exec_lo, s6
	s_cbranch_vccnz .LBB62_2473
; %bb.2472:
	s_wait_loadcnt 0x0
	global_load_u16 v3, v[6:7], off
.LBB62_2473:
	s_mov_b32 s6, 0
.LBB62_2474:
	s_delay_alu instid0(SALU_CYCLE_1)
	s_and_not1_b32 vcc_lo, exec_lo, s6
	s_cbranch_vccnz .LBB62_2480
; %bb.2475:
	global_load_u8 v5, v[6:7], off
	s_mov_b32 s7, 0
	s_mov_b32 s6, exec_lo
	s_wait_loadcnt 0x0
	v_cmpx_lt_i16_e32 0x7f, v5
	s_xor_b32 s6, exec_lo, s6
	s_cbranch_execz .LBB62_2492
; %bb.2476:
	v_cmp_ne_u16_e32 vcc_lo, 0x80, v5
	s_and_b32 s7, vcc_lo, exec_lo
	s_and_not1_saveexec_b32 s6, s6
	s_cbranch_execnz .LBB62_2493
.LBB62_2477:
	s_or_b32 exec_lo, exec_lo, s6
	v_mov_b32_e32 v3, 0
	s_and_saveexec_b32 s6, s7
	s_cbranch_execz .LBB62_2479
.LBB62_2478:
	v_and_b32_e32 v3, 0xffff, v5
	s_delay_alu instid0(VALU_DEP_1) | instskip(SKIP_1) | instid1(VALU_DEP_2)
	v_and_b32_e32 v8, 7, v3
	v_bfe_u32 v12, v3, 3, 4
	v_clz_i32_u32_e32 v9, v8
	s_delay_alu instid0(VALU_DEP_2) | instskip(NEXT) | instid1(VALU_DEP_2)
	v_cmp_eq_u32_e32 vcc_lo, 0, v12
	v_min_u32_e32 v9, 32, v9
	s_delay_alu instid0(VALU_DEP_1) | instskip(NEXT) | instid1(VALU_DEP_1)
	v_subrev_nc_u32_e32 v11, 28, v9
	v_dual_lshlrev_b32 v3, v11, v3 :: v_dual_sub_nc_u32 v9, 29, v9
	s_delay_alu instid0(VALU_DEP_1) | instskip(NEXT) | instid1(VALU_DEP_1)
	v_dual_lshlrev_b32 v5, 24, v5 :: v_dual_bitop2_b32 v3, 7, v3 bitop3:0x40
	v_cndmask_b32_e32 v3, v8, v3, vcc_lo
	s_delay_alu instid0(VALU_DEP_3) | instskip(NEXT) | instid1(VALU_DEP_3)
	v_cndmask_b32_e32 v9, v12, v9, vcc_lo
	v_and_b32_e32 v5, 0x80000000, v5
	s_delay_alu instid0(VALU_DEP_3) | instskip(NEXT) | instid1(VALU_DEP_3)
	v_lshlrev_b32_e32 v3, 20, v3
	v_lshl_add_u32 v8, v9, 23, 0x3b800000
	s_delay_alu instid0(VALU_DEP_1) | instskip(NEXT) | instid1(VALU_DEP_1)
	v_or3_b32 v3, v5, v8, v3
	v_cvt_i32_f32_e32 v3, v3
.LBB62_2479:
	s_or_b32 exec_lo, exec_lo, s6
.LBB62_2480:
	s_mov_b32 s6, -1
.LBB62_2481:
	s_mov_b32 s7, 0
.LBB62_2482:
	s_delay_alu instid0(SALU_CYCLE_1)
	s_and_b32 vcc_lo, exec_lo, s7
	s_cbranch_vccz .LBB62_2513
; %bb.2483:
	s_cmp_gt_i32 s0, 22
	s_cbranch_scc0 .LBB62_2491
; %bb.2484:
	s_cmp_lt_i32 s0, 24
	s_cbranch_scc1 .LBB62_2494
; %bb.2485:
	s_cmp_gt_i32 s0, 24
	s_cbranch_scc0 .LBB62_2495
; %bb.2486:
	global_load_u8 v5, v[6:7], off
	s_mov_b32 s6, 0
	s_mov_b32 s3, exec_lo
	s_wait_loadcnt 0x0
	v_cmpx_lt_i16_e32 0x7f, v5
	s_xor_b32 s3, exec_lo, s3
	s_cbranch_execz .LBB62_2507
; %bb.2487:
	v_cmp_ne_u16_e32 vcc_lo, 0x80, v5
	s_and_b32 s6, vcc_lo, exec_lo
	s_and_not1_saveexec_b32 s3, s3
	s_cbranch_execnz .LBB62_2508
.LBB62_2488:
	s_or_b32 exec_lo, exec_lo, s3
	v_mov_b32_e32 v3, 0
	s_and_saveexec_b32 s3, s6
	s_cbranch_execz .LBB62_2490
.LBB62_2489:
	v_and_b32_e32 v3, 0xffff, v5
	s_delay_alu instid0(VALU_DEP_1) | instskip(SKIP_1) | instid1(VALU_DEP_2)
	v_and_b32_e32 v8, 3, v3
	v_bfe_u32 v12, v3, 2, 5
	v_clz_i32_u32_e32 v9, v8
	s_delay_alu instid0(VALU_DEP_2) | instskip(NEXT) | instid1(VALU_DEP_2)
	v_cmp_eq_u32_e32 vcc_lo, 0, v12
	v_min_u32_e32 v9, 32, v9
	s_delay_alu instid0(VALU_DEP_1) | instskip(NEXT) | instid1(VALU_DEP_1)
	v_subrev_nc_u32_e32 v11, 29, v9
	v_dual_lshlrev_b32 v3, v11, v3 :: v_dual_sub_nc_u32 v9, 30, v9
	s_delay_alu instid0(VALU_DEP_1) | instskip(NEXT) | instid1(VALU_DEP_1)
	v_dual_lshlrev_b32 v5, 24, v5 :: v_dual_bitop2_b32 v3, 3, v3 bitop3:0x40
	v_cndmask_b32_e32 v3, v8, v3, vcc_lo
	s_delay_alu instid0(VALU_DEP_3) | instskip(NEXT) | instid1(VALU_DEP_3)
	v_cndmask_b32_e32 v9, v12, v9, vcc_lo
	v_and_b32_e32 v5, 0x80000000, v5
	s_delay_alu instid0(VALU_DEP_3) | instskip(NEXT) | instid1(VALU_DEP_3)
	v_lshlrev_b32_e32 v3, 21, v3
	v_lshl_add_u32 v8, v9, 23, 0x37800000
	s_delay_alu instid0(VALU_DEP_1) | instskip(NEXT) | instid1(VALU_DEP_1)
	v_or3_b32 v3, v5, v8, v3
	v_cvt_i32_f32_e32 v3, v3
.LBB62_2490:
	s_or_b32 exec_lo, exec_lo, s3
	s_mov_b32 s3, 0
	s_branch .LBB62_2496
.LBB62_2491:
	s_mov_b32 s3, -1
                                        ; implicit-def: $vgpr3
	s_branch .LBB62_2502
.LBB62_2492:
	s_and_not1_saveexec_b32 s6, s6
	s_cbranch_execz .LBB62_2477
.LBB62_2493:
	v_cmp_ne_u16_e32 vcc_lo, 0, v5
	s_and_not1_b32 s7, s7, exec_lo
	s_and_b32 s9, vcc_lo, exec_lo
	s_delay_alu instid0(SALU_CYCLE_1)
	s_or_b32 s7, s7, s9
	s_or_b32 exec_lo, exec_lo, s6
	v_mov_b32_e32 v3, 0
	s_and_saveexec_b32 s6, s7
	s_cbranch_execnz .LBB62_2478
	s_branch .LBB62_2479
.LBB62_2494:
	s_mov_b32 s3, -1
                                        ; implicit-def: $vgpr3
	s_branch .LBB62_2499
.LBB62_2495:
	s_mov_b32 s3, -1
                                        ; implicit-def: $vgpr3
.LBB62_2496:
	s_delay_alu instid0(SALU_CYCLE_1)
	s_and_b32 vcc_lo, exec_lo, s3
	s_cbranch_vccz .LBB62_2498
; %bb.2497:
	s_wait_loadcnt 0x0
	global_load_u8 v3, v[6:7], off
	s_wait_loadcnt 0x0
	v_lshlrev_b32_e32 v3, 24, v3
	s_delay_alu instid0(VALU_DEP_1) | instskip(NEXT) | instid1(VALU_DEP_1)
	v_and_b32_e32 v5, 0x7f000000, v3
	v_clz_i32_u32_e32 v8, v5
	v_add_nc_u32_e32 v11, 0x1000000, v5
	v_cmp_ne_u32_e32 vcc_lo, 0, v5
	s_delay_alu instid0(VALU_DEP_3) | instskip(NEXT) | instid1(VALU_DEP_1)
	v_min_u32_e32 v8, 32, v8
	v_sub_nc_u32_e64 v8, v8, 4 clamp
	s_delay_alu instid0(VALU_DEP_1) | instskip(NEXT) | instid1(VALU_DEP_1)
	v_dual_lshlrev_b32 v9, v8, v5 :: v_dual_lshlrev_b32 v8, 23, v8
	v_lshrrev_b32_e32 v9, 4, v9
	s_delay_alu instid0(VALU_DEP_1) | instskip(NEXT) | instid1(VALU_DEP_1)
	v_dual_sub_nc_u32 v8, v9, v8 :: v_dual_ashrrev_i32 v9, 8, v11
	v_add_nc_u32_e32 v8, 0x3c000000, v8
	s_delay_alu instid0(VALU_DEP_1) | instskip(NEXT) | instid1(VALU_DEP_1)
	v_and_or_b32 v8, 0x7f800000, v9, v8
	v_cndmask_b32_e32 v5, 0, v8, vcc_lo
	s_delay_alu instid0(VALU_DEP_1) | instskip(NEXT) | instid1(VALU_DEP_1)
	v_and_or_b32 v3, 0x80000000, v3, v5
	v_cvt_i32_f32_e32 v3, v3
.LBB62_2498:
	s_mov_b32 s3, 0
.LBB62_2499:
	s_delay_alu instid0(SALU_CYCLE_1)
	s_and_not1_b32 vcc_lo, exec_lo, s3
	s_cbranch_vccnz .LBB62_2501
; %bb.2500:
	s_wait_loadcnt 0x0
	global_load_u8 v3, v[6:7], off
	s_wait_loadcnt 0x0
	v_lshlrev_b32_e32 v5, 25, v3
	v_lshlrev_b16 v3, 8, v3
	s_delay_alu instid0(VALU_DEP_1) | instskip(SKIP_1) | instid1(VALU_DEP_2)
	v_and_or_b32 v9, 0x7f00, v3, 0.5
	v_bfe_i32 v3, v3, 0, 16
	v_add_f32_e32 v9, -0.5, v9
	v_lshrrev_b32_e32 v8, 4, v5
	v_cmp_gt_u32_e32 vcc_lo, 0x8000000, v5
	s_delay_alu instid0(VALU_DEP_2) | instskip(NEXT) | instid1(VALU_DEP_1)
	v_or_b32_e32 v8, 0x70000000, v8
	v_mul_f32_e32 v8, 0x7800000, v8
	s_delay_alu instid0(VALU_DEP_1) | instskip(NEXT) | instid1(VALU_DEP_1)
	v_cndmask_b32_e32 v5, v8, v9, vcc_lo
	v_and_or_b32 v3, 0x80000000, v3, v5
	s_delay_alu instid0(VALU_DEP_1)
	v_cvt_i32_f32_e32 v3, v3
.LBB62_2501:
	s_mov_b32 s3, 0
	s_mov_b32 s6, -1
.LBB62_2502:
	s_and_not1_b32 vcc_lo, exec_lo, s3
	s_mov_b32 s3, 0
	s_cbranch_vccnz .LBB62_2513
; %bb.2503:
	s_cmp_gt_i32 s0, 14
	s_cbranch_scc0 .LBB62_2506
; %bb.2504:
	s_cmp_eq_u32 s0, 15
	s_cbranch_scc0 .LBB62_2509
; %bb.2505:
	s_wait_loadcnt 0x0
	global_load_u16 v3, v[6:7], off
	s_mov_b32 s2, 0
	s_mov_b32 s6, -1
	s_wait_loadcnt 0x0
	v_lshlrev_b32_e32 v3, 16, v3
	s_delay_alu instid0(VALU_DEP_1)
	v_cvt_i32_f32_e32 v3, v3
	s_branch .LBB62_2511
.LBB62_2506:
	s_mov_b32 s3, -1
	s_branch .LBB62_2510
.LBB62_2507:
	s_and_not1_saveexec_b32 s3, s3
	s_cbranch_execz .LBB62_2488
.LBB62_2508:
	v_cmp_ne_u16_e32 vcc_lo, 0, v5
	s_and_not1_b32 s6, s6, exec_lo
	s_and_b32 s7, vcc_lo, exec_lo
	s_delay_alu instid0(SALU_CYCLE_1)
	s_or_b32 s6, s6, s7
	s_or_b32 exec_lo, exec_lo, s3
	v_mov_b32_e32 v3, 0
	s_and_saveexec_b32 s3, s6
	s_cbranch_execnz .LBB62_2489
	s_branch .LBB62_2490
.LBB62_2509:
	s_mov_b32 s2, -1
.LBB62_2510:
                                        ; implicit-def: $vgpr3
.LBB62_2511:
	s_and_b32 vcc_lo, exec_lo, s3
	s_mov_b32 s3, 0
	s_cbranch_vccz .LBB62_2513
; %bb.2512:
	s_cmp_lg_u32 s0, 11
	s_mov_b32 s3, -1
	s_cselect_b32 s2, -1, 0
.LBB62_2513:
	s_delay_alu instid0(SALU_CYCLE_1)
	s_and_b32 vcc_lo, exec_lo, s2
	s_cbranch_vccnz .LBB62_3053
; %bb.2514:
	s_and_not1_b32 vcc_lo, exec_lo, s3
	s_cbranch_vccnz .LBB62_2516
.LBB62_2515:
	s_wait_loadcnt 0x0
	global_load_u8 v3, v[6:7], off
	s_mov_b32 s6, -1
	s_wait_loadcnt 0x0
	v_cmp_ne_u16_e32 vcc_lo, 0, v3
	v_cndmask_b32_e64 v3, 0, 1, vcc_lo
.LBB62_2516:
	s_mov_b32 s0, 0
.LBB62_2517:
	s_delay_alu instid0(SALU_CYCLE_1)
	s_and_b32 vcc_lo, exec_lo, s0
	s_cbranch_vccz .LBB62_2566
; %bb.2518:
	s_and_b32 s0, 0xffff, s1
	s_delay_alu instid0(SALU_CYCLE_1)
	s_cmp_lt_i32 s0, 5
	s_cbranch_scc1 .LBB62_2523
; %bb.2519:
	s_cmp_lt_i32 s0, 8
	s_cbranch_scc1 .LBB62_2524
; %bb.2520:
	;; [unrolled: 3-line block ×3, first 2 shown]
	s_cmp_gt_i32 s0, 9
	s_cbranch_scc0 .LBB62_2526
; %bb.2522:
	global_load_b64 v[8:9], v[6:7], off
	s_mov_b32 s1, 0
	s_wait_loadcnt 0x0
	v_cvt_i32_f64_e32 v3, v[8:9]
	s_branch .LBB62_2527
.LBB62_2523:
	s_mov_b32 s1, -1
                                        ; implicit-def: $vgpr3
	s_branch .LBB62_2545
.LBB62_2524:
	s_mov_b32 s1, -1
                                        ; implicit-def: $vgpr3
	s_branch .LBB62_2533
.LBB62_2525:
	s_mov_b32 s1, -1
                                        ; implicit-def: $vgpr3
	s_branch .LBB62_2530
.LBB62_2526:
	s_mov_b32 s1, -1
                                        ; implicit-def: $vgpr3
.LBB62_2527:
	s_delay_alu instid0(SALU_CYCLE_1)
	s_and_not1_b32 vcc_lo, exec_lo, s1
	s_cbranch_vccnz .LBB62_2529
; %bb.2528:
	s_wait_loadcnt 0x0
	global_load_b32 v3, v[6:7], off
	s_wait_loadcnt 0x0
	v_cvt_i32_f32_e32 v3, v3
.LBB62_2529:
	s_mov_b32 s1, 0
.LBB62_2530:
	s_delay_alu instid0(SALU_CYCLE_1)
	s_and_not1_b32 vcc_lo, exec_lo, s1
	s_cbranch_vccnz .LBB62_2532
; %bb.2531:
	s_wait_loadcnt 0x0
	global_load_b32 v3, v[6:7], off
	s_wait_loadcnt 0x0
	v_cvt_f32_f16_e32 v3, v3
	s_delay_alu instid0(VALU_DEP_1)
	v_cvt_i32_f32_e32 v3, v3
.LBB62_2532:
	s_mov_b32 s1, 0
.LBB62_2533:
	s_delay_alu instid0(SALU_CYCLE_1)
	s_and_not1_b32 vcc_lo, exec_lo, s1
	s_cbranch_vccnz .LBB62_2544
; %bb.2534:
	s_cmp_lt_i32 s0, 6
	s_cbranch_scc1 .LBB62_2537
; %bb.2535:
	s_cmp_gt_i32 s0, 6
	s_cbranch_scc0 .LBB62_2538
; %bb.2536:
	global_load_b64 v[8:9], v[6:7], off
	s_mov_b32 s1, 0
	s_wait_loadcnt 0x0
	v_cvt_i32_f64_e32 v3, v[8:9]
	s_branch .LBB62_2539
.LBB62_2537:
	s_mov_b32 s1, -1
                                        ; implicit-def: $vgpr3
	s_branch .LBB62_2542
.LBB62_2538:
	s_mov_b32 s1, -1
                                        ; implicit-def: $vgpr3
.LBB62_2539:
	s_delay_alu instid0(SALU_CYCLE_1)
	s_and_not1_b32 vcc_lo, exec_lo, s1
	s_cbranch_vccnz .LBB62_2541
; %bb.2540:
	s_wait_loadcnt 0x0
	global_load_b32 v3, v[6:7], off
	s_wait_loadcnt 0x0
	v_cvt_i32_f32_e32 v3, v3
.LBB62_2541:
	s_mov_b32 s1, 0
.LBB62_2542:
	s_delay_alu instid0(SALU_CYCLE_1)
	s_and_not1_b32 vcc_lo, exec_lo, s1
	s_cbranch_vccnz .LBB62_2544
; %bb.2543:
	s_wait_loadcnt 0x0
	global_load_u16 v3, v[6:7], off
	s_wait_loadcnt 0x0
	v_cvt_f32_f16_e32 v3, v3
	s_delay_alu instid0(VALU_DEP_1)
	v_cvt_i32_f32_e32 v3, v3
.LBB62_2544:
	s_mov_b32 s1, 0
.LBB62_2545:
	s_delay_alu instid0(SALU_CYCLE_1)
	s_and_not1_b32 vcc_lo, exec_lo, s1
	s_cbranch_vccnz .LBB62_2565
; %bb.2546:
	s_cmp_lt_i32 s0, 2
	s_cbranch_scc1 .LBB62_2550
; %bb.2547:
	s_cmp_lt_i32 s0, 3
	s_cbranch_scc1 .LBB62_2551
; %bb.2548:
	s_cmp_gt_i32 s0, 3
	s_cbranch_scc0 .LBB62_2552
; %bb.2549:
	s_wait_loadcnt 0x0
	global_load_b32 v3, v[6:7], off
	s_mov_b32 s1, 0
	s_branch .LBB62_2553
.LBB62_2550:
	s_mov_b32 s1, -1
                                        ; implicit-def: $vgpr3
	s_branch .LBB62_2559
.LBB62_2551:
	s_mov_b32 s1, -1
                                        ; implicit-def: $vgpr3
	s_branch .LBB62_2556
.LBB62_2552:
	s_mov_b32 s1, -1
                                        ; implicit-def: $vgpr3
.LBB62_2553:
	s_delay_alu instid0(SALU_CYCLE_1)
	s_and_not1_b32 vcc_lo, exec_lo, s1
	s_cbranch_vccnz .LBB62_2555
; %bb.2554:
	s_wait_loadcnt 0x0
	global_load_b32 v3, v[6:7], off
.LBB62_2555:
	s_mov_b32 s1, 0
.LBB62_2556:
	s_delay_alu instid0(SALU_CYCLE_1)
	s_and_not1_b32 vcc_lo, exec_lo, s1
	s_cbranch_vccnz .LBB62_2558
; %bb.2557:
	s_wait_loadcnt 0x0
	global_load_i16 v3, v[6:7], off
.LBB62_2558:
	s_mov_b32 s1, 0
.LBB62_2559:
	s_delay_alu instid0(SALU_CYCLE_1)
	s_and_not1_b32 vcc_lo, exec_lo, s1
	s_cbranch_vccnz .LBB62_2565
; %bb.2560:
	s_cmp_gt_i32 s0, 0
	s_mov_b32 s0, 0
	s_cbranch_scc0 .LBB62_2562
; %bb.2561:
	s_wait_loadcnt 0x0
	global_load_i8 v3, v[6:7], off
	s_branch .LBB62_2563
.LBB62_2562:
	s_mov_b32 s0, -1
                                        ; implicit-def: $vgpr3
.LBB62_2563:
	s_delay_alu instid0(SALU_CYCLE_1)
	s_and_not1_b32 vcc_lo, exec_lo, s0
	s_cbranch_vccnz .LBB62_2565
; %bb.2564:
	s_wait_loadcnt 0x0
	global_load_u8 v3, v[6:7], off
.LBB62_2565:
	s_mov_b32 s6, -1
.LBB62_2566:
	s_delay_alu instid0(SALU_CYCLE_1)
	s_and_not1_b32 vcc_lo, exec_lo, s6
	s_cbranch_vccnz .LBB62_2651
; %bb.2567:
	s_wait_loadcnt 0x0
	s_delay_alu instid0(VALU_DEP_1) | instskip(SKIP_3) | instid1(VALU_DEP_1)
	v_sub_nc_u32_e32 v5, 0, v3
	s_mov_b32 s1, 0
	s_mov_b32 s0, exec_lo
	s_wait_xcnt 0x0
	v_max_i32_e32 v7, v3, v5
	v_sub_nc_u32_e32 v5, 0, v1
	v_cmpx_ne_u32_e32 0, v1
	s_cbranch_execz .LBB62_2571
; %bb.2568:
	s_delay_alu instid0(VALU_DEP_2)
	v_max_i32_e32 v8, v1, v5
.LBB62_2569:                            ; =>This Inner Loop Header: Depth=1
	s_delay_alu instid0(VALU_DEP_1) | instskip(NEXT) | instid1(VALU_DEP_1)
	v_mov_b32_e32 v6, v8
	v_cvt_f32_u32_e32 v8, v6
	v_sub_nc_u32_e32 v9, 0, v6
	s_delay_alu instid0(VALU_DEP_2) | instskip(SKIP_1) | instid1(TRANS32_DEP_1)
	v_rcp_iflag_f32_e32 v8, v8
	v_nop
	v_mul_f32_e32 v8, 0x4f7ffffe, v8
	s_delay_alu instid0(VALU_DEP_1) | instskip(NEXT) | instid1(VALU_DEP_1)
	v_cvt_u32_f32_e32 v8, v8
	v_mul_lo_u32 v9, v9, v8
	s_delay_alu instid0(VALU_DEP_1) | instskip(NEXT) | instid1(VALU_DEP_1)
	v_mul_hi_u32 v9, v8, v9
	v_add_nc_u32_e32 v8, v8, v9
	s_delay_alu instid0(VALU_DEP_1) | instskip(NEXT) | instid1(VALU_DEP_1)
	v_mul_hi_u32 v8, v7, v8
	v_mul_lo_u32 v8, v8, v6
	s_delay_alu instid0(VALU_DEP_1) | instskip(NEXT) | instid1(VALU_DEP_1)
	v_sub_nc_u32_e32 v7, v7, v8
	v_sub_nc_u32_e32 v8, v7, v6
	v_cmp_ge_u32_e32 vcc_lo, v7, v6
	s_delay_alu instid0(VALU_DEP_2) | instskip(NEXT) | instid1(VALU_DEP_1)
	v_cndmask_b32_e32 v7, v7, v8, vcc_lo
	v_sub_nc_u32_e32 v8, v7, v6
	v_cmp_ge_u32_e32 vcc_lo, v7, v6
	s_delay_alu instid0(VALU_DEP_2) | instskip(NEXT) | instid1(VALU_DEP_1)
	v_dual_cndmask_b32 v8, v7, v8 :: v_dual_mov_b32 v7, v6
	v_cmp_eq_u32_e32 vcc_lo, 0, v8
	s_or_b32 s1, vcc_lo, s1
	s_delay_alu instid0(SALU_CYCLE_1)
	s_and_not1_b32 exec_lo, exec_lo, s1
	s_cbranch_execnz .LBB62_2569
; %bb.2570:
	s_or_b32 exec_lo, exec_lo, s1
	v_mov_b32_e32 v7, v6
.LBB62_2571:
	s_or_b32 exec_lo, exec_lo, s0
	v_mov_b32_e32 v6, 0
	s_mov_b32 s0, exec_lo
	s_delay_alu instid0(VALU_DEP_2)
	v_cmpx_ne_u32_e32 0, v7
	s_cbranch_execz .LBB62_2573
; %bb.2572:
	v_dual_sub_nc_u32 v6, 0, v7 :: v_dual_max_i32 v5, v1, v5
	s_delay_alu instid0(VALU_DEP_1) | instskip(NEXT) | instid1(VALU_DEP_1)
	v_max_i32_e32 v6, v7, v6
	v_cvt_f32_u32_e32 v8, v6
	v_sub_nc_u32_e32 v9, 0, v6
	s_delay_alu instid0(VALU_DEP_2) | instskip(SKIP_1) | instid1(TRANS32_DEP_1)
	v_rcp_iflag_f32_e32 v8, v8
	v_nop
	v_mul_f32_e32 v8, 0x4f7ffffe, v8
	s_delay_alu instid0(VALU_DEP_1) | instskip(NEXT) | instid1(VALU_DEP_1)
	v_cvt_u32_f32_e32 v8, v8
	v_mul_lo_u32 v9, v9, v8
	s_delay_alu instid0(VALU_DEP_1) | instskip(NEXT) | instid1(VALU_DEP_1)
	v_mul_hi_u32 v9, v8, v9
	v_add_nc_u32_e32 v8, v8, v9
	s_delay_alu instid0(VALU_DEP_1) | instskip(NEXT) | instid1(VALU_DEP_1)
	v_mul_hi_u32 v8, v5, v8
	v_mul_lo_u32 v9, v8, v6
	s_delay_alu instid0(VALU_DEP_1) | instskip(NEXT) | instid1(VALU_DEP_1)
	v_dual_sub_nc_u32 v5, v5, v9 :: v_dual_add_nc_u32 v9, 1, v8
	v_cmp_ge_u32_e32 vcc_lo, v5, v6
	s_delay_alu instid0(VALU_DEP_2) | instskip(NEXT) | instid1(VALU_DEP_1)
	v_dual_cndmask_b32 v8, v8, v9 :: v_dual_sub_nc_u32 v11, v5, v6
	v_dual_add_nc_u32 v7, 1, v8 :: v_dual_bitop2_b32 v1, v1, v7 bitop3:0x14
	s_delay_alu instid0(VALU_DEP_1) | instskip(NEXT) | instid1(VALU_DEP_1)
	v_dual_cndmask_b32 v5, v5, v11, vcc_lo :: v_dual_ashrrev_i32 v1, 31, v1
	v_cmp_ge_u32_e32 vcc_lo, v5, v6
	s_delay_alu instid0(VALU_DEP_3) | instskip(NEXT) | instid1(VALU_DEP_1)
	v_cndmask_b32_e32 v5, v8, v7, vcc_lo
	v_xor_b32_e32 v5, v5, v1
	s_delay_alu instid0(VALU_DEP_1) | instskip(NEXT) | instid1(VALU_DEP_1)
	v_sub_nc_u32_e32 v1, v5, v1
	v_mul_lo_u32 v1, v1, v3
	s_delay_alu instid0(VALU_DEP_1) | instskip(NEXT) | instid1(VALU_DEP_1)
	v_sub_nc_u32_e32 v3, 0, v1
	v_max_i32_e32 v6, v1, v3
.LBB62_2573:
	s_or_b32 exec_lo, exec_lo, s0
	v_mul_lo_u32 v8, s8, v10
	s_and_b32 s16, s11, 0xff
	s_delay_alu instid0(SALU_CYCLE_1) | instskip(NEXT) | instid1(VALU_DEP_1)
	s_cmp_lt_i32 s16, 11
	v_ashrrev_i32_e32 v9, 31, v8
	s_delay_alu instid0(VALU_DEP_1)
	v_add_nc_u64_e32 v[10:11], s[4:5], v[8:9]
	s_cbranch_scc1 .LBB62_2696
; %bb.2574:
	s_and_b32 s1, 0xffff, s16
	s_mov_b32 s6, -1
	s_mov_b32 s2, 0
	s_cmp_gt_i32 s1, 25
	s_mov_b32 s3, 0
	s_mov_b32 s0, 0
	s_cbranch_scc0 .LBB62_2607
; %bb.2575:
	s_cmp_gt_i32 s1, 28
	s_cbranch_scc0 .LBB62_2590
; %bb.2576:
	s_cmp_gt_i32 s1, 43
	;; [unrolled: 3-line block ×3, first 2 shown]
	s_cbranch_scc0 .LBB62_2580
; %bb.2578:
	s_mov_b32 s0, -1
	s_mov_b32 s6, 0
	s_cmp_eq_u32 s1, 46
	s_cbranch_scc0 .LBB62_2580
; %bb.2579:
	v_cvt_f32_u32_e32 v1, v0
	s_mov_b32 s0, 0
	s_mov_b32 s3, -1
	s_delay_alu instid0(VALU_DEP_1) | instskip(NEXT) | instid1(VALU_DEP_1)
	v_bfe_u32 v3, v1, 16, 1
	v_add3_u32 v1, v1, v3, 0x7fff
	s_delay_alu instid0(VALU_DEP_1)
	v_lshrrev_b32_e32 v1, 16, v1
	global_store_b32 v[10:11], v1, off
.LBB62_2580:
	s_and_b32 vcc_lo, exec_lo, s6
	s_cbranch_vccz .LBB62_2585
; %bb.2581:
	s_cmp_eq_u32 s1, 44
	s_mov_b32 s0, -1
	s_cbranch_scc0 .LBB62_2585
; %bb.2582:
	v_cvt_f32_u32_e32 v5, v0
	v_mov_b32_e32 v3, 0xff
	s_mov_b32 s3, exec_lo
	s_wait_xcnt 0x0
	s_delay_alu instid0(VALU_DEP_2) | instskip(NEXT) | instid1(VALU_DEP_1)
	v_lshrrev_b32_e32 v1, 23, v5
	v_cmpx_ne_u32_e32 0xff, v1
; %bb.2583:
	v_and_b32_e32 v3, 0x400000, v5
	v_and_or_b32 v5, 0x3fffff, v5, v1
	s_delay_alu instid0(VALU_DEP_2) | instskip(NEXT) | instid1(VALU_DEP_2)
	v_cmp_ne_u32_e32 vcc_lo, 0, v3
	v_cmp_ne_u32_e64 s0, 0, v5
	s_and_b32 s0, vcc_lo, s0
	s_delay_alu instid0(SALU_CYCLE_1) | instskip(NEXT) | instid1(VALU_DEP_1)
	v_cndmask_b32_e64 v3, 0, 1, s0
	v_add_nc_u32_e32 v3, v1, v3
; %bb.2584:
	s_or_b32 exec_lo, exec_lo, s3
	s_mov_b32 s0, 0
	s_mov_b32 s3, -1
	global_store_b8 v[10:11], v3, off
.LBB62_2585:
	s_mov_b32 s6, 0
.LBB62_2586:
	s_delay_alu instid0(SALU_CYCLE_1)
	s_and_b32 vcc_lo, exec_lo, s6
	s_cbranch_vccz .LBB62_2589
; %bb.2587:
	s_cmp_eq_u32 s1, 29
	s_mov_b32 s0, -1
	s_cbranch_scc0 .LBB62_2589
; %bb.2588:
	s_wait_xcnt 0x0
	v_mov_b32_e32 v1, 0
	s_mov_b32 s0, 0
	s_mov_b32 s3, -1
	global_store_b64 v[10:11], v[0:1], off
.LBB62_2589:
	s_mov_b32 s6, 0
.LBB62_2590:
	s_delay_alu instid0(SALU_CYCLE_1)
	s_and_b32 vcc_lo, exec_lo, s6
	s_cbranch_vccz .LBB62_2606
; %bb.2591:
	s_cmp_lt_i32 s1, 27
	s_mov_b32 s3, -1
	s_cbranch_scc1 .LBB62_2597
; %bb.2592:
	s_cmp_gt_i32 s1, 27
	s_cbranch_scc0 .LBB62_2594
; %bb.2593:
	s_mov_b32 s3, 0
	global_store_b32 v[10:11], v0, off
.LBB62_2594:
	s_and_not1_b32 vcc_lo, exec_lo, s3
	s_cbranch_vccnz .LBB62_2596
; %bb.2595:
	global_store_b16 v[10:11], v0, off
.LBB62_2596:
	s_mov_b32 s3, 0
.LBB62_2597:
	s_delay_alu instid0(SALU_CYCLE_1)
	s_and_not1_b32 vcc_lo, exec_lo, s3
	s_cbranch_vccnz .LBB62_2605
; %bb.2598:
	s_wait_xcnt 0x0
	v_cvt_f32_u32_e32 v3, v0
	v_mov_b32_e32 v5, 0x80
	s_mov_b32 s3, exec_lo
	s_delay_alu instid0(VALU_DEP_2)
	v_cmpx_gt_u32_e32 0x43800000, v3
	s_cbranch_execz .LBB62_2604
; %bb.2599:
	s_mov_b32 s6, 0
	s_mov_b32 s7, exec_lo
                                        ; implicit-def: $vgpr1
	v_cmpx_lt_u32_e32 0x3bffffff, v3
	s_xor_b32 s7, exec_lo, s7
	s_cbranch_execz .LBB62_3054
; %bb.2600:
	v_bfe_u32 v1, v3, 20, 1
	s_mov_b32 s6, exec_lo
	s_delay_alu instid0(VALU_DEP_1) | instskip(NEXT) | instid1(VALU_DEP_1)
	v_add3_u32 v1, v3, v1, 0x487ffff
                                        ; implicit-def: $vgpr3
	v_lshrrev_b32_e32 v1, 20, v1
	s_and_not1_saveexec_b32 s7, s7
	s_cbranch_execnz .LBB62_3055
.LBB62_2601:
	s_or_b32 exec_lo, exec_lo, s7
	v_mov_b32_e32 v5, 0
	s_and_saveexec_b32 s7, s6
.LBB62_2602:
	v_mov_b32_e32 v5, v1
.LBB62_2603:
	s_or_b32 exec_lo, exec_lo, s7
.LBB62_2604:
	s_delay_alu instid0(SALU_CYCLE_1)
	s_or_b32 exec_lo, exec_lo, s3
	global_store_b8 v[10:11], v5, off
.LBB62_2605:
	s_mov_b32 s3, -1
.LBB62_2606:
	s_mov_b32 s6, 0
.LBB62_2607:
	s_delay_alu instid0(SALU_CYCLE_1)
	s_and_b32 vcc_lo, exec_lo, s6
	s_cbranch_vccz .LBB62_2647
; %bb.2608:
	s_cmp_gt_i32 s1, 22
	s_mov_b32 s2, -1
	s_cbranch_scc0 .LBB62_2640
; %bb.2609:
	s_cmp_lt_i32 s1, 24
	s_cbranch_scc1 .LBB62_2629
; %bb.2610:
	s_cmp_gt_i32 s1, 24
	s_cbranch_scc0 .LBB62_2618
; %bb.2611:
	s_wait_xcnt 0x0
	v_cvt_f32_u32_e32 v3, v0
	v_mov_b32_e32 v5, 0x80
	s_mov_b32 s2, exec_lo
	s_delay_alu instid0(VALU_DEP_2)
	v_cmpx_gt_u32_e32 0x47800000, v3
	s_cbranch_execz .LBB62_2617
; %bb.2612:
	s_mov_b32 s3, 0
	s_mov_b32 s6, exec_lo
                                        ; implicit-def: $vgpr1
	v_cmpx_lt_u32_e32 0x37ffffff, v3
	s_xor_b32 s6, exec_lo, s6
	s_cbranch_execz .LBB62_3057
; %bb.2613:
	v_bfe_u32 v1, v3, 21, 1
	s_mov_b32 s3, exec_lo
	s_delay_alu instid0(VALU_DEP_1) | instskip(NEXT) | instid1(VALU_DEP_1)
	v_add3_u32 v1, v3, v1, 0x88fffff
                                        ; implicit-def: $vgpr3
	v_lshrrev_b32_e32 v1, 21, v1
	s_and_not1_saveexec_b32 s6, s6
	s_cbranch_execnz .LBB62_3058
.LBB62_2614:
	s_or_b32 exec_lo, exec_lo, s6
	v_mov_b32_e32 v5, 0
	s_and_saveexec_b32 s6, s3
.LBB62_2615:
	v_mov_b32_e32 v5, v1
.LBB62_2616:
	s_or_b32 exec_lo, exec_lo, s6
.LBB62_2617:
	s_delay_alu instid0(SALU_CYCLE_1)
	s_or_b32 exec_lo, exec_lo, s2
	s_mov_b32 s2, 0
	global_store_b8 v[10:11], v5, off
.LBB62_2618:
	s_and_b32 vcc_lo, exec_lo, s2
	s_cbranch_vccz .LBB62_2628
; %bb.2619:
	s_wait_xcnt 0x0
	v_cvt_f32_u32_e32 v3, v0
	s_mov_b32 s2, exec_lo
                                        ; implicit-def: $vgpr1
	s_delay_alu instid0(VALU_DEP_1)
	v_cmpx_gt_u32_e32 0x43f00000, v3
	s_xor_b32 s2, exec_lo, s2
	s_cbranch_execz .LBB62_2625
; %bb.2620:
	s_mov_b32 s3, exec_lo
                                        ; implicit-def: $vgpr1
	v_cmpx_lt_u32_e32 0x3c7fffff, v3
	s_xor_b32 s3, exec_lo, s3
; %bb.2621:
	v_bfe_u32 v1, v3, 20, 1
	s_delay_alu instid0(VALU_DEP_1) | instskip(NEXT) | instid1(VALU_DEP_1)
	v_add3_u32 v1, v3, v1, 0x407ffff
	v_and_b32_e32 v3, 0xff00000, v1
	v_lshrrev_b32_e32 v1, 20, v1
	s_delay_alu instid0(VALU_DEP_2) | instskip(NEXT) | instid1(VALU_DEP_2)
	v_cmp_ne_u32_e32 vcc_lo, 0x7f00000, v3
                                        ; implicit-def: $vgpr3
	v_cndmask_b32_e32 v1, 0x7e, v1, vcc_lo
; %bb.2622:
	s_and_not1_saveexec_b32 s3, s3
; %bb.2623:
	v_add_f32_e32 v1, 0x46800000, v3
; %bb.2624:
	s_or_b32 exec_lo, exec_lo, s3
                                        ; implicit-def: $vgpr3
.LBB62_2625:
	s_and_not1_saveexec_b32 s2, s2
; %bb.2626:
	v_mov_b32_e32 v1, 0x7f
	v_cmp_lt_u32_e32 vcc_lo, 0x7f800000, v3
	s_delay_alu instid0(VALU_DEP_2)
	v_cndmask_b32_e32 v1, 0x7e, v1, vcc_lo
; %bb.2627:
	s_or_b32 exec_lo, exec_lo, s2
	global_store_b8 v[10:11], v1, off
.LBB62_2628:
	s_mov_b32 s2, 0
.LBB62_2629:
	s_delay_alu instid0(SALU_CYCLE_1)
	s_and_not1_b32 vcc_lo, exec_lo, s2
	s_cbranch_vccnz .LBB62_2639
; %bb.2630:
	s_wait_xcnt 0x0
	v_cvt_f32_u32_e32 v3, v0
	s_mov_b32 s2, exec_lo
                                        ; implicit-def: $vgpr1
	s_delay_alu instid0(VALU_DEP_1)
	v_cmpx_gt_u32_e32 0x47800000, v3
	s_xor_b32 s2, exec_lo, s2
	s_cbranch_execz .LBB62_2636
; %bb.2631:
	s_mov_b32 s3, exec_lo
                                        ; implicit-def: $vgpr1
	v_cmpx_lt_u32_e32 0x387fffff, v3
	s_xor_b32 s3, exec_lo, s3
; %bb.2632:
	v_bfe_u32 v1, v3, 21, 1
	s_delay_alu instid0(VALU_DEP_1) | instskip(NEXT) | instid1(VALU_DEP_1)
	v_add3_u32 v1, v3, v1, 0x80fffff
                                        ; implicit-def: $vgpr3
	v_lshrrev_b32_e32 v1, 21, v1
; %bb.2633:
	s_and_not1_saveexec_b32 s3, s3
; %bb.2634:
	v_add_f32_e32 v1, 0x43000000, v3
; %bb.2635:
	s_or_b32 exec_lo, exec_lo, s3
                                        ; implicit-def: $vgpr3
.LBB62_2636:
	s_and_not1_saveexec_b32 s2, s2
; %bb.2637:
	v_mov_b32_e32 v1, 0x7f
	v_cmp_lt_u32_e32 vcc_lo, 0x7f800000, v3
	s_delay_alu instid0(VALU_DEP_2)
	v_cndmask_b32_e32 v1, 0x7c, v1, vcc_lo
; %bb.2638:
	s_or_b32 exec_lo, exec_lo, s2
	global_store_b8 v[10:11], v1, off
.LBB62_2639:
	s_mov_b32 s2, 0
	s_mov_b32 s3, -1
.LBB62_2640:
	s_and_not1_b32 vcc_lo, exec_lo, s2
	s_mov_b32 s2, 0
	s_cbranch_vccnz .LBB62_2647
; %bb.2641:
	s_cmp_gt_i32 s1, 14
	s_mov_b32 s2, -1
	s_cbranch_scc0 .LBB62_2645
; %bb.2642:
	s_cmp_eq_u32 s1, 15
	s_mov_b32 s0, -1
	s_cbranch_scc0 .LBB62_2644
; %bb.2643:
	s_wait_xcnt 0x0
	v_cvt_f32_u32_e32 v1, v0
	s_mov_b32 s0, 0
	s_mov_b32 s3, -1
	s_delay_alu instid0(VALU_DEP_1) | instskip(NEXT) | instid1(VALU_DEP_1)
	v_bfe_u32 v3, v1, 16, 1
	v_add3_u32 v1, v1, v3, 0x7fff
	global_store_d16_hi_b16 v[10:11], v1, off
.LBB62_2644:
	s_mov_b32 s2, 0
.LBB62_2645:
	s_delay_alu instid0(SALU_CYCLE_1)
	s_and_b32 vcc_lo, exec_lo, s2
	s_mov_b32 s2, 0
	s_cbranch_vccz .LBB62_2647
; %bb.2646:
	s_cmp_lg_u32 s1, 11
	s_mov_b32 s2, -1
	s_cselect_b32 s0, -1, 0
.LBB62_2647:
	s_delay_alu instid0(SALU_CYCLE_1)
	s_and_b32 vcc_lo, exec_lo, s0
	s_cbranch_vccnz .LBB62_3056
; %bb.2648:
	s_and_not1_b32 vcc_lo, exec_lo, s2
	s_cbranch_vccnz .LBB62_2650
.LBB62_2649:
	v_cmp_ne_u32_e32 vcc_lo, 0, v0
	s_mov_b32 s3, -1
	s_wait_xcnt 0x0
	v_cndmask_b32_e64 v1, 0, 1, vcc_lo
	global_store_b8 v[10:11], v1, off
.LBB62_2650:
	s_mov_b32 s0, 0
	s_branch .LBB62_2697
.LBB62_2651:
	s_mov_b32 s0, 0
	s_mov_b32 s2, 0
                                        ; implicit-def: $sgpr16
                                        ; implicit-def: $vgpr0_vgpr1
                                        ; implicit-def: $vgpr6
.LBB62_2652:
	s_and_not1_b32 s1, s15, exec_lo
	s_and_b32 s3, s12, exec_lo
	s_and_b32 s0, s0, exec_lo
	;; [unrolled: 1-line block ×3, first 2 shown]
	s_or_b32 s15, s1, s3
.LBB62_2653:
	s_wait_xcnt 0x0
	s_or_b32 exec_lo, exec_lo, s14
	s_and_saveexec_b32 s1, s15
	s_cbranch_execz .LBB62_2656
; %bb.2654:
	; divergent unreachable
	s_or_b32 exec_lo, exec_lo, s1
	s_and_saveexec_b32 s1, s12
	s_delay_alu instid0(SALU_CYCLE_1)
	s_xor_b32 s1, exec_lo, s1
	s_cbranch_execnz .LBB62_2657
.LBB62_2655:
	s_or_b32 exec_lo, exec_lo, s1
	s_and_saveexec_b32 s1, s0
	s_cbranch_execnz .LBB62_2658
	s_branch .LBB62_2695
.LBB62_2656:
	s_or_b32 exec_lo, exec_lo, s1
	s_and_saveexec_b32 s1, s12
	s_delay_alu instid0(SALU_CYCLE_1)
	s_xor_b32 s1, exec_lo, s1
	s_cbranch_execz .LBB62_2655
.LBB62_2657:
	v_cmp_ne_u32_e32 vcc_lo, 0, v6
	s_wait_loadcnt 0x0
	v_cndmask_b32_e64 v2, 0, 1, vcc_lo
	global_store_b8 v[0:1], v2, off
	s_wait_xcnt 0x0
	s_or_b32 exec_lo, exec_lo, s1
	s_and_saveexec_b32 s1, s0
	s_cbranch_execz .LBB62_2695
.LBB62_2658:
	s_sext_i32_i16 s1, s16
	s_mov_b32 s0, -1
	s_cmp_lt_i32 s1, 5
	s_cbranch_scc1 .LBB62_2679
; %bb.2659:
	s_cmp_lt_i32 s1, 8
	s_cbranch_scc1 .LBB62_2669
; %bb.2660:
	;; [unrolled: 3-line block ×3, first 2 shown]
	s_cmp_gt_i32 s1, 9
	s_cbranch_scc0 .LBB62_2663
; %bb.2662:
	s_wait_loadcnt 0x0
	v_cvt_f64_u32_e32 v[2:3], v6
	v_mov_b32_e32 v4, 0
	s_mov_b32 s0, 0
	s_delay_alu instid0(VALU_DEP_1)
	v_mov_b32_e32 v5, v4
	global_store_b128 v[0:1], v[2:5], off
.LBB62_2663:
	s_and_not1_b32 vcc_lo, exec_lo, s0
	s_cbranch_vccnz .LBB62_2665
; %bb.2664:
	s_wait_loadcnt 0x0
	v_cvt_f32_u32_e32 v2, v6
	v_mov_b32_e32 v3, 0
	global_store_b64 v[0:1], v[2:3], off
.LBB62_2665:
	s_mov_b32 s0, 0
.LBB62_2666:
	s_delay_alu instid0(SALU_CYCLE_1)
	s_and_not1_b32 vcc_lo, exec_lo, s0
	s_cbranch_vccnz .LBB62_2668
; %bb.2667:
	s_wait_loadcnt 0x0
	v_cvt_f32_u32_e32 v2, v6
	s_delay_alu instid0(VALU_DEP_1) | instskip(NEXT) | instid1(VALU_DEP_1)
	v_cvt_f16_f32_e32 v2, v2
	v_and_b32_e32 v2, 0xffff, v2
	global_store_b32 v[0:1], v2, off
.LBB62_2668:
	s_mov_b32 s0, 0
.LBB62_2669:
	s_delay_alu instid0(SALU_CYCLE_1)
	s_and_not1_b32 vcc_lo, exec_lo, s0
	s_cbranch_vccnz .LBB62_2678
; %bb.2670:
	s_sext_i32_i16 s1, s16
	s_mov_b32 s0, -1
	s_cmp_lt_i32 s1, 6
	s_cbranch_scc1 .LBB62_2676
; %bb.2671:
	s_cmp_gt_i32 s1, 6
	s_cbranch_scc0 .LBB62_2673
; %bb.2672:
	s_wait_loadcnt 0x0
	v_cvt_f64_u32_e32 v[2:3], v6
	s_mov_b32 s0, 0
	global_store_b64 v[0:1], v[2:3], off
.LBB62_2673:
	s_and_not1_b32 vcc_lo, exec_lo, s0
	s_cbranch_vccnz .LBB62_2675
; %bb.2674:
	s_wait_loadcnt 0x0
	v_cvt_f32_u32_e32 v2, v6
	global_store_b32 v[0:1], v2, off
.LBB62_2675:
	s_mov_b32 s0, 0
.LBB62_2676:
	s_delay_alu instid0(SALU_CYCLE_1)
	s_and_not1_b32 vcc_lo, exec_lo, s0
	s_cbranch_vccnz .LBB62_2678
; %bb.2677:
	s_wait_loadcnt 0x0
	v_cvt_f32_u32_e32 v2, v6
	s_delay_alu instid0(VALU_DEP_1)
	v_cvt_f16_f32_e32 v2, v2
	global_store_b16 v[0:1], v2, off
.LBB62_2678:
	s_mov_b32 s0, 0
.LBB62_2679:
	s_delay_alu instid0(SALU_CYCLE_1)
	s_and_not1_b32 vcc_lo, exec_lo, s0
	s_cbranch_vccnz .LBB62_2695
; %bb.2680:
	s_sext_i32_i16 s1, s16
	s_mov_b32 s0, -1
	s_cmp_lt_i32 s1, 2
	s_cbranch_scc1 .LBB62_2690
; %bb.2681:
	s_cmp_lt_i32 s1, 3
	s_cbranch_scc1 .LBB62_2687
; %bb.2682:
	s_cmp_gt_i32 s1, 3
	s_cbranch_scc0 .LBB62_2684
; %bb.2683:
	v_mov_b32_e32 v7, 0
	s_mov_b32 s0, 0
	s_wait_loadcnt 0x0
	global_store_b64 v[0:1], v[6:7], off
.LBB62_2684:
	s_and_not1_b32 vcc_lo, exec_lo, s0
	s_cbranch_vccnz .LBB62_2686
; %bb.2685:
	s_wait_loadcnt 0x0
	global_store_b32 v[0:1], v6, off
.LBB62_2686:
	s_mov_b32 s0, 0
.LBB62_2687:
	s_delay_alu instid0(SALU_CYCLE_1)
	s_and_not1_b32 vcc_lo, exec_lo, s0
	s_cbranch_vccnz .LBB62_2689
; %bb.2688:
	s_wait_loadcnt 0x0
	global_store_b16 v[0:1], v6, off
.LBB62_2689:
	s_mov_b32 s0, 0
.LBB62_2690:
	s_delay_alu instid0(SALU_CYCLE_1)
	s_and_not1_b32 vcc_lo, exec_lo, s0
	s_cbranch_vccnz .LBB62_2695
; %bb.2691:
	s_sext_i32_i16 s0, s16
	s_delay_alu instid0(SALU_CYCLE_1)
	s_cmp_gt_i32 s0, 0
	s_mov_b32 s0, -1
	s_cbranch_scc0 .LBB62_2693
; %bb.2692:
	s_mov_b32 s0, 0
	s_wait_loadcnt 0x0
	global_store_b8 v[0:1], v6, off
.LBB62_2693:
	s_and_not1_b32 vcc_lo, exec_lo, s0
	s_cbranch_vccnz .LBB62_2695
; %bb.2694:
	s_wait_loadcnt 0x0
	global_store_b8 v[0:1], v6, off
	s_endpgm
.LBB62_2695:
	s_endpgm
.LBB62_2696:
	s_mov_b32 s0, -1
	s_mov_b32 s3, 0
.LBB62_2697:
	s_and_b32 vcc_lo, exec_lo, s0
	s_cbranch_vccz .LBB62_2736
; %bb.2698:
	s_and_b32 s0, 0xffff, s16
	s_mov_b32 s1, -1
	s_cmp_lt_i32 s0, 5
	s_cbranch_scc1 .LBB62_2719
; %bb.2699:
	s_cmp_lt_i32 s0, 8
	s_cbranch_scc1 .LBB62_2709
; %bb.2700:
	;; [unrolled: 3-line block ×3, first 2 shown]
	s_cmp_gt_i32 s0, 9
	s_cbranch_scc0 .LBB62_2703
; %bb.2702:
	v_cvt_f64_u32_e32 v[12:13], v0
	v_mov_b32_e32 v14, 0
	s_mov_b32 s1, 0
	s_delay_alu instid0(VALU_DEP_1)
	v_mov_b32_e32 v15, v14
	global_store_b128 v[10:11], v[12:15], off
.LBB62_2703:
	s_and_not1_b32 vcc_lo, exec_lo, s1
	s_cbranch_vccnz .LBB62_2705
; %bb.2704:
	s_wait_xcnt 0x0
	v_cvt_f32_u32_e32 v12, v0
	v_mov_b32_e32 v13, 0
	global_store_b64 v[10:11], v[12:13], off
.LBB62_2705:
	s_mov_b32 s1, 0
.LBB62_2706:
	s_delay_alu instid0(SALU_CYCLE_1)
	s_and_not1_b32 vcc_lo, exec_lo, s1
	s_cbranch_vccnz .LBB62_2708
; %bb.2707:
	s_wait_xcnt 0x0
	v_cvt_f32_u32_e32 v1, v0
	s_delay_alu instid0(VALU_DEP_1) | instskip(NEXT) | instid1(VALU_DEP_1)
	v_cvt_f16_f32_e32 v1, v1
	v_and_b32_e32 v1, 0xffff, v1
	global_store_b32 v[10:11], v1, off
.LBB62_2708:
	s_mov_b32 s1, 0
.LBB62_2709:
	s_delay_alu instid0(SALU_CYCLE_1)
	s_and_not1_b32 vcc_lo, exec_lo, s1
	s_cbranch_vccnz .LBB62_2718
; %bb.2710:
	s_cmp_lt_i32 s0, 6
	s_mov_b32 s1, -1
	s_cbranch_scc1 .LBB62_2716
; %bb.2711:
	s_cmp_gt_i32 s0, 6
	s_cbranch_scc0 .LBB62_2713
; %bb.2712:
	s_wait_xcnt 0x0
	v_cvt_f64_u32_e32 v[12:13], v0
	s_mov_b32 s1, 0
	global_store_b64 v[10:11], v[12:13], off
.LBB62_2713:
	s_and_not1_b32 vcc_lo, exec_lo, s1
	s_cbranch_vccnz .LBB62_2715
; %bb.2714:
	s_wait_xcnt 0x0
	v_cvt_f32_u32_e32 v1, v0
	global_store_b32 v[10:11], v1, off
.LBB62_2715:
	s_mov_b32 s1, 0
.LBB62_2716:
	s_delay_alu instid0(SALU_CYCLE_1)
	s_and_not1_b32 vcc_lo, exec_lo, s1
	s_cbranch_vccnz .LBB62_2718
; %bb.2717:
	s_wait_xcnt 0x0
	v_cvt_f32_u32_e32 v1, v0
	s_delay_alu instid0(VALU_DEP_1)
	v_cvt_f16_f32_e32 v1, v1
	global_store_b16 v[10:11], v1, off
.LBB62_2718:
	s_mov_b32 s1, 0
.LBB62_2719:
	s_delay_alu instid0(SALU_CYCLE_1)
	s_and_not1_b32 vcc_lo, exec_lo, s1
	s_cbranch_vccnz .LBB62_2735
; %bb.2720:
	s_cmp_lt_i32 s0, 2
	s_mov_b32 s1, -1
	s_cbranch_scc1 .LBB62_2730
; %bb.2721:
	s_cmp_lt_i32 s0, 3
	s_cbranch_scc1 .LBB62_2727
; %bb.2722:
	s_cmp_gt_i32 s0, 3
	s_cbranch_scc0 .LBB62_2724
; %bb.2723:
	s_wait_xcnt 0x0
	v_mov_b32_e32 v1, 0
	s_mov_b32 s1, 0
	global_store_b64 v[10:11], v[0:1], off
.LBB62_2724:
	s_and_not1_b32 vcc_lo, exec_lo, s1
	s_cbranch_vccnz .LBB62_2726
; %bb.2725:
	global_store_b32 v[10:11], v0, off
.LBB62_2726:
	s_mov_b32 s1, 0
.LBB62_2727:
	s_delay_alu instid0(SALU_CYCLE_1)
	s_and_not1_b32 vcc_lo, exec_lo, s1
	s_cbranch_vccnz .LBB62_2729
; %bb.2728:
	global_store_b16 v[10:11], v0, off
.LBB62_2729:
	s_mov_b32 s1, 0
.LBB62_2730:
	s_delay_alu instid0(SALU_CYCLE_1)
	s_and_not1_b32 vcc_lo, exec_lo, s1
	s_cbranch_vccnz .LBB62_2735
; %bb.2731:
	s_cmp_gt_i32 s0, 0
	s_mov_b32 s0, -1
	s_cbranch_scc0 .LBB62_2733
; %bb.2732:
	s_mov_b32 s0, 0
	global_store_b8 v[10:11], v0, off
.LBB62_2733:
	s_and_not1_b32 vcc_lo, exec_lo, s0
	s_cbranch_vccnz .LBB62_2735
; %bb.2734:
	global_store_b8 v[10:11], v0, off
.LBB62_2735:
	s_mov_b32 s3, -1
.LBB62_2736:
	s_delay_alu instid0(SALU_CYCLE_1)
	s_and_not1_b32 vcc_lo, exec_lo, s3
	s_cbranch_vccnz .LBB62_3051
; %bb.2737:
	s_lshl_b32 s1, s8, 7
	s_cmp_lt_i32 s16, 11
	s_wait_xcnt 0x0
	v_add_nc_u32_e32 v0, s1, v8
	s_delay_alu instid0(VALU_DEP_1) | instskip(NEXT) | instid1(VALU_DEP_1)
	v_ashrrev_i32_e32 v1, 31, v0
	v_add_nc_u64_e32 v[8:9], s[4:5], v[0:1]
	s_cbranch_scc1 .LBB62_2815
; %bb.2738:
	s_and_b32 s2, 0xffff, s16
	s_mov_b32 s7, -1
	s_mov_b32 s3, 0
	s_cmp_gt_i32 s2, 25
	s_mov_b32 s6, 0
	s_mov_b32 s0, 0
	s_cbranch_scc0 .LBB62_2771
; %bb.2739:
	s_cmp_gt_i32 s2, 28
	s_cbranch_scc0 .LBB62_2754
; %bb.2740:
	s_cmp_gt_i32 s2, 43
	;; [unrolled: 3-line block ×3, first 2 shown]
	s_cbranch_scc0 .LBB62_2744
; %bb.2742:
	s_mov_b32 s0, -1
	s_mov_b32 s7, 0
	s_cmp_eq_u32 s2, 46
	s_cbranch_scc0 .LBB62_2744
; %bb.2743:
	v_cvt_f32_u32_e32 v1, v2
	s_mov_b32 s0, 0
	s_mov_b32 s6, -1
	s_delay_alu instid0(VALU_DEP_1) | instskip(NEXT) | instid1(VALU_DEP_1)
	v_bfe_u32 v3, v1, 16, 1
	v_add3_u32 v1, v1, v3, 0x7fff
	s_delay_alu instid0(VALU_DEP_1)
	v_lshrrev_b32_e32 v1, 16, v1
	global_store_b32 v[8:9], v1, off
.LBB62_2744:
	s_and_b32 vcc_lo, exec_lo, s7
	s_cbranch_vccz .LBB62_2749
; %bb.2745:
	s_cmp_eq_u32 s2, 44
	s_mov_b32 s0, -1
	s_cbranch_scc0 .LBB62_2749
; %bb.2746:
	v_cvt_f32_u32_e32 v5, v2
	v_mov_b32_e32 v3, 0xff
	s_mov_b32 s6, exec_lo
	s_wait_xcnt 0x0
	s_delay_alu instid0(VALU_DEP_2) | instskip(NEXT) | instid1(VALU_DEP_1)
	v_lshrrev_b32_e32 v1, 23, v5
	v_cmpx_ne_u32_e32 0xff, v1
; %bb.2747:
	v_and_b32_e32 v3, 0x400000, v5
	v_and_or_b32 v5, 0x3fffff, v5, v1
	s_delay_alu instid0(VALU_DEP_2) | instskip(NEXT) | instid1(VALU_DEP_2)
	v_cmp_ne_u32_e32 vcc_lo, 0, v3
	v_cmp_ne_u32_e64 s0, 0, v5
	s_and_b32 s0, vcc_lo, s0
	s_delay_alu instid0(SALU_CYCLE_1) | instskip(NEXT) | instid1(VALU_DEP_1)
	v_cndmask_b32_e64 v3, 0, 1, s0
	v_add_nc_u32_e32 v3, v1, v3
; %bb.2748:
	s_or_b32 exec_lo, exec_lo, s6
	s_mov_b32 s0, 0
	s_mov_b32 s6, -1
	global_store_b8 v[8:9], v3, off
.LBB62_2749:
	s_mov_b32 s7, 0
.LBB62_2750:
	s_delay_alu instid0(SALU_CYCLE_1)
	s_and_b32 vcc_lo, exec_lo, s7
	s_cbranch_vccz .LBB62_2753
; %bb.2751:
	s_cmp_eq_u32 s2, 29
	s_mov_b32 s0, -1
	s_cbranch_scc0 .LBB62_2753
; %bb.2752:
	s_wait_xcnt 0x0
	v_mov_b32_e32 v3, 0
	s_mov_b32 s0, 0
	s_mov_b32 s6, -1
	global_store_b64 v[8:9], v[2:3], off
.LBB62_2753:
	s_mov_b32 s7, 0
.LBB62_2754:
	s_delay_alu instid0(SALU_CYCLE_1)
	s_and_b32 vcc_lo, exec_lo, s7
	s_cbranch_vccz .LBB62_2770
; %bb.2755:
	s_cmp_lt_i32 s2, 27
	s_mov_b32 s6, -1
	s_cbranch_scc1 .LBB62_2761
; %bb.2756:
	s_cmp_gt_i32 s2, 27
	s_cbranch_scc0 .LBB62_2758
; %bb.2757:
	s_mov_b32 s6, 0
	global_store_b32 v[8:9], v2, off
.LBB62_2758:
	s_and_not1_b32 vcc_lo, exec_lo, s6
	s_cbranch_vccnz .LBB62_2760
; %bb.2759:
	global_store_b16 v[8:9], v2, off
.LBB62_2760:
	s_mov_b32 s6, 0
.LBB62_2761:
	s_delay_alu instid0(SALU_CYCLE_1)
	s_and_not1_b32 vcc_lo, exec_lo, s6
	s_cbranch_vccnz .LBB62_2769
; %bb.2762:
	s_wait_xcnt 0x0
	v_cvt_f32_u32_e32 v3, v2
	v_mov_b32_e32 v5, 0x80
	s_mov_b32 s6, exec_lo
	s_delay_alu instid0(VALU_DEP_2)
	v_cmpx_gt_u32_e32 0x43800000, v3
	s_cbranch_execz .LBB62_2768
; %bb.2763:
	s_mov_b32 s7, 0
	s_mov_b32 s8, exec_lo
                                        ; implicit-def: $vgpr1
	v_cmpx_lt_u32_e32 0x3bffffff, v3
	s_xor_b32 s8, exec_lo, s8
	s_cbranch_execz .LBB62_3059
; %bb.2764:
	v_bfe_u32 v1, v3, 20, 1
	s_mov_b32 s7, exec_lo
	s_delay_alu instid0(VALU_DEP_1) | instskip(NEXT) | instid1(VALU_DEP_1)
	v_add3_u32 v1, v3, v1, 0x487ffff
                                        ; implicit-def: $vgpr3
	v_lshrrev_b32_e32 v1, 20, v1
	s_and_not1_saveexec_b32 s8, s8
	s_cbranch_execnz .LBB62_3060
.LBB62_2765:
	s_or_b32 exec_lo, exec_lo, s8
	v_mov_b32_e32 v5, 0
	s_and_saveexec_b32 s8, s7
.LBB62_2766:
	v_mov_b32_e32 v5, v1
.LBB62_2767:
	s_or_b32 exec_lo, exec_lo, s8
.LBB62_2768:
	s_delay_alu instid0(SALU_CYCLE_1)
	s_or_b32 exec_lo, exec_lo, s6
	global_store_b8 v[8:9], v5, off
.LBB62_2769:
	s_mov_b32 s6, -1
.LBB62_2770:
	s_mov_b32 s7, 0
.LBB62_2771:
	s_delay_alu instid0(SALU_CYCLE_1)
	s_and_b32 vcc_lo, exec_lo, s7
	s_cbranch_vccz .LBB62_2811
; %bb.2772:
	s_cmp_gt_i32 s2, 22
	s_mov_b32 s3, -1
	s_cbranch_scc0 .LBB62_2804
; %bb.2773:
	s_cmp_lt_i32 s2, 24
	s_cbranch_scc1 .LBB62_2793
; %bb.2774:
	s_cmp_gt_i32 s2, 24
	s_cbranch_scc0 .LBB62_2782
; %bb.2775:
	s_wait_xcnt 0x0
	v_cvt_f32_u32_e32 v3, v2
	v_mov_b32_e32 v5, 0x80
	s_mov_b32 s3, exec_lo
	s_delay_alu instid0(VALU_DEP_2)
	v_cmpx_gt_u32_e32 0x47800000, v3
	s_cbranch_execz .LBB62_2781
; %bb.2776:
	s_mov_b32 s6, 0
	s_mov_b32 s7, exec_lo
                                        ; implicit-def: $vgpr1
	v_cmpx_lt_u32_e32 0x37ffffff, v3
	s_xor_b32 s7, exec_lo, s7
	s_cbranch_execz .LBB62_3062
; %bb.2777:
	v_bfe_u32 v1, v3, 21, 1
	s_mov_b32 s6, exec_lo
	s_delay_alu instid0(VALU_DEP_1) | instskip(NEXT) | instid1(VALU_DEP_1)
	v_add3_u32 v1, v3, v1, 0x88fffff
                                        ; implicit-def: $vgpr3
	v_lshrrev_b32_e32 v1, 21, v1
	s_and_not1_saveexec_b32 s7, s7
	s_cbranch_execnz .LBB62_3063
.LBB62_2778:
	s_or_b32 exec_lo, exec_lo, s7
	v_mov_b32_e32 v5, 0
	s_and_saveexec_b32 s7, s6
.LBB62_2779:
	v_mov_b32_e32 v5, v1
.LBB62_2780:
	s_or_b32 exec_lo, exec_lo, s7
.LBB62_2781:
	s_delay_alu instid0(SALU_CYCLE_1)
	s_or_b32 exec_lo, exec_lo, s3
	s_mov_b32 s3, 0
	global_store_b8 v[8:9], v5, off
.LBB62_2782:
	s_and_b32 vcc_lo, exec_lo, s3
	s_cbranch_vccz .LBB62_2792
; %bb.2783:
	s_wait_xcnt 0x0
	v_cvt_f32_u32_e32 v3, v2
	s_mov_b32 s3, exec_lo
                                        ; implicit-def: $vgpr1
	s_delay_alu instid0(VALU_DEP_1)
	v_cmpx_gt_u32_e32 0x43f00000, v3
	s_xor_b32 s3, exec_lo, s3
	s_cbranch_execz .LBB62_2789
; %bb.2784:
	s_mov_b32 s6, exec_lo
                                        ; implicit-def: $vgpr1
	v_cmpx_lt_u32_e32 0x3c7fffff, v3
	s_xor_b32 s6, exec_lo, s6
; %bb.2785:
	v_bfe_u32 v1, v3, 20, 1
	s_delay_alu instid0(VALU_DEP_1) | instskip(NEXT) | instid1(VALU_DEP_1)
	v_add3_u32 v1, v3, v1, 0x407ffff
	v_and_b32_e32 v3, 0xff00000, v1
	v_lshrrev_b32_e32 v1, 20, v1
	s_delay_alu instid0(VALU_DEP_2) | instskip(NEXT) | instid1(VALU_DEP_2)
	v_cmp_ne_u32_e32 vcc_lo, 0x7f00000, v3
                                        ; implicit-def: $vgpr3
	v_cndmask_b32_e32 v1, 0x7e, v1, vcc_lo
; %bb.2786:
	s_and_not1_saveexec_b32 s6, s6
; %bb.2787:
	v_add_f32_e32 v1, 0x46800000, v3
; %bb.2788:
	s_or_b32 exec_lo, exec_lo, s6
                                        ; implicit-def: $vgpr3
.LBB62_2789:
	s_and_not1_saveexec_b32 s3, s3
; %bb.2790:
	v_mov_b32_e32 v1, 0x7f
	v_cmp_lt_u32_e32 vcc_lo, 0x7f800000, v3
	s_delay_alu instid0(VALU_DEP_2)
	v_cndmask_b32_e32 v1, 0x7e, v1, vcc_lo
; %bb.2791:
	s_or_b32 exec_lo, exec_lo, s3
	global_store_b8 v[8:9], v1, off
.LBB62_2792:
	s_mov_b32 s3, 0
.LBB62_2793:
	s_delay_alu instid0(SALU_CYCLE_1)
	s_and_not1_b32 vcc_lo, exec_lo, s3
	s_cbranch_vccnz .LBB62_2803
; %bb.2794:
	s_wait_xcnt 0x0
	v_cvt_f32_u32_e32 v3, v2
	s_mov_b32 s3, exec_lo
                                        ; implicit-def: $vgpr1
	s_delay_alu instid0(VALU_DEP_1)
	v_cmpx_gt_u32_e32 0x47800000, v3
	s_xor_b32 s3, exec_lo, s3
	s_cbranch_execz .LBB62_2800
; %bb.2795:
	s_mov_b32 s6, exec_lo
                                        ; implicit-def: $vgpr1
	v_cmpx_lt_u32_e32 0x387fffff, v3
	s_xor_b32 s6, exec_lo, s6
; %bb.2796:
	v_bfe_u32 v1, v3, 21, 1
	s_delay_alu instid0(VALU_DEP_1) | instskip(NEXT) | instid1(VALU_DEP_1)
	v_add3_u32 v1, v3, v1, 0x80fffff
                                        ; implicit-def: $vgpr3
	v_lshrrev_b32_e32 v1, 21, v1
; %bb.2797:
	s_and_not1_saveexec_b32 s6, s6
; %bb.2798:
	v_add_f32_e32 v1, 0x43000000, v3
; %bb.2799:
	s_or_b32 exec_lo, exec_lo, s6
                                        ; implicit-def: $vgpr3
.LBB62_2800:
	s_and_not1_saveexec_b32 s3, s3
; %bb.2801:
	v_mov_b32_e32 v1, 0x7f
	v_cmp_lt_u32_e32 vcc_lo, 0x7f800000, v3
	s_delay_alu instid0(VALU_DEP_2)
	v_cndmask_b32_e32 v1, 0x7c, v1, vcc_lo
; %bb.2802:
	s_or_b32 exec_lo, exec_lo, s3
	global_store_b8 v[8:9], v1, off
.LBB62_2803:
	s_mov_b32 s3, 0
	s_mov_b32 s6, -1
.LBB62_2804:
	s_and_not1_b32 vcc_lo, exec_lo, s3
	s_mov_b32 s3, 0
	s_cbranch_vccnz .LBB62_2811
; %bb.2805:
	s_cmp_gt_i32 s2, 14
	s_mov_b32 s3, -1
	s_cbranch_scc0 .LBB62_2809
; %bb.2806:
	s_cmp_eq_u32 s2, 15
	s_mov_b32 s0, -1
	s_cbranch_scc0 .LBB62_2808
; %bb.2807:
	s_wait_xcnt 0x0
	v_cvt_f32_u32_e32 v1, v2
	s_mov_b32 s0, 0
	s_mov_b32 s6, -1
	s_delay_alu instid0(VALU_DEP_1) | instskip(NEXT) | instid1(VALU_DEP_1)
	v_bfe_u32 v3, v1, 16, 1
	v_add3_u32 v1, v1, v3, 0x7fff
	global_store_d16_hi_b16 v[8:9], v1, off
.LBB62_2808:
	s_mov_b32 s3, 0
.LBB62_2809:
	s_delay_alu instid0(SALU_CYCLE_1)
	s_and_b32 vcc_lo, exec_lo, s3
	s_mov_b32 s3, 0
	s_cbranch_vccz .LBB62_2811
; %bb.2810:
	s_cmp_lg_u32 s2, 11
	s_mov_b32 s3, -1
	s_cselect_b32 s0, -1, 0
.LBB62_2811:
	s_delay_alu instid0(SALU_CYCLE_1)
	s_and_b32 vcc_lo, exec_lo, s0
	s_cbranch_vccnz .LBB62_3061
; %bb.2812:
	s_and_not1_b32 vcc_lo, exec_lo, s3
	s_cbranch_vccnz .LBB62_2814
.LBB62_2813:
	v_cmp_ne_u32_e32 vcc_lo, 0, v2
	s_mov_b32 s6, -1
	s_wait_xcnt 0x0
	v_cndmask_b32_e64 v1, 0, 1, vcc_lo
	global_store_b8 v[8:9], v1, off
.LBB62_2814:
	s_mov_b32 s0, 0
	s_branch .LBB62_2816
.LBB62_2815:
	s_mov_b32 s0, -1
	s_mov_b32 s6, 0
.LBB62_2816:
	s_and_b32 vcc_lo, exec_lo, s0
	s_cbranch_vccz .LBB62_2855
; %bb.2817:
	s_and_b32 s0, 0xffff, s16
	s_mov_b32 s2, -1
	s_cmp_lt_i32 s0, 5
	s_cbranch_scc1 .LBB62_2838
; %bb.2818:
	s_cmp_lt_i32 s0, 8
	s_cbranch_scc1 .LBB62_2828
; %bb.2819:
	;; [unrolled: 3-line block ×3, first 2 shown]
	s_cmp_gt_i32 s0, 9
	s_cbranch_scc0 .LBB62_2822
; %bb.2821:
	v_cvt_f64_u32_e32 v[10:11], v2
	v_mov_b32_e32 v12, 0
	s_mov_b32 s2, 0
	s_delay_alu instid0(VALU_DEP_1)
	v_mov_b32_e32 v13, v12
	global_store_b128 v[8:9], v[10:13], off
.LBB62_2822:
	s_and_not1_b32 vcc_lo, exec_lo, s2
	s_cbranch_vccnz .LBB62_2824
; %bb.2823:
	s_wait_xcnt 0x0
	v_cvt_f32_u32_e32 v10, v2
	v_mov_b32_e32 v11, 0
	global_store_b64 v[8:9], v[10:11], off
.LBB62_2824:
	s_mov_b32 s2, 0
.LBB62_2825:
	s_delay_alu instid0(SALU_CYCLE_1)
	s_and_not1_b32 vcc_lo, exec_lo, s2
	s_cbranch_vccnz .LBB62_2827
; %bb.2826:
	s_wait_xcnt 0x0
	v_cvt_f32_u32_e32 v1, v2
	s_delay_alu instid0(VALU_DEP_1) | instskip(NEXT) | instid1(VALU_DEP_1)
	v_cvt_f16_f32_e32 v1, v1
	v_and_b32_e32 v1, 0xffff, v1
	global_store_b32 v[8:9], v1, off
.LBB62_2827:
	s_mov_b32 s2, 0
.LBB62_2828:
	s_delay_alu instid0(SALU_CYCLE_1)
	s_and_not1_b32 vcc_lo, exec_lo, s2
	s_cbranch_vccnz .LBB62_2837
; %bb.2829:
	s_cmp_lt_i32 s0, 6
	s_mov_b32 s2, -1
	s_cbranch_scc1 .LBB62_2835
; %bb.2830:
	s_cmp_gt_i32 s0, 6
	s_cbranch_scc0 .LBB62_2832
; %bb.2831:
	s_wait_xcnt 0x0
	v_cvt_f64_u32_e32 v[10:11], v2
	s_mov_b32 s2, 0
	global_store_b64 v[8:9], v[10:11], off
.LBB62_2832:
	s_and_not1_b32 vcc_lo, exec_lo, s2
	s_cbranch_vccnz .LBB62_2834
; %bb.2833:
	s_wait_xcnt 0x0
	v_cvt_f32_u32_e32 v1, v2
	global_store_b32 v[8:9], v1, off
.LBB62_2834:
	s_mov_b32 s2, 0
.LBB62_2835:
	s_delay_alu instid0(SALU_CYCLE_1)
	s_and_not1_b32 vcc_lo, exec_lo, s2
	s_cbranch_vccnz .LBB62_2837
; %bb.2836:
	s_wait_xcnt 0x0
	v_cvt_f32_u32_e32 v1, v2
	s_delay_alu instid0(VALU_DEP_1)
	v_cvt_f16_f32_e32 v1, v1
	global_store_b16 v[8:9], v1, off
.LBB62_2837:
	s_mov_b32 s2, 0
.LBB62_2838:
	s_delay_alu instid0(SALU_CYCLE_1)
	s_and_not1_b32 vcc_lo, exec_lo, s2
	s_cbranch_vccnz .LBB62_2854
; %bb.2839:
	s_cmp_lt_i32 s0, 2
	s_mov_b32 s2, -1
	s_cbranch_scc1 .LBB62_2849
; %bb.2840:
	s_cmp_lt_i32 s0, 3
	s_cbranch_scc1 .LBB62_2846
; %bb.2841:
	s_cmp_gt_i32 s0, 3
	s_cbranch_scc0 .LBB62_2843
; %bb.2842:
	s_wait_xcnt 0x0
	v_mov_b32_e32 v3, 0
	s_mov_b32 s2, 0
	global_store_b64 v[8:9], v[2:3], off
.LBB62_2843:
	s_and_not1_b32 vcc_lo, exec_lo, s2
	s_cbranch_vccnz .LBB62_2845
; %bb.2844:
	global_store_b32 v[8:9], v2, off
.LBB62_2845:
	s_mov_b32 s2, 0
.LBB62_2846:
	s_delay_alu instid0(SALU_CYCLE_1)
	s_and_not1_b32 vcc_lo, exec_lo, s2
	s_cbranch_vccnz .LBB62_2848
; %bb.2847:
	global_store_b16 v[8:9], v2, off
.LBB62_2848:
	s_mov_b32 s2, 0
.LBB62_2849:
	s_delay_alu instid0(SALU_CYCLE_1)
	s_and_not1_b32 vcc_lo, exec_lo, s2
	s_cbranch_vccnz .LBB62_2854
; %bb.2850:
	s_cmp_gt_i32 s0, 0
	s_mov_b32 s0, -1
	s_cbranch_scc0 .LBB62_2852
; %bb.2851:
	s_mov_b32 s0, 0
	global_store_b8 v[8:9], v2, off
.LBB62_2852:
	s_and_not1_b32 vcc_lo, exec_lo, s0
	s_cbranch_vccnz .LBB62_2854
; %bb.2853:
	global_store_b8 v[8:9], v2, off
.LBB62_2854:
	s_mov_b32 s6, -1
.LBB62_2855:
	s_delay_alu instid0(SALU_CYCLE_1)
	s_and_not1_b32 vcc_lo, exec_lo, s6
	s_cbranch_vccnz .LBB62_3051
; %bb.2856:
	v_add_nc_u32_e32 v0, s1, v0
	s_cmp_lt_i32 s16, 11
	s_wait_xcnt 0x0
	s_delay_alu instid0(VALU_DEP_1) | instskip(NEXT) | instid1(VALU_DEP_1)
	v_ashrrev_i32_e32 v1, 31, v0
	v_add_nc_u64_e32 v[2:3], s[4:5], v[0:1]
	s_cbranch_scc1 .LBB62_2934
; %bb.2857:
	s_and_b32 s2, 0xffff, s16
	s_mov_b32 s7, -1
	s_mov_b32 s3, 0
	s_cmp_gt_i32 s2, 25
	s_mov_b32 s6, 0
	s_mov_b32 s0, 0
	s_cbranch_scc0 .LBB62_2890
; %bb.2858:
	s_cmp_gt_i32 s2, 28
	s_cbranch_scc0 .LBB62_2873
; %bb.2859:
	s_cmp_gt_i32 s2, 43
	s_cbranch_scc0 .LBB62_2869
; %bb.2860:
	s_cmp_gt_i32 s2, 45
	s_cbranch_scc0 .LBB62_2863
; %bb.2861:
	s_mov_b32 s0, -1
	s_mov_b32 s7, 0
	s_cmp_eq_u32 s2, 46
	s_cbranch_scc0 .LBB62_2863
; %bb.2862:
	v_cvt_f32_u32_e32 v1, v4
	s_mov_b32 s0, 0
	s_mov_b32 s6, -1
	s_delay_alu instid0(VALU_DEP_1) | instskip(NEXT) | instid1(VALU_DEP_1)
	v_bfe_u32 v5, v1, 16, 1
	v_add3_u32 v1, v1, v5, 0x7fff
	s_delay_alu instid0(VALU_DEP_1)
	v_lshrrev_b32_e32 v1, 16, v1
	global_store_b32 v[2:3], v1, off
.LBB62_2863:
	s_and_b32 vcc_lo, exec_lo, s7
	s_cbranch_vccz .LBB62_2868
; %bb.2864:
	s_cmp_eq_u32 s2, 44
	s_mov_b32 s0, -1
	s_cbranch_scc0 .LBB62_2868
; %bb.2865:
	v_cvt_f32_u32_e32 v7, v4
	v_mov_b32_e32 v5, 0xff
	s_mov_b32 s6, exec_lo
	s_wait_xcnt 0x0
	s_delay_alu instid0(VALU_DEP_2) | instskip(NEXT) | instid1(VALU_DEP_1)
	v_lshrrev_b32_e32 v1, 23, v7
	v_cmpx_ne_u32_e32 0xff, v1
; %bb.2866:
	v_and_b32_e32 v5, 0x400000, v7
	v_and_or_b32 v7, 0x3fffff, v7, v1
	s_delay_alu instid0(VALU_DEP_2) | instskip(NEXT) | instid1(VALU_DEP_2)
	v_cmp_ne_u32_e32 vcc_lo, 0, v5
	v_cmp_ne_u32_e64 s0, 0, v7
	s_and_b32 s0, vcc_lo, s0
	s_delay_alu instid0(SALU_CYCLE_1) | instskip(NEXT) | instid1(VALU_DEP_1)
	v_cndmask_b32_e64 v5, 0, 1, s0
	v_add_nc_u32_e32 v5, v1, v5
; %bb.2867:
	s_or_b32 exec_lo, exec_lo, s6
	s_mov_b32 s0, 0
	s_mov_b32 s6, -1
	global_store_b8 v[2:3], v5, off
.LBB62_2868:
	s_mov_b32 s7, 0
.LBB62_2869:
	s_delay_alu instid0(SALU_CYCLE_1)
	s_and_b32 vcc_lo, exec_lo, s7
	s_cbranch_vccz .LBB62_2872
; %bb.2870:
	s_cmp_eq_u32 s2, 29
	s_mov_b32 s0, -1
	s_cbranch_scc0 .LBB62_2872
; %bb.2871:
	s_wait_xcnt 0x0
	v_mov_b32_e32 v5, 0
	s_mov_b32 s0, 0
	s_mov_b32 s6, -1
	global_store_b64 v[2:3], v[4:5], off
.LBB62_2872:
	s_mov_b32 s7, 0
.LBB62_2873:
	s_delay_alu instid0(SALU_CYCLE_1)
	s_and_b32 vcc_lo, exec_lo, s7
	s_cbranch_vccz .LBB62_2889
; %bb.2874:
	s_cmp_lt_i32 s2, 27
	s_mov_b32 s6, -1
	s_cbranch_scc1 .LBB62_2880
; %bb.2875:
	s_cmp_gt_i32 s2, 27
	s_cbranch_scc0 .LBB62_2877
; %bb.2876:
	s_mov_b32 s6, 0
	global_store_b32 v[2:3], v4, off
.LBB62_2877:
	s_and_not1_b32 vcc_lo, exec_lo, s6
	s_cbranch_vccnz .LBB62_2879
; %bb.2878:
	global_store_b16 v[2:3], v4, off
.LBB62_2879:
	s_mov_b32 s6, 0
.LBB62_2880:
	s_delay_alu instid0(SALU_CYCLE_1)
	s_and_not1_b32 vcc_lo, exec_lo, s6
	s_cbranch_vccnz .LBB62_2888
; %bb.2881:
	s_wait_xcnt 0x0
	v_cvt_f32_u32_e32 v5, v4
	v_mov_b32_e32 v7, 0x80
	s_mov_b32 s6, exec_lo
	s_delay_alu instid0(VALU_DEP_2)
	v_cmpx_gt_u32_e32 0x43800000, v5
	s_cbranch_execz .LBB62_2887
; %bb.2882:
	s_mov_b32 s7, 0
	s_mov_b32 s8, exec_lo
                                        ; implicit-def: $vgpr1
	v_cmpx_lt_u32_e32 0x3bffffff, v5
	s_xor_b32 s8, exec_lo, s8
	s_cbranch_execz .LBB62_3064
; %bb.2883:
	v_bfe_u32 v1, v5, 20, 1
	s_mov_b32 s7, exec_lo
	s_delay_alu instid0(VALU_DEP_1) | instskip(NEXT) | instid1(VALU_DEP_1)
	v_add3_u32 v1, v5, v1, 0x487ffff
                                        ; implicit-def: $vgpr5
	v_lshrrev_b32_e32 v1, 20, v1
	s_and_not1_saveexec_b32 s8, s8
	s_cbranch_execnz .LBB62_3065
.LBB62_2884:
	s_or_b32 exec_lo, exec_lo, s8
	v_mov_b32_e32 v7, 0
	s_and_saveexec_b32 s8, s7
.LBB62_2885:
	v_mov_b32_e32 v7, v1
.LBB62_2886:
	s_or_b32 exec_lo, exec_lo, s8
.LBB62_2887:
	s_delay_alu instid0(SALU_CYCLE_1)
	s_or_b32 exec_lo, exec_lo, s6
	global_store_b8 v[2:3], v7, off
.LBB62_2888:
	s_mov_b32 s6, -1
.LBB62_2889:
	s_mov_b32 s7, 0
.LBB62_2890:
	s_delay_alu instid0(SALU_CYCLE_1)
	s_and_b32 vcc_lo, exec_lo, s7
	s_cbranch_vccz .LBB62_2930
; %bb.2891:
	s_cmp_gt_i32 s2, 22
	s_mov_b32 s3, -1
	s_cbranch_scc0 .LBB62_2923
; %bb.2892:
	s_cmp_lt_i32 s2, 24
	s_cbranch_scc1 .LBB62_2912
; %bb.2893:
	s_cmp_gt_i32 s2, 24
	s_cbranch_scc0 .LBB62_2901
; %bb.2894:
	s_wait_xcnt 0x0
	v_cvt_f32_u32_e32 v5, v4
	v_mov_b32_e32 v7, 0x80
	s_mov_b32 s3, exec_lo
	s_delay_alu instid0(VALU_DEP_2)
	v_cmpx_gt_u32_e32 0x47800000, v5
	s_cbranch_execz .LBB62_2900
; %bb.2895:
	s_mov_b32 s6, 0
	s_mov_b32 s7, exec_lo
                                        ; implicit-def: $vgpr1
	v_cmpx_lt_u32_e32 0x37ffffff, v5
	s_xor_b32 s7, exec_lo, s7
	s_cbranch_execz .LBB62_3067
; %bb.2896:
	v_bfe_u32 v1, v5, 21, 1
	s_mov_b32 s6, exec_lo
	s_delay_alu instid0(VALU_DEP_1) | instskip(NEXT) | instid1(VALU_DEP_1)
	v_add3_u32 v1, v5, v1, 0x88fffff
                                        ; implicit-def: $vgpr5
	v_lshrrev_b32_e32 v1, 21, v1
	s_and_not1_saveexec_b32 s7, s7
	s_cbranch_execnz .LBB62_3068
.LBB62_2897:
	s_or_b32 exec_lo, exec_lo, s7
	v_mov_b32_e32 v7, 0
	s_and_saveexec_b32 s7, s6
.LBB62_2898:
	v_mov_b32_e32 v7, v1
.LBB62_2899:
	s_or_b32 exec_lo, exec_lo, s7
.LBB62_2900:
	s_delay_alu instid0(SALU_CYCLE_1)
	s_or_b32 exec_lo, exec_lo, s3
	s_mov_b32 s3, 0
	global_store_b8 v[2:3], v7, off
.LBB62_2901:
	s_and_b32 vcc_lo, exec_lo, s3
	s_cbranch_vccz .LBB62_2911
; %bb.2902:
	s_wait_xcnt 0x0
	v_cvt_f32_u32_e32 v5, v4
	s_mov_b32 s3, exec_lo
                                        ; implicit-def: $vgpr1
	s_delay_alu instid0(VALU_DEP_1)
	v_cmpx_gt_u32_e32 0x43f00000, v5
	s_xor_b32 s3, exec_lo, s3
	s_cbranch_execz .LBB62_2908
; %bb.2903:
	s_mov_b32 s6, exec_lo
                                        ; implicit-def: $vgpr1
	v_cmpx_lt_u32_e32 0x3c7fffff, v5
	s_xor_b32 s6, exec_lo, s6
; %bb.2904:
	v_bfe_u32 v1, v5, 20, 1
	s_delay_alu instid0(VALU_DEP_1) | instskip(NEXT) | instid1(VALU_DEP_1)
	v_add3_u32 v1, v5, v1, 0x407ffff
	v_and_b32_e32 v5, 0xff00000, v1
	v_lshrrev_b32_e32 v1, 20, v1
	s_delay_alu instid0(VALU_DEP_2) | instskip(NEXT) | instid1(VALU_DEP_2)
	v_cmp_ne_u32_e32 vcc_lo, 0x7f00000, v5
                                        ; implicit-def: $vgpr5
	v_cndmask_b32_e32 v1, 0x7e, v1, vcc_lo
; %bb.2905:
	s_and_not1_saveexec_b32 s6, s6
; %bb.2906:
	v_add_f32_e32 v1, 0x46800000, v5
; %bb.2907:
	s_or_b32 exec_lo, exec_lo, s6
                                        ; implicit-def: $vgpr5
.LBB62_2908:
	s_and_not1_saveexec_b32 s3, s3
; %bb.2909:
	v_mov_b32_e32 v1, 0x7f
	v_cmp_lt_u32_e32 vcc_lo, 0x7f800000, v5
	s_delay_alu instid0(VALU_DEP_2)
	v_cndmask_b32_e32 v1, 0x7e, v1, vcc_lo
; %bb.2910:
	s_or_b32 exec_lo, exec_lo, s3
	global_store_b8 v[2:3], v1, off
.LBB62_2911:
	s_mov_b32 s3, 0
.LBB62_2912:
	s_delay_alu instid0(SALU_CYCLE_1)
	s_and_not1_b32 vcc_lo, exec_lo, s3
	s_cbranch_vccnz .LBB62_2922
; %bb.2913:
	s_wait_xcnt 0x0
	v_cvt_f32_u32_e32 v5, v4
	s_mov_b32 s3, exec_lo
                                        ; implicit-def: $vgpr1
	s_delay_alu instid0(VALU_DEP_1)
	v_cmpx_gt_u32_e32 0x47800000, v5
	s_xor_b32 s3, exec_lo, s3
	s_cbranch_execz .LBB62_2919
; %bb.2914:
	s_mov_b32 s6, exec_lo
                                        ; implicit-def: $vgpr1
	v_cmpx_lt_u32_e32 0x387fffff, v5
	s_xor_b32 s6, exec_lo, s6
; %bb.2915:
	v_bfe_u32 v1, v5, 21, 1
	s_delay_alu instid0(VALU_DEP_1) | instskip(NEXT) | instid1(VALU_DEP_1)
	v_add3_u32 v1, v5, v1, 0x80fffff
                                        ; implicit-def: $vgpr5
	v_lshrrev_b32_e32 v1, 21, v1
; %bb.2916:
	s_and_not1_saveexec_b32 s6, s6
; %bb.2917:
	v_add_f32_e32 v1, 0x43000000, v5
; %bb.2918:
	s_or_b32 exec_lo, exec_lo, s6
                                        ; implicit-def: $vgpr5
.LBB62_2919:
	s_and_not1_saveexec_b32 s3, s3
; %bb.2920:
	v_mov_b32_e32 v1, 0x7f
	v_cmp_lt_u32_e32 vcc_lo, 0x7f800000, v5
	s_delay_alu instid0(VALU_DEP_2)
	v_cndmask_b32_e32 v1, 0x7c, v1, vcc_lo
; %bb.2921:
	s_or_b32 exec_lo, exec_lo, s3
	global_store_b8 v[2:3], v1, off
.LBB62_2922:
	s_mov_b32 s3, 0
	s_mov_b32 s6, -1
.LBB62_2923:
	s_and_not1_b32 vcc_lo, exec_lo, s3
	s_mov_b32 s3, 0
	s_cbranch_vccnz .LBB62_2930
; %bb.2924:
	s_cmp_gt_i32 s2, 14
	s_mov_b32 s3, -1
	s_cbranch_scc0 .LBB62_2928
; %bb.2925:
	s_cmp_eq_u32 s2, 15
	s_mov_b32 s0, -1
	s_cbranch_scc0 .LBB62_2927
; %bb.2926:
	s_wait_xcnt 0x0
	v_cvt_f32_u32_e32 v1, v4
	s_mov_b32 s0, 0
	s_mov_b32 s6, -1
	s_delay_alu instid0(VALU_DEP_1) | instskip(NEXT) | instid1(VALU_DEP_1)
	v_bfe_u32 v5, v1, 16, 1
	v_add3_u32 v1, v1, v5, 0x7fff
	global_store_d16_hi_b16 v[2:3], v1, off
.LBB62_2927:
	s_mov_b32 s3, 0
.LBB62_2928:
	s_delay_alu instid0(SALU_CYCLE_1)
	s_and_b32 vcc_lo, exec_lo, s3
	s_mov_b32 s3, 0
	s_cbranch_vccz .LBB62_2930
; %bb.2929:
	s_cmp_lg_u32 s2, 11
	s_mov_b32 s3, -1
	s_cselect_b32 s0, -1, 0
.LBB62_2930:
	s_delay_alu instid0(SALU_CYCLE_1)
	s_and_b32 vcc_lo, exec_lo, s0
	s_cbranch_vccnz .LBB62_3066
; %bb.2931:
	s_and_not1_b32 vcc_lo, exec_lo, s3
	s_cbranch_vccnz .LBB62_2933
.LBB62_2932:
	v_cmp_ne_u32_e32 vcc_lo, 0, v4
	s_mov_b32 s6, -1
	s_wait_xcnt 0x0
	v_cndmask_b32_e64 v1, 0, 1, vcc_lo
	global_store_b8 v[2:3], v1, off
.LBB62_2933:
	s_mov_b32 s0, 0
	s_branch .LBB62_2935
.LBB62_2934:
	s_mov_b32 s0, -1
	s_mov_b32 s6, 0
.LBB62_2935:
	s_and_b32 vcc_lo, exec_lo, s0
	s_cbranch_vccz .LBB62_2974
; %bb.2936:
	s_and_b32 s0, 0xffff, s16
	s_mov_b32 s2, -1
	s_cmp_lt_i32 s0, 5
	s_cbranch_scc1 .LBB62_2957
; %bb.2937:
	s_cmp_lt_i32 s0, 8
	s_cbranch_scc1 .LBB62_2947
; %bb.2938:
	;; [unrolled: 3-line block ×3, first 2 shown]
	s_cmp_gt_i32 s0, 9
	s_cbranch_scc0 .LBB62_2941
; %bb.2940:
	v_cvt_f64_u32_e32 v[8:9], v4
	v_mov_b32_e32 v10, 0
	s_mov_b32 s2, 0
	s_delay_alu instid0(VALU_DEP_1)
	v_mov_b32_e32 v11, v10
	global_store_b128 v[2:3], v[8:11], off
.LBB62_2941:
	s_and_not1_b32 vcc_lo, exec_lo, s2
	s_cbranch_vccnz .LBB62_2943
; %bb.2942:
	s_wait_xcnt 0x0
	v_cvt_f32_u32_e32 v8, v4
	v_mov_b32_e32 v9, 0
	global_store_b64 v[2:3], v[8:9], off
.LBB62_2943:
	s_mov_b32 s2, 0
.LBB62_2944:
	s_delay_alu instid0(SALU_CYCLE_1)
	s_and_not1_b32 vcc_lo, exec_lo, s2
	s_cbranch_vccnz .LBB62_2946
; %bb.2945:
	s_wait_xcnt 0x0
	v_cvt_f32_u32_e32 v1, v4
	s_delay_alu instid0(VALU_DEP_1) | instskip(NEXT) | instid1(VALU_DEP_1)
	v_cvt_f16_f32_e32 v1, v1
	v_and_b32_e32 v1, 0xffff, v1
	global_store_b32 v[2:3], v1, off
.LBB62_2946:
	s_mov_b32 s2, 0
.LBB62_2947:
	s_delay_alu instid0(SALU_CYCLE_1)
	s_and_not1_b32 vcc_lo, exec_lo, s2
	s_cbranch_vccnz .LBB62_2956
; %bb.2948:
	s_cmp_lt_i32 s0, 6
	s_mov_b32 s2, -1
	s_cbranch_scc1 .LBB62_2954
; %bb.2949:
	s_cmp_gt_i32 s0, 6
	s_cbranch_scc0 .LBB62_2951
; %bb.2950:
	s_wait_xcnt 0x0
	v_cvt_f64_u32_e32 v[8:9], v4
	s_mov_b32 s2, 0
	global_store_b64 v[2:3], v[8:9], off
.LBB62_2951:
	s_and_not1_b32 vcc_lo, exec_lo, s2
	s_cbranch_vccnz .LBB62_2953
; %bb.2952:
	s_wait_xcnt 0x0
	v_cvt_f32_u32_e32 v1, v4
	global_store_b32 v[2:3], v1, off
.LBB62_2953:
	s_mov_b32 s2, 0
.LBB62_2954:
	s_delay_alu instid0(SALU_CYCLE_1)
	s_and_not1_b32 vcc_lo, exec_lo, s2
	s_cbranch_vccnz .LBB62_2956
; %bb.2955:
	s_wait_xcnt 0x0
	v_cvt_f32_u32_e32 v1, v4
	s_delay_alu instid0(VALU_DEP_1)
	v_cvt_f16_f32_e32 v1, v1
	global_store_b16 v[2:3], v1, off
.LBB62_2956:
	s_mov_b32 s2, 0
.LBB62_2957:
	s_delay_alu instid0(SALU_CYCLE_1)
	s_and_not1_b32 vcc_lo, exec_lo, s2
	s_cbranch_vccnz .LBB62_2973
; %bb.2958:
	s_cmp_lt_i32 s0, 2
	s_mov_b32 s2, -1
	s_cbranch_scc1 .LBB62_2968
; %bb.2959:
	s_cmp_lt_i32 s0, 3
	s_cbranch_scc1 .LBB62_2965
; %bb.2960:
	s_cmp_gt_i32 s0, 3
	s_cbranch_scc0 .LBB62_2962
; %bb.2961:
	s_wait_xcnt 0x0
	v_mov_b32_e32 v5, 0
	s_mov_b32 s2, 0
	global_store_b64 v[2:3], v[4:5], off
.LBB62_2962:
	s_and_not1_b32 vcc_lo, exec_lo, s2
	s_cbranch_vccnz .LBB62_2964
; %bb.2963:
	global_store_b32 v[2:3], v4, off
.LBB62_2964:
	s_mov_b32 s2, 0
.LBB62_2965:
	s_delay_alu instid0(SALU_CYCLE_1)
	s_and_not1_b32 vcc_lo, exec_lo, s2
	s_cbranch_vccnz .LBB62_2967
; %bb.2966:
	global_store_b16 v[2:3], v4, off
.LBB62_2967:
	s_mov_b32 s2, 0
.LBB62_2968:
	s_delay_alu instid0(SALU_CYCLE_1)
	s_and_not1_b32 vcc_lo, exec_lo, s2
	s_cbranch_vccnz .LBB62_2973
; %bb.2969:
	s_cmp_gt_i32 s0, 0
	s_mov_b32 s0, -1
	s_cbranch_scc0 .LBB62_2971
; %bb.2970:
	s_mov_b32 s0, 0
	global_store_b8 v[2:3], v4, off
.LBB62_2971:
	s_and_not1_b32 vcc_lo, exec_lo, s0
	s_cbranch_vccnz .LBB62_2973
; %bb.2972:
	global_store_b8 v[2:3], v4, off
.LBB62_2973:
	s_mov_b32 s6, -1
.LBB62_2974:
	s_delay_alu instid0(SALU_CYCLE_1)
	s_and_not1_b32 vcc_lo, exec_lo, s6
	s_cbranch_vccnz .LBB62_3051
; %bb.2975:
	v_add_nc_u32_e32 v0, s1, v0
	s_cmp_lt_i32 s16, 11
	s_wait_xcnt 0x0
	s_delay_alu instid0(VALU_DEP_1) | instskip(NEXT) | instid1(VALU_DEP_1)
	v_ashrrev_i32_e32 v1, 31, v0
	v_add_nc_u64_e32 v[0:1], s[4:5], v[0:1]
	s_cbranch_scc1 .LBB62_3052
; %bb.2976:
	s_and_b32 s1, 0xffff, s16
	s_mov_b32 s3, -1
	s_mov_b32 s2, 0
	s_cmp_gt_i32 s1, 25
	s_mov_b32 s0, 0
	s_cbranch_scc0 .LBB62_3009
; %bb.2977:
	s_cmp_gt_i32 s1, 28
	s_cbranch_scc0 .LBB62_2993
; %bb.2978:
	s_cmp_gt_i32 s1, 43
	;; [unrolled: 3-line block ×3, first 2 shown]
	s_cbranch_scc0 .LBB62_2983
; %bb.2980:
	s_cmp_eq_u32 s1, 46
	s_mov_b32 s0, -1
	s_cbranch_scc0 .LBB62_2982
; %bb.2981:
	v_cvt_f32_u32_e32 v2, v6
	s_mov_b32 s0, 0
	s_delay_alu instid0(VALU_DEP_1) | instskip(NEXT) | instid1(VALU_DEP_1)
	v_bfe_u32 v3, v2, 16, 1
	v_add3_u32 v2, v2, v3, 0x7fff
	s_delay_alu instid0(VALU_DEP_1)
	v_lshrrev_b32_e32 v2, 16, v2
	global_store_b32 v[0:1], v2, off
.LBB62_2982:
	s_mov_b32 s3, 0
.LBB62_2983:
	s_delay_alu instid0(SALU_CYCLE_1)
	s_and_b32 vcc_lo, exec_lo, s3
	s_cbranch_vccz .LBB62_2988
; %bb.2984:
	s_cmp_eq_u32 s1, 44
	s_mov_b32 s0, -1
	s_cbranch_scc0 .LBB62_2988
; %bb.2985:
	v_cvt_f32_u32_e32 v4, v6
	s_mov_b32 s3, exec_lo
	s_wait_xcnt 0x0
	s_delay_alu instid0(VALU_DEP_1) | instskip(NEXT) | instid1(VALU_DEP_1)
	v_dual_mov_b32 v3, 0xff :: v_dual_lshrrev_b32 v2, 23, v4
	v_cmpx_ne_u32_e32 0xff, v2
; %bb.2986:
	v_and_b32_e32 v3, 0x400000, v4
	v_and_or_b32 v4, 0x3fffff, v4, v2
	s_delay_alu instid0(VALU_DEP_2) | instskip(NEXT) | instid1(VALU_DEP_2)
	v_cmp_ne_u32_e32 vcc_lo, 0, v3
	v_cmp_ne_u32_e64 s0, 0, v4
	s_and_b32 s0, vcc_lo, s0
	s_delay_alu instid0(SALU_CYCLE_1) | instskip(NEXT) | instid1(VALU_DEP_1)
	v_cndmask_b32_e64 v3, 0, 1, s0
	v_add_nc_u32_e32 v3, v2, v3
; %bb.2987:
	s_or_b32 exec_lo, exec_lo, s3
	s_mov_b32 s0, 0
	global_store_b8 v[0:1], v3, off
.LBB62_2988:
	s_mov_b32 s3, 0
.LBB62_2989:
	s_delay_alu instid0(SALU_CYCLE_1)
	s_and_b32 vcc_lo, exec_lo, s3
	s_cbranch_vccz .LBB62_2992
; %bb.2990:
	s_cmp_eq_u32 s1, 29
	s_mov_b32 s0, -1
	s_cbranch_scc0 .LBB62_2992
; %bb.2991:
	v_mov_b32_e32 v7, 0
	s_mov_b32 s0, 0
	global_store_b64 v[0:1], v[6:7], off
.LBB62_2992:
	s_mov_b32 s3, 0
.LBB62_2993:
	s_delay_alu instid0(SALU_CYCLE_1)
	s_and_b32 vcc_lo, exec_lo, s3
	s_cbranch_vccz .LBB62_3008
; %bb.2994:
	s_cmp_lt_i32 s1, 27
	s_mov_b32 s3, -1
	s_cbranch_scc1 .LBB62_3000
; %bb.2995:
	s_cmp_gt_i32 s1, 27
	s_cbranch_scc0 .LBB62_2997
; %bb.2996:
	s_mov_b32 s3, 0
	global_store_b32 v[0:1], v6, off
.LBB62_2997:
	s_and_not1_b32 vcc_lo, exec_lo, s3
	s_cbranch_vccnz .LBB62_2999
; %bb.2998:
	global_store_b16 v[0:1], v6, off
.LBB62_2999:
	s_mov_b32 s3, 0
.LBB62_3000:
	s_delay_alu instid0(SALU_CYCLE_1)
	s_and_not1_b32 vcc_lo, exec_lo, s3
	s_cbranch_vccnz .LBB62_3008
; %bb.3001:
	s_wait_xcnt 0x0
	v_cvt_f32_u32_e32 v3, v6
	v_mov_b32_e32 v4, 0x80
	s_mov_b32 s3, exec_lo
	s_delay_alu instid0(VALU_DEP_2)
	v_cmpx_gt_u32_e32 0x43800000, v3
	s_cbranch_execz .LBB62_3007
; %bb.3002:
	s_mov_b32 s4, 0
	s_mov_b32 s5, exec_lo
                                        ; implicit-def: $vgpr2
	v_cmpx_lt_u32_e32 0x3bffffff, v3
	s_xor_b32 s5, exec_lo, s5
	s_cbranch_execz .LBB62_3069
; %bb.3003:
	v_bfe_u32 v2, v3, 20, 1
	s_mov_b32 s4, exec_lo
	s_delay_alu instid0(VALU_DEP_1) | instskip(NEXT) | instid1(VALU_DEP_1)
	v_add3_u32 v2, v3, v2, 0x487ffff
                                        ; implicit-def: $vgpr3
	v_lshrrev_b32_e32 v2, 20, v2
	s_and_not1_saveexec_b32 s5, s5
	s_cbranch_execnz .LBB62_3070
.LBB62_3004:
	s_or_b32 exec_lo, exec_lo, s5
	v_mov_b32_e32 v4, 0
	s_and_saveexec_b32 s5, s4
.LBB62_3005:
	v_mov_b32_e32 v4, v2
.LBB62_3006:
	s_or_b32 exec_lo, exec_lo, s5
.LBB62_3007:
	s_delay_alu instid0(SALU_CYCLE_1)
	s_or_b32 exec_lo, exec_lo, s3
	global_store_b8 v[0:1], v4, off
.LBB62_3008:
	s_mov_b32 s3, 0
.LBB62_3009:
	s_delay_alu instid0(SALU_CYCLE_1)
	s_and_b32 vcc_lo, exec_lo, s3
	s_cbranch_vccz .LBB62_3049
; %bb.3010:
	s_cmp_gt_i32 s1, 22
	s_mov_b32 s2, -1
	s_cbranch_scc0 .LBB62_3042
; %bb.3011:
	s_cmp_lt_i32 s1, 24
	s_cbranch_scc1 .LBB62_3031
; %bb.3012:
	s_cmp_gt_i32 s1, 24
	s_cbranch_scc0 .LBB62_3020
; %bb.3013:
	s_wait_xcnt 0x0
	v_cvt_f32_u32_e32 v3, v6
	v_mov_b32_e32 v4, 0x80
	s_mov_b32 s2, exec_lo
	s_delay_alu instid0(VALU_DEP_2)
	v_cmpx_gt_u32_e32 0x47800000, v3
	s_cbranch_execz .LBB62_3019
; %bb.3014:
	s_mov_b32 s3, 0
	s_mov_b32 s4, exec_lo
                                        ; implicit-def: $vgpr2
	v_cmpx_lt_u32_e32 0x37ffffff, v3
	s_xor_b32 s4, exec_lo, s4
	s_cbranch_execz .LBB62_3072
; %bb.3015:
	v_bfe_u32 v2, v3, 21, 1
	s_mov_b32 s3, exec_lo
	s_delay_alu instid0(VALU_DEP_1) | instskip(NEXT) | instid1(VALU_DEP_1)
	v_add3_u32 v2, v3, v2, 0x88fffff
                                        ; implicit-def: $vgpr3
	v_lshrrev_b32_e32 v2, 21, v2
	s_and_not1_saveexec_b32 s4, s4
	s_cbranch_execnz .LBB62_3073
.LBB62_3016:
	s_or_b32 exec_lo, exec_lo, s4
	v_mov_b32_e32 v4, 0
	s_and_saveexec_b32 s4, s3
.LBB62_3017:
	v_mov_b32_e32 v4, v2
.LBB62_3018:
	s_or_b32 exec_lo, exec_lo, s4
.LBB62_3019:
	s_delay_alu instid0(SALU_CYCLE_1)
	s_or_b32 exec_lo, exec_lo, s2
	s_mov_b32 s2, 0
	global_store_b8 v[0:1], v4, off
.LBB62_3020:
	s_and_b32 vcc_lo, exec_lo, s2
	s_cbranch_vccz .LBB62_3030
; %bb.3021:
	s_wait_xcnt 0x0
	v_cvt_f32_u32_e32 v3, v6
	s_mov_b32 s2, exec_lo
                                        ; implicit-def: $vgpr2
	s_delay_alu instid0(VALU_DEP_1)
	v_cmpx_gt_u32_e32 0x43f00000, v3
	s_xor_b32 s2, exec_lo, s2
	s_cbranch_execz .LBB62_3027
; %bb.3022:
	s_mov_b32 s3, exec_lo
                                        ; implicit-def: $vgpr2
	v_cmpx_lt_u32_e32 0x3c7fffff, v3
	s_xor_b32 s3, exec_lo, s3
; %bb.3023:
	v_bfe_u32 v2, v3, 20, 1
	s_delay_alu instid0(VALU_DEP_1) | instskip(NEXT) | instid1(VALU_DEP_1)
	v_add3_u32 v2, v3, v2, 0x407ffff
	v_and_b32_e32 v3, 0xff00000, v2
	v_lshrrev_b32_e32 v2, 20, v2
	s_delay_alu instid0(VALU_DEP_2) | instskip(NEXT) | instid1(VALU_DEP_2)
	v_cmp_ne_u32_e32 vcc_lo, 0x7f00000, v3
                                        ; implicit-def: $vgpr3
	v_cndmask_b32_e32 v2, 0x7e, v2, vcc_lo
; %bb.3024:
	s_and_not1_saveexec_b32 s3, s3
; %bb.3025:
	v_add_f32_e32 v2, 0x46800000, v3
; %bb.3026:
	s_or_b32 exec_lo, exec_lo, s3
                                        ; implicit-def: $vgpr3
.LBB62_3027:
	s_and_not1_saveexec_b32 s2, s2
; %bb.3028:
	v_mov_b32_e32 v2, 0x7f
	v_cmp_lt_u32_e32 vcc_lo, 0x7f800000, v3
	s_delay_alu instid0(VALU_DEP_2)
	v_cndmask_b32_e32 v2, 0x7e, v2, vcc_lo
; %bb.3029:
	s_or_b32 exec_lo, exec_lo, s2
	global_store_b8 v[0:1], v2, off
.LBB62_3030:
	s_mov_b32 s2, 0
.LBB62_3031:
	s_delay_alu instid0(SALU_CYCLE_1)
	s_and_not1_b32 vcc_lo, exec_lo, s2
	s_cbranch_vccnz .LBB62_3041
; %bb.3032:
	s_wait_xcnt 0x0
	v_cvt_f32_u32_e32 v3, v6
	s_mov_b32 s2, exec_lo
                                        ; implicit-def: $vgpr2
	s_delay_alu instid0(VALU_DEP_1)
	v_cmpx_gt_u32_e32 0x47800000, v3
	s_xor_b32 s2, exec_lo, s2
	s_cbranch_execz .LBB62_3038
; %bb.3033:
	s_mov_b32 s3, exec_lo
                                        ; implicit-def: $vgpr2
	v_cmpx_lt_u32_e32 0x387fffff, v3
	s_xor_b32 s3, exec_lo, s3
; %bb.3034:
	v_bfe_u32 v2, v3, 21, 1
	s_delay_alu instid0(VALU_DEP_1) | instskip(NEXT) | instid1(VALU_DEP_1)
	v_add3_u32 v2, v3, v2, 0x80fffff
                                        ; implicit-def: $vgpr3
	v_lshrrev_b32_e32 v2, 21, v2
; %bb.3035:
	s_and_not1_saveexec_b32 s3, s3
; %bb.3036:
	v_add_f32_e32 v2, 0x43000000, v3
; %bb.3037:
	s_or_b32 exec_lo, exec_lo, s3
                                        ; implicit-def: $vgpr3
.LBB62_3038:
	s_and_not1_saveexec_b32 s2, s2
; %bb.3039:
	v_mov_b32_e32 v2, 0x7f
	v_cmp_lt_u32_e32 vcc_lo, 0x7f800000, v3
	s_delay_alu instid0(VALU_DEP_2)
	v_cndmask_b32_e32 v2, 0x7c, v2, vcc_lo
; %bb.3040:
	s_or_b32 exec_lo, exec_lo, s2
	global_store_b8 v[0:1], v2, off
.LBB62_3041:
	s_mov_b32 s2, 0
.LBB62_3042:
	s_delay_alu instid0(SALU_CYCLE_1)
	s_and_not1_b32 vcc_lo, exec_lo, s2
	s_mov_b32 s2, 0
	s_cbranch_vccnz .LBB62_3049
; %bb.3043:
	s_cmp_gt_i32 s1, 14
	s_mov_b32 s2, -1
	s_cbranch_scc0 .LBB62_3047
; %bb.3044:
	s_cmp_eq_u32 s1, 15
	s_mov_b32 s0, -1
	s_cbranch_scc0 .LBB62_3046
; %bb.3045:
	s_wait_xcnt 0x0
	v_cvt_f32_u32_e32 v2, v6
	s_mov_b32 s0, 0
	s_delay_alu instid0(VALU_DEP_1) | instskip(NEXT) | instid1(VALU_DEP_1)
	v_bfe_u32 v3, v2, 16, 1
	v_add3_u32 v2, v2, v3, 0x7fff
	global_store_d16_hi_b16 v[0:1], v2, off
.LBB62_3046:
	s_mov_b32 s2, 0
.LBB62_3047:
	s_delay_alu instid0(SALU_CYCLE_1)
	s_and_b32 vcc_lo, exec_lo, s2
	s_mov_b32 s2, 0
	s_cbranch_vccz .LBB62_3049
; %bb.3048:
	s_cmp_lg_u32 s1, 11
	s_mov_b32 s2, -1
	s_cselect_b32 s0, -1, 0
.LBB62_3049:
	s_delay_alu instid0(SALU_CYCLE_1)
	s_and_b32 vcc_lo, exec_lo, s0
	s_cbranch_vccnz .LBB62_3071
.LBB62_3050:
	s_mov_b32 s0, 0
	s_branch .LBB62_2652
.LBB62_3051:
	s_mov_b32 s0, 0
	s_mov_b32 s2, 0
                                        ; implicit-def: $sgpr16
                                        ; implicit-def: $vgpr0_vgpr1
	s_branch .LBB62_2652
.LBB62_3052:
	s_mov_b32 s2, 0
	s_mov_b32 s0, -1
	s_branch .LBB62_2652
.LBB62_3053:
	s_or_b32 s12, s12, exec_lo
	s_trap 2
	s_cbranch_execz .LBB62_2515
	s_branch .LBB62_2516
.LBB62_3054:
	s_and_not1_saveexec_b32 s7, s7
	s_cbranch_execz .LBB62_2601
.LBB62_3055:
	v_add_f32_e32 v1, 0x46000000, v3
	s_and_not1_b32 s6, s6, exec_lo
	s_delay_alu instid0(VALU_DEP_1) | instskip(NEXT) | instid1(VALU_DEP_1)
	v_and_b32_e32 v1, 0xff, v1
	v_cmp_ne_u32_e32 vcc_lo, 0, v1
	s_and_b32 s9, vcc_lo, exec_lo
	s_delay_alu instid0(SALU_CYCLE_1)
	s_or_b32 s6, s6, s9
	s_or_b32 exec_lo, exec_lo, s7
	v_mov_b32_e32 v5, 0
	s_and_saveexec_b32 s7, s6
	s_cbranch_execnz .LBB62_2602
	s_branch .LBB62_2603
.LBB62_3056:
	s_or_b32 s12, s12, exec_lo
	s_trap 2
	s_cbranch_execz .LBB62_2649
	s_branch .LBB62_2650
.LBB62_3057:
	s_and_not1_saveexec_b32 s6, s6
	s_cbranch_execz .LBB62_2614
.LBB62_3058:
	v_add_f32_e32 v1, 0x42800000, v3
	s_and_not1_b32 s3, s3, exec_lo
	s_delay_alu instid0(VALU_DEP_1) | instskip(NEXT) | instid1(VALU_DEP_1)
	v_and_b32_e32 v1, 0xff, v1
	v_cmp_ne_u32_e32 vcc_lo, 0, v1
	s_and_b32 s7, vcc_lo, exec_lo
	s_delay_alu instid0(SALU_CYCLE_1)
	s_or_b32 s3, s3, s7
	s_or_b32 exec_lo, exec_lo, s6
	v_mov_b32_e32 v5, 0
	s_and_saveexec_b32 s6, s3
	s_cbranch_execnz .LBB62_2615
	s_branch .LBB62_2616
.LBB62_3059:
	s_and_not1_saveexec_b32 s8, s8
	s_cbranch_execz .LBB62_2765
.LBB62_3060:
	v_add_f32_e32 v1, 0x46000000, v3
	s_and_not1_b32 s7, s7, exec_lo
	s_delay_alu instid0(VALU_DEP_1) | instskip(NEXT) | instid1(VALU_DEP_1)
	v_and_b32_e32 v1, 0xff, v1
	v_cmp_ne_u32_e32 vcc_lo, 0, v1
	s_and_b32 s9, vcc_lo, exec_lo
	s_delay_alu instid0(SALU_CYCLE_1)
	s_or_b32 s7, s7, s9
	s_or_b32 exec_lo, exec_lo, s8
	v_mov_b32_e32 v5, 0
	s_and_saveexec_b32 s8, s7
	s_cbranch_execnz .LBB62_2766
	s_branch .LBB62_2767
.LBB62_3061:
	s_or_b32 s12, s12, exec_lo
	s_trap 2
	s_cbranch_execz .LBB62_2813
	s_branch .LBB62_2814
.LBB62_3062:
	s_and_not1_saveexec_b32 s7, s7
	s_cbranch_execz .LBB62_2778
.LBB62_3063:
	v_add_f32_e32 v1, 0x42800000, v3
	s_and_not1_b32 s6, s6, exec_lo
	s_delay_alu instid0(VALU_DEP_1) | instskip(NEXT) | instid1(VALU_DEP_1)
	v_and_b32_e32 v1, 0xff, v1
	v_cmp_ne_u32_e32 vcc_lo, 0, v1
	s_and_b32 s8, vcc_lo, exec_lo
	s_delay_alu instid0(SALU_CYCLE_1)
	s_or_b32 s6, s6, s8
	s_or_b32 exec_lo, exec_lo, s7
	v_mov_b32_e32 v5, 0
	s_and_saveexec_b32 s7, s6
	s_cbranch_execnz .LBB62_2779
	s_branch .LBB62_2780
.LBB62_3064:
	s_and_not1_saveexec_b32 s8, s8
	s_cbranch_execz .LBB62_2884
.LBB62_3065:
	v_add_f32_e32 v1, 0x46000000, v5
	s_and_not1_b32 s7, s7, exec_lo
	s_delay_alu instid0(VALU_DEP_1) | instskip(NEXT) | instid1(VALU_DEP_1)
	v_and_b32_e32 v1, 0xff, v1
	v_cmp_ne_u32_e32 vcc_lo, 0, v1
	s_and_b32 s9, vcc_lo, exec_lo
	s_delay_alu instid0(SALU_CYCLE_1)
	s_or_b32 s7, s7, s9
	s_or_b32 exec_lo, exec_lo, s8
	v_mov_b32_e32 v7, 0
	s_and_saveexec_b32 s8, s7
	s_cbranch_execnz .LBB62_2885
	s_branch .LBB62_2886
.LBB62_3066:
	s_or_b32 s12, s12, exec_lo
	s_trap 2
	s_cbranch_execz .LBB62_2932
	s_branch .LBB62_2933
.LBB62_3067:
	s_and_not1_saveexec_b32 s7, s7
	s_cbranch_execz .LBB62_2897
.LBB62_3068:
	v_add_f32_e32 v1, 0x42800000, v5
	s_and_not1_b32 s6, s6, exec_lo
	s_delay_alu instid0(VALU_DEP_1) | instskip(NEXT) | instid1(VALU_DEP_1)
	v_and_b32_e32 v1, 0xff, v1
	v_cmp_ne_u32_e32 vcc_lo, 0, v1
	s_and_b32 s8, vcc_lo, exec_lo
	s_delay_alu instid0(SALU_CYCLE_1)
	s_or_b32 s6, s6, s8
	s_or_b32 exec_lo, exec_lo, s7
	v_mov_b32_e32 v7, 0
	s_and_saveexec_b32 s7, s6
	s_cbranch_execnz .LBB62_2898
	s_branch .LBB62_2899
.LBB62_3069:
	s_and_not1_saveexec_b32 s5, s5
	s_cbranch_execz .LBB62_3004
.LBB62_3070:
	v_add_f32_e32 v2, 0x46000000, v3
	s_and_not1_b32 s4, s4, exec_lo
	s_delay_alu instid0(VALU_DEP_1) | instskip(NEXT) | instid1(VALU_DEP_1)
	v_and_b32_e32 v2, 0xff, v2
	v_cmp_ne_u32_e32 vcc_lo, 0, v2
	s_and_b32 s6, vcc_lo, exec_lo
	s_delay_alu instid0(SALU_CYCLE_1)
	s_or_b32 s4, s4, s6
	s_or_b32 exec_lo, exec_lo, s5
	v_mov_b32_e32 v4, 0
	s_and_saveexec_b32 s5, s4
	s_cbranch_execnz .LBB62_3005
	s_branch .LBB62_3006
.LBB62_3071:
	s_mov_b32 s2, 0
	s_or_b32 s12, s12, exec_lo
	s_trap 2
	s_branch .LBB62_3050
.LBB62_3072:
	s_and_not1_saveexec_b32 s4, s4
	s_cbranch_execz .LBB62_3016
.LBB62_3073:
	v_add_f32_e32 v2, 0x42800000, v3
	s_and_not1_b32 s3, s3, exec_lo
	s_delay_alu instid0(VALU_DEP_1) | instskip(NEXT) | instid1(VALU_DEP_1)
	v_and_b32_e32 v2, 0xff, v2
	v_cmp_ne_u32_e32 vcc_lo, 0, v2
	s_and_b32 s5, vcc_lo, exec_lo
	s_delay_alu instid0(SALU_CYCLE_1)
	s_or_b32 s3, s3, s5
	s_or_b32 exec_lo, exec_lo, s4
	v_mov_b32_e32 v4, 0
	s_and_saveexec_b32 s4, s3
	s_cbranch_execnz .LBB62_3017
	s_branch .LBB62_3018
	.section	.rodata,"a",@progbits
	.p2align	6, 0x0
	.amdhsa_kernel _ZN2at6native32elementwise_kernel_manual_unrollILi128ELi4EZNS0_15gpu_kernel_implIZZZNS0_15lcm_kernel_cudaERNS_18TensorIteratorBaseEENKUlvE_clEvENKUlvE1_clEvEUliiE_EEvS4_RKT_EUlibE_EEviT1_
		.amdhsa_group_segment_fixed_size 0
		.amdhsa_private_segment_fixed_size 0
		.amdhsa_kernarg_size 48
		.amdhsa_user_sgpr_count 2
		.amdhsa_user_sgpr_dispatch_ptr 0
		.amdhsa_user_sgpr_queue_ptr 0
		.amdhsa_user_sgpr_kernarg_segment_ptr 1
		.amdhsa_user_sgpr_dispatch_id 0
		.amdhsa_user_sgpr_kernarg_preload_length 0
		.amdhsa_user_sgpr_kernarg_preload_offset 0
		.amdhsa_user_sgpr_private_segment_size 0
		.amdhsa_wavefront_size32 1
		.amdhsa_uses_dynamic_stack 0
		.amdhsa_enable_private_segment 0
		.amdhsa_system_sgpr_workgroup_id_x 1
		.amdhsa_system_sgpr_workgroup_id_y 0
		.amdhsa_system_sgpr_workgroup_id_z 0
		.amdhsa_system_sgpr_workgroup_info 0
		.amdhsa_system_vgpr_workitem_id 0
		.amdhsa_next_free_vgpr 16
		.amdhsa_next_free_sgpr 35
		.amdhsa_named_barrier_count 0
		.amdhsa_reserve_vcc 1
		.amdhsa_float_round_mode_32 0
		.amdhsa_float_round_mode_16_64 0
		.amdhsa_float_denorm_mode_32 3
		.amdhsa_float_denorm_mode_16_64 3
		.amdhsa_fp16_overflow 0
		.amdhsa_memory_ordered 1
		.amdhsa_forward_progress 1
		.amdhsa_inst_pref_size 255
		.amdhsa_round_robin_scheduling 0
		.amdhsa_exception_fp_ieee_invalid_op 0
		.amdhsa_exception_fp_denorm_src 0
		.amdhsa_exception_fp_ieee_div_zero 0
		.amdhsa_exception_fp_ieee_overflow 0
		.amdhsa_exception_fp_ieee_underflow 0
		.amdhsa_exception_fp_ieee_inexact 0
		.amdhsa_exception_int_div_zero 0
	.end_amdhsa_kernel
	.section	.text._ZN2at6native32elementwise_kernel_manual_unrollILi128ELi4EZNS0_15gpu_kernel_implIZZZNS0_15lcm_kernel_cudaERNS_18TensorIteratorBaseEENKUlvE_clEvENKUlvE1_clEvEUliiE_EEvS4_RKT_EUlibE_EEviT1_,"axG",@progbits,_ZN2at6native32elementwise_kernel_manual_unrollILi128ELi4EZNS0_15gpu_kernel_implIZZZNS0_15lcm_kernel_cudaERNS_18TensorIteratorBaseEENKUlvE_clEvENKUlvE1_clEvEUliiE_EEvS4_RKT_EUlibE_EEviT1_,comdat
.Lfunc_end62:
	.size	_ZN2at6native32elementwise_kernel_manual_unrollILi128ELi4EZNS0_15gpu_kernel_implIZZZNS0_15lcm_kernel_cudaERNS_18TensorIteratorBaseEENKUlvE_clEvENKUlvE1_clEvEUliiE_EEvS4_RKT_EUlibE_EEviT1_, .Lfunc_end62-_ZN2at6native32elementwise_kernel_manual_unrollILi128ELi4EZNS0_15gpu_kernel_implIZZZNS0_15lcm_kernel_cudaERNS_18TensorIteratorBaseEENKUlvE_clEvENKUlvE1_clEvEUliiE_EEvS4_RKT_EUlibE_EEviT1_
                                        ; -- End function
	.set _ZN2at6native32elementwise_kernel_manual_unrollILi128ELi4EZNS0_15gpu_kernel_implIZZZNS0_15lcm_kernel_cudaERNS_18TensorIteratorBaseEENKUlvE_clEvENKUlvE1_clEvEUliiE_EEvS4_RKT_EUlibE_EEviT1_.num_vgpr, 16
	.set _ZN2at6native32elementwise_kernel_manual_unrollILi128ELi4EZNS0_15gpu_kernel_implIZZZNS0_15lcm_kernel_cudaERNS_18TensorIteratorBaseEENKUlvE_clEvENKUlvE1_clEvEUliiE_EEvS4_RKT_EUlibE_EEviT1_.num_agpr, 0
	.set _ZN2at6native32elementwise_kernel_manual_unrollILi128ELi4EZNS0_15gpu_kernel_implIZZZNS0_15lcm_kernel_cudaERNS_18TensorIteratorBaseEENKUlvE_clEvENKUlvE1_clEvEUliiE_EEvS4_RKT_EUlibE_EEviT1_.numbered_sgpr, 35
	.set _ZN2at6native32elementwise_kernel_manual_unrollILi128ELi4EZNS0_15gpu_kernel_implIZZZNS0_15lcm_kernel_cudaERNS_18TensorIteratorBaseEENKUlvE_clEvENKUlvE1_clEvEUliiE_EEvS4_RKT_EUlibE_EEviT1_.num_named_barrier, 0
	.set _ZN2at6native32elementwise_kernel_manual_unrollILi128ELi4EZNS0_15gpu_kernel_implIZZZNS0_15lcm_kernel_cudaERNS_18TensorIteratorBaseEENKUlvE_clEvENKUlvE1_clEvEUliiE_EEvS4_RKT_EUlibE_EEviT1_.private_seg_size, 0
	.set _ZN2at6native32elementwise_kernel_manual_unrollILi128ELi4EZNS0_15gpu_kernel_implIZZZNS0_15lcm_kernel_cudaERNS_18TensorIteratorBaseEENKUlvE_clEvENKUlvE1_clEvEUliiE_EEvS4_RKT_EUlibE_EEviT1_.uses_vcc, 1
	.set _ZN2at6native32elementwise_kernel_manual_unrollILi128ELi4EZNS0_15gpu_kernel_implIZZZNS0_15lcm_kernel_cudaERNS_18TensorIteratorBaseEENKUlvE_clEvENKUlvE1_clEvEUliiE_EEvS4_RKT_EUlibE_EEviT1_.uses_flat_scratch, 0
	.set _ZN2at6native32elementwise_kernel_manual_unrollILi128ELi4EZNS0_15gpu_kernel_implIZZZNS0_15lcm_kernel_cudaERNS_18TensorIteratorBaseEENKUlvE_clEvENKUlvE1_clEvEUliiE_EEvS4_RKT_EUlibE_EEviT1_.has_dyn_sized_stack, 0
	.set _ZN2at6native32elementwise_kernel_manual_unrollILi128ELi4EZNS0_15gpu_kernel_implIZZZNS0_15lcm_kernel_cudaERNS_18TensorIteratorBaseEENKUlvE_clEvENKUlvE1_clEvEUliiE_EEvS4_RKT_EUlibE_EEviT1_.has_recursion, 0
	.set _ZN2at6native32elementwise_kernel_manual_unrollILi128ELi4EZNS0_15gpu_kernel_implIZZZNS0_15lcm_kernel_cudaERNS_18TensorIteratorBaseEENKUlvE_clEvENKUlvE1_clEvEUliiE_EEvS4_RKT_EUlibE_EEviT1_.has_indirect_call, 0
	.section	.AMDGPU.csdata,"",@progbits
; Kernel info:
; codeLenInByte = 54084
; TotalNumSgprs: 37
; NumVgprs: 16
; ScratchSize: 0
; MemoryBound: 1
; FloatMode: 240
; IeeeMode: 1
; LDSByteSize: 0 bytes/workgroup (compile time only)
; SGPRBlocks: 0
; VGPRBlocks: 0
; NumSGPRsForWavesPerEU: 37
; NumVGPRsForWavesPerEU: 16
; NamedBarCnt: 0
; Occupancy: 16
; WaveLimiterHint : 0
; COMPUTE_PGM_RSRC2:SCRATCH_EN: 0
; COMPUTE_PGM_RSRC2:USER_SGPR: 2
; COMPUTE_PGM_RSRC2:TRAP_HANDLER: 0
; COMPUTE_PGM_RSRC2:TGID_X_EN: 1
; COMPUTE_PGM_RSRC2:TGID_Y_EN: 0
; COMPUTE_PGM_RSRC2:TGID_Z_EN: 0
; COMPUTE_PGM_RSRC2:TIDIG_COMP_CNT: 0
	.section	.text._ZN2at6native32elementwise_kernel_manual_unrollILi128ELi4EZNS0_15gpu_kernel_implIZZZNS0_15lcm_kernel_cudaERNS_18TensorIteratorBaseEENKUlvE_clEvENKUlvE1_clEvEUliiE_EEvS4_RKT_EUlibE0_EEviT1_,"axG",@progbits,_ZN2at6native32elementwise_kernel_manual_unrollILi128ELi4EZNS0_15gpu_kernel_implIZZZNS0_15lcm_kernel_cudaERNS_18TensorIteratorBaseEENKUlvE_clEvENKUlvE1_clEvEUliiE_EEvS4_RKT_EUlibE0_EEviT1_,comdat
	.globl	_ZN2at6native32elementwise_kernel_manual_unrollILi128ELi4EZNS0_15gpu_kernel_implIZZZNS0_15lcm_kernel_cudaERNS_18TensorIteratorBaseEENKUlvE_clEvENKUlvE1_clEvEUliiE_EEvS4_RKT_EUlibE0_EEviT1_ ; -- Begin function _ZN2at6native32elementwise_kernel_manual_unrollILi128ELi4EZNS0_15gpu_kernel_implIZZZNS0_15lcm_kernel_cudaERNS_18TensorIteratorBaseEENKUlvE_clEvENKUlvE1_clEvEUliiE_EEvS4_RKT_EUlibE0_EEviT1_
	.p2align	8
	.type	_ZN2at6native32elementwise_kernel_manual_unrollILi128ELi4EZNS0_15gpu_kernel_implIZZZNS0_15lcm_kernel_cudaERNS_18TensorIteratorBaseEENKUlvE_clEvENKUlvE1_clEvEUliiE_EEvS4_RKT_EUlibE0_EEviT1_,@function
_ZN2at6native32elementwise_kernel_manual_unrollILi128ELi4EZNS0_15gpu_kernel_implIZZZNS0_15lcm_kernel_cudaERNS_18TensorIteratorBaseEENKUlvE_clEvENKUlvE1_clEvEUliiE_EEvS4_RKT_EUlibE0_EEviT1_: ; @_ZN2at6native32elementwise_kernel_manual_unrollILi128ELi4EZNS0_15gpu_kernel_implIZZZNS0_15lcm_kernel_cudaERNS_18TensorIteratorBaseEENKUlvE_clEvENKUlvE1_clEvEUliiE_EEvS4_RKT_EUlibE0_EEviT1_
; %bb.0:
	s_clause 0x1
	s_load_b32 s26, s[0:1], 0x8
	s_load_b32 s36, s[0:1], 0x0
	s_bfe_u32 s2, ttmp6, 0x4000c
	s_and_b32 s3, ttmp6, 15
	s_add_co_i32 s2, s2, 1
	s_getreg_b32 s4, hwreg(HW_REG_IB_STS2, 6, 4)
	s_mul_i32 s2, ttmp9, s2
	s_mov_b32 s28, 0
	s_add_co_i32 s3, s3, s2
	s_cmp_eq_u32 s4, 0
	s_mov_b32 s25, -1
	s_cselect_b32 s2, ttmp9, s3
	s_mov_b32 s8, 0
	v_lshl_or_b32 v0, s2, 9, v0
	s_add_nc_u64 s[2:3], s[0:1], 8
	s_wait_xcnt 0x0
	s_mov_b32 s0, exec_lo
	s_delay_alu instid0(VALU_DEP_1) | instskip(SKIP_2) | instid1(SALU_CYCLE_1)
	v_or_b32_e32 v1, 0x180, v0
	s_wait_kmcnt 0x0
	s_add_co_i32 s27, s26, -1
	s_cmp_gt_u32 s27, 1
	s_cselect_b32 s29, -1, 0
	v_cmpx_le_i32_e64 s36, v1
	s_xor_b32 s30, exec_lo, s0
	s_cbranch_execz .LBB63_1585
; %bb.1:
	v_mov_b32_e32 v1, 0
	s_cmp_lg_u32 s26, 0
	s_mov_b32 s19, 0
	s_cselect_b32 s37, -1, 0
	s_min_u32 s35, s27, 15
	s_clause 0x1
	global_load_u16 v2, v1, s[2:3] offset:417
	global_load_i8 v3, v1, s[2:3] offset:419
	s_clause 0x5
	s_load_b128 s[8:11], s[2:3], 0x4
	s_load_b64 s[0:1], s[2:3], 0x14
	s_load_b128 s[12:15], s[2:3], 0xc4
	s_load_b64 s[20:21], s[2:3], 0xd4
	s_load_b64 s[16:17], s[2:3], 0x198
	s_load_b128 s[4:7], s[2:3], 0x188
	s_cmp_gt_u32 s26, 1
	s_mov_b32 s23, s19
	s_mov_b32 s40, s19
	;; [unrolled: 1-line block ×3, first 2 shown]
	s_cselect_b32 s34, -1, 0
	s_mov_b32 s38, s19
	s_mov_b32 s41, exec_lo
	s_wait_kmcnt 0x0
	s_mov_b32 s18, s9
	s_mov_b32 s22, s0
	s_wait_loadcnt 0x1
	v_readfirstlane_b32 s31, v2
	s_wait_loadcnt 0x0
	v_readfirstlane_b32 s9, v3
	s_lshr_b32 s33, s31, 8
	v_cmpx_gt_i32_e64 s36, v0
	s_cbranch_execz .LBB63_391
; %bb.2:
	s_and_not1_b32 vcc_lo, exec_lo, s29
	s_cbranch_vccnz .LBB63_8
; %bb.3:
	s_and_not1_b32 vcc_lo, exec_lo, s37
	s_cbranch_vccnz .LBB63_9
; %bb.4:
	v_dual_mov_b32 v2, 0 :: v_dual_mov_b32 v1, v0
	v_dual_mov_b32 v6, 0 :: v_dual_mov_b32 v4, 0
	s_add_co_i32 s0, s35, 1
	s_mov_b64 s[24:25], 0xffffffffffffffe8
	s_and_b32 s0, s0, 30
	s_add_nc_u64 s[24:25], s[2:3], s[24:25]
.LBB63_5:                               ; =>This Inner Loop Header: Depth=1
	s_clause 0x3
	s_load_b128 s[44:47], s[24:25], 0x1c
	s_load_b64 s[38:39], s[24:25], 0x2c
	s_load_b128 s[48:51], s[24:25], 0xdc
	s_load_b64 s[42:43], s[24:25], 0xec
	s_add_co_i32 s0, s0, -2
	s_wait_xcnt 0x0
	s_add_nc_u64 s[24:25], s[24:25], 24
	s_cmp_lg_u32 s0, 0
	s_wait_kmcnt 0x0
	v_mul_hi_u32 v3, s45, v1
	s_delay_alu instid0(VALU_DEP_1) | instskip(NEXT) | instid1(VALU_DEP_1)
	v_add_nc_u32_e32 v3, v1, v3
	v_lshrrev_b32_e32 v3, s46, v3
	s_delay_alu instid0(VALU_DEP_1) | instskip(SKIP_1) | instid1(VALU_DEP_1)
	v_mul_hi_u32 v5, s38, v3
	v_mul_lo_u32 v7, v3, s44
	v_dual_add_nc_u32 v5, v3, v5 :: v_dual_sub_nc_u32 v7, v1, v7
	s_delay_alu instid0(VALU_DEP_1) | instskip(NEXT) | instid1(VALU_DEP_2)
	v_lshrrev_b32_e32 v1, s39, v5
	v_mad_u32 v2, v7, s48, v2
	v_mad_u32 v4, v7, s50, v4
	;; [unrolled: 1-line block ×3, first 2 shown]
	s_delay_alu instid0(VALU_DEP_4) | instskip(NEXT) | instid1(VALU_DEP_1)
	v_mul_lo_u32 v5, v1, s47
	v_sub_nc_u32_e32 v3, v3, v5
	s_delay_alu instid0(VALU_DEP_1)
	v_mad_u32 v2, v3, s51, v2
	v_mad_u32 v4, v3, s43, v4
	;; [unrolled: 1-line block ×3, first 2 shown]
	s_cbranch_scc1 .LBB63_5
; %bb.6:
	s_bitcmp1_b32 s35, 0
	s_cselect_b32 s0, -1, 0
	s_delay_alu instid0(SALU_CYCLE_1)
	s_and_b32 vcc_lo, exec_lo, s0
	s_cbranch_vccnz .LBB63_10
; %bb.7:
	s_clause 0x1
	s_load_b96 s[44:46], s[24:25], 0x1c
	s_load_b96 s[48:50], s[24:25], 0xdc
	s_wait_kmcnt 0x0
	v_mul_hi_u32 v3, s45, v1
	s_delay_alu instid0(VALU_DEP_1) | instskip(NEXT) | instid1(VALU_DEP_1)
	v_add_nc_u32_e32 v3, v1, v3
	v_lshrrev_b32_e32 v3, s46, v3
	s_delay_alu instid0(VALU_DEP_1) | instskip(NEXT) | instid1(VALU_DEP_1)
	v_mul_lo_u32 v3, v3, s44
	v_sub_nc_u32_e32 v1, v1, v3
	s_delay_alu instid0(VALU_DEP_1)
	v_mad_u32 v2, v1, s48, v2
	v_mad_u32 v6, v1, s49, v6
	;; [unrolled: 1-line block ×3, first 2 shown]
	s_cbranch_execz .LBB63_11
	s_branch .LBB63_13
.LBB63_8:
                                        ; implicit-def: $vgpr4
                                        ; implicit-def: $vgpr6
                                        ; implicit-def: $vgpr2
	s_branch .LBB63_11
.LBB63_9:
	v_dual_mov_b32 v4, 0 :: v_dual_mov_b32 v6, 0
	v_mov_b32_e32 v2, 0
.LBB63_10:
	s_cbranch_execnz .LBB63_13
.LBB63_11:
	v_mov_b32_e32 v1, 0
	s_and_not1_b32 vcc_lo, exec_lo, s34
	s_delay_alu instid0(VALU_DEP_1) | instskip(NEXT) | instid1(VALU_DEP_1)
	v_mul_u64_e32 v[2:3], s[18:19], v[0:1]
	v_add_nc_u32_e32 v2, v0, v3
	s_delay_alu instid0(VALU_DEP_1) | instskip(NEXT) | instid1(VALU_DEP_1)
	v_lshrrev_b32_e32 v8, s10, v2
	v_mul_lo_u32 v2, v8, s8
	s_delay_alu instid0(VALU_DEP_1) | instskip(NEXT) | instid1(VALU_DEP_1)
	v_sub_nc_u32_e32 v3, v0, v2
	v_mul_lo_u32 v2, v3, s12
	v_mul_lo_u32 v4, v3, s14
	;; [unrolled: 1-line block ×3, first 2 shown]
	s_cbranch_vccnz .LBB63_13
; %bb.12:
	v_mov_b32_e32 v9, v1
	s_delay_alu instid0(VALU_DEP_1) | instskip(NEXT) | instid1(VALU_DEP_1)
	v_mul_u64_e32 v[10:11], s[22:23], v[8:9]
	v_add_nc_u32_e32 v1, v8, v11
	s_delay_alu instid0(VALU_DEP_1) | instskip(NEXT) | instid1(VALU_DEP_1)
	v_lshrrev_b32_e32 v1, s1, v1
	v_mul_lo_u32 v1, v1, s11
	s_delay_alu instid0(VALU_DEP_1) | instskip(NEXT) | instid1(VALU_DEP_1)
	v_sub_nc_u32_e32 v1, v8, v1
	v_mad_u32 v2, v1, s15, v2
	v_mad_u32 v6, v1, s20, v6
	;; [unrolled: 1-line block ×3, first 2 shown]
.LBB63_13:
	v_mov_b32_e32 v7, 0
	s_and_b32 s0, s33, 0xff
	s_delay_alu instid0(SALU_CYCLE_1) | instskip(NEXT) | instid1(VALU_DEP_1)
	s_cmp_lt_i32 s0, 11
	v_add_nc_u64_e32 v[6:7], s[6:7], v[6:7]
	s_cbranch_scc1 .LBB63_20
; %bb.14:
	s_and_b32 s25, 0xffff, s0
	s_delay_alu instid0(SALU_CYCLE_1)
	s_cmp_gt_i32 s25, 25
	s_cbranch_scc0 .LBB63_29
; %bb.15:
	s_cmp_gt_i32 s25, 28
	s_cbranch_scc0 .LBB63_45
; %bb.16:
	;; [unrolled: 3-line block ×4, first 2 shown]
	s_cmp_eq_u32 s25, 46
	s_mov_b32 s39, 0
	s_cbranch_scc0 .LBB63_54
; %bb.19:
	global_load_b32 v1, v[6:7], off
	s_mov_b32 s38, -1
	s_mov_b32 s24, 0
	s_wait_loadcnt 0x0
	v_lshlrev_b32_e32 v1, 16, v1
	s_delay_alu instid0(VALU_DEP_1)
	v_cvt_i32_f32_e32 v1, v1
	s_branch .LBB63_56
.LBB63_20:
	s_mov_b32 s24, 0
	s_mov_b32 s38, 0
                                        ; implicit-def: $vgpr1
	s_cbranch_execnz .LBB63_118
.LBB63_21:
	s_and_not1_b32 vcc_lo, exec_lo, s38
	s_cbranch_vccnz .LBB63_165
.LBB63_22:
	v_mov_b32_e32 v5, 0
	s_and_b32 s0, s9, 0xff
	s_delay_alu instid0(SALU_CYCLE_1) | instskip(NEXT) | instid1(VALU_DEP_1)
	s_cmp_lt_i32 s0, 11
	v_add_nc_u64_e32 v[4:5], s[16:17], v[4:5]
	s_cbranch_scc1 .LBB63_30
; %bb.23:
	s_and_b32 s38, 0xffff, s0
	s_delay_alu instid0(SALU_CYCLE_1)
	s_cmp_gt_i32 s38, 25
	s_cbranch_scc0 .LBB63_46
; %bb.24:
	s_cmp_gt_i32 s38, 28
	s_cbranch_scc0 .LBB63_49
; %bb.25:
	;; [unrolled: 3-line block ×4, first 2 shown]
	s_cmp_eq_u32 s38, 46
	s_mov_b32 s40, 0
	s_cbranch_scc0 .LBB63_166
; %bb.28:
	global_load_b32 v3, v[4:5], off
	s_mov_b32 s39, -1
	s_mov_b32 s25, 0
	s_wait_loadcnt 0x0
	v_lshlrev_b32_e32 v3, 16, v3
	s_delay_alu instid0(VALU_DEP_1)
	v_cvt_i32_f32_e32 v3, v3
	s_branch .LBB63_168
.LBB63_29:
	s_mov_b32 s24, 0
	s_mov_b32 s38, 0
                                        ; implicit-def: $vgpr1
	s_cbranch_execnz .LBB63_85
	s_branch .LBB63_117
.LBB63_30:
	s_mov_b32 s25, 0
	s_mov_b32 s39, 0
                                        ; implicit-def: $vgpr3
	s_cbranch_execnz .LBB63_340
.LBB63_31:
	s_and_not1_b32 vcc_lo, exec_lo, s39
	s_cbranch_vccnz .LBB63_388
.LBB63_32:
	s_wait_loadcnt 0x0
	s_delay_alu instid0(VALU_DEP_1) | instskip(SKIP_2) | instid1(VALU_DEP_1)
	v_dual_sub_nc_u32 v4, 0, v3 :: v_dual_sub_nc_u32 v5, 0, v1
	s_mov_b32 s38, 0
	s_mov_b32 s0, exec_lo
	v_max_i32_e32 v6, v3, v4
	v_cmpx_ne_u32_e32 0, v1
	s_cbranch_execz .LBB63_36
; %bb.33:
	v_max_i32_e32 v7, v1, v5
.LBB63_34:                              ; =>This Inner Loop Header: Depth=1
	s_delay_alu instid0(VALU_DEP_1) | instskip(NEXT) | instid1(VALU_DEP_1)
	v_mov_b32_e32 v4, v7
	v_cvt_f32_u32_e32 v7, v4
	s_delay_alu instid0(VALU_DEP_1) | instskip(SKIP_1) | instid1(TRANS32_DEP_1)
	v_rcp_iflag_f32_e32 v7, v7
	v_nop
	v_dual_mul_f32 v7, 0x4f7ffffe, v7 :: v_dual_sub_nc_u32 v8, 0, v4
	s_delay_alu instid0(VALU_DEP_1) | instskip(NEXT) | instid1(VALU_DEP_1)
	v_cvt_u32_f32_e32 v7, v7
	v_mul_lo_u32 v8, v8, v7
	s_delay_alu instid0(VALU_DEP_1) | instskip(NEXT) | instid1(VALU_DEP_1)
	v_mul_hi_u32 v8, v7, v8
	v_add_nc_u32_e32 v7, v7, v8
	s_delay_alu instid0(VALU_DEP_1) | instskip(NEXT) | instid1(VALU_DEP_1)
	v_mul_hi_u32 v7, v6, v7
	v_mul_lo_u32 v7, v7, v4
	s_delay_alu instid0(VALU_DEP_1) | instskip(NEXT) | instid1(VALU_DEP_1)
	v_sub_nc_u32_e32 v6, v6, v7
	v_sub_nc_u32_e32 v7, v6, v4
	v_cmp_ge_u32_e32 vcc_lo, v6, v4
	s_delay_alu instid0(VALU_DEP_2) | instskip(NEXT) | instid1(VALU_DEP_1)
	v_cndmask_b32_e32 v6, v6, v7, vcc_lo
	v_sub_nc_u32_e32 v7, v6, v4
	v_cmp_ge_u32_e32 vcc_lo, v6, v4
	s_delay_alu instid0(VALU_DEP_2) | instskip(NEXT) | instid1(VALU_DEP_1)
	v_dual_cndmask_b32 v7, v6, v7 :: v_dual_mov_b32 v6, v4
	v_cmp_eq_u32_e32 vcc_lo, 0, v7
	s_or_b32 s38, vcc_lo, s38
	s_delay_alu instid0(SALU_CYCLE_1)
	s_and_not1_b32 exec_lo, exec_lo, s38
	s_cbranch_execnz .LBB63_34
; %bb.35:
	s_or_b32 exec_lo, exec_lo, s38
	v_mov_b32_e32 v6, v4
.LBB63_36:
	s_or_b32 exec_lo, exec_lo, s0
	v_mov_b32_e32 v4, 0
	s_mov_b32 s0, exec_lo
	s_delay_alu instid0(VALU_DEP_2)
	v_cmpx_ne_u32_e32 0, v6
	s_cbranch_execz .LBB63_38
; %bb.37:
	v_dual_sub_nc_u32 v4, 0, v6 :: v_dual_max_i32 v5, v1, v5
	v_xor_b32_e32 v1, v1, v6
	s_delay_alu instid0(VALU_DEP_1) | instskip(NEXT) | instid1(VALU_DEP_1)
	v_dual_ashrrev_i32 v1, 31, v1 :: v_dual_max_i32 v4, v6, v4
	v_cvt_f32_u32_e32 v7, v4
	v_sub_nc_u32_e32 v8, 0, v4
	s_delay_alu instid0(VALU_DEP_2) | instskip(SKIP_1) | instid1(TRANS32_DEP_1)
	v_rcp_iflag_f32_e32 v7, v7
	v_nop
	v_mul_f32_e32 v7, 0x4f7ffffe, v7
	s_delay_alu instid0(VALU_DEP_1) | instskip(NEXT) | instid1(VALU_DEP_1)
	v_cvt_u32_f32_e32 v7, v7
	v_mul_lo_u32 v8, v8, v7
	s_delay_alu instid0(VALU_DEP_1) | instskip(NEXT) | instid1(VALU_DEP_1)
	v_mul_hi_u32 v8, v7, v8
	v_add_nc_u32_e32 v7, v7, v8
	s_delay_alu instid0(VALU_DEP_1) | instskip(NEXT) | instid1(VALU_DEP_1)
	v_mul_hi_u32 v7, v5, v7
	v_mul_lo_u32 v8, v7, v4
	s_delay_alu instid0(VALU_DEP_1) | instskip(NEXT) | instid1(VALU_DEP_1)
	v_dual_sub_nc_u32 v5, v5, v8 :: v_dual_add_nc_u32 v8, 1, v7
	v_cmp_ge_u32_e32 vcc_lo, v5, v4
	s_delay_alu instid0(VALU_DEP_2) | instskip(NEXT) | instid1(VALU_DEP_1)
	v_cndmask_b32_e32 v7, v7, v8, vcc_lo
	v_dual_sub_nc_u32 v9, v5, v4 :: v_dual_add_nc_u32 v6, 1, v7
	s_delay_alu instid0(VALU_DEP_1) | instskip(NEXT) | instid1(VALU_DEP_1)
	v_cndmask_b32_e32 v5, v5, v9, vcc_lo
	v_cmp_ge_u32_e32 vcc_lo, v5, v4
	s_delay_alu instid0(VALU_DEP_3) | instskip(NEXT) | instid1(VALU_DEP_1)
	v_cndmask_b32_e32 v4, v7, v6, vcc_lo
	v_xor_b32_e32 v4, v4, v1
	s_delay_alu instid0(VALU_DEP_1) | instskip(NEXT) | instid1(VALU_DEP_1)
	v_sub_nc_u32_e32 v1, v4, v1
	v_mul_lo_u32 v1, v1, v3
	s_delay_alu instid0(VALU_DEP_1) | instskip(NEXT) | instid1(VALU_DEP_1)
	v_sub_nc_u32_e32 v3, 0, v1
	v_max_i32_e32 v4, v1, v3
.LBB63_38:
	s_or_b32 exec_lo, exec_lo, s0
	v_mov_b32_e32 v3, 0
	s_and_b32 s38, s31, 0xff
	s_delay_alu instid0(SALU_CYCLE_1) | instskip(NEXT) | instid1(VALU_DEP_1)
	s_cmp_lt_i32 s38, 11
	v_add_nc_u64_e32 v[2:3], s[4:5], v[2:3]
	s_cbranch_scc1 .LBB63_47
; %bb.39:
	s_and_b32 s39, 0xffff, s38
	s_delay_alu instid0(SALU_CYCLE_1)
	s_cmp_gt_i32 s39, 25
	s_cbranch_scc0 .LBB63_50
; %bb.40:
	s_cmp_gt_i32 s39, 28
	s_cbranch_scc0 .LBB63_53
; %bb.41:
	;; [unrolled: 3-line block ×4, first 2 shown]
	s_mov_b32 s42, 0
	s_mov_b32 s0, -1
	s_cmp_eq_u32 s39, 46
	s_mov_b32 s40, 0
	s_cbranch_scc0 .LBB63_172
; %bb.44:
	v_cvt_f32_u32_e32 v1, v4
	s_mov_b32 s40, -1
	s_mov_b32 s0, 0
	s_delay_alu instid0(VALU_DEP_1) | instskip(NEXT) | instid1(VALU_DEP_1)
	v_bfe_u32 v5, v1, 16, 1
	v_add3_u32 v1, v1, v5, 0x7fff
	s_delay_alu instid0(VALU_DEP_1)
	v_lshrrev_b32_e32 v1, 16, v1
	global_store_b32 v[2:3], v1, off
	s_branch .LBB63_172
.LBB63_45:
	s_mov_b32 s39, -1
	s_mov_b32 s24, 0
	s_mov_b32 s38, 0
                                        ; implicit-def: $vgpr1
	s_branch .LBB63_68
.LBB63_46:
	s_mov_b32 s40, -1
	s_mov_b32 s25, 0
	s_mov_b32 s39, 0
                                        ; implicit-def: $vgpr3
	s_branch .LBB63_306
.LBB63_47:
	s_mov_b32 s39, -1
	s_mov_b32 s0, 0
	s_mov_b32 s40, 0
	s_branch .LBB63_241
.LBB63_48:
	s_mov_b32 s39, -1
	s_mov_b32 s24, 0
	s_mov_b32 s38, 0
                                        ; implicit-def: $vgpr1
	s_branch .LBB63_63
.LBB63_49:
	s_mov_b32 s40, -1
	s_mov_b32 s25, 0
	s_mov_b32 s39, 0
                                        ; implicit-def: $vgpr3
	s_branch .LBB63_289
.LBB63_50:
	s_mov_b32 s42, -1
	s_mov_b32 s0, 0
	s_mov_b32 s40, 0
	s_branch .LBB63_199
.LBB63_51:
	s_mov_b32 s39, -1
	s_mov_b32 s24, 0
	s_branch .LBB63_55
.LBB63_52:
	s_mov_b32 s40, -1
	s_mov_b32 s25, 0
	s_mov_b32 s39, 0
                                        ; implicit-def: $vgpr3
	s_branch .LBB63_284
.LBB63_53:
	s_mov_b32 s42, -1
	s_mov_b32 s0, 0
	s_mov_b32 s40, 0
	s_branch .LBB63_182
.LBB63_54:
	s_mov_b32 s24, -1
.LBB63_55:
	s_mov_b32 s38, 0
                                        ; implicit-def: $vgpr1
.LBB63_56:
	s_and_b32 vcc_lo, exec_lo, s39
	s_cbranch_vccz .LBB63_62
; %bb.57:
	s_cmp_eq_u32 s25, 44
	s_cbranch_scc0 .LBB63_61
; %bb.58:
	global_load_u8 v1, v[6:7], off
	s_mov_b32 s24, 0
	s_mov_b32 s38, -1
	s_wait_loadcnt 0x0
	v_lshlrev_b32_e32 v3, 23, v1
	v_cmp_ne_u32_e32 vcc_lo, 0, v1
	s_delay_alu instid0(VALU_DEP_2) | instskip(NEXT) | instid1(VALU_DEP_1)
	v_cvt_i32_f32_e32 v3, v3
	v_cndmask_b32_e32 v1, 0, v3, vcc_lo
	s_branch .LBB63_62
.LBB63_59:
	s_mov_b32 s40, -1
	s_mov_b32 s25, 0
	s_branch .LBB63_167
.LBB63_60:
	s_mov_b32 s42, -1
	s_mov_b32 s0, 0
	s_mov_b32 s40, 0
	s_branch .LBB63_178
.LBB63_61:
	s_mov_b32 s24, -1
                                        ; implicit-def: $vgpr1
.LBB63_62:
	s_mov_b32 s39, 0
.LBB63_63:
	s_delay_alu instid0(SALU_CYCLE_1)
	s_and_b32 vcc_lo, exec_lo, s39
	s_cbranch_vccz .LBB63_67
; %bb.64:
	s_cmp_eq_u32 s25, 29
	s_cbranch_scc0 .LBB63_66
; %bb.65:
	global_load_b32 v1, v[6:7], off
	s_mov_b32 s38, -1
	s_mov_b32 s24, 0
	s_branch .LBB63_67
.LBB63_66:
	s_mov_b32 s24, -1
                                        ; implicit-def: $vgpr1
.LBB63_67:
	s_mov_b32 s39, 0
.LBB63_68:
	s_delay_alu instid0(SALU_CYCLE_1)
	s_and_b32 vcc_lo, exec_lo, s39
	s_cbranch_vccz .LBB63_84
; %bb.69:
	s_cmp_lt_i32 s25, 27
	s_cbranch_scc1 .LBB63_72
; %bb.70:
	s_cmp_gt_i32 s25, 27
	s_cbranch_scc0 .LBB63_73
; %bb.71:
	s_wait_loadcnt 0x0
	global_load_b32 v1, v[6:7], off
	s_mov_b32 s38, 0
	s_branch .LBB63_74
.LBB63_72:
	s_mov_b32 s38, -1
                                        ; implicit-def: $vgpr1
	s_branch .LBB63_77
.LBB63_73:
	s_mov_b32 s38, -1
                                        ; implicit-def: $vgpr1
.LBB63_74:
	s_delay_alu instid0(SALU_CYCLE_1)
	s_and_not1_b32 vcc_lo, exec_lo, s38
	s_cbranch_vccnz .LBB63_76
; %bb.75:
	s_wait_loadcnt 0x0
	global_load_u16 v1, v[6:7], off
.LBB63_76:
	s_mov_b32 s38, 0
.LBB63_77:
	s_delay_alu instid0(SALU_CYCLE_1)
	s_and_not1_b32 vcc_lo, exec_lo, s38
	s_cbranch_vccnz .LBB63_83
; %bb.78:
	global_load_u8 v3, v[6:7], off
	s_mov_b32 s39, 0
	s_mov_b32 s38, exec_lo
	s_wait_loadcnt 0x0
	v_cmpx_lt_i16_e32 0x7f, v3
	s_xor_b32 s38, exec_lo, s38
	s_cbranch_execz .LBB63_94
; %bb.79:
	v_cmp_ne_u16_e32 vcc_lo, 0x80, v3
	s_and_b32 s39, vcc_lo, exec_lo
	s_and_not1_saveexec_b32 s38, s38
	s_cbranch_execnz .LBB63_95
.LBB63_80:
	s_or_b32 exec_lo, exec_lo, s38
	v_mov_b32_e32 v1, 0
	s_and_saveexec_b32 s38, s39
	s_cbranch_execz .LBB63_82
.LBB63_81:
	v_and_b32_e32 v1, 0xffff, v3
	s_delay_alu instid0(VALU_DEP_1) | instskip(SKIP_1) | instid1(VALU_DEP_2)
	v_and_b32_e32 v5, 7, v1
	v_bfe_u32 v10, v1, 3, 4
	v_clz_i32_u32_e32 v8, v5
	s_delay_alu instid0(VALU_DEP_2) | instskip(NEXT) | instid1(VALU_DEP_2)
	v_cmp_eq_u32_e32 vcc_lo, 0, v10
	v_min_u32_e32 v8, 32, v8
	s_delay_alu instid0(VALU_DEP_1) | instskip(NEXT) | instid1(VALU_DEP_1)
	v_subrev_nc_u32_e32 v9, 28, v8
	v_dual_lshlrev_b32 v1, v9, v1 :: v_dual_sub_nc_u32 v8, 29, v8
	s_delay_alu instid0(VALU_DEP_1) | instskip(NEXT) | instid1(VALU_DEP_1)
	v_dual_lshlrev_b32 v3, 24, v3 :: v_dual_bitop2_b32 v1, 7, v1 bitop3:0x40
	v_dual_cndmask_b32 v8, v10, v8 :: v_dual_cndmask_b32 v1, v5, v1
	s_delay_alu instid0(VALU_DEP_2) | instskip(NEXT) | instid1(VALU_DEP_2)
	v_and_b32_e32 v3, 0x80000000, v3
	v_lshl_add_u32 v5, v8, 23, 0x3b800000
	s_delay_alu instid0(VALU_DEP_3) | instskip(NEXT) | instid1(VALU_DEP_1)
	v_lshlrev_b32_e32 v1, 20, v1
	v_or3_b32 v1, v3, v5, v1
	s_delay_alu instid0(VALU_DEP_1)
	v_cvt_i32_f32_e32 v1, v1
.LBB63_82:
	s_or_b32 exec_lo, exec_lo, s38
.LBB63_83:
	s_mov_b32 s38, -1
.LBB63_84:
	s_branch .LBB63_117
.LBB63_85:
	s_cmp_gt_i32 s25, 22
	s_cbranch_scc0 .LBB63_93
; %bb.86:
	s_cmp_lt_i32 s25, 24
	s_cbranch_scc1 .LBB63_96
; %bb.87:
	s_cmp_gt_i32 s25, 24
	s_cbranch_scc0 .LBB63_97
; %bb.88:
	global_load_u8 v3, v[6:7], off
	s_mov_b32 s39, 0
	s_mov_b32 s38, exec_lo
	s_wait_loadcnt 0x0
	v_cmpx_lt_i16_e32 0x7f, v3
	s_xor_b32 s38, exec_lo, s38
	s_cbranch_execz .LBB63_109
; %bb.89:
	v_cmp_ne_u16_e32 vcc_lo, 0x80, v3
	s_and_b32 s39, vcc_lo, exec_lo
	s_and_not1_saveexec_b32 s38, s38
	s_cbranch_execnz .LBB63_110
.LBB63_90:
	s_or_b32 exec_lo, exec_lo, s38
	v_mov_b32_e32 v1, 0
	s_and_saveexec_b32 s38, s39
	s_cbranch_execz .LBB63_92
.LBB63_91:
	v_and_b32_e32 v1, 0xffff, v3
	s_delay_alu instid0(VALU_DEP_1) | instskip(SKIP_1) | instid1(VALU_DEP_2)
	v_and_b32_e32 v5, 3, v1
	v_bfe_u32 v10, v1, 2, 5
	v_clz_i32_u32_e32 v8, v5
	s_delay_alu instid0(VALU_DEP_2) | instskip(NEXT) | instid1(VALU_DEP_2)
	v_cmp_eq_u32_e32 vcc_lo, 0, v10
	v_min_u32_e32 v8, 32, v8
	s_delay_alu instid0(VALU_DEP_1) | instskip(NEXT) | instid1(VALU_DEP_1)
	v_subrev_nc_u32_e32 v9, 29, v8
	v_dual_lshlrev_b32 v1, v9, v1 :: v_dual_sub_nc_u32 v8, 30, v8
	s_delay_alu instid0(VALU_DEP_1) | instskip(NEXT) | instid1(VALU_DEP_1)
	v_dual_lshlrev_b32 v3, 24, v3 :: v_dual_bitop2_b32 v1, 3, v1 bitop3:0x40
	v_dual_cndmask_b32 v8, v10, v8 :: v_dual_cndmask_b32 v1, v5, v1
	s_delay_alu instid0(VALU_DEP_2) | instskip(NEXT) | instid1(VALU_DEP_2)
	v_and_b32_e32 v3, 0x80000000, v3
	v_lshl_add_u32 v5, v8, 23, 0x37800000
	s_delay_alu instid0(VALU_DEP_3) | instskip(NEXT) | instid1(VALU_DEP_1)
	v_lshlrev_b32_e32 v1, 21, v1
	v_or3_b32 v1, v3, v5, v1
	s_delay_alu instid0(VALU_DEP_1)
	v_cvt_i32_f32_e32 v1, v1
.LBB63_92:
	s_or_b32 exec_lo, exec_lo, s38
	s_mov_b32 s38, 0
	s_branch .LBB63_98
.LBB63_93:
	s_mov_b32 s39, -1
                                        ; implicit-def: $vgpr1
	s_branch .LBB63_104
.LBB63_94:
	s_and_not1_saveexec_b32 s38, s38
	s_cbranch_execz .LBB63_80
.LBB63_95:
	v_cmp_ne_u16_e32 vcc_lo, 0, v3
	s_and_not1_b32 s39, s39, exec_lo
	s_and_b32 s40, vcc_lo, exec_lo
	s_delay_alu instid0(SALU_CYCLE_1)
	s_or_b32 s39, s39, s40
	s_or_b32 exec_lo, exec_lo, s38
	v_mov_b32_e32 v1, 0
	s_and_saveexec_b32 s38, s39
	s_cbranch_execnz .LBB63_81
	s_branch .LBB63_82
.LBB63_96:
	s_mov_b32 s38, -1
                                        ; implicit-def: $vgpr1
	s_branch .LBB63_101
.LBB63_97:
	s_mov_b32 s38, -1
                                        ; implicit-def: $vgpr1
.LBB63_98:
	s_delay_alu instid0(SALU_CYCLE_1)
	s_and_b32 vcc_lo, exec_lo, s38
	s_cbranch_vccz .LBB63_100
; %bb.99:
	s_wait_loadcnt 0x0
	global_load_u8 v1, v[6:7], off
	s_wait_loadcnt 0x0
	v_lshlrev_b32_e32 v1, 24, v1
	s_delay_alu instid0(VALU_DEP_1) | instskip(NEXT) | instid1(VALU_DEP_1)
	v_and_b32_e32 v3, 0x7f000000, v1
	v_clz_i32_u32_e32 v5, v3
	v_add_nc_u32_e32 v9, 0x1000000, v3
	v_cmp_ne_u32_e32 vcc_lo, 0, v3
	s_delay_alu instid0(VALU_DEP_3) | instskip(NEXT) | instid1(VALU_DEP_1)
	v_min_u32_e32 v5, 32, v5
	v_sub_nc_u32_e64 v5, v5, 4 clamp
	s_delay_alu instid0(VALU_DEP_1) | instskip(NEXT) | instid1(VALU_DEP_1)
	v_dual_lshlrev_b32 v8, v5, v3 :: v_dual_lshlrev_b32 v5, 23, v5
	v_lshrrev_b32_e32 v8, 4, v8
	s_delay_alu instid0(VALU_DEP_1) | instskip(SKIP_1) | instid1(VALU_DEP_2)
	v_sub_nc_u32_e32 v5, v8, v5
	v_ashrrev_i32_e32 v8, 8, v9
	v_add_nc_u32_e32 v5, 0x3c000000, v5
	s_delay_alu instid0(VALU_DEP_1) | instskip(NEXT) | instid1(VALU_DEP_1)
	v_and_or_b32 v5, 0x7f800000, v8, v5
	v_cndmask_b32_e32 v3, 0, v5, vcc_lo
	s_delay_alu instid0(VALU_DEP_1) | instskip(NEXT) | instid1(VALU_DEP_1)
	v_and_or_b32 v1, 0x80000000, v1, v3
	v_cvt_i32_f32_e32 v1, v1
.LBB63_100:
	s_mov_b32 s38, 0
.LBB63_101:
	s_delay_alu instid0(SALU_CYCLE_1)
	s_and_not1_b32 vcc_lo, exec_lo, s38
	s_cbranch_vccnz .LBB63_103
; %bb.102:
	s_wait_loadcnt 0x0
	global_load_u8 v1, v[6:7], off
	s_wait_loadcnt 0x0
	v_lshlrev_b32_e32 v3, 25, v1
	v_lshlrev_b16 v1, 8, v1
	s_delay_alu instid0(VALU_DEP_1) | instskip(SKIP_1) | instid1(VALU_DEP_2)
	v_and_or_b32 v8, 0x7f00, v1, 0.5
	v_bfe_i32 v1, v1, 0, 16
	v_dual_add_f32 v8, -0.5, v8 :: v_dual_lshrrev_b32 v5, 4, v3
	v_cmp_gt_u32_e32 vcc_lo, 0x8000000, v3
	s_delay_alu instid0(VALU_DEP_2) | instskip(NEXT) | instid1(VALU_DEP_1)
	v_or_b32_e32 v5, 0x70000000, v5
	v_mul_f32_e32 v5, 0x7800000, v5
	s_delay_alu instid0(VALU_DEP_1) | instskip(NEXT) | instid1(VALU_DEP_1)
	v_cndmask_b32_e32 v3, v5, v8, vcc_lo
	v_and_or_b32 v1, 0x80000000, v1, v3
	s_delay_alu instid0(VALU_DEP_1)
	v_cvt_i32_f32_e32 v1, v1
.LBB63_103:
	s_mov_b32 s39, 0
	s_mov_b32 s38, -1
.LBB63_104:
	s_and_not1_b32 vcc_lo, exec_lo, s39
	s_cbranch_vccnz .LBB63_117
; %bb.105:
	s_cmp_gt_i32 s25, 14
	s_cbranch_scc0 .LBB63_108
; %bb.106:
	s_cmp_eq_u32 s25, 15
	s_cbranch_scc0 .LBB63_111
; %bb.107:
	s_wait_loadcnt 0x0
	global_load_u16 v1, v[6:7], off
	s_mov_b32 s38, -1
	s_mov_b32 s24, 0
	s_wait_loadcnt 0x0
	v_lshlrev_b32_e32 v1, 16, v1
	s_delay_alu instid0(VALU_DEP_1)
	v_cvt_i32_f32_e32 v1, v1
	s_branch .LBB63_112
.LBB63_108:
	s_mov_b32 s39, -1
                                        ; implicit-def: $vgpr1
	s_branch .LBB63_113
.LBB63_109:
	s_and_not1_saveexec_b32 s38, s38
	s_cbranch_execz .LBB63_90
.LBB63_110:
	v_cmp_ne_u16_e32 vcc_lo, 0, v3
	s_and_not1_b32 s39, s39, exec_lo
	s_and_b32 s40, vcc_lo, exec_lo
	s_delay_alu instid0(SALU_CYCLE_1)
	s_or_b32 s39, s39, s40
	s_or_b32 exec_lo, exec_lo, s38
	v_mov_b32_e32 v1, 0
	s_and_saveexec_b32 s38, s39
	s_cbranch_execnz .LBB63_91
	s_branch .LBB63_92
.LBB63_111:
	s_mov_b32 s24, -1
                                        ; implicit-def: $vgpr1
.LBB63_112:
	s_mov_b32 s39, 0
.LBB63_113:
	s_delay_alu instid0(SALU_CYCLE_1)
	s_and_b32 vcc_lo, exec_lo, s39
	s_cbranch_vccz .LBB63_117
; %bb.114:
	s_cmp_eq_u32 s25, 11
	s_cbranch_scc0 .LBB63_116
; %bb.115:
	s_wait_loadcnt 0x0
	global_load_u8 v1, v[6:7], off
	s_mov_b32 s24, 0
	s_mov_b32 s38, -1
	s_wait_loadcnt 0x0
	v_cmp_ne_u16_e32 vcc_lo, 0, v1
	v_cndmask_b32_e64 v1, 0, 1, vcc_lo
	s_branch .LBB63_117
.LBB63_116:
	s_mov_b32 s24, -1
                                        ; implicit-def: $vgpr1
.LBB63_117:
	s_branch .LBB63_21
.LBB63_118:
	s_and_b32 s0, 0xffff, s0
	s_delay_alu instid0(SALU_CYCLE_1)
	s_cmp_lt_i32 s0, 5
	s_cbranch_scc1 .LBB63_123
; %bb.119:
	s_cmp_lt_i32 s0, 8
	s_cbranch_scc1 .LBB63_124
; %bb.120:
	;; [unrolled: 3-line block ×3, first 2 shown]
	s_cmp_gt_i32 s0, 9
	s_cbranch_scc0 .LBB63_126
; %bb.122:
	global_load_b64 v[8:9], v[6:7], off
	s_mov_b32 s25, 0
	s_wait_loadcnt 0x0
	v_cvt_i32_f64_e32 v1, v[8:9]
	s_branch .LBB63_127
.LBB63_123:
                                        ; implicit-def: $vgpr1
	s_branch .LBB63_145
.LBB63_124:
	s_mov_b32 s25, -1
                                        ; implicit-def: $vgpr1
	s_branch .LBB63_133
.LBB63_125:
	s_mov_b32 s25, -1
                                        ; implicit-def: $vgpr1
	s_branch .LBB63_130
.LBB63_126:
	s_mov_b32 s25, -1
                                        ; implicit-def: $vgpr1
.LBB63_127:
	s_delay_alu instid0(SALU_CYCLE_1)
	s_and_not1_b32 vcc_lo, exec_lo, s25
	s_cbranch_vccnz .LBB63_129
; %bb.128:
	s_wait_loadcnt 0x0
	global_load_b32 v1, v[6:7], off
	s_wait_loadcnt 0x0
	v_cvt_i32_f32_e32 v1, v1
.LBB63_129:
	s_mov_b32 s25, 0
.LBB63_130:
	s_delay_alu instid0(SALU_CYCLE_1)
	s_and_not1_b32 vcc_lo, exec_lo, s25
	s_cbranch_vccnz .LBB63_132
; %bb.131:
	s_wait_loadcnt 0x0
	global_load_b32 v1, v[6:7], off
	s_wait_loadcnt 0x0
	v_cvt_f32_f16_e32 v1, v1
	s_delay_alu instid0(VALU_DEP_1)
	v_cvt_i32_f32_e32 v1, v1
.LBB63_132:
	s_mov_b32 s25, 0
.LBB63_133:
	s_delay_alu instid0(SALU_CYCLE_1)
	s_and_not1_b32 vcc_lo, exec_lo, s25
	s_cbranch_vccnz .LBB63_144
; %bb.134:
	s_cmp_lt_i32 s0, 6
	s_cbranch_scc1 .LBB63_137
; %bb.135:
	s_cmp_gt_i32 s0, 6
	s_cbranch_scc0 .LBB63_138
; %bb.136:
	global_load_b64 v[8:9], v[6:7], off
	s_mov_b32 s25, 0
	s_wait_loadcnt 0x0
	v_cvt_i32_f64_e32 v1, v[8:9]
	s_branch .LBB63_139
.LBB63_137:
	s_mov_b32 s25, -1
                                        ; implicit-def: $vgpr1
	s_branch .LBB63_142
.LBB63_138:
	s_mov_b32 s25, -1
                                        ; implicit-def: $vgpr1
.LBB63_139:
	s_delay_alu instid0(SALU_CYCLE_1)
	s_and_not1_b32 vcc_lo, exec_lo, s25
	s_cbranch_vccnz .LBB63_141
; %bb.140:
	s_wait_loadcnt 0x0
	global_load_b32 v1, v[6:7], off
	s_wait_loadcnt 0x0
	v_cvt_i32_f32_e32 v1, v1
.LBB63_141:
	s_mov_b32 s25, 0
.LBB63_142:
	s_delay_alu instid0(SALU_CYCLE_1)
	s_and_not1_b32 vcc_lo, exec_lo, s25
	s_cbranch_vccnz .LBB63_144
; %bb.143:
	s_wait_loadcnt 0x0
	global_load_u16 v1, v[6:7], off
	s_wait_loadcnt 0x0
	v_cvt_f32_f16_e32 v1, v1
	s_delay_alu instid0(VALU_DEP_1)
	v_cvt_i32_f32_e32 v1, v1
.LBB63_144:
	s_cbranch_execnz .LBB63_164
.LBB63_145:
	s_cmp_lt_i32 s0, 2
	s_cbranch_scc1 .LBB63_149
; %bb.146:
	s_cmp_lt_i32 s0, 3
	s_cbranch_scc1 .LBB63_150
; %bb.147:
	s_cmp_gt_i32 s0, 3
	s_cbranch_scc0 .LBB63_151
; %bb.148:
	s_wait_loadcnt 0x0
	global_load_b32 v1, v[6:7], off
	s_mov_b32 s25, 0
	s_branch .LBB63_152
.LBB63_149:
	s_mov_b32 s25, -1
                                        ; implicit-def: $vgpr1
	s_branch .LBB63_158
.LBB63_150:
	s_mov_b32 s25, -1
                                        ; implicit-def: $vgpr1
	s_branch .LBB63_155
.LBB63_151:
	s_mov_b32 s25, -1
                                        ; implicit-def: $vgpr1
.LBB63_152:
	s_delay_alu instid0(SALU_CYCLE_1)
	s_and_not1_b32 vcc_lo, exec_lo, s25
	s_cbranch_vccnz .LBB63_154
; %bb.153:
	s_wait_loadcnt 0x0
	global_load_b32 v1, v[6:7], off
.LBB63_154:
	s_mov_b32 s25, 0
.LBB63_155:
	s_delay_alu instid0(SALU_CYCLE_1)
	s_and_not1_b32 vcc_lo, exec_lo, s25
	s_cbranch_vccnz .LBB63_157
; %bb.156:
	s_wait_loadcnt 0x0
	global_load_i16 v1, v[6:7], off
.LBB63_157:
	s_mov_b32 s25, 0
.LBB63_158:
	s_delay_alu instid0(SALU_CYCLE_1)
	s_and_not1_b32 vcc_lo, exec_lo, s25
	s_cbranch_vccnz .LBB63_164
; %bb.159:
	s_cmp_gt_i32 s0, 0
	s_mov_b32 s0, 0
	s_cbranch_scc0 .LBB63_161
; %bb.160:
	s_wait_loadcnt 0x0
	global_load_i8 v1, v[6:7], off
	s_branch .LBB63_162
.LBB63_161:
	s_mov_b32 s0, -1
                                        ; implicit-def: $vgpr1
.LBB63_162:
	s_delay_alu instid0(SALU_CYCLE_1)
	s_and_not1_b32 vcc_lo, exec_lo, s0
	s_cbranch_vccnz .LBB63_164
; %bb.163:
	s_wait_loadcnt 0x0
	global_load_u8 v1, v[6:7], off
.LBB63_164:
	s_branch .LBB63_22
.LBB63_165:
	s_mov_b32 s0, 0
	s_mov_b32 s25, 0
	s_branch .LBB63_389
.LBB63_166:
	s_mov_b32 s25, -1
.LBB63_167:
	s_mov_b32 s39, 0
                                        ; implicit-def: $vgpr3
.LBB63_168:
	s_and_b32 vcc_lo, exec_lo, s40
	s_cbranch_vccz .LBB63_283
; %bb.169:
	s_cmp_eq_u32 s38, 44
	s_cbranch_scc0 .LBB63_282
; %bb.170:
	global_load_u8 v3, v[4:5], off
	s_mov_b32 s25, 0
	s_mov_b32 s39, -1
	s_wait_loadcnt 0x0
	v_lshlrev_b32_e32 v6, 23, v3
	v_cmp_ne_u32_e32 vcc_lo, 0, v3
	s_delay_alu instid0(VALU_DEP_2) | instskip(NEXT) | instid1(VALU_DEP_1)
	v_cvt_i32_f32_e32 v6, v6
	v_cndmask_b32_e32 v3, 0, v6, vcc_lo
	s_branch .LBB63_283
.LBB63_171:
	s_mov_b32 s42, -1
	s_mov_b32 s0, 0
	s_mov_b32 s40, 0
.LBB63_172:
	s_and_b32 vcc_lo, exec_lo, s42
	s_cbranch_vccz .LBB63_177
; %bb.173:
	s_cmp_eq_u32 s39, 44
	s_mov_b32 s0, -1
	s_cbranch_scc0 .LBB63_177
; %bb.174:
	v_cvt_f32_u32_e32 v6, v4
	v_mov_b32_e32 v5, 0xff
	s_mov_b32 s40, exec_lo
	s_wait_xcnt 0x0
	s_delay_alu instid0(VALU_DEP_2) | instskip(NEXT) | instid1(VALU_DEP_1)
	v_lshrrev_b32_e32 v1, 23, v6
	v_cmpx_ne_u32_e32 0xff, v1
; %bb.175:
	v_and_b32_e32 v5, 0x400000, v6
	v_and_or_b32 v6, 0x3fffff, v6, v1
	s_delay_alu instid0(VALU_DEP_2) | instskip(NEXT) | instid1(VALU_DEP_2)
	v_cmp_ne_u32_e32 vcc_lo, 0, v5
	v_cmp_ne_u32_e64 s0, 0, v6
	s_and_b32 s0, vcc_lo, s0
	s_delay_alu instid0(SALU_CYCLE_1) | instskip(NEXT) | instid1(VALU_DEP_1)
	v_cndmask_b32_e64 v5, 0, 1, s0
	v_add_nc_u32_e32 v5, v1, v5
; %bb.176:
	s_or_b32 exec_lo, exec_lo, s40
	s_mov_b32 s40, -1
	s_mov_b32 s0, 0
	global_store_b8 v[2:3], v5, off
.LBB63_177:
	s_mov_b32 s42, 0
.LBB63_178:
	s_delay_alu instid0(SALU_CYCLE_1)
	s_and_b32 vcc_lo, exec_lo, s42
	s_cbranch_vccz .LBB63_181
; %bb.179:
	s_cmp_eq_u32 s39, 29
	s_mov_b32 s0, -1
	s_cbranch_scc0 .LBB63_181
; %bb.180:
	s_wait_xcnt 0x0
	v_mov_b32_e32 v5, 0
	s_mov_b32 s40, -1
	s_mov_b32 s0, 0
	s_mov_b32 s42, 0
	global_store_b64 v[2:3], v[4:5], off
	s_branch .LBB63_182
.LBB63_181:
	s_mov_b32 s42, 0
.LBB63_182:
	s_delay_alu instid0(SALU_CYCLE_1)
	s_and_b32 vcc_lo, exec_lo, s42
	s_cbranch_vccz .LBB63_198
; %bb.183:
	s_cmp_lt_i32 s39, 27
	s_mov_b32 s40, -1
	s_cbranch_scc1 .LBB63_189
; %bb.184:
	s_cmp_gt_i32 s39, 27
	s_cbranch_scc0 .LBB63_186
; %bb.185:
	s_mov_b32 s40, 0
	global_store_b32 v[2:3], v4, off
.LBB63_186:
	s_and_not1_b32 vcc_lo, exec_lo, s40
	s_cbranch_vccnz .LBB63_188
; %bb.187:
	global_store_b16 v[2:3], v4, off
.LBB63_188:
	s_mov_b32 s40, 0
.LBB63_189:
	s_delay_alu instid0(SALU_CYCLE_1)
	s_and_not1_b32 vcc_lo, exec_lo, s40
	s_cbranch_vccnz .LBB63_197
; %bb.190:
	s_wait_xcnt 0x0
	v_cvt_f32_u32_e32 v5, v4
	v_mov_b32_e32 v6, 0x80
	s_mov_b32 s40, exec_lo
	s_delay_alu instid0(VALU_DEP_2)
	v_cmpx_gt_u32_e32 0x43800000, v5
	s_cbranch_execz .LBB63_196
; %bb.191:
	s_mov_b32 s42, 0
	s_mov_b32 s43, exec_lo
                                        ; implicit-def: $vgpr1
	v_cmpx_lt_u32_e32 0x3bffffff, v5
	s_xor_b32 s43, exec_lo, s43
	s_cbranch_execz .LBB63_431
; %bb.192:
	v_bfe_u32 v1, v5, 20, 1
	s_mov_b32 s42, exec_lo
	s_delay_alu instid0(VALU_DEP_1) | instskip(NEXT) | instid1(VALU_DEP_1)
	v_add3_u32 v1, v5, v1, 0x487ffff
                                        ; implicit-def: $vgpr5
	v_lshrrev_b32_e32 v1, 20, v1
	s_and_not1_saveexec_b32 s43, s43
	s_cbranch_execnz .LBB63_432
.LBB63_193:
	s_or_b32 exec_lo, exec_lo, s43
	v_mov_b32_e32 v6, 0
	s_and_saveexec_b32 s43, s42
.LBB63_194:
	v_mov_b32_e32 v6, v1
.LBB63_195:
	s_or_b32 exec_lo, exec_lo, s43
.LBB63_196:
	s_delay_alu instid0(SALU_CYCLE_1)
	s_or_b32 exec_lo, exec_lo, s40
	global_store_b8 v[2:3], v6, off
.LBB63_197:
	s_mov_b32 s40, -1
.LBB63_198:
	s_mov_b32 s42, 0
.LBB63_199:
	s_delay_alu instid0(SALU_CYCLE_1)
	s_and_b32 vcc_lo, exec_lo, s42
	s_cbranch_vccz .LBB63_240
; %bb.200:
	s_cmp_gt_i32 s39, 22
	s_mov_b32 s42, -1
	s_cbranch_scc0 .LBB63_232
; %bb.201:
	s_cmp_lt_i32 s39, 24
	s_mov_b32 s40, -1
	s_cbranch_scc1 .LBB63_221
; %bb.202:
	s_cmp_gt_i32 s39, 24
	s_cbranch_scc0 .LBB63_210
; %bb.203:
	s_wait_xcnt 0x0
	v_cvt_f32_u32_e32 v5, v4
	v_mov_b32_e32 v6, 0x80
	s_mov_b32 s40, exec_lo
	s_delay_alu instid0(VALU_DEP_2)
	v_cmpx_gt_u32_e32 0x47800000, v5
	s_cbranch_execz .LBB63_209
; %bb.204:
	s_mov_b32 s42, 0
	s_mov_b32 s43, exec_lo
                                        ; implicit-def: $vgpr1
	v_cmpx_lt_u32_e32 0x37ffffff, v5
	s_xor_b32 s43, exec_lo, s43
	s_cbranch_execz .LBB63_546
; %bb.205:
	v_bfe_u32 v1, v5, 21, 1
	s_mov_b32 s42, exec_lo
	s_delay_alu instid0(VALU_DEP_1) | instskip(NEXT) | instid1(VALU_DEP_1)
	v_add3_u32 v1, v5, v1, 0x88fffff
                                        ; implicit-def: $vgpr5
	v_lshrrev_b32_e32 v1, 21, v1
	s_and_not1_saveexec_b32 s43, s43
	s_cbranch_execnz .LBB63_547
.LBB63_206:
	s_or_b32 exec_lo, exec_lo, s43
	v_mov_b32_e32 v6, 0
	s_and_saveexec_b32 s43, s42
.LBB63_207:
	v_mov_b32_e32 v6, v1
.LBB63_208:
	s_or_b32 exec_lo, exec_lo, s43
.LBB63_209:
	s_delay_alu instid0(SALU_CYCLE_1)
	s_or_b32 exec_lo, exec_lo, s40
	s_mov_b32 s40, 0
	global_store_b8 v[2:3], v6, off
.LBB63_210:
	s_and_b32 vcc_lo, exec_lo, s40
	s_cbranch_vccz .LBB63_220
; %bb.211:
	s_wait_xcnt 0x0
	v_cvt_f32_u32_e32 v5, v4
	s_mov_b32 s40, exec_lo
                                        ; implicit-def: $vgpr1
	s_delay_alu instid0(VALU_DEP_1)
	v_cmpx_gt_u32_e32 0x43f00000, v5
	s_xor_b32 s40, exec_lo, s40
	s_cbranch_execz .LBB63_217
; %bb.212:
	s_mov_b32 s42, exec_lo
                                        ; implicit-def: $vgpr1
	v_cmpx_lt_u32_e32 0x3c7fffff, v5
	s_xor_b32 s42, exec_lo, s42
; %bb.213:
	v_bfe_u32 v1, v5, 20, 1
	s_delay_alu instid0(VALU_DEP_1) | instskip(NEXT) | instid1(VALU_DEP_1)
	v_add3_u32 v1, v5, v1, 0x407ffff
	v_and_b32_e32 v5, 0xff00000, v1
	v_lshrrev_b32_e32 v1, 20, v1
	s_delay_alu instid0(VALU_DEP_2) | instskip(NEXT) | instid1(VALU_DEP_2)
	v_cmp_ne_u32_e32 vcc_lo, 0x7f00000, v5
                                        ; implicit-def: $vgpr5
	v_cndmask_b32_e32 v1, 0x7e, v1, vcc_lo
; %bb.214:
	s_and_not1_saveexec_b32 s42, s42
; %bb.215:
	v_add_f32_e32 v1, 0x46800000, v5
; %bb.216:
	s_or_b32 exec_lo, exec_lo, s42
                                        ; implicit-def: $vgpr5
.LBB63_217:
	s_and_not1_saveexec_b32 s40, s40
; %bb.218:
	v_mov_b32_e32 v1, 0x7f
	v_cmp_lt_u32_e32 vcc_lo, 0x7f800000, v5
	s_delay_alu instid0(VALU_DEP_2)
	v_cndmask_b32_e32 v1, 0x7e, v1, vcc_lo
; %bb.219:
	s_or_b32 exec_lo, exec_lo, s40
	global_store_b8 v[2:3], v1, off
.LBB63_220:
	s_mov_b32 s40, 0
.LBB63_221:
	s_delay_alu instid0(SALU_CYCLE_1)
	s_and_not1_b32 vcc_lo, exec_lo, s40
	s_cbranch_vccnz .LBB63_231
; %bb.222:
	s_wait_xcnt 0x0
	v_cvt_f32_u32_e32 v5, v4
	s_mov_b32 s40, exec_lo
                                        ; implicit-def: $vgpr1
	s_delay_alu instid0(VALU_DEP_1)
	v_cmpx_gt_u32_e32 0x47800000, v5
	s_xor_b32 s40, exec_lo, s40
	s_cbranch_execz .LBB63_228
; %bb.223:
	s_mov_b32 s42, exec_lo
                                        ; implicit-def: $vgpr1
	v_cmpx_lt_u32_e32 0x387fffff, v5
	s_xor_b32 s42, exec_lo, s42
; %bb.224:
	v_bfe_u32 v1, v5, 21, 1
	s_delay_alu instid0(VALU_DEP_1) | instskip(NEXT) | instid1(VALU_DEP_1)
	v_add3_u32 v1, v5, v1, 0x80fffff
                                        ; implicit-def: $vgpr5
	v_lshrrev_b32_e32 v1, 21, v1
; %bb.225:
	s_and_not1_saveexec_b32 s42, s42
; %bb.226:
	v_add_f32_e32 v1, 0x43000000, v5
; %bb.227:
	s_or_b32 exec_lo, exec_lo, s42
                                        ; implicit-def: $vgpr5
.LBB63_228:
	s_and_not1_saveexec_b32 s40, s40
; %bb.229:
	v_mov_b32_e32 v1, 0x7f
	v_cmp_lt_u32_e32 vcc_lo, 0x7f800000, v5
	s_delay_alu instid0(VALU_DEP_2)
	v_cndmask_b32_e32 v1, 0x7c, v1, vcc_lo
; %bb.230:
	s_or_b32 exec_lo, exec_lo, s40
	global_store_b8 v[2:3], v1, off
.LBB63_231:
	s_mov_b32 s42, 0
	s_mov_b32 s40, -1
.LBB63_232:
	s_and_not1_b32 vcc_lo, exec_lo, s42
	s_cbranch_vccnz .LBB63_240
; %bb.233:
	s_cmp_gt_i32 s39, 14
	s_mov_b32 s42, -1
	s_cbranch_scc0 .LBB63_237
; %bb.234:
	s_cmp_eq_u32 s39, 15
	s_mov_b32 s0, -1
	s_cbranch_scc0 .LBB63_236
; %bb.235:
	s_wait_xcnt 0x0
	v_cvt_f32_u32_e32 v1, v4
	s_mov_b32 s40, -1
	s_mov_b32 s0, 0
	s_delay_alu instid0(VALU_DEP_1) | instskip(NEXT) | instid1(VALU_DEP_1)
	v_bfe_u32 v5, v1, 16, 1
	v_add3_u32 v1, v1, v5, 0x7fff
	global_store_d16_hi_b16 v[2:3], v1, off
.LBB63_236:
	s_mov_b32 s42, 0
.LBB63_237:
	s_delay_alu instid0(SALU_CYCLE_1)
	s_and_b32 vcc_lo, exec_lo, s42
	s_cbranch_vccz .LBB63_240
; %bb.238:
	s_cmp_eq_u32 s39, 11
	s_mov_b32 s0, -1
	s_cbranch_scc0 .LBB63_240
; %bb.239:
	v_cmp_ne_u32_e32 vcc_lo, 0, v4
	s_mov_b32 s0, 0
	s_mov_b32 s40, -1
	s_wait_xcnt 0x0
	v_cndmask_b32_e64 v1, 0, 1, vcc_lo
	global_store_b8 v[2:3], v1, off
.LBB63_240:
	s_mov_b32 s39, 0
.LBB63_241:
	s_delay_alu instid0(SALU_CYCLE_1)
	s_and_b32 vcc_lo, exec_lo, s39
	s_cbranch_vccz .LBB63_280
; %bb.242:
	s_and_b32 s38, 0xffff, s38
	s_mov_b32 s39, -1
	s_cmp_lt_i32 s38, 5
	s_cbranch_scc1 .LBB63_263
; %bb.243:
	s_cmp_lt_i32 s38, 8
	s_cbranch_scc1 .LBB63_253
; %bb.244:
	;; [unrolled: 3-line block ×3, first 2 shown]
	s_cmp_gt_i32 s38, 9
	s_cbranch_scc0 .LBB63_247
; %bb.246:
	s_wait_xcnt 0x0
	v_cvt_f64_u32_e32 v[6:7], v4
	v_mov_b32_e32 v8, 0
	s_mov_b32 s39, 0
	s_delay_alu instid0(VALU_DEP_1)
	v_mov_b32_e32 v9, v8
	global_store_b128 v[2:3], v[6:9], off
.LBB63_247:
	s_and_not1_b32 vcc_lo, exec_lo, s39
	s_cbranch_vccnz .LBB63_249
; %bb.248:
	s_wait_xcnt 0x0
	v_cvt_f32_u32_e32 v6, v4
	v_mov_b32_e32 v7, 0
	global_store_b64 v[2:3], v[6:7], off
.LBB63_249:
	s_mov_b32 s39, 0
.LBB63_250:
	s_delay_alu instid0(SALU_CYCLE_1)
	s_and_not1_b32 vcc_lo, exec_lo, s39
	s_cbranch_vccnz .LBB63_252
; %bb.251:
	s_wait_xcnt 0x0
	v_cvt_f32_u32_e32 v1, v4
	s_delay_alu instid0(VALU_DEP_1) | instskip(NEXT) | instid1(VALU_DEP_1)
	v_cvt_f16_f32_e32 v1, v1
	v_and_b32_e32 v1, 0xffff, v1
	global_store_b32 v[2:3], v1, off
.LBB63_252:
	s_mov_b32 s39, 0
.LBB63_253:
	s_delay_alu instid0(SALU_CYCLE_1)
	s_and_not1_b32 vcc_lo, exec_lo, s39
	s_cbranch_vccnz .LBB63_262
; %bb.254:
	s_cmp_lt_i32 s38, 6
	s_mov_b32 s39, -1
	s_cbranch_scc1 .LBB63_260
; %bb.255:
	s_cmp_gt_i32 s38, 6
	s_cbranch_scc0 .LBB63_257
; %bb.256:
	s_wait_xcnt 0x0
	v_cvt_f64_u32_e32 v[6:7], v4
	s_mov_b32 s39, 0
	global_store_b64 v[2:3], v[6:7], off
.LBB63_257:
	s_and_not1_b32 vcc_lo, exec_lo, s39
	s_cbranch_vccnz .LBB63_259
; %bb.258:
	s_wait_xcnt 0x0
	v_cvt_f32_u32_e32 v1, v4
	global_store_b32 v[2:3], v1, off
.LBB63_259:
	s_mov_b32 s39, 0
.LBB63_260:
	s_delay_alu instid0(SALU_CYCLE_1)
	s_and_not1_b32 vcc_lo, exec_lo, s39
	s_cbranch_vccnz .LBB63_262
; %bb.261:
	s_wait_xcnt 0x0
	v_cvt_f32_u32_e32 v1, v4
	s_delay_alu instid0(VALU_DEP_1)
	v_cvt_f16_f32_e32 v1, v1
	global_store_b16 v[2:3], v1, off
.LBB63_262:
	s_mov_b32 s39, 0
.LBB63_263:
	s_delay_alu instid0(SALU_CYCLE_1)
	s_and_not1_b32 vcc_lo, exec_lo, s39
	s_cbranch_vccnz .LBB63_279
; %bb.264:
	s_cmp_lt_i32 s38, 2
	s_mov_b32 s39, -1
	s_cbranch_scc1 .LBB63_274
; %bb.265:
	s_cmp_lt_i32 s38, 3
	s_cbranch_scc1 .LBB63_271
; %bb.266:
	s_cmp_gt_i32 s38, 3
	s_cbranch_scc0 .LBB63_268
; %bb.267:
	s_wait_xcnt 0x0
	v_mov_b32_e32 v5, 0
	s_mov_b32 s39, 0
	global_store_b64 v[2:3], v[4:5], off
.LBB63_268:
	s_and_not1_b32 vcc_lo, exec_lo, s39
	s_cbranch_vccnz .LBB63_270
; %bb.269:
	global_store_b32 v[2:3], v4, off
.LBB63_270:
	s_mov_b32 s39, 0
.LBB63_271:
	s_delay_alu instid0(SALU_CYCLE_1)
	s_and_not1_b32 vcc_lo, exec_lo, s39
	s_cbranch_vccnz .LBB63_273
; %bb.272:
	global_store_b16 v[2:3], v4, off
.LBB63_273:
	s_mov_b32 s39, 0
.LBB63_274:
	s_delay_alu instid0(SALU_CYCLE_1)
	s_and_not1_b32 vcc_lo, exec_lo, s39
	s_cbranch_vccnz .LBB63_279
; %bb.275:
	s_cmp_gt_i32 s38, 0
	s_mov_b32 s38, -1
	s_cbranch_scc0 .LBB63_277
; %bb.276:
	s_mov_b32 s38, 0
	global_store_b8 v[2:3], v4, off
.LBB63_277:
	s_and_not1_b32 vcc_lo, exec_lo, s38
	s_cbranch_vccnz .LBB63_279
; %bb.278:
	global_store_b8 v[2:3], v4, off
.LBB63_279:
	s_mov_b32 s40, -1
.LBB63_280:
	s_delay_alu instid0(SALU_CYCLE_1)
	s_and_not1_b32 vcc_lo, exec_lo, s40
	s_cbranch_vccnz .LBB63_389
; %bb.281:
	v_add_nc_u32_e32 v0, 0x80, v0
	s_mov_b32 s42, -1
	s_branch .LBB63_390
.LBB63_282:
	s_mov_b32 s25, -1
                                        ; implicit-def: $vgpr3
.LBB63_283:
	s_mov_b32 s40, 0
.LBB63_284:
	s_delay_alu instid0(SALU_CYCLE_1)
	s_and_b32 vcc_lo, exec_lo, s40
	s_cbranch_vccz .LBB63_288
; %bb.285:
	s_cmp_eq_u32 s38, 29
	s_cbranch_scc0 .LBB63_287
; %bb.286:
	global_load_b32 v3, v[4:5], off
	s_mov_b32 s39, -1
	s_mov_b32 s25, 0
	s_branch .LBB63_288
.LBB63_287:
	s_mov_b32 s25, -1
                                        ; implicit-def: $vgpr3
.LBB63_288:
	s_mov_b32 s40, 0
.LBB63_289:
	s_delay_alu instid0(SALU_CYCLE_1)
	s_and_b32 vcc_lo, exec_lo, s40
	s_cbranch_vccz .LBB63_305
; %bb.290:
	s_cmp_lt_i32 s38, 27
	s_cbranch_scc1 .LBB63_293
; %bb.291:
	s_cmp_gt_i32 s38, 27
	s_cbranch_scc0 .LBB63_294
; %bb.292:
	s_wait_loadcnt 0x0
	global_load_b32 v3, v[4:5], off
	s_mov_b32 s39, 0
	s_branch .LBB63_295
.LBB63_293:
	s_mov_b32 s39, -1
                                        ; implicit-def: $vgpr3
	s_branch .LBB63_298
.LBB63_294:
	s_mov_b32 s39, -1
                                        ; implicit-def: $vgpr3
.LBB63_295:
	s_delay_alu instid0(SALU_CYCLE_1)
	s_and_not1_b32 vcc_lo, exec_lo, s39
	s_cbranch_vccnz .LBB63_297
; %bb.296:
	s_wait_loadcnt 0x0
	global_load_u16 v3, v[4:5], off
.LBB63_297:
	s_mov_b32 s39, 0
.LBB63_298:
	s_delay_alu instid0(SALU_CYCLE_1)
	s_and_not1_b32 vcc_lo, exec_lo, s39
	s_cbranch_vccnz .LBB63_304
; %bb.299:
	global_load_u8 v6, v[4:5], off
	s_mov_b32 s40, 0
	s_mov_b32 s39, exec_lo
	s_wait_loadcnt 0x0
	v_cmpx_lt_i16_e32 0x7f, v6
	s_xor_b32 s39, exec_lo, s39
	s_cbranch_execz .LBB63_316
; %bb.300:
	v_cmp_ne_u16_e32 vcc_lo, 0x80, v6
	s_and_b32 s40, vcc_lo, exec_lo
	s_and_not1_saveexec_b32 s39, s39
	s_cbranch_execnz .LBB63_317
.LBB63_301:
	s_or_b32 exec_lo, exec_lo, s39
	v_mov_b32_e32 v3, 0
	s_and_saveexec_b32 s39, s40
	s_cbranch_execz .LBB63_303
.LBB63_302:
	v_and_b32_e32 v3, 0xffff, v6
	s_delay_alu instid0(VALU_DEP_1) | instskip(SKIP_1) | instid1(VALU_DEP_2)
	v_and_b32_e32 v7, 7, v3
	v_bfe_u32 v10, v3, 3, 4
	v_clz_i32_u32_e32 v8, v7
	s_delay_alu instid0(VALU_DEP_2) | instskip(NEXT) | instid1(VALU_DEP_2)
	v_cmp_eq_u32_e32 vcc_lo, 0, v10
	v_min_u32_e32 v8, 32, v8
	s_delay_alu instid0(VALU_DEP_1) | instskip(NEXT) | instid1(VALU_DEP_1)
	v_subrev_nc_u32_e32 v9, 28, v8
	v_dual_lshlrev_b32 v3, v9, v3 :: v_dual_sub_nc_u32 v8, 29, v8
	s_delay_alu instid0(VALU_DEP_1) | instskip(NEXT) | instid1(VALU_DEP_1)
	v_dual_lshlrev_b32 v6, 24, v6 :: v_dual_bitop2_b32 v3, 7, v3 bitop3:0x40
	v_dual_cndmask_b32 v8, v10, v8 :: v_dual_cndmask_b32 v3, v7, v3
	s_delay_alu instid0(VALU_DEP_2) | instskip(NEXT) | instid1(VALU_DEP_2)
	v_and_b32_e32 v6, 0x80000000, v6
	v_lshl_add_u32 v7, v8, 23, 0x3b800000
	s_delay_alu instid0(VALU_DEP_3) | instskip(NEXT) | instid1(VALU_DEP_1)
	v_lshlrev_b32_e32 v3, 20, v3
	v_or3_b32 v3, v6, v7, v3
	s_delay_alu instid0(VALU_DEP_1)
	v_cvt_i32_f32_e32 v3, v3
.LBB63_303:
	s_or_b32 exec_lo, exec_lo, s39
.LBB63_304:
	s_mov_b32 s39, -1
.LBB63_305:
	s_mov_b32 s40, 0
.LBB63_306:
	s_delay_alu instid0(SALU_CYCLE_1)
	s_and_b32 vcc_lo, exec_lo, s40
	s_cbranch_vccz .LBB63_339
; %bb.307:
	s_cmp_gt_i32 s38, 22
	s_cbranch_scc0 .LBB63_315
; %bb.308:
	s_cmp_lt_i32 s38, 24
	s_cbranch_scc1 .LBB63_318
; %bb.309:
	s_cmp_gt_i32 s38, 24
	s_cbranch_scc0 .LBB63_319
; %bb.310:
	global_load_u8 v6, v[4:5], off
	s_mov_b32 s40, 0
	s_mov_b32 s39, exec_lo
	s_wait_loadcnt 0x0
	v_cmpx_lt_i16_e32 0x7f, v6
	s_xor_b32 s39, exec_lo, s39
	s_cbranch_execz .LBB63_331
; %bb.311:
	v_cmp_ne_u16_e32 vcc_lo, 0x80, v6
	s_and_b32 s40, vcc_lo, exec_lo
	s_and_not1_saveexec_b32 s39, s39
	s_cbranch_execnz .LBB63_332
.LBB63_312:
	s_or_b32 exec_lo, exec_lo, s39
	v_mov_b32_e32 v3, 0
	s_and_saveexec_b32 s39, s40
	s_cbranch_execz .LBB63_314
.LBB63_313:
	v_and_b32_e32 v3, 0xffff, v6
	s_delay_alu instid0(VALU_DEP_1) | instskip(SKIP_1) | instid1(VALU_DEP_2)
	v_and_b32_e32 v7, 3, v3
	v_bfe_u32 v10, v3, 2, 5
	v_clz_i32_u32_e32 v8, v7
	s_delay_alu instid0(VALU_DEP_2) | instskip(NEXT) | instid1(VALU_DEP_2)
	v_cmp_eq_u32_e32 vcc_lo, 0, v10
	v_min_u32_e32 v8, 32, v8
	s_delay_alu instid0(VALU_DEP_1) | instskip(NEXT) | instid1(VALU_DEP_1)
	v_subrev_nc_u32_e32 v9, 29, v8
	v_dual_lshlrev_b32 v3, v9, v3 :: v_dual_sub_nc_u32 v8, 30, v8
	s_delay_alu instid0(VALU_DEP_1) | instskip(NEXT) | instid1(VALU_DEP_1)
	v_dual_lshlrev_b32 v6, 24, v6 :: v_dual_bitop2_b32 v3, 3, v3 bitop3:0x40
	v_dual_cndmask_b32 v8, v10, v8 :: v_dual_cndmask_b32 v3, v7, v3
	s_delay_alu instid0(VALU_DEP_2) | instskip(NEXT) | instid1(VALU_DEP_2)
	v_and_b32_e32 v6, 0x80000000, v6
	v_lshl_add_u32 v7, v8, 23, 0x37800000
	s_delay_alu instid0(VALU_DEP_3) | instskip(NEXT) | instid1(VALU_DEP_1)
	v_lshlrev_b32_e32 v3, 21, v3
	v_or3_b32 v3, v6, v7, v3
	s_delay_alu instid0(VALU_DEP_1)
	v_cvt_i32_f32_e32 v3, v3
.LBB63_314:
	s_or_b32 exec_lo, exec_lo, s39
	s_mov_b32 s39, 0
	s_branch .LBB63_320
.LBB63_315:
	s_mov_b32 s40, -1
                                        ; implicit-def: $vgpr3
	s_branch .LBB63_326
.LBB63_316:
	s_and_not1_saveexec_b32 s39, s39
	s_cbranch_execz .LBB63_301
.LBB63_317:
	v_cmp_ne_u16_e32 vcc_lo, 0, v6
	s_and_not1_b32 s40, s40, exec_lo
	s_and_b32 s42, vcc_lo, exec_lo
	s_delay_alu instid0(SALU_CYCLE_1)
	s_or_b32 s40, s40, s42
	s_or_b32 exec_lo, exec_lo, s39
	v_mov_b32_e32 v3, 0
	s_and_saveexec_b32 s39, s40
	s_cbranch_execnz .LBB63_302
	s_branch .LBB63_303
.LBB63_318:
	s_mov_b32 s39, -1
                                        ; implicit-def: $vgpr3
	s_branch .LBB63_323
.LBB63_319:
	s_mov_b32 s39, -1
                                        ; implicit-def: $vgpr3
.LBB63_320:
	s_delay_alu instid0(SALU_CYCLE_1)
	s_and_b32 vcc_lo, exec_lo, s39
	s_cbranch_vccz .LBB63_322
; %bb.321:
	s_wait_loadcnt 0x0
	global_load_u8 v3, v[4:5], off
	s_wait_loadcnt 0x0
	v_lshlrev_b32_e32 v3, 24, v3
	s_delay_alu instid0(VALU_DEP_1) | instskip(NEXT) | instid1(VALU_DEP_1)
	v_and_b32_e32 v6, 0x7f000000, v3
	v_clz_i32_u32_e32 v7, v6
	v_cmp_ne_u32_e32 vcc_lo, 0, v6
	v_add_nc_u32_e32 v9, 0x1000000, v6
	s_delay_alu instid0(VALU_DEP_3) | instskip(NEXT) | instid1(VALU_DEP_1)
	v_min_u32_e32 v7, 32, v7
	v_sub_nc_u32_e64 v7, v7, 4 clamp
	s_delay_alu instid0(VALU_DEP_1) | instskip(NEXT) | instid1(VALU_DEP_1)
	v_dual_lshlrev_b32 v8, v7, v6 :: v_dual_lshlrev_b32 v7, 23, v7
	v_lshrrev_b32_e32 v8, 4, v8
	s_delay_alu instid0(VALU_DEP_1) | instskip(NEXT) | instid1(VALU_DEP_1)
	v_dual_sub_nc_u32 v7, v8, v7 :: v_dual_ashrrev_i32 v8, 8, v9
	v_add_nc_u32_e32 v7, 0x3c000000, v7
	s_delay_alu instid0(VALU_DEP_1) | instskip(NEXT) | instid1(VALU_DEP_1)
	v_and_or_b32 v7, 0x7f800000, v8, v7
	v_cndmask_b32_e32 v6, 0, v7, vcc_lo
	s_delay_alu instid0(VALU_DEP_1) | instskip(NEXT) | instid1(VALU_DEP_1)
	v_and_or_b32 v3, 0x80000000, v3, v6
	v_cvt_i32_f32_e32 v3, v3
.LBB63_322:
	s_mov_b32 s39, 0
.LBB63_323:
	s_delay_alu instid0(SALU_CYCLE_1)
	s_and_not1_b32 vcc_lo, exec_lo, s39
	s_cbranch_vccnz .LBB63_325
; %bb.324:
	s_wait_loadcnt 0x0
	global_load_u8 v3, v[4:5], off
	s_wait_loadcnt 0x0
	v_lshlrev_b32_e32 v6, 25, v3
	v_lshlrev_b16 v3, 8, v3
	s_delay_alu instid0(VALU_DEP_1) | instskip(SKIP_1) | instid1(VALU_DEP_2)
	v_and_or_b32 v8, 0x7f00, v3, 0.5
	v_bfe_i32 v3, v3, 0, 16
	v_dual_add_f32 v8, -0.5, v8 :: v_dual_lshrrev_b32 v7, 4, v6
	v_cmp_gt_u32_e32 vcc_lo, 0x8000000, v6
	s_delay_alu instid0(VALU_DEP_2) | instskip(NEXT) | instid1(VALU_DEP_1)
	v_or_b32_e32 v7, 0x70000000, v7
	v_mul_f32_e32 v7, 0x7800000, v7
	s_delay_alu instid0(VALU_DEP_1) | instskip(NEXT) | instid1(VALU_DEP_1)
	v_cndmask_b32_e32 v6, v7, v8, vcc_lo
	v_and_or_b32 v3, 0x80000000, v3, v6
	s_delay_alu instid0(VALU_DEP_1)
	v_cvt_i32_f32_e32 v3, v3
.LBB63_325:
	s_mov_b32 s40, 0
	s_mov_b32 s39, -1
.LBB63_326:
	s_and_not1_b32 vcc_lo, exec_lo, s40
	s_cbranch_vccnz .LBB63_339
; %bb.327:
	s_cmp_gt_i32 s38, 14
	s_cbranch_scc0 .LBB63_330
; %bb.328:
	s_cmp_eq_u32 s38, 15
	s_cbranch_scc0 .LBB63_333
; %bb.329:
	s_wait_loadcnt 0x0
	global_load_u16 v3, v[4:5], off
	s_mov_b32 s39, -1
	s_mov_b32 s25, 0
	s_wait_loadcnt 0x0
	v_lshlrev_b32_e32 v3, 16, v3
	s_delay_alu instid0(VALU_DEP_1)
	v_cvt_i32_f32_e32 v3, v3
	s_branch .LBB63_334
.LBB63_330:
	s_mov_b32 s40, -1
                                        ; implicit-def: $vgpr3
	s_branch .LBB63_335
.LBB63_331:
	s_and_not1_saveexec_b32 s39, s39
	s_cbranch_execz .LBB63_312
.LBB63_332:
	v_cmp_ne_u16_e32 vcc_lo, 0, v6
	s_and_not1_b32 s40, s40, exec_lo
	s_and_b32 s42, vcc_lo, exec_lo
	s_delay_alu instid0(SALU_CYCLE_1)
	s_or_b32 s40, s40, s42
	s_or_b32 exec_lo, exec_lo, s39
	v_mov_b32_e32 v3, 0
	s_and_saveexec_b32 s39, s40
	s_cbranch_execnz .LBB63_313
	s_branch .LBB63_314
.LBB63_333:
	s_mov_b32 s25, -1
                                        ; implicit-def: $vgpr3
.LBB63_334:
	s_mov_b32 s40, 0
.LBB63_335:
	s_delay_alu instid0(SALU_CYCLE_1)
	s_and_b32 vcc_lo, exec_lo, s40
	s_cbranch_vccz .LBB63_339
; %bb.336:
	s_cmp_eq_u32 s38, 11
	s_cbranch_scc0 .LBB63_338
; %bb.337:
	s_wait_loadcnt 0x0
	global_load_u8 v3, v[4:5], off
	s_mov_b32 s25, 0
	s_mov_b32 s39, -1
	s_wait_loadcnt 0x0
	v_cmp_ne_u16_e32 vcc_lo, 0, v3
	v_cndmask_b32_e64 v3, 0, 1, vcc_lo
	s_branch .LBB63_339
.LBB63_338:
	s_mov_b32 s25, -1
                                        ; implicit-def: $vgpr3
.LBB63_339:
	s_branch .LBB63_31
.LBB63_340:
	s_and_b32 s0, 0xffff, s0
	s_delay_alu instid0(SALU_CYCLE_1)
	s_cmp_lt_i32 s0, 5
	s_cbranch_scc1 .LBB63_345
; %bb.341:
	s_cmp_lt_i32 s0, 8
	s_cbranch_scc1 .LBB63_346
; %bb.342:
	;; [unrolled: 3-line block ×3, first 2 shown]
	s_cmp_gt_i32 s0, 9
	s_cbranch_scc0 .LBB63_348
; %bb.344:
	global_load_b64 v[6:7], v[4:5], off
	s_mov_b32 s38, 0
	s_wait_loadcnt 0x0
	v_cvt_i32_f64_e32 v3, v[6:7]
	s_branch .LBB63_349
.LBB63_345:
	s_mov_b32 s38, -1
                                        ; implicit-def: $vgpr3
	s_branch .LBB63_367
.LBB63_346:
	s_mov_b32 s38, -1
                                        ; implicit-def: $vgpr3
	s_branch .LBB63_355
.LBB63_347:
	s_mov_b32 s38, -1
                                        ; implicit-def: $vgpr3
	s_branch .LBB63_352
.LBB63_348:
	s_mov_b32 s38, -1
                                        ; implicit-def: $vgpr3
.LBB63_349:
	s_delay_alu instid0(SALU_CYCLE_1)
	s_and_not1_b32 vcc_lo, exec_lo, s38
	s_cbranch_vccnz .LBB63_351
; %bb.350:
	s_wait_loadcnt 0x0
	global_load_b32 v3, v[4:5], off
	s_wait_loadcnt 0x0
	v_cvt_i32_f32_e32 v3, v3
.LBB63_351:
	s_mov_b32 s38, 0
.LBB63_352:
	s_delay_alu instid0(SALU_CYCLE_1)
	s_and_not1_b32 vcc_lo, exec_lo, s38
	s_cbranch_vccnz .LBB63_354
; %bb.353:
	s_wait_loadcnt 0x0
	global_load_b32 v3, v[4:5], off
	s_wait_loadcnt 0x0
	v_cvt_f32_f16_e32 v3, v3
	s_delay_alu instid0(VALU_DEP_1)
	v_cvt_i32_f32_e32 v3, v3
.LBB63_354:
	s_mov_b32 s38, 0
.LBB63_355:
	s_delay_alu instid0(SALU_CYCLE_1)
	s_and_not1_b32 vcc_lo, exec_lo, s38
	s_cbranch_vccnz .LBB63_366
; %bb.356:
	s_cmp_lt_i32 s0, 6
	s_cbranch_scc1 .LBB63_359
; %bb.357:
	s_cmp_gt_i32 s0, 6
	s_cbranch_scc0 .LBB63_360
; %bb.358:
	global_load_b64 v[6:7], v[4:5], off
	s_mov_b32 s38, 0
	s_wait_loadcnt 0x0
	v_cvt_i32_f64_e32 v3, v[6:7]
	s_branch .LBB63_361
.LBB63_359:
	s_mov_b32 s38, -1
                                        ; implicit-def: $vgpr3
	s_branch .LBB63_364
.LBB63_360:
	s_mov_b32 s38, -1
                                        ; implicit-def: $vgpr3
.LBB63_361:
	s_delay_alu instid0(SALU_CYCLE_1)
	s_and_not1_b32 vcc_lo, exec_lo, s38
	s_cbranch_vccnz .LBB63_363
; %bb.362:
	s_wait_loadcnt 0x0
	global_load_b32 v3, v[4:5], off
	s_wait_loadcnt 0x0
	v_cvt_i32_f32_e32 v3, v3
.LBB63_363:
	s_mov_b32 s38, 0
.LBB63_364:
	s_delay_alu instid0(SALU_CYCLE_1)
	s_and_not1_b32 vcc_lo, exec_lo, s38
	s_cbranch_vccnz .LBB63_366
; %bb.365:
	s_wait_loadcnt 0x0
	global_load_u16 v3, v[4:5], off
	s_wait_loadcnt 0x0
	v_cvt_f32_f16_e32 v3, v3
	s_delay_alu instid0(VALU_DEP_1)
	v_cvt_i32_f32_e32 v3, v3
.LBB63_366:
	s_mov_b32 s38, 0
.LBB63_367:
	s_delay_alu instid0(SALU_CYCLE_1)
	s_and_not1_b32 vcc_lo, exec_lo, s38
	s_cbranch_vccnz .LBB63_387
; %bb.368:
	s_cmp_lt_i32 s0, 2
	s_cbranch_scc1 .LBB63_372
; %bb.369:
	s_cmp_lt_i32 s0, 3
	s_cbranch_scc1 .LBB63_373
; %bb.370:
	s_cmp_gt_i32 s0, 3
	s_cbranch_scc0 .LBB63_374
; %bb.371:
	s_wait_loadcnt 0x0
	global_load_b32 v3, v[4:5], off
	s_mov_b32 s38, 0
	s_branch .LBB63_375
.LBB63_372:
	s_mov_b32 s38, -1
                                        ; implicit-def: $vgpr3
	s_branch .LBB63_381
.LBB63_373:
	s_mov_b32 s38, -1
                                        ; implicit-def: $vgpr3
	s_branch .LBB63_378
.LBB63_374:
	s_mov_b32 s38, -1
                                        ; implicit-def: $vgpr3
.LBB63_375:
	s_delay_alu instid0(SALU_CYCLE_1)
	s_and_not1_b32 vcc_lo, exec_lo, s38
	s_cbranch_vccnz .LBB63_377
; %bb.376:
	s_wait_loadcnt 0x0
	global_load_b32 v3, v[4:5], off
.LBB63_377:
	s_mov_b32 s38, 0
.LBB63_378:
	s_delay_alu instid0(SALU_CYCLE_1)
	s_and_not1_b32 vcc_lo, exec_lo, s38
	s_cbranch_vccnz .LBB63_380
; %bb.379:
	s_wait_loadcnt 0x0
	global_load_i16 v3, v[4:5], off
.LBB63_380:
	s_mov_b32 s38, 0
.LBB63_381:
	s_delay_alu instid0(SALU_CYCLE_1)
	s_and_not1_b32 vcc_lo, exec_lo, s38
	s_cbranch_vccnz .LBB63_387
; %bb.382:
	s_cmp_gt_i32 s0, 0
	s_mov_b32 s0, 0
	s_cbranch_scc0 .LBB63_384
; %bb.383:
	s_wait_loadcnt 0x0
	global_load_i8 v3, v[4:5], off
	s_branch .LBB63_385
.LBB63_384:
	s_mov_b32 s0, -1
                                        ; implicit-def: $vgpr3
.LBB63_385:
	s_delay_alu instid0(SALU_CYCLE_1)
	s_and_not1_b32 vcc_lo, exec_lo, s0
	s_cbranch_vccnz .LBB63_387
; %bb.386:
	s_wait_loadcnt 0x0
	global_load_u8 v3, v[4:5], off
.LBB63_387:
	s_branch .LBB63_32
.LBB63_388:
	s_mov_b32 s0, 0
.LBB63_389:
	s_mov_b32 s42, 0
                                        ; implicit-def: $vgpr0
.LBB63_390:
	s_and_b32 s38, s0, exec_lo
	s_and_b32 s39, s25, exec_lo
	;; [unrolled: 1-line block ×3, first 2 shown]
	s_or_not1_b32 s25, s42, exec_lo
.LBB63_391:
	s_wait_xcnt 0x0
	s_or_b32 exec_lo, exec_lo, s41
	s_mov_b32 s43, 0
	s_mov_b32 s24, 0
                                        ; implicit-def: $sgpr0
                                        ; implicit-def: $vgpr6_vgpr7
                                        ; implicit-def: $vgpr4
                                        ; implicit-def: $vgpr2
                                        ; implicit-def: $vgpr3
	s_and_saveexec_b32 s41, s25
	s_cbranch_execz .LBB63_399
; %bb.392:
	s_mov_b32 s47, -1
	s_mov_b32 s42, s40
	s_mov_b32 s44, s39
	;; [unrolled: 1-line block ×3, first 2 shown]
	s_mov_b32 s45, exec_lo
	v_cmpx_gt_i32_e64 s36, v0
	s_cbranch_execz .LBB63_793
; %bb.393:
	s_and_not1_b32 vcc_lo, exec_lo, s29
	s_cbranch_vccnz .LBB63_402
; %bb.394:
	s_and_not1_b32 vcc_lo, exec_lo, s37
	s_cbranch_vccnz .LBB63_403
; %bb.395:
	s_wait_loadcnt 0x0
	v_dual_mov_b32 v2, 0 :: v_dual_mov_b32 v1, v0
	v_dual_mov_b32 v6, 0 :: v_dual_mov_b32 v4, 0
	s_add_co_i32 s0, s35, 1
	s_mov_b64 s[24:25], 0xffffffffffffffe8
	s_and_b32 s0, s0, 30
	s_add_nc_u64 s[24:25], s[2:3], s[24:25]
.LBB63_396:                             ; =>This Inner Loop Header: Depth=1
	s_clause 0x3
	s_load_b128 s[48:51], s[24:25], 0x1c
	s_load_b64 s[42:43], s[24:25], 0x2c
	s_load_b128 s[52:55], s[24:25], 0xdc
	s_load_b64 s[46:47], s[24:25], 0xec
	s_add_co_i32 s0, s0, -2
	s_wait_xcnt 0x0
	s_add_nc_u64 s[24:25], s[24:25], 24
	s_cmp_eq_u32 s0, 0
	s_wait_kmcnt 0x0
	v_mul_hi_u32 v3, s49, v1
	s_delay_alu instid0(VALU_DEP_1) | instskip(NEXT) | instid1(VALU_DEP_1)
	v_add_nc_u32_e32 v3, v1, v3
	v_lshrrev_b32_e32 v3, s50, v3
	s_delay_alu instid0(VALU_DEP_1) | instskip(SKIP_1) | instid1(VALU_DEP_1)
	v_mul_hi_u32 v5, s42, v3
	v_mul_lo_u32 v7, v3, s48
	v_dual_add_nc_u32 v5, v3, v5 :: v_dual_sub_nc_u32 v7, v1, v7
	s_delay_alu instid0(VALU_DEP_1) | instskip(NEXT) | instid1(VALU_DEP_2)
	v_lshrrev_b32_e32 v1, s43, v5
	v_mad_u32 v2, v7, s52, v2
	v_mad_u32 v4, v7, s54, v4
	;; [unrolled: 1-line block ×3, first 2 shown]
	s_delay_alu instid0(VALU_DEP_4) | instskip(NEXT) | instid1(VALU_DEP_1)
	v_mul_lo_u32 v5, v1, s51
	v_sub_nc_u32_e32 v3, v3, v5
	s_delay_alu instid0(VALU_DEP_1)
	v_mad_u32 v2, v3, s55, v2
	v_mad_u32 v4, v3, s47, v4
	;; [unrolled: 1-line block ×3, first 2 shown]
	s_cbranch_scc0 .LBB63_396
; %bb.397:
	s_bitcmp1_b32 s35, 0
	s_cselect_b32 s0, -1, 0
	s_delay_alu instid0(SALU_CYCLE_1)
	s_and_b32 vcc_lo, exec_lo, s0
	s_cbranch_vccnz .LBB63_404
; %bb.398:
	s_clause 0x1
	s_load_b96 s[48:50], s[24:25], 0x1c
	s_load_b96 s[52:54], s[24:25], 0xdc
	s_wait_kmcnt 0x0
	v_mul_hi_u32 v3, s49, v1
	s_delay_alu instid0(VALU_DEP_1) | instskip(NEXT) | instid1(VALU_DEP_1)
	v_add_nc_u32_e32 v3, v1, v3
	v_lshrrev_b32_e32 v3, s50, v3
	s_delay_alu instid0(VALU_DEP_1) | instskip(NEXT) | instid1(VALU_DEP_1)
	v_mul_lo_u32 v3, v3, s48
	v_sub_nc_u32_e32 v1, v1, v3
	s_delay_alu instid0(VALU_DEP_1)
	v_mad_u32 v2, v1, s52, v2
	v_mad_u32 v6, v1, s53, v6
	v_mad_u32 v4, v1, s54, v4
	s_branch .LBB63_404
.LBB63_399:
	s_or_b32 exec_lo, exec_lo, s41
	s_mov_b32 s1, 0
	s_and_saveexec_b32 s6, s40
	s_cbranch_execnz .LBB63_1287
.LBB63_400:
	s_or_b32 exec_lo, exec_lo, s6
	s_and_saveexec_b32 s6, s19
	s_delay_alu instid0(SALU_CYCLE_1)
	s_xor_b32 s6, exec_lo, s6
	s_cbranch_execz .LBB63_1288
.LBB63_401:
	global_load_u8 v0, v[6:7], off
	s_or_b32 s24, s24, exec_lo
	s_wait_loadcnt 0x0
	v_cmp_ne_u16_e32 vcc_lo, 0, v0
	v_cndmask_b32_e64 v3, 0, 1, vcc_lo
	s_wait_xcnt 0x0
	s_or_b32 exec_lo, exec_lo, s6
	s_and_saveexec_b32 s6, s43
	s_cbranch_execz .LBB63_1334
	s_branch .LBB63_1289
.LBB63_402:
                                        ; implicit-def: $vgpr4
                                        ; implicit-def: $vgpr6
                                        ; implicit-def: $vgpr2
	s_branch .LBB63_405
.LBB63_403:
	v_dual_mov_b32 v4, 0 :: v_dual_mov_b32 v6, 0
	v_mov_b32_e32 v2, 0
.LBB63_404:
	s_cbranch_execnz .LBB63_407
.LBB63_405:
	s_wait_loadcnt 0x0
	v_mov_b32_e32 v1, 0
	s_and_not1_b32 vcc_lo, exec_lo, s34
	s_delay_alu instid0(VALU_DEP_1) | instskip(NEXT) | instid1(VALU_DEP_1)
	v_mul_u64_e32 v[2:3], s[18:19], v[0:1]
	v_add_nc_u32_e32 v2, v0, v3
	s_delay_alu instid0(VALU_DEP_1) | instskip(NEXT) | instid1(VALU_DEP_1)
	v_lshrrev_b32_e32 v8, s10, v2
	v_mul_lo_u32 v2, v8, s8
	s_delay_alu instid0(VALU_DEP_1) | instskip(NEXT) | instid1(VALU_DEP_1)
	v_sub_nc_u32_e32 v3, v0, v2
	v_mul_lo_u32 v2, v3, s12
	v_mul_lo_u32 v4, v3, s14
	;; [unrolled: 1-line block ×3, first 2 shown]
	s_cbranch_vccnz .LBB63_407
; %bb.406:
	v_mov_b32_e32 v9, v1
	s_delay_alu instid0(VALU_DEP_1) | instskip(NEXT) | instid1(VALU_DEP_1)
	v_mul_u64_e32 v[10:11], s[22:23], v[8:9]
	v_add_nc_u32_e32 v1, v8, v11
	s_delay_alu instid0(VALU_DEP_1) | instskip(NEXT) | instid1(VALU_DEP_1)
	v_lshrrev_b32_e32 v1, s1, v1
	v_mul_lo_u32 v1, v1, s11
	s_delay_alu instid0(VALU_DEP_1) | instskip(NEXT) | instid1(VALU_DEP_1)
	v_sub_nc_u32_e32 v1, v8, v1
	v_mad_u32 v2, v1, s15, v2
	v_mad_u32 v6, v1, s20, v6
	;; [unrolled: 1-line block ×3, first 2 shown]
.LBB63_407:
	v_mov_b32_e32 v7, 0
	s_and_b32 s0, s33, 0xff
	s_delay_alu instid0(SALU_CYCLE_1) | instskip(NEXT) | instid1(VALU_DEP_1)
	s_cmp_lt_i32 s0, 11
	v_add_nc_u64_e32 v[6:7], s[6:7], v[6:7]
	s_cbranch_scc1 .LBB63_414
; %bb.408:
	s_and_b32 s25, 0xffff, s0
	s_delay_alu instid0(SALU_CYCLE_1)
	s_cmp_gt_i32 s25, 25
	s_cbranch_scc0 .LBB63_423
; %bb.409:
	s_cmp_gt_i32 s25, 28
	s_cbranch_scc0 .LBB63_425
; %bb.410:
	;; [unrolled: 3-line block ×4, first 2 shown]
	s_cmp_eq_u32 s25, 46
	s_mov_b32 s43, 0
	s_cbranch_scc0 .LBB63_433
; %bb.413:
	s_wait_loadcnt 0x0
	global_load_b32 v1, v[6:7], off
	s_mov_b32 s42, -1
	s_mov_b32 s24, 0
	s_wait_loadcnt 0x0
	v_lshlrev_b32_e32 v1, 16, v1
	s_delay_alu instid0(VALU_DEP_1)
	v_cvt_i32_f32_e32 v1, v1
	s_branch .LBB63_435
.LBB63_414:
	s_mov_b32 s42, 0
	s_mov_b32 s24, s40
                                        ; implicit-def: $vgpr1
	s_cbranch_execnz .LBB63_497
.LBB63_415:
	s_and_not1_b32 vcc_lo, exec_lo, s42
	s_cbranch_vccnz .LBB63_545
.LBB63_416:
	v_mov_b32_e32 v5, 0
	s_and_b32 s0, s9, 0xff
	s_delay_alu instid0(SALU_CYCLE_1) | instskip(NEXT) | instid1(VALU_DEP_1)
	s_cmp_lt_i32 s0, 11
	v_add_nc_u64_e32 v[4:5], s[16:17], v[4:5]
	s_cbranch_scc1 .LBB63_424
; %bb.417:
	s_and_b32 s42, 0xffff, s0
	s_delay_alu instid0(SALU_CYCLE_1)
	s_cmp_gt_i32 s42, 25
	s_cbranch_scc0 .LBB63_426
; %bb.418:
	s_cmp_gt_i32 s42, 28
	s_cbranch_scc0 .LBB63_428
; %bb.419:
	;; [unrolled: 3-line block ×4, first 2 shown]
	s_cmp_eq_u32 s42, 46
	s_mov_b32 s44, 0
	s_cbranch_scc0 .LBB63_548
; %bb.422:
	s_wait_loadcnt 0x0
	global_load_b32 v3, v[4:5], off
	s_mov_b32 s43, -1
	s_mov_b32 s25, 0
	s_wait_loadcnt 0x0
	v_lshlrev_b32_e32 v3, 16, v3
	s_delay_alu instid0(VALU_DEP_1)
	v_cvt_i32_f32_e32 v3, v3
	s_branch .LBB63_550
.LBB63_423:
	s_mov_b32 s43, -1
	s_mov_b32 s42, 0
	s_mov_b32 s24, s40
                                        ; implicit-def: $vgpr1
	s_branch .LBB63_463
.LBB63_424:
	s_mov_b32 s42, -1
	s_mov_b32 s43, 0
	s_mov_b32 s25, s39
                                        ; implicit-def: $vgpr3
	s_branch .LBB63_611
.LBB63_425:
	s_mov_b32 s43, -1
	s_mov_b32 s42, 0
	s_mov_b32 s24, s40
                                        ; implicit-def: $vgpr1
	s_branch .LBB63_446
.LBB63_426:
	s_mov_b32 s44, -1
	s_mov_b32 s43, 0
	s_mov_b32 s25, s39
                                        ; implicit-def: $vgpr3
	s_branch .LBB63_577
.LBB63_427:
	s_mov_b32 s43, -1
	s_mov_b32 s42, 0
	s_mov_b32 s24, s40
                                        ; implicit-def: $vgpr1
	s_branch .LBB63_441
.LBB63_428:
	s_mov_b32 s44, -1
	s_mov_b32 s43, 0
	s_mov_b32 s25, s39
                                        ; implicit-def: $vgpr3
	s_branch .LBB63_560
.LBB63_429:
	s_mov_b32 s43, -1
	s_mov_b32 s42, 0
	s_mov_b32 s24, s40
	s_branch .LBB63_434
.LBB63_430:
	s_mov_b32 s44, -1
	s_mov_b32 s43, 0
	s_mov_b32 s25, s39
                                        ; implicit-def: $vgpr3
	s_branch .LBB63_555
.LBB63_431:
	s_and_not1_saveexec_b32 s43, s43
	s_cbranch_execz .LBB63_193
.LBB63_432:
	v_add_f32_e32 v1, 0x46000000, v5
	s_and_not1_b32 s42, s42, exec_lo
	s_delay_alu instid0(VALU_DEP_1) | instskip(NEXT) | instid1(VALU_DEP_1)
	v_and_b32_e32 v1, 0xff, v1
	v_cmp_ne_u32_e32 vcc_lo, 0, v1
	s_and_b32 s44, vcc_lo, exec_lo
	s_delay_alu instid0(SALU_CYCLE_1)
	s_or_b32 s42, s42, s44
	s_or_b32 exec_lo, exec_lo, s43
	v_mov_b32_e32 v6, 0
	s_and_saveexec_b32 s43, s42
	s_cbranch_execnz .LBB63_194
	s_branch .LBB63_195
.LBB63_433:
	s_mov_b32 s24, -1
	s_mov_b32 s42, 0
.LBB63_434:
                                        ; implicit-def: $vgpr1
.LBB63_435:
	s_and_b32 vcc_lo, exec_lo, s43
	s_cbranch_vccz .LBB63_440
; %bb.436:
	s_cmp_eq_u32 s25, 44
	s_cbranch_scc0 .LBB63_439
; %bb.437:
	s_wait_loadcnt 0x0
	global_load_u8 v1, v[6:7], off
	s_mov_b32 s24, 0
	s_mov_b32 s42, -1
	s_wait_loadcnt 0x0
	v_lshlrev_b32_e32 v3, 23, v1
	v_cmp_ne_u32_e32 vcc_lo, 0, v1
	s_delay_alu instid0(VALU_DEP_2) | instskip(NEXT) | instid1(VALU_DEP_1)
	v_cvt_i32_f32_e32 v3, v3
	v_cndmask_b32_e32 v1, 0, v3, vcc_lo
	s_branch .LBB63_440
.LBB63_438:
	s_mov_b32 s44, -1
	s_mov_b32 s43, 0
	s_mov_b32 s25, s39
	s_branch .LBB63_549
.LBB63_439:
	s_mov_b32 s24, -1
                                        ; implicit-def: $vgpr1
.LBB63_440:
	s_mov_b32 s43, 0
.LBB63_441:
	s_delay_alu instid0(SALU_CYCLE_1)
	s_and_b32 vcc_lo, exec_lo, s43
	s_cbranch_vccz .LBB63_445
; %bb.442:
	s_cmp_eq_u32 s25, 29
	s_cbranch_scc0 .LBB63_444
; %bb.443:
	s_wait_loadcnt 0x0
	global_load_b32 v1, v[6:7], off
	s_mov_b32 s42, -1
	s_mov_b32 s24, 0
	s_branch .LBB63_445
.LBB63_444:
	s_mov_b32 s24, -1
                                        ; implicit-def: $vgpr1
.LBB63_445:
	s_mov_b32 s43, 0
.LBB63_446:
	s_delay_alu instid0(SALU_CYCLE_1)
	s_and_b32 vcc_lo, exec_lo, s43
	s_cbranch_vccz .LBB63_462
; %bb.447:
	s_cmp_lt_i32 s25, 27
	s_cbranch_scc1 .LBB63_450
; %bb.448:
	s_cmp_gt_i32 s25, 27
	s_cbranch_scc0 .LBB63_451
; %bb.449:
	s_wait_loadcnt 0x0
	global_load_b32 v1, v[6:7], off
	s_mov_b32 s42, 0
	s_branch .LBB63_452
.LBB63_450:
	s_mov_b32 s42, -1
                                        ; implicit-def: $vgpr1
	s_branch .LBB63_455
.LBB63_451:
	s_mov_b32 s42, -1
                                        ; implicit-def: $vgpr1
.LBB63_452:
	s_delay_alu instid0(SALU_CYCLE_1)
	s_and_not1_b32 vcc_lo, exec_lo, s42
	s_cbranch_vccnz .LBB63_454
; %bb.453:
	s_wait_loadcnt 0x0
	global_load_u16 v1, v[6:7], off
.LBB63_454:
	s_mov_b32 s42, 0
.LBB63_455:
	s_delay_alu instid0(SALU_CYCLE_1)
	s_and_not1_b32 vcc_lo, exec_lo, s42
	s_cbranch_vccnz .LBB63_461
; %bb.456:
	s_wait_loadcnt 0x0
	global_load_u8 v3, v[6:7], off
	s_mov_b32 s43, 0
	s_mov_b32 s42, exec_lo
	s_wait_loadcnt 0x0
	v_cmpx_lt_i16_e32 0x7f, v3
	s_xor_b32 s42, exec_lo, s42
	s_cbranch_execz .LBB63_473
; %bb.457:
	v_cmp_ne_u16_e32 vcc_lo, 0x80, v3
	s_and_b32 s43, vcc_lo, exec_lo
	s_and_not1_saveexec_b32 s42, s42
	s_cbranch_execnz .LBB63_474
.LBB63_458:
	s_or_b32 exec_lo, exec_lo, s42
	v_mov_b32_e32 v1, 0
	s_and_saveexec_b32 s42, s43
	s_cbranch_execz .LBB63_460
.LBB63_459:
	v_and_b32_e32 v1, 0xffff, v3
	s_delay_alu instid0(VALU_DEP_1) | instskip(SKIP_1) | instid1(VALU_DEP_2)
	v_and_b32_e32 v5, 7, v1
	v_bfe_u32 v10, v1, 3, 4
	v_clz_i32_u32_e32 v8, v5
	s_delay_alu instid0(VALU_DEP_2) | instskip(NEXT) | instid1(VALU_DEP_2)
	v_cmp_eq_u32_e32 vcc_lo, 0, v10
	v_min_u32_e32 v8, 32, v8
	s_delay_alu instid0(VALU_DEP_1) | instskip(NEXT) | instid1(VALU_DEP_1)
	v_subrev_nc_u32_e32 v9, 28, v8
	v_dual_lshlrev_b32 v1, v9, v1 :: v_dual_sub_nc_u32 v8, 29, v8
	s_delay_alu instid0(VALU_DEP_1) | instskip(NEXT) | instid1(VALU_DEP_1)
	v_dual_lshlrev_b32 v3, 24, v3 :: v_dual_bitop2_b32 v1, 7, v1 bitop3:0x40
	v_dual_cndmask_b32 v8, v10, v8 :: v_dual_cndmask_b32 v1, v5, v1
	s_delay_alu instid0(VALU_DEP_2) | instskip(NEXT) | instid1(VALU_DEP_2)
	v_and_b32_e32 v3, 0x80000000, v3
	v_lshl_add_u32 v5, v8, 23, 0x3b800000
	s_delay_alu instid0(VALU_DEP_3) | instskip(NEXT) | instid1(VALU_DEP_1)
	v_lshlrev_b32_e32 v1, 20, v1
	v_or3_b32 v1, v3, v5, v1
	s_delay_alu instid0(VALU_DEP_1)
	v_cvt_i32_f32_e32 v1, v1
.LBB63_460:
	s_or_b32 exec_lo, exec_lo, s42
.LBB63_461:
	s_mov_b32 s42, -1
.LBB63_462:
	s_mov_b32 s43, 0
.LBB63_463:
	s_delay_alu instid0(SALU_CYCLE_1)
	s_and_b32 vcc_lo, exec_lo, s43
	s_cbranch_vccz .LBB63_496
; %bb.464:
	s_cmp_gt_i32 s25, 22
	s_cbranch_scc0 .LBB63_472
; %bb.465:
	s_cmp_lt_i32 s25, 24
	s_cbranch_scc1 .LBB63_475
; %bb.466:
	s_cmp_gt_i32 s25, 24
	s_cbranch_scc0 .LBB63_476
; %bb.467:
	s_wait_loadcnt 0x0
	global_load_u8 v3, v[6:7], off
	s_mov_b32 s43, 0
	s_mov_b32 s42, exec_lo
	s_wait_loadcnt 0x0
	v_cmpx_lt_i16_e32 0x7f, v3
	s_xor_b32 s42, exec_lo, s42
	s_cbranch_execz .LBB63_488
; %bb.468:
	v_cmp_ne_u16_e32 vcc_lo, 0x80, v3
	s_and_b32 s43, vcc_lo, exec_lo
	s_and_not1_saveexec_b32 s42, s42
	s_cbranch_execnz .LBB63_489
.LBB63_469:
	s_or_b32 exec_lo, exec_lo, s42
	v_mov_b32_e32 v1, 0
	s_and_saveexec_b32 s42, s43
	s_cbranch_execz .LBB63_471
.LBB63_470:
	v_and_b32_e32 v1, 0xffff, v3
	s_delay_alu instid0(VALU_DEP_1) | instskip(SKIP_1) | instid1(VALU_DEP_2)
	v_and_b32_e32 v5, 3, v1
	v_bfe_u32 v10, v1, 2, 5
	v_clz_i32_u32_e32 v8, v5
	s_delay_alu instid0(VALU_DEP_2) | instskip(NEXT) | instid1(VALU_DEP_2)
	v_cmp_eq_u32_e32 vcc_lo, 0, v10
	v_min_u32_e32 v8, 32, v8
	s_delay_alu instid0(VALU_DEP_1) | instskip(NEXT) | instid1(VALU_DEP_1)
	v_subrev_nc_u32_e32 v9, 29, v8
	v_dual_lshlrev_b32 v1, v9, v1 :: v_dual_sub_nc_u32 v8, 30, v8
	s_delay_alu instid0(VALU_DEP_1) | instskip(NEXT) | instid1(VALU_DEP_1)
	v_dual_lshlrev_b32 v3, 24, v3 :: v_dual_bitop2_b32 v1, 3, v1 bitop3:0x40
	v_dual_cndmask_b32 v8, v10, v8 :: v_dual_cndmask_b32 v1, v5, v1
	s_delay_alu instid0(VALU_DEP_2) | instskip(NEXT) | instid1(VALU_DEP_2)
	v_and_b32_e32 v3, 0x80000000, v3
	v_lshl_add_u32 v5, v8, 23, 0x37800000
	s_delay_alu instid0(VALU_DEP_3) | instskip(NEXT) | instid1(VALU_DEP_1)
	v_lshlrev_b32_e32 v1, 21, v1
	v_or3_b32 v1, v3, v5, v1
	s_delay_alu instid0(VALU_DEP_1)
	v_cvt_i32_f32_e32 v1, v1
.LBB63_471:
	s_or_b32 exec_lo, exec_lo, s42
	s_mov_b32 s42, 0
	s_branch .LBB63_477
.LBB63_472:
	s_mov_b32 s43, -1
                                        ; implicit-def: $vgpr1
	s_branch .LBB63_483
.LBB63_473:
	s_and_not1_saveexec_b32 s42, s42
	s_cbranch_execz .LBB63_458
.LBB63_474:
	v_cmp_ne_u16_e32 vcc_lo, 0, v3
	s_and_not1_b32 s43, s43, exec_lo
	s_and_b32 s44, vcc_lo, exec_lo
	s_delay_alu instid0(SALU_CYCLE_1)
	s_or_b32 s43, s43, s44
	s_or_b32 exec_lo, exec_lo, s42
	v_mov_b32_e32 v1, 0
	s_and_saveexec_b32 s42, s43
	s_cbranch_execnz .LBB63_459
	s_branch .LBB63_460
.LBB63_475:
	s_mov_b32 s42, -1
                                        ; implicit-def: $vgpr1
	s_branch .LBB63_480
.LBB63_476:
	s_mov_b32 s42, -1
                                        ; implicit-def: $vgpr1
.LBB63_477:
	s_delay_alu instid0(SALU_CYCLE_1)
	s_and_b32 vcc_lo, exec_lo, s42
	s_cbranch_vccz .LBB63_479
; %bb.478:
	s_wait_loadcnt 0x0
	global_load_u8 v1, v[6:7], off
	s_wait_loadcnt 0x0
	v_lshlrev_b32_e32 v1, 24, v1
	s_delay_alu instid0(VALU_DEP_1) | instskip(NEXT) | instid1(VALU_DEP_1)
	v_and_b32_e32 v3, 0x7f000000, v1
	v_clz_i32_u32_e32 v5, v3
	v_add_nc_u32_e32 v9, 0x1000000, v3
	v_cmp_ne_u32_e32 vcc_lo, 0, v3
	s_delay_alu instid0(VALU_DEP_3) | instskip(NEXT) | instid1(VALU_DEP_1)
	v_min_u32_e32 v5, 32, v5
	v_sub_nc_u32_e64 v5, v5, 4 clamp
	s_delay_alu instid0(VALU_DEP_1) | instskip(NEXT) | instid1(VALU_DEP_1)
	v_dual_lshlrev_b32 v8, v5, v3 :: v_dual_lshlrev_b32 v5, 23, v5
	v_lshrrev_b32_e32 v8, 4, v8
	s_delay_alu instid0(VALU_DEP_1) | instskip(SKIP_1) | instid1(VALU_DEP_2)
	v_sub_nc_u32_e32 v5, v8, v5
	v_ashrrev_i32_e32 v8, 8, v9
	v_add_nc_u32_e32 v5, 0x3c000000, v5
	s_delay_alu instid0(VALU_DEP_1) | instskip(NEXT) | instid1(VALU_DEP_1)
	v_and_or_b32 v5, 0x7f800000, v8, v5
	v_cndmask_b32_e32 v3, 0, v5, vcc_lo
	s_delay_alu instid0(VALU_DEP_1) | instskip(NEXT) | instid1(VALU_DEP_1)
	v_and_or_b32 v1, 0x80000000, v1, v3
	v_cvt_i32_f32_e32 v1, v1
.LBB63_479:
	s_mov_b32 s42, 0
.LBB63_480:
	s_delay_alu instid0(SALU_CYCLE_1)
	s_and_not1_b32 vcc_lo, exec_lo, s42
	s_cbranch_vccnz .LBB63_482
; %bb.481:
	s_wait_loadcnt 0x0
	global_load_u8 v1, v[6:7], off
	s_wait_loadcnt 0x0
	v_lshlrev_b32_e32 v3, 25, v1
	v_lshlrev_b16 v1, 8, v1
	s_delay_alu instid0(VALU_DEP_1) | instskip(SKIP_1) | instid1(VALU_DEP_2)
	v_and_or_b32 v8, 0x7f00, v1, 0.5
	v_bfe_i32 v1, v1, 0, 16
	v_dual_add_f32 v8, -0.5, v8 :: v_dual_lshrrev_b32 v5, 4, v3
	v_cmp_gt_u32_e32 vcc_lo, 0x8000000, v3
	s_delay_alu instid0(VALU_DEP_2) | instskip(NEXT) | instid1(VALU_DEP_1)
	v_or_b32_e32 v5, 0x70000000, v5
	v_mul_f32_e32 v5, 0x7800000, v5
	s_delay_alu instid0(VALU_DEP_1) | instskip(NEXT) | instid1(VALU_DEP_1)
	v_cndmask_b32_e32 v3, v5, v8, vcc_lo
	v_and_or_b32 v1, 0x80000000, v1, v3
	s_delay_alu instid0(VALU_DEP_1)
	v_cvt_i32_f32_e32 v1, v1
.LBB63_482:
	s_mov_b32 s43, 0
	s_mov_b32 s42, -1
.LBB63_483:
	s_and_not1_b32 vcc_lo, exec_lo, s43
	s_cbranch_vccnz .LBB63_496
; %bb.484:
	s_cmp_gt_i32 s25, 14
	s_cbranch_scc0 .LBB63_487
; %bb.485:
	s_cmp_eq_u32 s25, 15
	s_cbranch_scc0 .LBB63_490
; %bb.486:
	s_wait_loadcnt 0x0
	global_load_u16 v1, v[6:7], off
	s_mov_b32 s42, -1
	s_mov_b32 s24, 0
	s_wait_loadcnt 0x0
	v_lshlrev_b32_e32 v1, 16, v1
	s_delay_alu instid0(VALU_DEP_1)
	v_cvt_i32_f32_e32 v1, v1
	s_branch .LBB63_491
.LBB63_487:
	s_mov_b32 s43, -1
                                        ; implicit-def: $vgpr1
	s_branch .LBB63_492
.LBB63_488:
	s_and_not1_saveexec_b32 s42, s42
	s_cbranch_execz .LBB63_469
.LBB63_489:
	v_cmp_ne_u16_e32 vcc_lo, 0, v3
	s_and_not1_b32 s43, s43, exec_lo
	s_and_b32 s44, vcc_lo, exec_lo
	s_delay_alu instid0(SALU_CYCLE_1)
	s_or_b32 s43, s43, s44
	s_or_b32 exec_lo, exec_lo, s42
	v_mov_b32_e32 v1, 0
	s_and_saveexec_b32 s42, s43
	s_cbranch_execnz .LBB63_470
	s_branch .LBB63_471
.LBB63_490:
	s_mov_b32 s24, -1
                                        ; implicit-def: $vgpr1
.LBB63_491:
	s_mov_b32 s43, 0
.LBB63_492:
	s_delay_alu instid0(SALU_CYCLE_1)
	s_and_b32 vcc_lo, exec_lo, s43
	s_cbranch_vccz .LBB63_496
; %bb.493:
	s_cmp_eq_u32 s25, 11
	s_cbranch_scc0 .LBB63_495
; %bb.494:
	s_wait_loadcnt 0x0
	global_load_u8 v1, v[6:7], off
	s_mov_b32 s24, 0
	s_mov_b32 s42, -1
	s_wait_loadcnt 0x0
	v_cmp_ne_u16_e32 vcc_lo, 0, v1
	v_cndmask_b32_e64 v1, 0, 1, vcc_lo
	s_branch .LBB63_496
.LBB63_495:
	s_mov_b32 s24, -1
                                        ; implicit-def: $vgpr1
.LBB63_496:
	s_branch .LBB63_415
.LBB63_497:
	s_and_b32 s0, 0xffff, s0
	s_delay_alu instid0(SALU_CYCLE_1)
	s_cmp_lt_i32 s0, 5
	s_cbranch_scc1 .LBB63_502
; %bb.498:
	s_cmp_lt_i32 s0, 8
	s_cbranch_scc1 .LBB63_503
; %bb.499:
	;; [unrolled: 3-line block ×3, first 2 shown]
	s_cmp_gt_i32 s0, 9
	s_cbranch_scc0 .LBB63_505
; %bb.501:
	global_load_b64 v[8:9], v[6:7], off
	s_mov_b32 s25, 0
	s_wait_loadcnt 0x0
	v_cvt_i32_f64_e32 v1, v[8:9]
	s_branch .LBB63_506
.LBB63_502:
	s_mov_b32 s25, -1
                                        ; implicit-def: $vgpr1
	s_branch .LBB63_524
.LBB63_503:
	s_mov_b32 s25, -1
                                        ; implicit-def: $vgpr1
	s_branch .LBB63_512
.LBB63_504:
	s_mov_b32 s25, -1
                                        ; implicit-def: $vgpr1
	s_branch .LBB63_509
.LBB63_505:
	s_mov_b32 s25, -1
                                        ; implicit-def: $vgpr1
.LBB63_506:
	s_delay_alu instid0(SALU_CYCLE_1)
	s_and_not1_b32 vcc_lo, exec_lo, s25
	s_cbranch_vccnz .LBB63_508
; %bb.507:
	s_wait_loadcnt 0x0
	global_load_b32 v1, v[6:7], off
	s_wait_loadcnt 0x0
	v_cvt_i32_f32_e32 v1, v1
.LBB63_508:
	s_mov_b32 s25, 0
.LBB63_509:
	s_delay_alu instid0(SALU_CYCLE_1)
	s_and_not1_b32 vcc_lo, exec_lo, s25
	s_cbranch_vccnz .LBB63_511
; %bb.510:
	s_wait_loadcnt 0x0
	global_load_b32 v1, v[6:7], off
	s_wait_loadcnt 0x0
	v_cvt_f32_f16_e32 v1, v1
	s_delay_alu instid0(VALU_DEP_1)
	v_cvt_i32_f32_e32 v1, v1
.LBB63_511:
	s_mov_b32 s25, 0
.LBB63_512:
	s_delay_alu instid0(SALU_CYCLE_1)
	s_and_not1_b32 vcc_lo, exec_lo, s25
	s_cbranch_vccnz .LBB63_523
; %bb.513:
	s_cmp_lt_i32 s0, 6
	s_cbranch_scc1 .LBB63_516
; %bb.514:
	s_cmp_gt_i32 s0, 6
	s_cbranch_scc0 .LBB63_517
; %bb.515:
	global_load_b64 v[8:9], v[6:7], off
	s_mov_b32 s25, 0
	s_wait_loadcnt 0x0
	v_cvt_i32_f64_e32 v1, v[8:9]
	s_branch .LBB63_518
.LBB63_516:
	s_mov_b32 s25, -1
                                        ; implicit-def: $vgpr1
	s_branch .LBB63_521
.LBB63_517:
	s_mov_b32 s25, -1
                                        ; implicit-def: $vgpr1
.LBB63_518:
	s_delay_alu instid0(SALU_CYCLE_1)
	s_and_not1_b32 vcc_lo, exec_lo, s25
	s_cbranch_vccnz .LBB63_520
; %bb.519:
	s_wait_loadcnt 0x0
	global_load_b32 v1, v[6:7], off
	s_wait_loadcnt 0x0
	v_cvt_i32_f32_e32 v1, v1
.LBB63_520:
	s_mov_b32 s25, 0
.LBB63_521:
	s_delay_alu instid0(SALU_CYCLE_1)
	s_and_not1_b32 vcc_lo, exec_lo, s25
	s_cbranch_vccnz .LBB63_523
; %bb.522:
	s_wait_loadcnt 0x0
	global_load_u16 v1, v[6:7], off
	s_wait_loadcnt 0x0
	v_cvt_f32_f16_e32 v1, v1
	s_delay_alu instid0(VALU_DEP_1)
	v_cvt_i32_f32_e32 v1, v1
.LBB63_523:
	s_mov_b32 s25, 0
.LBB63_524:
	s_delay_alu instid0(SALU_CYCLE_1)
	s_and_not1_b32 vcc_lo, exec_lo, s25
	s_cbranch_vccnz .LBB63_544
; %bb.525:
	s_cmp_lt_i32 s0, 2
	s_cbranch_scc1 .LBB63_529
; %bb.526:
	s_cmp_lt_i32 s0, 3
	s_cbranch_scc1 .LBB63_530
; %bb.527:
	s_cmp_gt_i32 s0, 3
	s_cbranch_scc0 .LBB63_531
; %bb.528:
	s_wait_loadcnt 0x0
	global_load_b32 v1, v[6:7], off
	s_mov_b32 s25, 0
	s_branch .LBB63_532
.LBB63_529:
	s_mov_b32 s25, -1
                                        ; implicit-def: $vgpr1
	s_branch .LBB63_538
.LBB63_530:
	s_mov_b32 s25, -1
                                        ; implicit-def: $vgpr1
	s_branch .LBB63_535
.LBB63_531:
	s_mov_b32 s25, -1
                                        ; implicit-def: $vgpr1
.LBB63_532:
	s_delay_alu instid0(SALU_CYCLE_1)
	s_and_not1_b32 vcc_lo, exec_lo, s25
	s_cbranch_vccnz .LBB63_534
; %bb.533:
	s_wait_loadcnt 0x0
	global_load_b32 v1, v[6:7], off
.LBB63_534:
	s_mov_b32 s25, 0
.LBB63_535:
	s_delay_alu instid0(SALU_CYCLE_1)
	s_and_not1_b32 vcc_lo, exec_lo, s25
	s_cbranch_vccnz .LBB63_537
; %bb.536:
	s_wait_loadcnt 0x0
	global_load_i16 v1, v[6:7], off
.LBB63_537:
	s_mov_b32 s25, 0
.LBB63_538:
	s_delay_alu instid0(SALU_CYCLE_1)
	s_and_not1_b32 vcc_lo, exec_lo, s25
	s_cbranch_vccnz .LBB63_544
; %bb.539:
	s_cmp_gt_i32 s0, 0
	s_mov_b32 s0, 0
	s_cbranch_scc0 .LBB63_541
; %bb.540:
	s_wait_loadcnt 0x0
	global_load_i8 v1, v[6:7], off
	s_branch .LBB63_542
.LBB63_541:
	s_mov_b32 s0, -1
                                        ; implicit-def: $vgpr1
.LBB63_542:
	s_delay_alu instid0(SALU_CYCLE_1)
	s_and_not1_b32 vcc_lo, exec_lo, s0
	s_cbranch_vccnz .LBB63_544
; %bb.543:
	s_wait_loadcnt 0x0
	global_load_u8 v1, v[6:7], off
.LBB63_544:
	s_branch .LBB63_416
.LBB63_545:
	s_mov_b32 s46, 0
	s_mov_b32 s0, s38
	;; [unrolled: 1-line block ×3, first 2 shown]
	s_branch .LBB63_791
.LBB63_546:
	s_and_not1_saveexec_b32 s43, s43
	s_cbranch_execz .LBB63_206
.LBB63_547:
	v_add_f32_e32 v1, 0x42800000, v5
	s_and_not1_b32 s42, s42, exec_lo
	s_delay_alu instid0(VALU_DEP_1) | instskip(NEXT) | instid1(VALU_DEP_1)
	v_and_b32_e32 v1, 0xff, v1
	v_cmp_ne_u32_e32 vcc_lo, 0, v1
	s_and_b32 s44, vcc_lo, exec_lo
	s_delay_alu instid0(SALU_CYCLE_1)
	s_or_b32 s42, s42, s44
	s_or_b32 exec_lo, exec_lo, s43
	v_mov_b32_e32 v6, 0
	s_and_saveexec_b32 s43, s42
	s_cbranch_execnz .LBB63_207
	s_branch .LBB63_208
.LBB63_548:
	s_mov_b32 s25, -1
	s_mov_b32 s43, 0
.LBB63_549:
                                        ; implicit-def: $vgpr3
.LBB63_550:
	s_and_b32 vcc_lo, exec_lo, s44
	s_cbranch_vccz .LBB63_554
; %bb.551:
	s_cmp_eq_u32 s42, 44
	s_cbranch_scc0 .LBB63_553
; %bb.552:
	s_wait_loadcnt 0x0
	global_load_u8 v3, v[4:5], off
	s_mov_b32 s25, 0
	s_mov_b32 s43, -1
	s_wait_loadcnt 0x0
	s_wait_xcnt 0x1
	v_lshlrev_b32_e32 v6, 23, v3
	v_cmp_ne_u32_e32 vcc_lo, 0, v3
	s_delay_alu instid0(VALU_DEP_2) | instskip(NEXT) | instid1(VALU_DEP_1)
	v_cvt_i32_f32_e32 v6, v6
	v_cndmask_b32_e32 v3, 0, v6, vcc_lo
	s_branch .LBB63_554
.LBB63_553:
	s_mov_b32 s25, -1
                                        ; implicit-def: $vgpr3
.LBB63_554:
	s_mov_b32 s44, 0
.LBB63_555:
	s_delay_alu instid0(SALU_CYCLE_1)
	s_and_b32 vcc_lo, exec_lo, s44
	s_cbranch_vccz .LBB63_559
; %bb.556:
	s_cmp_eq_u32 s42, 29
	s_cbranch_scc0 .LBB63_558
; %bb.557:
	s_wait_loadcnt 0x0
	global_load_b32 v3, v[4:5], off
	s_mov_b32 s43, -1
	s_mov_b32 s25, 0
	s_branch .LBB63_559
.LBB63_558:
	s_mov_b32 s25, -1
                                        ; implicit-def: $vgpr3
.LBB63_559:
	s_mov_b32 s44, 0
.LBB63_560:
	s_delay_alu instid0(SALU_CYCLE_1)
	s_and_b32 vcc_lo, exec_lo, s44
	s_cbranch_vccz .LBB63_576
; %bb.561:
	s_cmp_lt_i32 s42, 27
	s_cbranch_scc1 .LBB63_564
; %bb.562:
	s_cmp_gt_i32 s42, 27
	s_cbranch_scc0 .LBB63_565
; %bb.563:
	s_wait_loadcnt 0x0
	global_load_b32 v3, v[4:5], off
	s_mov_b32 s43, 0
	s_branch .LBB63_566
.LBB63_564:
	s_mov_b32 s43, -1
                                        ; implicit-def: $vgpr3
	s_branch .LBB63_569
.LBB63_565:
	s_mov_b32 s43, -1
                                        ; implicit-def: $vgpr3
.LBB63_566:
	s_delay_alu instid0(SALU_CYCLE_1)
	s_and_not1_b32 vcc_lo, exec_lo, s43
	s_cbranch_vccnz .LBB63_568
; %bb.567:
	s_wait_loadcnt 0x0
	global_load_u16 v3, v[4:5], off
.LBB63_568:
	s_mov_b32 s43, 0
.LBB63_569:
	s_delay_alu instid0(SALU_CYCLE_1)
	s_and_not1_b32 vcc_lo, exec_lo, s43
	s_cbranch_vccnz .LBB63_575
; %bb.570:
	global_load_u8 v6, v[4:5], off
	s_mov_b32 s44, 0
	s_mov_b32 s43, exec_lo
	s_wait_loadcnt 0x0
	v_cmpx_lt_i16_e32 0x7f, v6
	s_xor_b32 s43, exec_lo, s43
	s_cbranch_execz .LBB63_587
; %bb.571:
	v_cmp_ne_u16_e32 vcc_lo, 0x80, v6
	s_and_b32 s44, vcc_lo, exec_lo
	s_and_not1_saveexec_b32 s43, s43
	s_cbranch_execnz .LBB63_588
.LBB63_572:
	s_or_b32 exec_lo, exec_lo, s43
	v_mov_b32_e32 v3, 0
	s_and_saveexec_b32 s43, s44
	s_cbranch_execz .LBB63_574
.LBB63_573:
	v_and_b32_e32 v3, 0xffff, v6
	s_delay_alu instid0(VALU_DEP_1) | instskip(SKIP_1) | instid1(VALU_DEP_2)
	v_and_b32_e32 v7, 7, v3
	v_bfe_u32 v10, v3, 3, 4
	v_clz_i32_u32_e32 v8, v7
	s_delay_alu instid0(VALU_DEP_2) | instskip(NEXT) | instid1(VALU_DEP_2)
	v_cmp_eq_u32_e32 vcc_lo, 0, v10
	v_min_u32_e32 v8, 32, v8
	s_delay_alu instid0(VALU_DEP_1) | instskip(NEXT) | instid1(VALU_DEP_1)
	v_subrev_nc_u32_e32 v9, 28, v8
	v_dual_lshlrev_b32 v3, v9, v3 :: v_dual_sub_nc_u32 v8, 29, v8
	s_delay_alu instid0(VALU_DEP_1) | instskip(NEXT) | instid1(VALU_DEP_1)
	v_dual_lshlrev_b32 v6, 24, v6 :: v_dual_bitop2_b32 v3, 7, v3 bitop3:0x40
	v_dual_cndmask_b32 v8, v10, v8 :: v_dual_cndmask_b32 v3, v7, v3
	s_delay_alu instid0(VALU_DEP_2) | instskip(NEXT) | instid1(VALU_DEP_2)
	v_and_b32_e32 v6, 0x80000000, v6
	v_lshl_add_u32 v7, v8, 23, 0x3b800000
	s_delay_alu instid0(VALU_DEP_3) | instskip(NEXT) | instid1(VALU_DEP_1)
	v_lshlrev_b32_e32 v3, 20, v3
	v_or3_b32 v3, v6, v7, v3
	s_delay_alu instid0(VALU_DEP_1)
	v_cvt_i32_f32_e32 v3, v3
.LBB63_574:
	s_or_b32 exec_lo, exec_lo, s43
.LBB63_575:
	s_mov_b32 s43, -1
.LBB63_576:
	s_mov_b32 s44, 0
.LBB63_577:
	s_delay_alu instid0(SALU_CYCLE_1)
	s_and_b32 vcc_lo, exec_lo, s44
	s_cbranch_vccz .LBB63_610
; %bb.578:
	s_cmp_gt_i32 s42, 22
	s_cbranch_scc0 .LBB63_586
; %bb.579:
	s_cmp_lt_i32 s42, 24
	s_cbranch_scc1 .LBB63_589
; %bb.580:
	s_cmp_gt_i32 s42, 24
	s_cbranch_scc0 .LBB63_590
; %bb.581:
	global_load_u8 v6, v[4:5], off
	s_mov_b32 s44, 0
	s_mov_b32 s43, exec_lo
	s_wait_loadcnt 0x0
	v_cmpx_lt_i16_e32 0x7f, v6
	s_xor_b32 s43, exec_lo, s43
	s_cbranch_execz .LBB63_602
; %bb.582:
	v_cmp_ne_u16_e32 vcc_lo, 0x80, v6
	s_and_b32 s44, vcc_lo, exec_lo
	s_and_not1_saveexec_b32 s43, s43
	s_cbranch_execnz .LBB63_603
.LBB63_583:
	s_or_b32 exec_lo, exec_lo, s43
	v_mov_b32_e32 v3, 0
	s_and_saveexec_b32 s43, s44
	s_cbranch_execz .LBB63_585
.LBB63_584:
	v_and_b32_e32 v3, 0xffff, v6
	s_delay_alu instid0(VALU_DEP_1) | instskip(SKIP_1) | instid1(VALU_DEP_2)
	v_and_b32_e32 v7, 3, v3
	v_bfe_u32 v10, v3, 2, 5
	v_clz_i32_u32_e32 v8, v7
	s_delay_alu instid0(VALU_DEP_2) | instskip(NEXT) | instid1(VALU_DEP_2)
	v_cmp_eq_u32_e32 vcc_lo, 0, v10
	v_min_u32_e32 v8, 32, v8
	s_delay_alu instid0(VALU_DEP_1) | instskip(NEXT) | instid1(VALU_DEP_1)
	v_subrev_nc_u32_e32 v9, 29, v8
	v_dual_lshlrev_b32 v3, v9, v3 :: v_dual_sub_nc_u32 v8, 30, v8
	s_delay_alu instid0(VALU_DEP_1) | instskip(NEXT) | instid1(VALU_DEP_1)
	v_dual_lshlrev_b32 v6, 24, v6 :: v_dual_bitop2_b32 v3, 3, v3 bitop3:0x40
	v_dual_cndmask_b32 v8, v10, v8 :: v_dual_cndmask_b32 v3, v7, v3
	s_delay_alu instid0(VALU_DEP_2) | instskip(NEXT) | instid1(VALU_DEP_2)
	v_and_b32_e32 v6, 0x80000000, v6
	v_lshl_add_u32 v7, v8, 23, 0x37800000
	s_delay_alu instid0(VALU_DEP_3) | instskip(NEXT) | instid1(VALU_DEP_1)
	v_lshlrev_b32_e32 v3, 21, v3
	v_or3_b32 v3, v6, v7, v3
	s_delay_alu instid0(VALU_DEP_1)
	v_cvt_i32_f32_e32 v3, v3
.LBB63_585:
	s_or_b32 exec_lo, exec_lo, s43
	s_mov_b32 s43, 0
	s_branch .LBB63_591
.LBB63_586:
	s_mov_b32 s44, -1
                                        ; implicit-def: $vgpr3
	s_branch .LBB63_597
.LBB63_587:
	s_and_not1_saveexec_b32 s43, s43
	s_cbranch_execz .LBB63_572
.LBB63_588:
	v_cmp_ne_u16_e32 vcc_lo, 0, v6
	s_and_not1_b32 s44, s44, exec_lo
	s_and_b32 s46, vcc_lo, exec_lo
	s_delay_alu instid0(SALU_CYCLE_1)
	s_or_b32 s44, s44, s46
	s_or_b32 exec_lo, exec_lo, s43
	v_mov_b32_e32 v3, 0
	s_and_saveexec_b32 s43, s44
	s_cbranch_execnz .LBB63_573
	s_branch .LBB63_574
.LBB63_589:
	s_mov_b32 s43, -1
                                        ; implicit-def: $vgpr3
	s_branch .LBB63_594
.LBB63_590:
	s_mov_b32 s43, -1
                                        ; implicit-def: $vgpr3
.LBB63_591:
	s_delay_alu instid0(SALU_CYCLE_1)
	s_and_b32 vcc_lo, exec_lo, s43
	s_cbranch_vccz .LBB63_593
; %bb.592:
	s_wait_loadcnt 0x0
	global_load_u8 v3, v[4:5], off
	s_wait_loadcnt 0x0
	v_lshlrev_b32_e32 v3, 24, v3
	s_wait_xcnt 0x1
	s_delay_alu instid0(VALU_DEP_1) | instskip(NEXT) | instid1(VALU_DEP_1)
	v_and_b32_e32 v6, 0x7f000000, v3
	v_clz_i32_u32_e32 v7, v6
	v_cmp_ne_u32_e32 vcc_lo, 0, v6
	v_add_nc_u32_e32 v9, 0x1000000, v6
	s_delay_alu instid0(VALU_DEP_3) | instskip(NEXT) | instid1(VALU_DEP_1)
	v_min_u32_e32 v7, 32, v7
	v_sub_nc_u32_e64 v7, v7, 4 clamp
	s_delay_alu instid0(VALU_DEP_1) | instskip(NEXT) | instid1(VALU_DEP_1)
	v_dual_lshlrev_b32 v8, v7, v6 :: v_dual_lshlrev_b32 v7, 23, v7
	v_lshrrev_b32_e32 v8, 4, v8
	s_delay_alu instid0(VALU_DEP_1) | instskip(NEXT) | instid1(VALU_DEP_1)
	v_dual_sub_nc_u32 v7, v8, v7 :: v_dual_ashrrev_i32 v8, 8, v9
	v_add_nc_u32_e32 v7, 0x3c000000, v7
	s_delay_alu instid0(VALU_DEP_1) | instskip(NEXT) | instid1(VALU_DEP_1)
	v_and_or_b32 v7, 0x7f800000, v8, v7
	v_cndmask_b32_e32 v6, 0, v7, vcc_lo
	s_delay_alu instid0(VALU_DEP_1) | instskip(NEXT) | instid1(VALU_DEP_1)
	v_and_or_b32 v3, 0x80000000, v3, v6
	v_cvt_i32_f32_e32 v3, v3
.LBB63_593:
	s_mov_b32 s43, 0
.LBB63_594:
	s_delay_alu instid0(SALU_CYCLE_1)
	s_and_not1_b32 vcc_lo, exec_lo, s43
	s_cbranch_vccnz .LBB63_596
; %bb.595:
	s_wait_loadcnt 0x0
	global_load_u8 v3, v[4:5], off
	s_wait_loadcnt 0x0
	s_wait_xcnt 0x1
	v_lshlrev_b32_e32 v6, 25, v3
	v_lshlrev_b16 v3, 8, v3
	s_delay_alu instid0(VALU_DEP_1) | instskip(SKIP_1) | instid1(VALU_DEP_2)
	v_and_or_b32 v8, 0x7f00, v3, 0.5
	v_bfe_i32 v3, v3, 0, 16
	v_dual_add_f32 v8, -0.5, v8 :: v_dual_lshrrev_b32 v7, 4, v6
	v_cmp_gt_u32_e32 vcc_lo, 0x8000000, v6
	s_delay_alu instid0(VALU_DEP_2) | instskip(NEXT) | instid1(VALU_DEP_1)
	v_or_b32_e32 v7, 0x70000000, v7
	v_mul_f32_e32 v7, 0x7800000, v7
	s_delay_alu instid0(VALU_DEP_1) | instskip(NEXT) | instid1(VALU_DEP_1)
	v_cndmask_b32_e32 v6, v7, v8, vcc_lo
	v_and_or_b32 v3, 0x80000000, v3, v6
	s_delay_alu instid0(VALU_DEP_1)
	v_cvt_i32_f32_e32 v3, v3
.LBB63_596:
	s_mov_b32 s44, 0
	s_mov_b32 s43, -1
.LBB63_597:
	s_and_not1_b32 vcc_lo, exec_lo, s44
	s_cbranch_vccnz .LBB63_610
; %bb.598:
	s_cmp_gt_i32 s42, 14
	s_cbranch_scc0 .LBB63_601
; %bb.599:
	s_cmp_eq_u32 s42, 15
	s_cbranch_scc0 .LBB63_604
; %bb.600:
	s_wait_loadcnt 0x0
	global_load_u16 v3, v[4:5], off
	s_mov_b32 s43, -1
	s_mov_b32 s25, 0
	s_wait_loadcnt 0x0
	v_lshlrev_b32_e32 v3, 16, v3
	s_delay_alu instid0(VALU_DEP_1)
	v_cvt_i32_f32_e32 v3, v3
	s_branch .LBB63_605
.LBB63_601:
	s_mov_b32 s44, -1
                                        ; implicit-def: $vgpr3
	s_branch .LBB63_606
.LBB63_602:
	s_and_not1_saveexec_b32 s43, s43
	s_cbranch_execz .LBB63_583
.LBB63_603:
	v_cmp_ne_u16_e32 vcc_lo, 0, v6
	s_and_not1_b32 s44, s44, exec_lo
	s_and_b32 s46, vcc_lo, exec_lo
	s_delay_alu instid0(SALU_CYCLE_1)
	s_or_b32 s44, s44, s46
	s_or_b32 exec_lo, exec_lo, s43
	v_mov_b32_e32 v3, 0
	s_and_saveexec_b32 s43, s44
	s_cbranch_execnz .LBB63_584
	s_branch .LBB63_585
.LBB63_604:
	s_mov_b32 s25, -1
                                        ; implicit-def: $vgpr3
.LBB63_605:
	s_mov_b32 s44, 0
.LBB63_606:
	s_delay_alu instid0(SALU_CYCLE_1)
	s_and_b32 vcc_lo, exec_lo, s44
	s_cbranch_vccz .LBB63_610
; %bb.607:
	s_cmp_eq_u32 s42, 11
	s_cbranch_scc0 .LBB63_609
; %bb.608:
	s_wait_loadcnt 0x0
	global_load_u8 v3, v[4:5], off
	s_mov_b32 s25, 0
	s_mov_b32 s43, -1
	s_wait_loadcnt 0x0
	v_cmp_ne_u16_e32 vcc_lo, 0, v3
	v_cndmask_b32_e64 v3, 0, 1, vcc_lo
	s_branch .LBB63_610
.LBB63_609:
	s_mov_b32 s25, -1
                                        ; implicit-def: $vgpr3
.LBB63_610:
	s_mov_b32 s42, 0
.LBB63_611:
	s_delay_alu instid0(SALU_CYCLE_1)
	s_and_b32 vcc_lo, exec_lo, s42
	s_cbranch_vccz .LBB63_660
; %bb.612:
	s_and_b32 s0, 0xffff, s0
	s_delay_alu instid0(SALU_CYCLE_1)
	s_cmp_lt_i32 s0, 5
	s_cbranch_scc1 .LBB63_617
; %bb.613:
	s_cmp_lt_i32 s0, 8
	s_cbranch_scc1 .LBB63_618
; %bb.614:
	;; [unrolled: 3-line block ×3, first 2 shown]
	s_cmp_gt_i32 s0, 9
	s_cbranch_scc0 .LBB63_620
; %bb.616:
	global_load_b64 v[6:7], v[4:5], off
	s_mov_b32 s42, 0
	s_wait_loadcnt 0x0
	v_cvt_i32_f64_e32 v3, v[6:7]
	s_branch .LBB63_621
.LBB63_617:
	s_mov_b32 s42, -1
                                        ; implicit-def: $vgpr3
	s_branch .LBB63_639
.LBB63_618:
	s_mov_b32 s42, -1
                                        ; implicit-def: $vgpr3
	s_branch .LBB63_627
.LBB63_619:
	s_mov_b32 s42, -1
                                        ; implicit-def: $vgpr3
	s_branch .LBB63_624
.LBB63_620:
	s_mov_b32 s42, -1
                                        ; implicit-def: $vgpr3
.LBB63_621:
	s_delay_alu instid0(SALU_CYCLE_1)
	s_and_not1_b32 vcc_lo, exec_lo, s42
	s_cbranch_vccnz .LBB63_623
; %bb.622:
	s_wait_loadcnt 0x0
	global_load_b32 v3, v[4:5], off
	s_wait_loadcnt 0x0
	v_cvt_i32_f32_e32 v3, v3
.LBB63_623:
	s_mov_b32 s42, 0
.LBB63_624:
	s_delay_alu instid0(SALU_CYCLE_1)
	s_and_not1_b32 vcc_lo, exec_lo, s42
	s_cbranch_vccnz .LBB63_626
; %bb.625:
	s_wait_loadcnt 0x0
	global_load_b32 v3, v[4:5], off
	s_wait_loadcnt 0x0
	v_cvt_f32_f16_e32 v3, v3
	s_delay_alu instid0(VALU_DEP_1)
	v_cvt_i32_f32_e32 v3, v3
.LBB63_626:
	s_mov_b32 s42, 0
.LBB63_627:
	s_delay_alu instid0(SALU_CYCLE_1)
	s_and_not1_b32 vcc_lo, exec_lo, s42
	s_cbranch_vccnz .LBB63_638
; %bb.628:
	s_cmp_lt_i32 s0, 6
	s_cbranch_scc1 .LBB63_631
; %bb.629:
	s_cmp_gt_i32 s0, 6
	s_cbranch_scc0 .LBB63_632
; %bb.630:
	global_load_b64 v[6:7], v[4:5], off
	s_mov_b32 s42, 0
	s_wait_loadcnt 0x0
	v_cvt_i32_f64_e32 v3, v[6:7]
	s_branch .LBB63_633
.LBB63_631:
	s_mov_b32 s42, -1
                                        ; implicit-def: $vgpr3
	s_branch .LBB63_636
.LBB63_632:
	s_mov_b32 s42, -1
                                        ; implicit-def: $vgpr3
.LBB63_633:
	s_delay_alu instid0(SALU_CYCLE_1)
	s_and_not1_b32 vcc_lo, exec_lo, s42
	s_cbranch_vccnz .LBB63_635
; %bb.634:
	s_wait_loadcnt 0x0
	global_load_b32 v3, v[4:5], off
	s_wait_loadcnt 0x0
	v_cvt_i32_f32_e32 v3, v3
.LBB63_635:
	s_mov_b32 s42, 0
.LBB63_636:
	s_delay_alu instid0(SALU_CYCLE_1)
	s_and_not1_b32 vcc_lo, exec_lo, s42
	s_cbranch_vccnz .LBB63_638
; %bb.637:
	s_wait_loadcnt 0x0
	global_load_u16 v3, v[4:5], off
	s_wait_loadcnt 0x0
	v_cvt_f32_f16_e32 v3, v3
	s_delay_alu instid0(VALU_DEP_1)
	v_cvt_i32_f32_e32 v3, v3
.LBB63_638:
	s_mov_b32 s42, 0
.LBB63_639:
	s_delay_alu instid0(SALU_CYCLE_1)
	s_and_not1_b32 vcc_lo, exec_lo, s42
	s_cbranch_vccnz .LBB63_659
; %bb.640:
	s_cmp_lt_i32 s0, 2
	s_cbranch_scc1 .LBB63_644
; %bb.641:
	s_cmp_lt_i32 s0, 3
	s_cbranch_scc1 .LBB63_645
; %bb.642:
	s_cmp_gt_i32 s0, 3
	s_cbranch_scc0 .LBB63_646
; %bb.643:
	s_wait_loadcnt 0x0
	global_load_b32 v3, v[4:5], off
	s_mov_b32 s42, 0
	s_branch .LBB63_647
.LBB63_644:
	s_mov_b32 s42, -1
                                        ; implicit-def: $vgpr3
	s_branch .LBB63_653
.LBB63_645:
	s_mov_b32 s42, -1
                                        ; implicit-def: $vgpr3
	s_branch .LBB63_650
.LBB63_646:
	s_mov_b32 s42, -1
                                        ; implicit-def: $vgpr3
.LBB63_647:
	s_delay_alu instid0(SALU_CYCLE_1)
	s_and_not1_b32 vcc_lo, exec_lo, s42
	s_cbranch_vccnz .LBB63_649
; %bb.648:
	s_wait_loadcnt 0x0
	global_load_b32 v3, v[4:5], off
.LBB63_649:
	s_mov_b32 s42, 0
.LBB63_650:
	s_delay_alu instid0(SALU_CYCLE_1)
	s_and_not1_b32 vcc_lo, exec_lo, s42
	s_cbranch_vccnz .LBB63_652
; %bb.651:
	s_wait_loadcnt 0x0
	global_load_i16 v3, v[4:5], off
.LBB63_652:
	s_mov_b32 s42, 0
.LBB63_653:
	s_delay_alu instid0(SALU_CYCLE_1)
	s_and_not1_b32 vcc_lo, exec_lo, s42
	s_cbranch_vccnz .LBB63_659
; %bb.654:
	s_cmp_gt_i32 s0, 0
	s_mov_b32 s0, 0
	s_cbranch_scc0 .LBB63_656
; %bb.655:
	s_wait_loadcnt 0x0
	global_load_i8 v3, v[4:5], off
	s_branch .LBB63_657
.LBB63_656:
	s_mov_b32 s0, -1
                                        ; implicit-def: $vgpr3
.LBB63_657:
	s_delay_alu instid0(SALU_CYCLE_1)
	s_and_not1_b32 vcc_lo, exec_lo, s0
	s_cbranch_vccnz .LBB63_659
; %bb.658:
	s_wait_loadcnt 0x0
	global_load_u8 v3, v[4:5], off
.LBB63_659:
	s_mov_b32 s43, -1
.LBB63_660:
	s_delay_alu instid0(SALU_CYCLE_1)
	s_and_not1_b32 vcc_lo, exec_lo, s43
	s_cbranch_vccnz .LBB63_674
; %bb.661:
	s_wait_loadcnt 0x0
	s_delay_alu instid0(VALU_DEP_1) | instskip(SKIP_2) | instid1(VALU_DEP_1)
	v_dual_sub_nc_u32 v4, 0, v3 :: v_dual_sub_nc_u32 v5, 0, v1
	s_mov_b32 s42, 0
	s_mov_b32 s0, exec_lo
	v_max_i32_e32 v6, v3, v4
	v_cmpx_ne_u32_e32 0, v1
	s_cbranch_execz .LBB63_665
; %bb.662:
	v_max_i32_e32 v7, v1, v5
.LBB63_663:                             ; =>This Inner Loop Header: Depth=1
	s_delay_alu instid0(VALU_DEP_1) | instskip(NEXT) | instid1(VALU_DEP_1)
	v_mov_b32_e32 v4, v7
	v_cvt_f32_u32_e32 v7, v4
	s_delay_alu instid0(VALU_DEP_1) | instskip(SKIP_1) | instid1(TRANS32_DEP_1)
	v_rcp_iflag_f32_e32 v7, v7
	v_nop
	v_dual_mul_f32 v7, 0x4f7ffffe, v7 :: v_dual_sub_nc_u32 v8, 0, v4
	s_delay_alu instid0(VALU_DEP_1) | instskip(NEXT) | instid1(VALU_DEP_1)
	v_cvt_u32_f32_e32 v7, v7
	v_mul_lo_u32 v8, v8, v7
	s_delay_alu instid0(VALU_DEP_1) | instskip(NEXT) | instid1(VALU_DEP_1)
	v_mul_hi_u32 v8, v7, v8
	v_add_nc_u32_e32 v7, v7, v8
	s_delay_alu instid0(VALU_DEP_1) | instskip(NEXT) | instid1(VALU_DEP_1)
	v_mul_hi_u32 v7, v6, v7
	v_mul_lo_u32 v7, v7, v4
	s_delay_alu instid0(VALU_DEP_1) | instskip(NEXT) | instid1(VALU_DEP_1)
	v_sub_nc_u32_e32 v6, v6, v7
	v_sub_nc_u32_e32 v7, v6, v4
	v_cmp_ge_u32_e32 vcc_lo, v6, v4
	s_delay_alu instid0(VALU_DEP_2) | instskip(NEXT) | instid1(VALU_DEP_1)
	v_cndmask_b32_e32 v6, v6, v7, vcc_lo
	v_sub_nc_u32_e32 v7, v6, v4
	v_cmp_ge_u32_e32 vcc_lo, v6, v4
	s_delay_alu instid0(VALU_DEP_2) | instskip(NEXT) | instid1(VALU_DEP_1)
	v_dual_cndmask_b32 v7, v6, v7 :: v_dual_mov_b32 v6, v4
	v_cmp_eq_u32_e32 vcc_lo, 0, v7
	s_or_b32 s42, vcc_lo, s42
	s_delay_alu instid0(SALU_CYCLE_1)
	s_and_not1_b32 exec_lo, exec_lo, s42
	s_cbranch_execnz .LBB63_663
; %bb.664:
	s_or_b32 exec_lo, exec_lo, s42
	v_mov_b32_e32 v6, v4
.LBB63_665:
	s_or_b32 exec_lo, exec_lo, s0
	v_mov_b32_e32 v4, 0
	s_mov_b32 s0, exec_lo
	s_delay_alu instid0(VALU_DEP_2)
	v_cmpx_ne_u32_e32 0, v6
	s_cbranch_execz .LBB63_667
; %bb.666:
	v_dual_sub_nc_u32 v4, 0, v6 :: v_dual_max_i32 v5, v1, v5
	v_xor_b32_e32 v1, v1, v6
	s_delay_alu instid0(VALU_DEP_1) | instskip(NEXT) | instid1(VALU_DEP_1)
	v_dual_ashrrev_i32 v1, 31, v1 :: v_dual_max_i32 v4, v6, v4
	v_cvt_f32_u32_e32 v7, v4
	v_sub_nc_u32_e32 v8, 0, v4
	s_delay_alu instid0(VALU_DEP_2) | instskip(SKIP_1) | instid1(TRANS32_DEP_1)
	v_rcp_iflag_f32_e32 v7, v7
	v_nop
	v_mul_f32_e32 v7, 0x4f7ffffe, v7
	s_delay_alu instid0(VALU_DEP_1) | instskip(NEXT) | instid1(VALU_DEP_1)
	v_cvt_u32_f32_e32 v7, v7
	v_mul_lo_u32 v8, v8, v7
	s_delay_alu instid0(VALU_DEP_1) | instskip(NEXT) | instid1(VALU_DEP_1)
	v_mul_hi_u32 v8, v7, v8
	v_add_nc_u32_e32 v7, v7, v8
	s_delay_alu instid0(VALU_DEP_1) | instskip(NEXT) | instid1(VALU_DEP_1)
	v_mul_hi_u32 v7, v5, v7
	v_mul_lo_u32 v8, v7, v4
	s_delay_alu instid0(VALU_DEP_1) | instskip(NEXT) | instid1(VALU_DEP_1)
	v_dual_sub_nc_u32 v5, v5, v8 :: v_dual_add_nc_u32 v8, 1, v7
	v_cmp_ge_u32_e32 vcc_lo, v5, v4
	s_delay_alu instid0(VALU_DEP_2) | instskip(NEXT) | instid1(VALU_DEP_1)
	v_cndmask_b32_e32 v7, v7, v8, vcc_lo
	v_dual_sub_nc_u32 v9, v5, v4 :: v_dual_add_nc_u32 v6, 1, v7
	s_delay_alu instid0(VALU_DEP_1) | instskip(NEXT) | instid1(VALU_DEP_1)
	v_cndmask_b32_e32 v5, v5, v9, vcc_lo
	v_cmp_ge_u32_e32 vcc_lo, v5, v4
	s_delay_alu instid0(VALU_DEP_3) | instskip(NEXT) | instid1(VALU_DEP_1)
	v_cndmask_b32_e32 v4, v7, v6, vcc_lo
	v_xor_b32_e32 v4, v4, v1
	s_delay_alu instid0(VALU_DEP_1) | instskip(NEXT) | instid1(VALU_DEP_1)
	v_sub_nc_u32_e32 v1, v4, v1
	v_mul_lo_u32 v1, v1, v3
	s_delay_alu instid0(VALU_DEP_1) | instskip(NEXT) | instid1(VALU_DEP_1)
	v_sub_nc_u32_e32 v3, 0, v1
	v_max_i32_e32 v4, v1, v3
.LBB63_667:
	s_or_b32 exec_lo, exec_lo, s0
	v_mov_b32_e32 v3, 0
	s_and_b32 s42, s31, 0xff
	s_delay_alu instid0(SALU_CYCLE_1) | instskip(NEXT) | instid1(VALU_DEP_1)
	s_cmp_lt_i32 s42, 11
	v_add_nc_u64_e32 v[2:3], s[4:5], v[2:3]
	s_cbranch_scc1 .LBB63_675
; %bb.668:
	s_and_b32 s43, 0xffff, s42
	s_delay_alu instid0(SALU_CYCLE_1)
	s_cmp_gt_i32 s43, 25
	s_cbranch_scc0 .LBB63_676
; %bb.669:
	s_cmp_gt_i32 s43, 28
	s_cbranch_scc0 .LBB63_677
; %bb.670:
	;; [unrolled: 3-line block ×4, first 2 shown]
	s_mov_b32 s46, 0
	s_mov_b32 s0, -1
	s_cmp_eq_u32 s43, 46
	s_mov_b32 s44, 0
	s_cbranch_scc0 .LBB63_680
; %bb.673:
	v_cvt_f32_u32_e32 v1, v4
	s_mov_b32 s44, -1
	s_mov_b32 s0, 0
	s_delay_alu instid0(VALU_DEP_1) | instskip(NEXT) | instid1(VALU_DEP_1)
	v_bfe_u32 v5, v1, 16, 1
	v_add3_u32 v1, v1, v5, 0x7fff
	s_delay_alu instid0(VALU_DEP_1)
	v_lshrrev_b32_e32 v1, 16, v1
	global_store_b32 v[2:3], v1, off
	s_branch .LBB63_680
.LBB63_674:
	s_mov_b32 s46, 0
	s_mov_b32 s0, s38
	s_branch .LBB63_791
.LBB63_675:
	s_mov_b32 s43, -1
	s_mov_b32 s44, 0
	s_mov_b32 s0, s38
	s_branch .LBB63_749
.LBB63_676:
	s_mov_b32 s46, -1
	s_mov_b32 s44, 0
	s_mov_b32 s0, s38
	s_branch .LBB63_707
.LBB63_677:
	s_mov_b32 s46, -1
	s_mov_b32 s44, 0
	s_mov_b32 s0, s38
	s_branch .LBB63_690
.LBB63_678:
	s_mov_b32 s46, -1
	s_mov_b32 s44, 0
	s_mov_b32 s0, s38
	s_branch .LBB63_686
.LBB63_679:
	s_mov_b32 s46, -1
	s_mov_b32 s44, 0
	s_mov_b32 s0, s38
.LBB63_680:
	s_and_b32 vcc_lo, exec_lo, s46
	s_cbranch_vccz .LBB63_685
; %bb.681:
	s_cmp_eq_u32 s43, 44
	s_mov_b32 s0, -1
	s_cbranch_scc0 .LBB63_685
; %bb.682:
	v_cvt_f32_u32_e32 v6, v4
	v_mov_b32_e32 v5, 0xff
	s_mov_b32 s44, exec_lo
	s_wait_xcnt 0x0
	s_delay_alu instid0(VALU_DEP_2) | instskip(NEXT) | instid1(VALU_DEP_1)
	v_lshrrev_b32_e32 v1, 23, v6
	v_cmpx_ne_u32_e32 0xff, v1
; %bb.683:
	v_and_b32_e32 v5, 0x400000, v6
	v_and_or_b32 v6, 0x3fffff, v6, v1
	s_delay_alu instid0(VALU_DEP_2) | instskip(NEXT) | instid1(VALU_DEP_2)
	v_cmp_ne_u32_e32 vcc_lo, 0, v5
	v_cmp_ne_u32_e64 s0, 0, v6
	s_and_b32 s0, vcc_lo, s0
	s_delay_alu instid0(SALU_CYCLE_1) | instskip(NEXT) | instid1(VALU_DEP_1)
	v_cndmask_b32_e64 v5, 0, 1, s0
	v_add_nc_u32_e32 v5, v1, v5
; %bb.684:
	s_or_b32 exec_lo, exec_lo, s44
	s_mov_b32 s44, -1
	s_mov_b32 s0, 0
	global_store_b8 v[2:3], v5, off
.LBB63_685:
	s_mov_b32 s46, 0
.LBB63_686:
	s_delay_alu instid0(SALU_CYCLE_1)
	s_and_b32 vcc_lo, exec_lo, s46
	s_cbranch_vccz .LBB63_689
; %bb.687:
	s_cmp_eq_u32 s43, 29
	s_mov_b32 s0, -1
	s_cbranch_scc0 .LBB63_689
; %bb.688:
	s_wait_xcnt 0x0
	v_mov_b32_e32 v5, 0
	s_mov_b32 s44, -1
	s_mov_b32 s0, 0
	s_mov_b32 s46, 0
	global_store_b64 v[2:3], v[4:5], off
	s_branch .LBB63_690
.LBB63_689:
	s_mov_b32 s46, 0
.LBB63_690:
	s_delay_alu instid0(SALU_CYCLE_1)
	s_and_b32 vcc_lo, exec_lo, s46
	s_cbranch_vccz .LBB63_706
; %bb.691:
	s_cmp_lt_i32 s43, 27
	s_mov_b32 s44, -1
	s_cbranch_scc1 .LBB63_697
; %bb.692:
	s_cmp_gt_i32 s43, 27
	s_cbranch_scc0 .LBB63_694
; %bb.693:
	s_mov_b32 s44, 0
	global_store_b32 v[2:3], v4, off
.LBB63_694:
	s_and_not1_b32 vcc_lo, exec_lo, s44
	s_cbranch_vccnz .LBB63_696
; %bb.695:
	global_store_b16 v[2:3], v4, off
.LBB63_696:
	s_mov_b32 s44, 0
.LBB63_697:
	s_delay_alu instid0(SALU_CYCLE_1)
	s_and_not1_b32 vcc_lo, exec_lo, s44
	s_cbranch_vccnz .LBB63_705
; %bb.698:
	s_wait_xcnt 0x0
	v_cvt_f32_u32_e32 v5, v4
	v_mov_b32_e32 v6, 0x80
	s_mov_b32 s44, exec_lo
	s_delay_alu instid0(VALU_DEP_2)
	v_cmpx_gt_u32_e32 0x43800000, v5
	s_cbranch_execz .LBB63_704
; %bb.699:
	s_mov_b32 s46, 0
	s_mov_b32 s47, exec_lo
                                        ; implicit-def: $vgpr1
	v_cmpx_lt_u32_e32 0x3bffffff, v5
	s_xor_b32 s47, exec_lo, s47
	s_cbranch_execz .LBB63_819
; %bb.700:
	v_bfe_u32 v1, v5, 20, 1
	s_mov_b32 s46, exec_lo
	s_delay_alu instid0(VALU_DEP_1) | instskip(NEXT) | instid1(VALU_DEP_1)
	v_add3_u32 v1, v5, v1, 0x487ffff
                                        ; implicit-def: $vgpr5
	v_lshrrev_b32_e32 v1, 20, v1
	s_and_not1_saveexec_b32 s47, s47
	s_cbranch_execnz .LBB63_820
.LBB63_701:
	s_or_b32 exec_lo, exec_lo, s47
	v_mov_b32_e32 v6, 0
	s_and_saveexec_b32 s47, s46
.LBB63_702:
	v_mov_b32_e32 v6, v1
.LBB63_703:
	s_or_b32 exec_lo, exec_lo, s47
.LBB63_704:
	s_delay_alu instid0(SALU_CYCLE_1)
	s_or_b32 exec_lo, exec_lo, s44
	global_store_b8 v[2:3], v6, off
.LBB63_705:
	s_mov_b32 s44, -1
.LBB63_706:
	s_mov_b32 s46, 0
.LBB63_707:
	s_delay_alu instid0(SALU_CYCLE_1)
	s_and_b32 vcc_lo, exec_lo, s46
	s_cbranch_vccz .LBB63_748
; %bb.708:
	s_cmp_gt_i32 s43, 22
	s_mov_b32 s46, -1
	s_cbranch_scc0 .LBB63_740
; %bb.709:
	s_cmp_lt_i32 s43, 24
	s_mov_b32 s44, -1
	s_cbranch_scc1 .LBB63_729
; %bb.710:
	s_cmp_gt_i32 s43, 24
	s_cbranch_scc0 .LBB63_718
; %bb.711:
	s_wait_xcnt 0x0
	v_cvt_f32_u32_e32 v5, v4
	v_mov_b32_e32 v6, 0x80
	s_mov_b32 s44, exec_lo
	s_delay_alu instid0(VALU_DEP_2)
	v_cmpx_gt_u32_e32 0x47800000, v5
	s_cbranch_execz .LBB63_717
; %bb.712:
	s_mov_b32 s46, 0
	s_mov_b32 s47, exec_lo
                                        ; implicit-def: $vgpr1
	v_cmpx_lt_u32_e32 0x37ffffff, v5
	s_xor_b32 s47, exec_lo, s47
	s_cbranch_execz .LBB63_947
; %bb.713:
	v_bfe_u32 v1, v5, 21, 1
	s_mov_b32 s46, exec_lo
	s_delay_alu instid0(VALU_DEP_1) | instskip(NEXT) | instid1(VALU_DEP_1)
	v_add3_u32 v1, v5, v1, 0x88fffff
                                        ; implicit-def: $vgpr5
	v_lshrrev_b32_e32 v1, 21, v1
	s_and_not1_saveexec_b32 s47, s47
	s_cbranch_execnz .LBB63_948
.LBB63_714:
	s_or_b32 exec_lo, exec_lo, s47
	v_mov_b32_e32 v6, 0
	s_and_saveexec_b32 s47, s46
.LBB63_715:
	v_mov_b32_e32 v6, v1
.LBB63_716:
	s_or_b32 exec_lo, exec_lo, s47
.LBB63_717:
	s_delay_alu instid0(SALU_CYCLE_1)
	s_or_b32 exec_lo, exec_lo, s44
	s_mov_b32 s44, 0
	global_store_b8 v[2:3], v6, off
.LBB63_718:
	s_and_b32 vcc_lo, exec_lo, s44
	s_cbranch_vccz .LBB63_728
; %bb.719:
	s_wait_xcnt 0x0
	v_cvt_f32_u32_e32 v5, v4
	s_mov_b32 s44, exec_lo
                                        ; implicit-def: $vgpr1
	s_delay_alu instid0(VALU_DEP_1)
	v_cmpx_gt_u32_e32 0x43f00000, v5
	s_xor_b32 s44, exec_lo, s44
	s_cbranch_execz .LBB63_725
; %bb.720:
	s_mov_b32 s46, exec_lo
                                        ; implicit-def: $vgpr1
	v_cmpx_lt_u32_e32 0x3c7fffff, v5
	s_xor_b32 s46, exec_lo, s46
; %bb.721:
	v_bfe_u32 v1, v5, 20, 1
	s_delay_alu instid0(VALU_DEP_1) | instskip(NEXT) | instid1(VALU_DEP_1)
	v_add3_u32 v1, v5, v1, 0x407ffff
	v_and_b32_e32 v5, 0xff00000, v1
	v_lshrrev_b32_e32 v1, 20, v1
	s_delay_alu instid0(VALU_DEP_2) | instskip(NEXT) | instid1(VALU_DEP_2)
	v_cmp_ne_u32_e32 vcc_lo, 0x7f00000, v5
                                        ; implicit-def: $vgpr5
	v_cndmask_b32_e32 v1, 0x7e, v1, vcc_lo
; %bb.722:
	s_and_not1_saveexec_b32 s46, s46
; %bb.723:
	v_add_f32_e32 v1, 0x46800000, v5
; %bb.724:
	s_or_b32 exec_lo, exec_lo, s46
                                        ; implicit-def: $vgpr5
.LBB63_725:
	s_and_not1_saveexec_b32 s44, s44
; %bb.726:
	v_mov_b32_e32 v1, 0x7f
	v_cmp_lt_u32_e32 vcc_lo, 0x7f800000, v5
	s_delay_alu instid0(VALU_DEP_2)
	v_cndmask_b32_e32 v1, 0x7e, v1, vcc_lo
; %bb.727:
	s_or_b32 exec_lo, exec_lo, s44
	global_store_b8 v[2:3], v1, off
.LBB63_728:
	s_mov_b32 s44, 0
.LBB63_729:
	s_delay_alu instid0(SALU_CYCLE_1)
	s_and_not1_b32 vcc_lo, exec_lo, s44
	s_cbranch_vccnz .LBB63_739
; %bb.730:
	s_wait_xcnt 0x0
	v_cvt_f32_u32_e32 v5, v4
	s_mov_b32 s44, exec_lo
                                        ; implicit-def: $vgpr1
	s_delay_alu instid0(VALU_DEP_1)
	v_cmpx_gt_u32_e32 0x47800000, v5
	s_xor_b32 s44, exec_lo, s44
	s_cbranch_execz .LBB63_736
; %bb.731:
	s_mov_b32 s46, exec_lo
                                        ; implicit-def: $vgpr1
	v_cmpx_lt_u32_e32 0x387fffff, v5
	s_xor_b32 s46, exec_lo, s46
; %bb.732:
	v_bfe_u32 v1, v5, 21, 1
	s_delay_alu instid0(VALU_DEP_1) | instskip(NEXT) | instid1(VALU_DEP_1)
	v_add3_u32 v1, v5, v1, 0x80fffff
                                        ; implicit-def: $vgpr5
	v_lshrrev_b32_e32 v1, 21, v1
; %bb.733:
	s_and_not1_saveexec_b32 s46, s46
; %bb.734:
	v_add_f32_e32 v1, 0x43000000, v5
; %bb.735:
	s_or_b32 exec_lo, exec_lo, s46
                                        ; implicit-def: $vgpr5
.LBB63_736:
	s_and_not1_saveexec_b32 s44, s44
; %bb.737:
	v_mov_b32_e32 v1, 0x7f
	v_cmp_lt_u32_e32 vcc_lo, 0x7f800000, v5
	s_delay_alu instid0(VALU_DEP_2)
	v_cndmask_b32_e32 v1, 0x7c, v1, vcc_lo
; %bb.738:
	s_or_b32 exec_lo, exec_lo, s44
	global_store_b8 v[2:3], v1, off
.LBB63_739:
	s_mov_b32 s46, 0
	s_mov_b32 s44, -1
.LBB63_740:
	s_and_not1_b32 vcc_lo, exec_lo, s46
	s_cbranch_vccnz .LBB63_748
; %bb.741:
	s_cmp_gt_i32 s43, 14
	s_mov_b32 s46, -1
	s_cbranch_scc0 .LBB63_745
; %bb.742:
	s_cmp_eq_u32 s43, 15
	s_mov_b32 s0, -1
	s_cbranch_scc0 .LBB63_744
; %bb.743:
	s_wait_xcnt 0x0
	v_cvt_f32_u32_e32 v1, v4
	s_mov_b32 s44, -1
	s_mov_b32 s0, 0
	s_delay_alu instid0(VALU_DEP_1) | instskip(NEXT) | instid1(VALU_DEP_1)
	v_bfe_u32 v5, v1, 16, 1
	v_add3_u32 v1, v1, v5, 0x7fff
	global_store_d16_hi_b16 v[2:3], v1, off
.LBB63_744:
	s_mov_b32 s46, 0
.LBB63_745:
	s_delay_alu instid0(SALU_CYCLE_1)
	s_and_b32 vcc_lo, exec_lo, s46
	s_cbranch_vccz .LBB63_748
; %bb.746:
	s_cmp_eq_u32 s43, 11
	s_mov_b32 s0, -1
	s_cbranch_scc0 .LBB63_748
; %bb.747:
	v_cmp_ne_u32_e32 vcc_lo, 0, v4
	s_mov_b32 s0, 0
	s_mov_b32 s44, -1
	s_wait_xcnt 0x0
	v_cndmask_b32_e64 v1, 0, 1, vcc_lo
	global_store_b8 v[2:3], v1, off
.LBB63_748:
	s_mov_b32 s43, 0
.LBB63_749:
	s_delay_alu instid0(SALU_CYCLE_1)
	s_and_b32 vcc_lo, exec_lo, s43
	s_cbranch_vccz .LBB63_788
; %bb.750:
	s_and_b32 s42, 0xffff, s42
	s_mov_b32 s43, -1
	s_cmp_lt_i32 s42, 5
	s_cbranch_scc1 .LBB63_771
; %bb.751:
	s_cmp_lt_i32 s42, 8
	s_cbranch_scc1 .LBB63_761
; %bb.752:
	;; [unrolled: 3-line block ×3, first 2 shown]
	s_cmp_gt_i32 s42, 9
	s_cbranch_scc0 .LBB63_755
; %bb.754:
	s_wait_xcnt 0x0
	v_cvt_f64_u32_e32 v[6:7], v4
	v_mov_b32_e32 v8, 0
	s_mov_b32 s43, 0
	s_delay_alu instid0(VALU_DEP_1)
	v_mov_b32_e32 v9, v8
	global_store_b128 v[2:3], v[6:9], off
.LBB63_755:
	s_and_not1_b32 vcc_lo, exec_lo, s43
	s_cbranch_vccnz .LBB63_757
; %bb.756:
	s_wait_xcnt 0x0
	v_cvt_f32_u32_e32 v6, v4
	v_mov_b32_e32 v7, 0
	global_store_b64 v[2:3], v[6:7], off
.LBB63_757:
	s_mov_b32 s43, 0
.LBB63_758:
	s_delay_alu instid0(SALU_CYCLE_1)
	s_and_not1_b32 vcc_lo, exec_lo, s43
	s_cbranch_vccnz .LBB63_760
; %bb.759:
	s_wait_xcnt 0x0
	v_cvt_f32_u32_e32 v1, v4
	s_delay_alu instid0(VALU_DEP_1) | instskip(NEXT) | instid1(VALU_DEP_1)
	v_cvt_f16_f32_e32 v1, v1
	v_and_b32_e32 v1, 0xffff, v1
	global_store_b32 v[2:3], v1, off
.LBB63_760:
	s_mov_b32 s43, 0
.LBB63_761:
	s_delay_alu instid0(SALU_CYCLE_1)
	s_and_not1_b32 vcc_lo, exec_lo, s43
	s_cbranch_vccnz .LBB63_770
; %bb.762:
	s_cmp_lt_i32 s42, 6
	s_mov_b32 s43, -1
	s_cbranch_scc1 .LBB63_768
; %bb.763:
	s_cmp_gt_i32 s42, 6
	s_cbranch_scc0 .LBB63_765
; %bb.764:
	s_wait_xcnt 0x0
	v_cvt_f64_u32_e32 v[6:7], v4
	s_mov_b32 s43, 0
	global_store_b64 v[2:3], v[6:7], off
.LBB63_765:
	s_and_not1_b32 vcc_lo, exec_lo, s43
	s_cbranch_vccnz .LBB63_767
; %bb.766:
	s_wait_xcnt 0x0
	v_cvt_f32_u32_e32 v1, v4
	global_store_b32 v[2:3], v1, off
.LBB63_767:
	s_mov_b32 s43, 0
.LBB63_768:
	s_delay_alu instid0(SALU_CYCLE_1)
	s_and_not1_b32 vcc_lo, exec_lo, s43
	s_cbranch_vccnz .LBB63_770
; %bb.769:
	s_wait_xcnt 0x0
	v_cvt_f32_u32_e32 v1, v4
	s_delay_alu instid0(VALU_DEP_1)
	v_cvt_f16_f32_e32 v1, v1
	global_store_b16 v[2:3], v1, off
.LBB63_770:
	s_mov_b32 s43, 0
.LBB63_771:
	s_delay_alu instid0(SALU_CYCLE_1)
	s_and_not1_b32 vcc_lo, exec_lo, s43
	s_cbranch_vccnz .LBB63_787
; %bb.772:
	s_cmp_lt_i32 s42, 2
	s_mov_b32 s43, -1
	s_cbranch_scc1 .LBB63_782
; %bb.773:
	s_cmp_lt_i32 s42, 3
	s_cbranch_scc1 .LBB63_779
; %bb.774:
	s_cmp_gt_i32 s42, 3
	s_cbranch_scc0 .LBB63_776
; %bb.775:
	s_wait_xcnt 0x0
	v_mov_b32_e32 v5, 0
	s_mov_b32 s43, 0
	global_store_b64 v[2:3], v[4:5], off
.LBB63_776:
	s_and_not1_b32 vcc_lo, exec_lo, s43
	s_cbranch_vccnz .LBB63_778
; %bb.777:
	global_store_b32 v[2:3], v4, off
.LBB63_778:
	s_mov_b32 s43, 0
.LBB63_779:
	s_delay_alu instid0(SALU_CYCLE_1)
	s_and_not1_b32 vcc_lo, exec_lo, s43
	s_cbranch_vccnz .LBB63_781
; %bb.780:
	global_store_b16 v[2:3], v4, off
.LBB63_781:
	s_mov_b32 s43, 0
.LBB63_782:
	s_delay_alu instid0(SALU_CYCLE_1)
	s_and_not1_b32 vcc_lo, exec_lo, s43
	s_cbranch_vccnz .LBB63_787
; %bb.783:
	s_cmp_gt_i32 s42, 0
	s_mov_b32 s42, -1
	s_cbranch_scc0 .LBB63_785
; %bb.784:
	s_mov_b32 s42, 0
	global_store_b8 v[2:3], v4, off
.LBB63_785:
	s_and_not1_b32 vcc_lo, exec_lo, s42
	s_cbranch_vccnz .LBB63_787
; %bb.786:
	global_store_b8 v[2:3], v4, off
.LBB63_787:
	s_mov_b32 s44, -1
.LBB63_788:
	s_delay_alu instid0(SALU_CYCLE_1)
	s_and_not1_b32 vcc_lo, exec_lo, s44
	s_cbranch_vccnz .LBB63_790
; %bb.789:
	v_add_nc_u32_e32 v0, 0x80, v0
	s_mov_b32 s46, -1
	s_branch .LBB63_792
.LBB63_790:
	s_mov_b32 s46, 0
.LBB63_791:
                                        ; implicit-def: $vgpr0
.LBB63_792:
	s_and_not1_b32 s42, s38, exec_lo
	s_and_b32 s0, s0, exec_lo
	s_and_b32 s25, s25, exec_lo
	s_or_b32 s43, s42, s0
	s_and_not1_b32 s0, s39, exec_lo
	s_and_not1_b32 s42, s40, exec_lo
	s_and_b32 s24, s24, exec_lo
	s_or_b32 s44, s0, s25
	s_or_b32 s42, s42, s24
	s_or_not1_b32 s47, s46, exec_lo
.LBB63_793:
	s_wait_xcnt 0x0
	s_or_b32 exec_lo, exec_lo, s45
	s_mov_b32 s25, 0
	s_mov_b32 s46, 0
	;; [unrolled: 1-line block ×3, first 2 shown]
                                        ; implicit-def: $sgpr0
                                        ; implicit-def: $vgpr6_vgpr7
                                        ; implicit-def: $vgpr4
                                        ; implicit-def: $vgpr2
                                        ; implicit-def: $vgpr3
	s_and_saveexec_b32 s45, s47
	s_cbranch_execz .LBB63_1286
; %bb.794:
	s_mov_b32 s51, -1
	s_mov_b32 s47, s42
	s_mov_b32 s49, s44
	;; [unrolled: 1-line block ×3, first 2 shown]
	s_mov_b32 s46, exec_lo
	v_cmpx_gt_i32_e64 s36, v0
	s_cbranch_execz .LBB63_1194
; %bb.795:
	s_and_not1_b32 vcc_lo, exec_lo, s29
	s_cbranch_vccnz .LBB63_801
; %bb.796:
	s_and_not1_b32 vcc_lo, exec_lo, s37
	s_cbranch_vccnz .LBB63_802
; %bb.797:
	s_wait_loadcnt 0x0
	v_dual_mov_b32 v2, 0 :: v_dual_mov_b32 v1, v0
	v_dual_mov_b32 v6, 0 :: v_dual_mov_b32 v4, 0
	s_add_co_i32 s0, s35, 1
	s_mov_b64 s[24:25], 0xffffffffffffffe8
	s_and_b32 s0, s0, 30
	s_add_nc_u64 s[24:25], s[2:3], s[24:25]
.LBB63_798:                             ; =>This Inner Loop Header: Depth=1
	s_clause 0x1
	s_load_b128 s[48:51], s[24:25], 0x1c
	s_load_b64 s[56:57], s[24:25], 0x2c
	s_add_co_i32 s0, s0, -2
	s_delay_alu instid0(SALU_CYCLE_1) | instskip(SKIP_2) | instid1(VALU_DEP_1)
	s_cmp_eq_u32 s0, 0
	s_wait_kmcnt 0x0
	v_mul_hi_u32 v3, s49, v1
	v_add_nc_u32_e32 v3, v1, v3
	s_delay_alu instid0(VALU_DEP_1) | instskip(NEXT) | instid1(VALU_DEP_1)
	v_lshrrev_b32_e32 v3, s50, v3
	v_mul_hi_u32 v5, s56, v3
	v_mul_lo_u32 v7, v3, s48
	s_clause 0x1
	s_load_b128 s[52:55], s[24:25], 0xdc
	s_load_b64 s[48:49], s[24:25], 0xec
	s_wait_xcnt 0x0
	s_add_nc_u64 s[24:25], s[24:25], 24
	s_delay_alu instid0(VALU_DEP_1) | instskip(NEXT) | instid1(VALU_DEP_1)
	v_dual_add_nc_u32 v5, v3, v5 :: v_dual_sub_nc_u32 v7, v1, v7
	v_lshrrev_b32_e32 v1, s57, v5
	s_wait_kmcnt 0x0
	s_delay_alu instid0(VALU_DEP_2) | instskip(NEXT) | instid1(VALU_DEP_2)
	v_mad_u32 v2, v7, s52, v2
	v_mul_lo_u32 v5, v1, s51
	v_mad_u32 v4, v7, s54, v4
	v_mad_u32 v6, v7, s53, v6
	s_delay_alu instid0(VALU_DEP_3) | instskip(NEXT) | instid1(VALU_DEP_1)
	v_sub_nc_u32_e32 v3, v3, v5
	v_mad_u32 v2, v3, s55, v2
	s_delay_alu instid0(VALU_DEP_4) | instskip(NEXT) | instid1(VALU_DEP_4)
	v_mad_u32 v4, v3, s49, v4
	v_mad_u32 v6, v3, s48, v6
	s_cbranch_scc0 .LBB63_798
; %bb.799:
	s_bitcmp1_b32 s35, 0
	s_cselect_b32 s0, -1, 0
	s_delay_alu instid0(SALU_CYCLE_1)
	s_and_b32 vcc_lo, exec_lo, s0
	s_cbranch_vccnz .LBB63_803
; %bb.800:
	s_clause 0x1
	s_load_b96 s[48:50], s[24:25], 0x1c
	s_load_b96 s[52:54], s[24:25], 0xdc
	s_wait_kmcnt 0x0
	v_mul_hi_u32 v3, s49, v1
	s_delay_alu instid0(VALU_DEP_1) | instskip(NEXT) | instid1(VALU_DEP_1)
	v_add_nc_u32_e32 v3, v1, v3
	v_lshrrev_b32_e32 v3, s50, v3
	s_delay_alu instid0(VALU_DEP_1) | instskip(NEXT) | instid1(VALU_DEP_1)
	v_mul_lo_u32 v3, v3, s48
	v_sub_nc_u32_e32 v1, v1, v3
	s_delay_alu instid0(VALU_DEP_1)
	v_mad_u32 v2, v1, s52, v2
	v_mad_u32 v6, v1, s53, v6
	;; [unrolled: 1-line block ×3, first 2 shown]
	s_branch .LBB63_803
.LBB63_801:
	s_mov_b32 s0, -1
                                        ; implicit-def: $vgpr4
                                        ; implicit-def: $vgpr6
                                        ; implicit-def: $vgpr2
	s_branch .LBB63_804
.LBB63_802:
	v_dual_mov_b32 v4, 0 :: v_dual_mov_b32 v6, 0
	v_mov_b32_e32 v2, 0
.LBB63_803:
	s_mov_b32 s0, 0
.LBB63_804:
	s_delay_alu instid0(SALU_CYCLE_1)
	s_and_not1_b32 vcc_lo, exec_lo, s0
	s_cbranch_vccnz .LBB63_807
; %bb.805:
	s_wait_loadcnt 0x0
	v_mov_b32_e32 v1, 0
	s_and_not1_b32 vcc_lo, exec_lo, s34
	s_delay_alu instid0(VALU_DEP_1) | instskip(NEXT) | instid1(VALU_DEP_1)
	v_mul_u64_e32 v[2:3], s[18:19], v[0:1]
	v_add_nc_u32_e32 v2, v0, v3
	s_delay_alu instid0(VALU_DEP_1) | instskip(NEXT) | instid1(VALU_DEP_1)
	v_lshrrev_b32_e32 v8, s10, v2
	v_mul_lo_u32 v2, v8, s8
	s_delay_alu instid0(VALU_DEP_1) | instskip(NEXT) | instid1(VALU_DEP_1)
	v_sub_nc_u32_e32 v3, v0, v2
	v_mul_lo_u32 v2, v3, s12
	v_mul_lo_u32 v4, v3, s14
	v_mul_lo_u32 v6, v3, s13
	s_cbranch_vccnz .LBB63_807
; %bb.806:
	v_mov_b32_e32 v9, v1
	s_delay_alu instid0(VALU_DEP_1) | instskip(NEXT) | instid1(VALU_DEP_1)
	v_mul_u64_e32 v[10:11], s[22:23], v[8:9]
	v_add_nc_u32_e32 v1, v8, v11
	s_delay_alu instid0(VALU_DEP_1) | instskip(NEXT) | instid1(VALU_DEP_1)
	v_lshrrev_b32_e32 v1, s1, v1
	v_mul_lo_u32 v1, v1, s11
	s_delay_alu instid0(VALU_DEP_1) | instskip(NEXT) | instid1(VALU_DEP_1)
	v_sub_nc_u32_e32 v1, v8, v1
	v_mad_u32 v2, v1, s15, v2
	v_mad_u32 v6, v1, s20, v6
	;; [unrolled: 1-line block ×3, first 2 shown]
.LBB63_807:
	v_mov_b32_e32 v7, 0
	s_and_b32 s0, s33, 0xff
	s_delay_alu instid0(SALU_CYCLE_1) | instskip(NEXT) | instid1(VALU_DEP_1)
	s_cmp_lt_i32 s0, 11
	v_add_nc_u64_e32 v[6:7], s[6:7], v[6:7]
	s_cbranch_scc1 .LBB63_814
; %bb.808:
	s_and_b32 s25, 0xffff, s0
	s_delay_alu instid0(SALU_CYCLE_1)
	s_cmp_gt_i32 s25, 25
	s_cbranch_scc0 .LBB63_815
; %bb.809:
	s_cmp_gt_i32 s25, 28
	s_cbranch_scc0 .LBB63_816
; %bb.810:
	;; [unrolled: 3-line block ×4, first 2 shown]
	s_cmp_eq_u32 s25, 46
	s_mov_b32 s48, 0
	s_cbranch_scc0 .LBB63_821
; %bb.813:
	s_wait_loadcnt 0x0
	global_load_b32 v1, v[6:7], off
	s_mov_b32 s47, -1
	s_mov_b32 s24, 0
	s_wait_loadcnt 0x0
	v_lshlrev_b32_e32 v1, 16, v1
	s_delay_alu instid0(VALU_DEP_1)
	v_cvt_i32_f32_e32 v1, v1
	s_branch .LBB63_823
.LBB63_814:
	s_mov_b32 s25, -1
	s_mov_b32 s47, 0
	s_mov_b32 s24, s42
                                        ; implicit-def: $vgpr1
	s_branch .LBB63_884
.LBB63_815:
	s_mov_b32 s48, -1
	s_mov_b32 s47, 0
	s_mov_b32 s24, s42
                                        ; implicit-def: $vgpr1
	s_branch .LBB63_850
.LBB63_816:
	s_mov_b32 s48, -1
	s_mov_b32 s47, 0
	s_mov_b32 s24, s42
                                        ; implicit-def: $vgpr1
	s_branch .LBB63_833
.LBB63_817:
	s_mov_b32 s48, -1
	s_mov_b32 s47, 0
	s_mov_b32 s24, s42
                                        ; implicit-def: $vgpr1
	s_branch .LBB63_828
.LBB63_818:
	s_mov_b32 s48, -1
	s_mov_b32 s47, 0
	s_mov_b32 s24, s42
	s_branch .LBB63_822
.LBB63_819:
	s_and_not1_saveexec_b32 s47, s47
	s_cbranch_execz .LBB63_701
.LBB63_820:
	v_add_f32_e32 v1, 0x46000000, v5
	s_and_not1_b32 s46, s46, exec_lo
	s_delay_alu instid0(VALU_DEP_1) | instskip(NEXT) | instid1(VALU_DEP_1)
	v_and_b32_e32 v1, 0xff, v1
	v_cmp_ne_u32_e32 vcc_lo, 0, v1
	s_and_b32 s48, vcc_lo, exec_lo
	s_delay_alu instid0(SALU_CYCLE_1)
	s_or_b32 s46, s46, s48
	s_or_b32 exec_lo, exec_lo, s47
	v_mov_b32_e32 v6, 0
	s_and_saveexec_b32 s47, s46
	s_cbranch_execnz .LBB63_702
	s_branch .LBB63_703
.LBB63_821:
	s_mov_b32 s24, -1
	s_mov_b32 s47, 0
.LBB63_822:
                                        ; implicit-def: $vgpr1
.LBB63_823:
	s_and_b32 vcc_lo, exec_lo, s48
	s_cbranch_vccz .LBB63_827
; %bb.824:
	s_cmp_eq_u32 s25, 44
	s_cbranch_scc0 .LBB63_826
; %bb.825:
	s_wait_loadcnt 0x0
	global_load_u8 v1, v[6:7], off
	s_mov_b32 s24, 0
	s_mov_b32 s47, -1
	s_wait_loadcnt 0x0
	v_lshlrev_b32_e32 v3, 23, v1
	v_cmp_ne_u32_e32 vcc_lo, 0, v1
	s_delay_alu instid0(VALU_DEP_2) | instskip(NEXT) | instid1(VALU_DEP_1)
	v_cvt_i32_f32_e32 v3, v3
	v_cndmask_b32_e32 v1, 0, v3, vcc_lo
	s_branch .LBB63_827
.LBB63_826:
	s_mov_b32 s24, -1
                                        ; implicit-def: $vgpr1
.LBB63_827:
	s_mov_b32 s48, 0
.LBB63_828:
	s_delay_alu instid0(SALU_CYCLE_1)
	s_and_b32 vcc_lo, exec_lo, s48
	s_cbranch_vccz .LBB63_832
; %bb.829:
	s_cmp_eq_u32 s25, 29
	s_cbranch_scc0 .LBB63_831
; %bb.830:
	s_wait_loadcnt 0x0
	global_load_b32 v1, v[6:7], off
	s_mov_b32 s47, -1
	s_mov_b32 s24, 0
	s_branch .LBB63_832
.LBB63_831:
	s_mov_b32 s24, -1
                                        ; implicit-def: $vgpr1
.LBB63_832:
	s_mov_b32 s48, 0
.LBB63_833:
	s_delay_alu instid0(SALU_CYCLE_1)
	s_and_b32 vcc_lo, exec_lo, s48
	s_cbranch_vccz .LBB63_849
; %bb.834:
	s_cmp_lt_i32 s25, 27
	s_cbranch_scc1 .LBB63_837
; %bb.835:
	s_cmp_gt_i32 s25, 27
	s_cbranch_scc0 .LBB63_838
; %bb.836:
	s_wait_loadcnt 0x0
	global_load_b32 v1, v[6:7], off
	s_mov_b32 s47, 0
	s_branch .LBB63_839
.LBB63_837:
	s_mov_b32 s47, -1
                                        ; implicit-def: $vgpr1
	s_branch .LBB63_842
.LBB63_838:
	s_mov_b32 s47, -1
                                        ; implicit-def: $vgpr1
.LBB63_839:
	s_delay_alu instid0(SALU_CYCLE_1)
	s_and_not1_b32 vcc_lo, exec_lo, s47
	s_cbranch_vccnz .LBB63_841
; %bb.840:
	s_wait_loadcnt 0x0
	global_load_u16 v1, v[6:7], off
.LBB63_841:
	s_mov_b32 s47, 0
.LBB63_842:
	s_delay_alu instid0(SALU_CYCLE_1)
	s_and_not1_b32 vcc_lo, exec_lo, s47
	s_cbranch_vccnz .LBB63_848
; %bb.843:
	s_wait_loadcnt 0x0
	global_load_u8 v3, v[6:7], off
	s_mov_b32 s48, 0
	s_mov_b32 s47, exec_lo
	s_wait_loadcnt 0x0
	v_cmpx_lt_i16_e32 0x7f, v3
	s_xor_b32 s47, exec_lo, s47
	s_cbranch_execz .LBB63_860
; %bb.844:
	v_cmp_ne_u16_e32 vcc_lo, 0x80, v3
	s_and_b32 s48, vcc_lo, exec_lo
	s_and_not1_saveexec_b32 s47, s47
	s_cbranch_execnz .LBB63_861
.LBB63_845:
	s_or_b32 exec_lo, exec_lo, s47
	v_mov_b32_e32 v1, 0
	s_and_saveexec_b32 s47, s48
	s_cbranch_execz .LBB63_847
.LBB63_846:
	v_and_b32_e32 v1, 0xffff, v3
	s_delay_alu instid0(VALU_DEP_1) | instskip(SKIP_1) | instid1(VALU_DEP_2)
	v_and_b32_e32 v5, 7, v1
	v_bfe_u32 v10, v1, 3, 4
	v_clz_i32_u32_e32 v8, v5
	s_delay_alu instid0(VALU_DEP_2) | instskip(NEXT) | instid1(VALU_DEP_2)
	v_cmp_eq_u32_e32 vcc_lo, 0, v10
	v_min_u32_e32 v8, 32, v8
	s_delay_alu instid0(VALU_DEP_1) | instskip(NEXT) | instid1(VALU_DEP_1)
	v_subrev_nc_u32_e32 v9, 28, v8
	v_dual_lshlrev_b32 v1, v9, v1 :: v_dual_sub_nc_u32 v8, 29, v8
	s_delay_alu instid0(VALU_DEP_1) | instskip(NEXT) | instid1(VALU_DEP_1)
	v_dual_lshlrev_b32 v3, 24, v3 :: v_dual_bitop2_b32 v1, 7, v1 bitop3:0x40
	v_dual_cndmask_b32 v8, v10, v8 :: v_dual_cndmask_b32 v1, v5, v1
	s_delay_alu instid0(VALU_DEP_2) | instskip(NEXT) | instid1(VALU_DEP_2)
	v_and_b32_e32 v3, 0x80000000, v3
	v_lshl_add_u32 v5, v8, 23, 0x3b800000
	s_delay_alu instid0(VALU_DEP_3) | instskip(NEXT) | instid1(VALU_DEP_1)
	v_lshlrev_b32_e32 v1, 20, v1
	v_or3_b32 v1, v3, v5, v1
	s_delay_alu instid0(VALU_DEP_1)
	v_cvt_i32_f32_e32 v1, v1
.LBB63_847:
	s_or_b32 exec_lo, exec_lo, s47
.LBB63_848:
	s_mov_b32 s47, -1
.LBB63_849:
	s_mov_b32 s48, 0
.LBB63_850:
	s_delay_alu instid0(SALU_CYCLE_1)
	s_and_b32 vcc_lo, exec_lo, s48
	s_cbranch_vccz .LBB63_883
; %bb.851:
	s_cmp_gt_i32 s25, 22
	s_cbranch_scc0 .LBB63_859
; %bb.852:
	s_cmp_lt_i32 s25, 24
	s_cbranch_scc1 .LBB63_862
; %bb.853:
	s_cmp_gt_i32 s25, 24
	s_cbranch_scc0 .LBB63_863
; %bb.854:
	s_wait_loadcnt 0x0
	global_load_u8 v3, v[6:7], off
	s_mov_b32 s48, 0
	s_mov_b32 s47, exec_lo
	s_wait_loadcnt 0x0
	v_cmpx_lt_i16_e32 0x7f, v3
	s_xor_b32 s47, exec_lo, s47
	s_cbranch_execz .LBB63_875
; %bb.855:
	v_cmp_ne_u16_e32 vcc_lo, 0x80, v3
	s_and_b32 s48, vcc_lo, exec_lo
	s_and_not1_saveexec_b32 s47, s47
	s_cbranch_execnz .LBB63_876
.LBB63_856:
	s_or_b32 exec_lo, exec_lo, s47
	v_mov_b32_e32 v1, 0
	s_and_saveexec_b32 s47, s48
	s_cbranch_execz .LBB63_858
.LBB63_857:
	v_and_b32_e32 v1, 0xffff, v3
	s_delay_alu instid0(VALU_DEP_1) | instskip(SKIP_1) | instid1(VALU_DEP_2)
	v_and_b32_e32 v5, 3, v1
	v_bfe_u32 v10, v1, 2, 5
	v_clz_i32_u32_e32 v8, v5
	s_delay_alu instid0(VALU_DEP_2) | instskip(NEXT) | instid1(VALU_DEP_2)
	v_cmp_eq_u32_e32 vcc_lo, 0, v10
	v_min_u32_e32 v8, 32, v8
	s_delay_alu instid0(VALU_DEP_1) | instskip(NEXT) | instid1(VALU_DEP_1)
	v_subrev_nc_u32_e32 v9, 29, v8
	v_dual_lshlrev_b32 v1, v9, v1 :: v_dual_sub_nc_u32 v8, 30, v8
	s_delay_alu instid0(VALU_DEP_1) | instskip(NEXT) | instid1(VALU_DEP_1)
	v_dual_lshlrev_b32 v3, 24, v3 :: v_dual_bitop2_b32 v1, 3, v1 bitop3:0x40
	v_dual_cndmask_b32 v8, v10, v8 :: v_dual_cndmask_b32 v1, v5, v1
	s_delay_alu instid0(VALU_DEP_2) | instskip(NEXT) | instid1(VALU_DEP_2)
	v_and_b32_e32 v3, 0x80000000, v3
	v_lshl_add_u32 v5, v8, 23, 0x37800000
	s_delay_alu instid0(VALU_DEP_3) | instskip(NEXT) | instid1(VALU_DEP_1)
	v_lshlrev_b32_e32 v1, 21, v1
	v_or3_b32 v1, v3, v5, v1
	s_delay_alu instid0(VALU_DEP_1)
	v_cvt_i32_f32_e32 v1, v1
.LBB63_858:
	s_or_b32 exec_lo, exec_lo, s47
	s_mov_b32 s47, 0
	s_branch .LBB63_864
.LBB63_859:
	s_mov_b32 s48, -1
                                        ; implicit-def: $vgpr1
	s_branch .LBB63_870
.LBB63_860:
	s_and_not1_saveexec_b32 s47, s47
	s_cbranch_execz .LBB63_845
.LBB63_861:
	v_cmp_ne_u16_e32 vcc_lo, 0, v3
	s_and_not1_b32 s48, s48, exec_lo
	s_and_b32 s49, vcc_lo, exec_lo
	s_delay_alu instid0(SALU_CYCLE_1)
	s_or_b32 s48, s48, s49
	s_or_b32 exec_lo, exec_lo, s47
	v_mov_b32_e32 v1, 0
	s_and_saveexec_b32 s47, s48
	s_cbranch_execnz .LBB63_846
	s_branch .LBB63_847
.LBB63_862:
	s_mov_b32 s47, -1
                                        ; implicit-def: $vgpr1
	s_branch .LBB63_867
.LBB63_863:
	s_mov_b32 s47, -1
                                        ; implicit-def: $vgpr1
.LBB63_864:
	s_delay_alu instid0(SALU_CYCLE_1)
	s_and_b32 vcc_lo, exec_lo, s47
	s_cbranch_vccz .LBB63_866
; %bb.865:
	s_wait_loadcnt 0x0
	global_load_u8 v1, v[6:7], off
	s_wait_loadcnt 0x0
	v_lshlrev_b32_e32 v1, 24, v1
	s_delay_alu instid0(VALU_DEP_1) | instskip(NEXT) | instid1(VALU_DEP_1)
	v_and_b32_e32 v3, 0x7f000000, v1
	v_clz_i32_u32_e32 v5, v3
	v_add_nc_u32_e32 v9, 0x1000000, v3
	v_cmp_ne_u32_e32 vcc_lo, 0, v3
	s_delay_alu instid0(VALU_DEP_3) | instskip(NEXT) | instid1(VALU_DEP_1)
	v_min_u32_e32 v5, 32, v5
	v_sub_nc_u32_e64 v5, v5, 4 clamp
	s_delay_alu instid0(VALU_DEP_1) | instskip(NEXT) | instid1(VALU_DEP_1)
	v_dual_lshlrev_b32 v8, v5, v3 :: v_dual_lshlrev_b32 v5, 23, v5
	v_lshrrev_b32_e32 v8, 4, v8
	s_delay_alu instid0(VALU_DEP_1) | instskip(SKIP_1) | instid1(VALU_DEP_2)
	v_sub_nc_u32_e32 v5, v8, v5
	v_ashrrev_i32_e32 v8, 8, v9
	v_add_nc_u32_e32 v5, 0x3c000000, v5
	s_delay_alu instid0(VALU_DEP_1) | instskip(NEXT) | instid1(VALU_DEP_1)
	v_and_or_b32 v5, 0x7f800000, v8, v5
	v_cndmask_b32_e32 v3, 0, v5, vcc_lo
	s_delay_alu instid0(VALU_DEP_1) | instskip(NEXT) | instid1(VALU_DEP_1)
	v_and_or_b32 v1, 0x80000000, v1, v3
	v_cvt_i32_f32_e32 v1, v1
.LBB63_866:
	s_mov_b32 s47, 0
.LBB63_867:
	s_delay_alu instid0(SALU_CYCLE_1)
	s_and_not1_b32 vcc_lo, exec_lo, s47
	s_cbranch_vccnz .LBB63_869
; %bb.868:
	s_wait_loadcnt 0x0
	global_load_u8 v1, v[6:7], off
	s_wait_loadcnt 0x0
	v_lshlrev_b32_e32 v3, 25, v1
	v_lshlrev_b16 v1, 8, v1
	s_delay_alu instid0(VALU_DEP_1) | instskip(SKIP_1) | instid1(VALU_DEP_2)
	v_and_or_b32 v8, 0x7f00, v1, 0.5
	v_bfe_i32 v1, v1, 0, 16
	v_dual_add_f32 v8, -0.5, v8 :: v_dual_lshrrev_b32 v5, 4, v3
	v_cmp_gt_u32_e32 vcc_lo, 0x8000000, v3
	s_delay_alu instid0(VALU_DEP_2) | instskip(NEXT) | instid1(VALU_DEP_1)
	v_or_b32_e32 v5, 0x70000000, v5
	v_mul_f32_e32 v5, 0x7800000, v5
	s_delay_alu instid0(VALU_DEP_1) | instskip(NEXT) | instid1(VALU_DEP_1)
	v_cndmask_b32_e32 v3, v5, v8, vcc_lo
	v_and_or_b32 v1, 0x80000000, v1, v3
	s_delay_alu instid0(VALU_DEP_1)
	v_cvt_i32_f32_e32 v1, v1
.LBB63_869:
	s_mov_b32 s48, 0
	s_mov_b32 s47, -1
.LBB63_870:
	s_and_not1_b32 vcc_lo, exec_lo, s48
	s_cbranch_vccnz .LBB63_883
; %bb.871:
	s_cmp_gt_i32 s25, 14
	s_cbranch_scc0 .LBB63_874
; %bb.872:
	s_cmp_eq_u32 s25, 15
	s_cbranch_scc0 .LBB63_877
; %bb.873:
	s_wait_loadcnt 0x0
	global_load_u16 v1, v[6:7], off
	s_mov_b32 s47, -1
	s_mov_b32 s24, 0
	s_wait_loadcnt 0x0
	v_lshlrev_b32_e32 v1, 16, v1
	s_delay_alu instid0(VALU_DEP_1)
	v_cvt_i32_f32_e32 v1, v1
	s_branch .LBB63_878
.LBB63_874:
	s_mov_b32 s48, -1
                                        ; implicit-def: $vgpr1
	s_branch .LBB63_879
.LBB63_875:
	s_and_not1_saveexec_b32 s47, s47
	s_cbranch_execz .LBB63_856
.LBB63_876:
	v_cmp_ne_u16_e32 vcc_lo, 0, v3
	s_and_not1_b32 s48, s48, exec_lo
	s_and_b32 s49, vcc_lo, exec_lo
	s_delay_alu instid0(SALU_CYCLE_1)
	s_or_b32 s48, s48, s49
	s_or_b32 exec_lo, exec_lo, s47
	v_mov_b32_e32 v1, 0
	s_and_saveexec_b32 s47, s48
	s_cbranch_execnz .LBB63_857
	s_branch .LBB63_858
.LBB63_877:
	s_mov_b32 s24, -1
                                        ; implicit-def: $vgpr1
.LBB63_878:
	s_mov_b32 s48, 0
.LBB63_879:
	s_delay_alu instid0(SALU_CYCLE_1)
	s_and_b32 vcc_lo, exec_lo, s48
	s_cbranch_vccz .LBB63_883
; %bb.880:
	s_cmp_eq_u32 s25, 11
	s_cbranch_scc0 .LBB63_882
; %bb.881:
	s_wait_loadcnt 0x0
	global_load_u8 v1, v[6:7], off
	s_mov_b32 s24, 0
	s_mov_b32 s47, -1
	s_wait_loadcnt 0x0
	v_cmp_ne_u16_e32 vcc_lo, 0, v1
	v_cndmask_b32_e64 v1, 0, 1, vcc_lo
	s_branch .LBB63_883
.LBB63_882:
	s_mov_b32 s24, -1
                                        ; implicit-def: $vgpr1
.LBB63_883:
	s_mov_b32 s25, 0
.LBB63_884:
	s_delay_alu instid0(SALU_CYCLE_1)
	s_and_b32 vcc_lo, exec_lo, s25
	s_cbranch_vccz .LBB63_933
; %bb.885:
	s_and_b32 s0, 0xffff, s0
	s_delay_alu instid0(SALU_CYCLE_1)
	s_cmp_lt_i32 s0, 5
	s_cbranch_scc1 .LBB63_890
; %bb.886:
	s_cmp_lt_i32 s0, 8
	s_cbranch_scc1 .LBB63_891
; %bb.887:
	s_cmp_lt_i32 s0, 9
	s_cbranch_scc1 .LBB63_892
; %bb.888:
	s_cmp_gt_i32 s0, 9
	s_cbranch_scc0 .LBB63_893
; %bb.889:
	global_load_b64 v[8:9], v[6:7], off
	s_mov_b32 s25, 0
	s_wait_loadcnt 0x0
	v_cvt_i32_f64_e32 v1, v[8:9]
	s_branch .LBB63_894
.LBB63_890:
	s_mov_b32 s25, -1
                                        ; implicit-def: $vgpr1
	s_branch .LBB63_912
.LBB63_891:
	s_mov_b32 s25, -1
                                        ; implicit-def: $vgpr1
	s_branch .LBB63_900
.LBB63_892:
	s_mov_b32 s25, -1
                                        ; implicit-def: $vgpr1
	s_branch .LBB63_897
.LBB63_893:
	s_mov_b32 s25, -1
                                        ; implicit-def: $vgpr1
.LBB63_894:
	s_delay_alu instid0(SALU_CYCLE_1)
	s_and_not1_b32 vcc_lo, exec_lo, s25
	s_cbranch_vccnz .LBB63_896
; %bb.895:
	s_wait_loadcnt 0x0
	global_load_b32 v1, v[6:7], off
	s_wait_loadcnt 0x0
	v_cvt_i32_f32_e32 v1, v1
.LBB63_896:
	s_mov_b32 s25, 0
.LBB63_897:
	s_delay_alu instid0(SALU_CYCLE_1)
	s_and_not1_b32 vcc_lo, exec_lo, s25
	s_cbranch_vccnz .LBB63_899
; %bb.898:
	s_wait_loadcnt 0x0
	global_load_b32 v1, v[6:7], off
	s_wait_loadcnt 0x0
	v_cvt_f32_f16_e32 v1, v1
	s_delay_alu instid0(VALU_DEP_1)
	v_cvt_i32_f32_e32 v1, v1
.LBB63_899:
	s_mov_b32 s25, 0
.LBB63_900:
	s_delay_alu instid0(SALU_CYCLE_1)
	s_and_not1_b32 vcc_lo, exec_lo, s25
	s_cbranch_vccnz .LBB63_911
; %bb.901:
	s_cmp_lt_i32 s0, 6
	s_cbranch_scc1 .LBB63_904
; %bb.902:
	s_cmp_gt_i32 s0, 6
	s_cbranch_scc0 .LBB63_905
; %bb.903:
	global_load_b64 v[8:9], v[6:7], off
	s_mov_b32 s25, 0
	s_wait_loadcnt 0x0
	v_cvt_i32_f64_e32 v1, v[8:9]
	s_branch .LBB63_906
.LBB63_904:
	s_mov_b32 s25, -1
                                        ; implicit-def: $vgpr1
	s_branch .LBB63_909
.LBB63_905:
	s_mov_b32 s25, -1
                                        ; implicit-def: $vgpr1
.LBB63_906:
	s_delay_alu instid0(SALU_CYCLE_1)
	s_and_not1_b32 vcc_lo, exec_lo, s25
	s_cbranch_vccnz .LBB63_908
; %bb.907:
	s_wait_loadcnt 0x0
	global_load_b32 v1, v[6:7], off
	s_wait_loadcnt 0x0
	v_cvt_i32_f32_e32 v1, v1
.LBB63_908:
	s_mov_b32 s25, 0
.LBB63_909:
	s_delay_alu instid0(SALU_CYCLE_1)
	s_and_not1_b32 vcc_lo, exec_lo, s25
	s_cbranch_vccnz .LBB63_911
; %bb.910:
	s_wait_loadcnt 0x0
	global_load_u16 v1, v[6:7], off
	s_wait_loadcnt 0x0
	v_cvt_f32_f16_e32 v1, v1
	s_delay_alu instid0(VALU_DEP_1)
	v_cvt_i32_f32_e32 v1, v1
.LBB63_911:
	s_mov_b32 s25, 0
.LBB63_912:
	s_delay_alu instid0(SALU_CYCLE_1)
	s_and_not1_b32 vcc_lo, exec_lo, s25
	s_cbranch_vccnz .LBB63_932
; %bb.913:
	s_cmp_lt_i32 s0, 2
	s_cbranch_scc1 .LBB63_917
; %bb.914:
	s_cmp_lt_i32 s0, 3
	s_cbranch_scc1 .LBB63_918
; %bb.915:
	s_cmp_gt_i32 s0, 3
	s_cbranch_scc0 .LBB63_919
; %bb.916:
	s_wait_loadcnt 0x0
	global_load_b32 v1, v[6:7], off
	s_mov_b32 s25, 0
	s_branch .LBB63_920
.LBB63_917:
	s_mov_b32 s25, -1
                                        ; implicit-def: $vgpr1
	s_branch .LBB63_926
.LBB63_918:
	s_mov_b32 s25, -1
                                        ; implicit-def: $vgpr1
	s_branch .LBB63_923
.LBB63_919:
	s_mov_b32 s25, -1
                                        ; implicit-def: $vgpr1
.LBB63_920:
	s_delay_alu instid0(SALU_CYCLE_1)
	s_and_not1_b32 vcc_lo, exec_lo, s25
	s_cbranch_vccnz .LBB63_922
; %bb.921:
	s_wait_loadcnt 0x0
	global_load_b32 v1, v[6:7], off
.LBB63_922:
	s_mov_b32 s25, 0
.LBB63_923:
	s_delay_alu instid0(SALU_CYCLE_1)
	s_and_not1_b32 vcc_lo, exec_lo, s25
	s_cbranch_vccnz .LBB63_925
; %bb.924:
	s_wait_loadcnt 0x0
	global_load_i16 v1, v[6:7], off
.LBB63_925:
	s_mov_b32 s25, 0
.LBB63_926:
	s_delay_alu instid0(SALU_CYCLE_1)
	s_and_not1_b32 vcc_lo, exec_lo, s25
	s_cbranch_vccnz .LBB63_932
; %bb.927:
	s_cmp_gt_i32 s0, 0
	s_mov_b32 s0, 0
	s_cbranch_scc0 .LBB63_929
; %bb.928:
	s_wait_loadcnt 0x0
	global_load_i8 v1, v[6:7], off
	s_branch .LBB63_930
.LBB63_929:
	s_mov_b32 s0, -1
                                        ; implicit-def: $vgpr1
.LBB63_930:
	s_delay_alu instid0(SALU_CYCLE_1)
	s_and_not1_b32 vcc_lo, exec_lo, s0
	s_cbranch_vccnz .LBB63_932
; %bb.931:
	s_wait_loadcnt 0x0
	global_load_u8 v1, v[6:7], off
.LBB63_932:
	s_mov_b32 s47, -1
.LBB63_933:
	s_delay_alu instid0(SALU_CYCLE_1)
	s_and_not1_b32 vcc_lo, exec_lo, s47
	s_cbranch_vccnz .LBB63_941
; %bb.934:
	v_mov_b32_e32 v5, 0
	s_and_b32 s0, s9, 0xff
	s_delay_alu instid0(SALU_CYCLE_1) | instskip(NEXT) | instid1(VALU_DEP_1)
	s_cmp_lt_i32 s0, 11
	v_add_nc_u64_e32 v[4:5], s[16:17], v[4:5]
	s_cbranch_scc1 .LBB63_942
; %bb.935:
	s_and_b32 s47, 0xffff, s0
	s_delay_alu instid0(SALU_CYCLE_1)
	s_cmp_gt_i32 s47, 25
	s_cbranch_scc0 .LBB63_943
; %bb.936:
	s_cmp_gt_i32 s47, 28
	s_cbranch_scc0 .LBB63_944
; %bb.937:
	;; [unrolled: 3-line block ×4, first 2 shown]
	s_cmp_eq_u32 s47, 46
	s_mov_b32 s49, 0
	s_cbranch_scc0 .LBB63_949
; %bb.940:
	s_wait_loadcnt 0x0
	global_load_b32 v3, v[4:5], off
	s_mov_b32 s48, -1
	s_mov_b32 s25, 0
	s_wait_loadcnt 0x0
	v_lshlrev_b32_e32 v3, 16, v3
	s_delay_alu instid0(VALU_DEP_1)
	v_cvt_i32_f32_e32 v3, v3
	s_branch .LBB63_951
.LBB63_941:
	s_mov_b32 s50, 0
	s_mov_b32 s0, s43
	;; [unrolled: 1-line block ×3, first 2 shown]
	s_branch .LBB63_1192
.LBB63_942:
	s_mov_b32 s47, -1
	s_mov_b32 s48, 0
	s_mov_b32 s25, s44
                                        ; implicit-def: $vgpr3
	s_branch .LBB63_1012
.LBB63_943:
	s_mov_b32 s49, -1
	s_mov_b32 s48, 0
	s_mov_b32 s25, s44
                                        ; implicit-def: $vgpr3
	s_branch .LBB63_978
.LBB63_944:
	s_mov_b32 s49, -1
	s_mov_b32 s48, 0
	s_mov_b32 s25, s44
                                        ; implicit-def: $vgpr3
	s_branch .LBB63_961
.LBB63_945:
	s_mov_b32 s49, -1
	s_mov_b32 s48, 0
	s_mov_b32 s25, s44
                                        ; implicit-def: $vgpr3
	s_branch .LBB63_956
.LBB63_946:
	s_mov_b32 s49, -1
	s_mov_b32 s48, 0
	s_mov_b32 s25, s44
	s_branch .LBB63_950
.LBB63_947:
	s_and_not1_saveexec_b32 s47, s47
	s_cbranch_execz .LBB63_714
.LBB63_948:
	v_add_f32_e32 v1, 0x42800000, v5
	s_and_not1_b32 s46, s46, exec_lo
	s_delay_alu instid0(VALU_DEP_1) | instskip(NEXT) | instid1(VALU_DEP_1)
	v_and_b32_e32 v1, 0xff, v1
	v_cmp_ne_u32_e32 vcc_lo, 0, v1
	s_and_b32 s48, vcc_lo, exec_lo
	s_delay_alu instid0(SALU_CYCLE_1)
	s_or_b32 s46, s46, s48
	s_or_b32 exec_lo, exec_lo, s47
	v_mov_b32_e32 v6, 0
	s_and_saveexec_b32 s47, s46
	s_cbranch_execnz .LBB63_715
	s_branch .LBB63_716
.LBB63_949:
	s_mov_b32 s25, -1
	s_mov_b32 s48, 0
.LBB63_950:
                                        ; implicit-def: $vgpr3
.LBB63_951:
	s_and_b32 vcc_lo, exec_lo, s49
	s_cbranch_vccz .LBB63_955
; %bb.952:
	s_cmp_eq_u32 s47, 44
	s_cbranch_scc0 .LBB63_954
; %bb.953:
	s_wait_loadcnt 0x0
	global_load_u8 v3, v[4:5], off
	s_mov_b32 s25, 0
	s_mov_b32 s48, -1
	s_wait_loadcnt 0x0
	s_wait_xcnt 0x1
	v_lshlrev_b32_e32 v6, 23, v3
	v_cmp_ne_u32_e32 vcc_lo, 0, v3
	s_delay_alu instid0(VALU_DEP_2) | instskip(NEXT) | instid1(VALU_DEP_1)
	v_cvt_i32_f32_e32 v6, v6
	v_cndmask_b32_e32 v3, 0, v6, vcc_lo
	s_branch .LBB63_955
.LBB63_954:
	s_mov_b32 s25, -1
                                        ; implicit-def: $vgpr3
.LBB63_955:
	s_mov_b32 s49, 0
.LBB63_956:
	s_delay_alu instid0(SALU_CYCLE_1)
	s_and_b32 vcc_lo, exec_lo, s49
	s_cbranch_vccz .LBB63_960
; %bb.957:
	s_cmp_eq_u32 s47, 29
	s_cbranch_scc0 .LBB63_959
; %bb.958:
	s_wait_loadcnt 0x0
	global_load_b32 v3, v[4:5], off
	s_mov_b32 s48, -1
	s_mov_b32 s25, 0
	s_branch .LBB63_960
.LBB63_959:
	s_mov_b32 s25, -1
                                        ; implicit-def: $vgpr3
.LBB63_960:
	s_mov_b32 s49, 0
.LBB63_961:
	s_delay_alu instid0(SALU_CYCLE_1)
	s_and_b32 vcc_lo, exec_lo, s49
	s_cbranch_vccz .LBB63_977
; %bb.962:
	s_cmp_lt_i32 s47, 27
	s_cbranch_scc1 .LBB63_965
; %bb.963:
	s_cmp_gt_i32 s47, 27
	s_cbranch_scc0 .LBB63_966
; %bb.964:
	s_wait_loadcnt 0x0
	global_load_b32 v3, v[4:5], off
	s_mov_b32 s48, 0
	s_branch .LBB63_967
.LBB63_965:
	s_mov_b32 s48, -1
                                        ; implicit-def: $vgpr3
	s_branch .LBB63_970
.LBB63_966:
	s_mov_b32 s48, -1
                                        ; implicit-def: $vgpr3
.LBB63_967:
	s_delay_alu instid0(SALU_CYCLE_1)
	s_and_not1_b32 vcc_lo, exec_lo, s48
	s_cbranch_vccnz .LBB63_969
; %bb.968:
	s_wait_loadcnt 0x0
	global_load_u16 v3, v[4:5], off
.LBB63_969:
	s_mov_b32 s48, 0
.LBB63_970:
	s_delay_alu instid0(SALU_CYCLE_1)
	s_and_not1_b32 vcc_lo, exec_lo, s48
	s_cbranch_vccnz .LBB63_976
; %bb.971:
	global_load_u8 v6, v[4:5], off
	s_mov_b32 s49, 0
	s_mov_b32 s48, exec_lo
	s_wait_loadcnt 0x0
	v_cmpx_lt_i16_e32 0x7f, v6
	s_xor_b32 s48, exec_lo, s48
	s_cbranch_execz .LBB63_988
; %bb.972:
	v_cmp_ne_u16_e32 vcc_lo, 0x80, v6
	s_and_b32 s49, vcc_lo, exec_lo
	s_and_not1_saveexec_b32 s48, s48
	s_cbranch_execnz .LBB63_989
.LBB63_973:
	s_or_b32 exec_lo, exec_lo, s48
	v_mov_b32_e32 v3, 0
	s_and_saveexec_b32 s48, s49
	s_cbranch_execz .LBB63_975
.LBB63_974:
	v_and_b32_e32 v3, 0xffff, v6
	s_delay_alu instid0(VALU_DEP_1) | instskip(SKIP_1) | instid1(VALU_DEP_2)
	v_and_b32_e32 v7, 7, v3
	v_bfe_u32 v10, v3, 3, 4
	v_clz_i32_u32_e32 v8, v7
	s_delay_alu instid0(VALU_DEP_2) | instskip(NEXT) | instid1(VALU_DEP_2)
	v_cmp_eq_u32_e32 vcc_lo, 0, v10
	v_min_u32_e32 v8, 32, v8
	s_delay_alu instid0(VALU_DEP_1) | instskip(NEXT) | instid1(VALU_DEP_1)
	v_subrev_nc_u32_e32 v9, 28, v8
	v_dual_lshlrev_b32 v3, v9, v3 :: v_dual_sub_nc_u32 v8, 29, v8
	s_delay_alu instid0(VALU_DEP_1) | instskip(NEXT) | instid1(VALU_DEP_1)
	v_dual_lshlrev_b32 v6, 24, v6 :: v_dual_bitop2_b32 v3, 7, v3 bitop3:0x40
	v_dual_cndmask_b32 v8, v10, v8 :: v_dual_cndmask_b32 v3, v7, v3
	s_delay_alu instid0(VALU_DEP_2) | instskip(NEXT) | instid1(VALU_DEP_2)
	v_and_b32_e32 v6, 0x80000000, v6
	v_lshl_add_u32 v7, v8, 23, 0x3b800000
	s_delay_alu instid0(VALU_DEP_3) | instskip(NEXT) | instid1(VALU_DEP_1)
	v_lshlrev_b32_e32 v3, 20, v3
	v_or3_b32 v3, v6, v7, v3
	s_delay_alu instid0(VALU_DEP_1)
	v_cvt_i32_f32_e32 v3, v3
.LBB63_975:
	s_or_b32 exec_lo, exec_lo, s48
.LBB63_976:
	s_mov_b32 s48, -1
.LBB63_977:
	s_mov_b32 s49, 0
.LBB63_978:
	s_delay_alu instid0(SALU_CYCLE_1)
	s_and_b32 vcc_lo, exec_lo, s49
	s_cbranch_vccz .LBB63_1011
; %bb.979:
	s_cmp_gt_i32 s47, 22
	s_cbranch_scc0 .LBB63_987
; %bb.980:
	s_cmp_lt_i32 s47, 24
	s_cbranch_scc1 .LBB63_990
; %bb.981:
	s_cmp_gt_i32 s47, 24
	s_cbranch_scc0 .LBB63_991
; %bb.982:
	global_load_u8 v6, v[4:5], off
	s_mov_b32 s49, 0
	s_mov_b32 s48, exec_lo
	s_wait_loadcnt 0x0
	v_cmpx_lt_i16_e32 0x7f, v6
	s_xor_b32 s48, exec_lo, s48
	s_cbranch_execz .LBB63_1003
; %bb.983:
	v_cmp_ne_u16_e32 vcc_lo, 0x80, v6
	s_and_b32 s49, vcc_lo, exec_lo
	s_and_not1_saveexec_b32 s48, s48
	s_cbranch_execnz .LBB63_1004
.LBB63_984:
	s_or_b32 exec_lo, exec_lo, s48
	v_mov_b32_e32 v3, 0
	s_and_saveexec_b32 s48, s49
	s_cbranch_execz .LBB63_986
.LBB63_985:
	v_and_b32_e32 v3, 0xffff, v6
	s_delay_alu instid0(VALU_DEP_1) | instskip(SKIP_1) | instid1(VALU_DEP_2)
	v_and_b32_e32 v7, 3, v3
	v_bfe_u32 v10, v3, 2, 5
	v_clz_i32_u32_e32 v8, v7
	s_delay_alu instid0(VALU_DEP_2) | instskip(NEXT) | instid1(VALU_DEP_2)
	v_cmp_eq_u32_e32 vcc_lo, 0, v10
	v_min_u32_e32 v8, 32, v8
	s_delay_alu instid0(VALU_DEP_1) | instskip(NEXT) | instid1(VALU_DEP_1)
	v_subrev_nc_u32_e32 v9, 29, v8
	v_dual_lshlrev_b32 v3, v9, v3 :: v_dual_sub_nc_u32 v8, 30, v8
	s_delay_alu instid0(VALU_DEP_1) | instskip(NEXT) | instid1(VALU_DEP_1)
	v_dual_lshlrev_b32 v6, 24, v6 :: v_dual_bitop2_b32 v3, 3, v3 bitop3:0x40
	v_dual_cndmask_b32 v8, v10, v8 :: v_dual_cndmask_b32 v3, v7, v3
	s_delay_alu instid0(VALU_DEP_2) | instskip(NEXT) | instid1(VALU_DEP_2)
	v_and_b32_e32 v6, 0x80000000, v6
	v_lshl_add_u32 v7, v8, 23, 0x37800000
	s_delay_alu instid0(VALU_DEP_3) | instskip(NEXT) | instid1(VALU_DEP_1)
	v_lshlrev_b32_e32 v3, 21, v3
	v_or3_b32 v3, v6, v7, v3
	s_delay_alu instid0(VALU_DEP_1)
	v_cvt_i32_f32_e32 v3, v3
.LBB63_986:
	s_or_b32 exec_lo, exec_lo, s48
	s_mov_b32 s48, 0
	s_branch .LBB63_992
.LBB63_987:
	s_mov_b32 s49, -1
                                        ; implicit-def: $vgpr3
	s_branch .LBB63_998
.LBB63_988:
	s_and_not1_saveexec_b32 s48, s48
	s_cbranch_execz .LBB63_973
.LBB63_989:
	v_cmp_ne_u16_e32 vcc_lo, 0, v6
	s_and_not1_b32 s49, s49, exec_lo
	s_and_b32 s50, vcc_lo, exec_lo
	s_delay_alu instid0(SALU_CYCLE_1)
	s_or_b32 s49, s49, s50
	s_or_b32 exec_lo, exec_lo, s48
	v_mov_b32_e32 v3, 0
	s_and_saveexec_b32 s48, s49
	s_cbranch_execnz .LBB63_974
	s_branch .LBB63_975
.LBB63_990:
	s_mov_b32 s48, -1
                                        ; implicit-def: $vgpr3
	s_branch .LBB63_995
.LBB63_991:
	s_mov_b32 s48, -1
                                        ; implicit-def: $vgpr3
.LBB63_992:
	s_delay_alu instid0(SALU_CYCLE_1)
	s_and_b32 vcc_lo, exec_lo, s48
	s_cbranch_vccz .LBB63_994
; %bb.993:
	s_wait_loadcnt 0x0
	global_load_u8 v3, v[4:5], off
	s_wait_loadcnt 0x0
	v_lshlrev_b32_e32 v3, 24, v3
	s_wait_xcnt 0x1
	s_delay_alu instid0(VALU_DEP_1) | instskip(NEXT) | instid1(VALU_DEP_1)
	v_and_b32_e32 v6, 0x7f000000, v3
	v_clz_i32_u32_e32 v7, v6
	v_cmp_ne_u32_e32 vcc_lo, 0, v6
	v_add_nc_u32_e32 v9, 0x1000000, v6
	s_delay_alu instid0(VALU_DEP_3) | instskip(NEXT) | instid1(VALU_DEP_1)
	v_min_u32_e32 v7, 32, v7
	v_sub_nc_u32_e64 v7, v7, 4 clamp
	s_delay_alu instid0(VALU_DEP_1) | instskip(NEXT) | instid1(VALU_DEP_1)
	v_dual_lshlrev_b32 v8, v7, v6 :: v_dual_lshlrev_b32 v7, 23, v7
	v_lshrrev_b32_e32 v8, 4, v8
	s_delay_alu instid0(VALU_DEP_1) | instskip(NEXT) | instid1(VALU_DEP_1)
	v_dual_sub_nc_u32 v7, v8, v7 :: v_dual_ashrrev_i32 v8, 8, v9
	v_add_nc_u32_e32 v7, 0x3c000000, v7
	s_delay_alu instid0(VALU_DEP_1) | instskip(NEXT) | instid1(VALU_DEP_1)
	v_and_or_b32 v7, 0x7f800000, v8, v7
	v_cndmask_b32_e32 v6, 0, v7, vcc_lo
	s_delay_alu instid0(VALU_DEP_1) | instskip(NEXT) | instid1(VALU_DEP_1)
	v_and_or_b32 v3, 0x80000000, v3, v6
	v_cvt_i32_f32_e32 v3, v3
.LBB63_994:
	s_mov_b32 s48, 0
.LBB63_995:
	s_delay_alu instid0(SALU_CYCLE_1)
	s_and_not1_b32 vcc_lo, exec_lo, s48
	s_cbranch_vccnz .LBB63_997
; %bb.996:
	s_wait_loadcnt 0x0
	global_load_u8 v3, v[4:5], off
	s_wait_loadcnt 0x0
	s_wait_xcnt 0x1
	v_lshlrev_b32_e32 v6, 25, v3
	v_lshlrev_b16 v3, 8, v3
	s_delay_alu instid0(VALU_DEP_1) | instskip(SKIP_1) | instid1(VALU_DEP_2)
	v_and_or_b32 v8, 0x7f00, v3, 0.5
	v_bfe_i32 v3, v3, 0, 16
	v_dual_add_f32 v8, -0.5, v8 :: v_dual_lshrrev_b32 v7, 4, v6
	v_cmp_gt_u32_e32 vcc_lo, 0x8000000, v6
	s_delay_alu instid0(VALU_DEP_2) | instskip(NEXT) | instid1(VALU_DEP_1)
	v_or_b32_e32 v7, 0x70000000, v7
	v_mul_f32_e32 v7, 0x7800000, v7
	s_delay_alu instid0(VALU_DEP_1) | instskip(NEXT) | instid1(VALU_DEP_1)
	v_cndmask_b32_e32 v6, v7, v8, vcc_lo
	v_and_or_b32 v3, 0x80000000, v3, v6
	s_delay_alu instid0(VALU_DEP_1)
	v_cvt_i32_f32_e32 v3, v3
.LBB63_997:
	s_mov_b32 s49, 0
	s_mov_b32 s48, -1
.LBB63_998:
	s_and_not1_b32 vcc_lo, exec_lo, s49
	s_cbranch_vccnz .LBB63_1011
; %bb.999:
	s_cmp_gt_i32 s47, 14
	s_cbranch_scc0 .LBB63_1002
; %bb.1000:
	s_cmp_eq_u32 s47, 15
	s_cbranch_scc0 .LBB63_1005
; %bb.1001:
	s_wait_loadcnt 0x0
	global_load_u16 v3, v[4:5], off
	s_mov_b32 s48, -1
	s_mov_b32 s25, 0
	s_wait_loadcnt 0x0
	v_lshlrev_b32_e32 v3, 16, v3
	s_delay_alu instid0(VALU_DEP_1)
	v_cvt_i32_f32_e32 v3, v3
	s_branch .LBB63_1006
.LBB63_1002:
	s_mov_b32 s49, -1
                                        ; implicit-def: $vgpr3
	s_branch .LBB63_1007
.LBB63_1003:
	s_and_not1_saveexec_b32 s48, s48
	s_cbranch_execz .LBB63_984
.LBB63_1004:
	v_cmp_ne_u16_e32 vcc_lo, 0, v6
	s_and_not1_b32 s49, s49, exec_lo
	s_and_b32 s50, vcc_lo, exec_lo
	s_delay_alu instid0(SALU_CYCLE_1)
	s_or_b32 s49, s49, s50
	s_or_b32 exec_lo, exec_lo, s48
	v_mov_b32_e32 v3, 0
	s_and_saveexec_b32 s48, s49
	s_cbranch_execnz .LBB63_985
	s_branch .LBB63_986
.LBB63_1005:
	s_mov_b32 s25, -1
                                        ; implicit-def: $vgpr3
.LBB63_1006:
	s_mov_b32 s49, 0
.LBB63_1007:
	s_delay_alu instid0(SALU_CYCLE_1)
	s_and_b32 vcc_lo, exec_lo, s49
	s_cbranch_vccz .LBB63_1011
; %bb.1008:
	s_cmp_eq_u32 s47, 11
	s_cbranch_scc0 .LBB63_1010
; %bb.1009:
	s_wait_loadcnt 0x0
	global_load_u8 v3, v[4:5], off
	s_mov_b32 s25, 0
	s_mov_b32 s48, -1
	s_wait_loadcnt 0x0
	v_cmp_ne_u16_e32 vcc_lo, 0, v3
	v_cndmask_b32_e64 v3, 0, 1, vcc_lo
	s_branch .LBB63_1011
.LBB63_1010:
	s_mov_b32 s25, -1
                                        ; implicit-def: $vgpr3
.LBB63_1011:
	s_mov_b32 s47, 0
.LBB63_1012:
	s_delay_alu instid0(SALU_CYCLE_1)
	s_and_b32 vcc_lo, exec_lo, s47
	s_cbranch_vccz .LBB63_1061
; %bb.1013:
	s_and_b32 s0, 0xffff, s0
	s_delay_alu instid0(SALU_CYCLE_1)
	s_cmp_lt_i32 s0, 5
	s_cbranch_scc1 .LBB63_1018
; %bb.1014:
	s_cmp_lt_i32 s0, 8
	s_cbranch_scc1 .LBB63_1019
; %bb.1015:
	;; [unrolled: 3-line block ×3, first 2 shown]
	s_cmp_gt_i32 s0, 9
	s_cbranch_scc0 .LBB63_1021
; %bb.1017:
	global_load_b64 v[6:7], v[4:5], off
	s_mov_b32 s47, 0
	s_wait_loadcnt 0x0
	v_cvt_i32_f64_e32 v3, v[6:7]
	s_branch .LBB63_1022
.LBB63_1018:
	s_mov_b32 s47, -1
                                        ; implicit-def: $vgpr3
	s_branch .LBB63_1040
.LBB63_1019:
	s_mov_b32 s47, -1
                                        ; implicit-def: $vgpr3
	s_branch .LBB63_1028
.LBB63_1020:
	s_mov_b32 s47, -1
                                        ; implicit-def: $vgpr3
	s_branch .LBB63_1025
.LBB63_1021:
	s_mov_b32 s47, -1
                                        ; implicit-def: $vgpr3
.LBB63_1022:
	s_delay_alu instid0(SALU_CYCLE_1)
	s_and_not1_b32 vcc_lo, exec_lo, s47
	s_cbranch_vccnz .LBB63_1024
; %bb.1023:
	s_wait_loadcnt 0x0
	global_load_b32 v3, v[4:5], off
	s_wait_loadcnt 0x0
	v_cvt_i32_f32_e32 v3, v3
.LBB63_1024:
	s_mov_b32 s47, 0
.LBB63_1025:
	s_delay_alu instid0(SALU_CYCLE_1)
	s_and_not1_b32 vcc_lo, exec_lo, s47
	s_cbranch_vccnz .LBB63_1027
; %bb.1026:
	s_wait_loadcnt 0x0
	global_load_b32 v3, v[4:5], off
	s_wait_loadcnt 0x0
	v_cvt_f32_f16_e32 v3, v3
	s_delay_alu instid0(VALU_DEP_1)
	v_cvt_i32_f32_e32 v3, v3
.LBB63_1027:
	s_mov_b32 s47, 0
.LBB63_1028:
	s_delay_alu instid0(SALU_CYCLE_1)
	s_and_not1_b32 vcc_lo, exec_lo, s47
	s_cbranch_vccnz .LBB63_1039
; %bb.1029:
	s_cmp_lt_i32 s0, 6
	s_cbranch_scc1 .LBB63_1032
; %bb.1030:
	s_cmp_gt_i32 s0, 6
	s_cbranch_scc0 .LBB63_1033
; %bb.1031:
	global_load_b64 v[6:7], v[4:5], off
	s_mov_b32 s47, 0
	s_wait_loadcnt 0x0
	v_cvt_i32_f64_e32 v3, v[6:7]
	s_branch .LBB63_1034
.LBB63_1032:
	s_mov_b32 s47, -1
                                        ; implicit-def: $vgpr3
	s_branch .LBB63_1037
.LBB63_1033:
	s_mov_b32 s47, -1
                                        ; implicit-def: $vgpr3
.LBB63_1034:
	s_delay_alu instid0(SALU_CYCLE_1)
	s_and_not1_b32 vcc_lo, exec_lo, s47
	s_cbranch_vccnz .LBB63_1036
; %bb.1035:
	s_wait_loadcnt 0x0
	global_load_b32 v3, v[4:5], off
	s_wait_loadcnt 0x0
	v_cvt_i32_f32_e32 v3, v3
.LBB63_1036:
	s_mov_b32 s47, 0
.LBB63_1037:
	s_delay_alu instid0(SALU_CYCLE_1)
	s_and_not1_b32 vcc_lo, exec_lo, s47
	s_cbranch_vccnz .LBB63_1039
; %bb.1038:
	s_wait_loadcnt 0x0
	global_load_u16 v3, v[4:5], off
	s_wait_loadcnt 0x0
	v_cvt_f32_f16_e32 v3, v3
	s_delay_alu instid0(VALU_DEP_1)
	v_cvt_i32_f32_e32 v3, v3
.LBB63_1039:
	s_mov_b32 s47, 0
.LBB63_1040:
	s_delay_alu instid0(SALU_CYCLE_1)
	s_and_not1_b32 vcc_lo, exec_lo, s47
	s_cbranch_vccnz .LBB63_1060
; %bb.1041:
	s_cmp_lt_i32 s0, 2
	s_cbranch_scc1 .LBB63_1045
; %bb.1042:
	s_cmp_lt_i32 s0, 3
	s_cbranch_scc1 .LBB63_1046
; %bb.1043:
	s_cmp_gt_i32 s0, 3
	s_cbranch_scc0 .LBB63_1047
; %bb.1044:
	s_wait_loadcnt 0x0
	global_load_b32 v3, v[4:5], off
	s_mov_b32 s47, 0
	s_branch .LBB63_1048
.LBB63_1045:
	s_mov_b32 s47, -1
                                        ; implicit-def: $vgpr3
	s_branch .LBB63_1054
.LBB63_1046:
	s_mov_b32 s47, -1
                                        ; implicit-def: $vgpr3
	s_branch .LBB63_1051
.LBB63_1047:
	s_mov_b32 s47, -1
                                        ; implicit-def: $vgpr3
.LBB63_1048:
	s_delay_alu instid0(SALU_CYCLE_1)
	s_and_not1_b32 vcc_lo, exec_lo, s47
	s_cbranch_vccnz .LBB63_1050
; %bb.1049:
	s_wait_loadcnt 0x0
	global_load_b32 v3, v[4:5], off
.LBB63_1050:
	s_mov_b32 s47, 0
.LBB63_1051:
	s_delay_alu instid0(SALU_CYCLE_1)
	s_and_not1_b32 vcc_lo, exec_lo, s47
	s_cbranch_vccnz .LBB63_1053
; %bb.1052:
	s_wait_loadcnt 0x0
	global_load_i16 v3, v[4:5], off
.LBB63_1053:
	s_mov_b32 s47, 0
.LBB63_1054:
	s_delay_alu instid0(SALU_CYCLE_1)
	s_and_not1_b32 vcc_lo, exec_lo, s47
	s_cbranch_vccnz .LBB63_1060
; %bb.1055:
	s_cmp_gt_i32 s0, 0
	s_mov_b32 s0, 0
	s_cbranch_scc0 .LBB63_1057
; %bb.1056:
	s_wait_loadcnt 0x0
	global_load_i8 v3, v[4:5], off
	s_branch .LBB63_1058
.LBB63_1057:
	s_mov_b32 s0, -1
                                        ; implicit-def: $vgpr3
.LBB63_1058:
	s_delay_alu instid0(SALU_CYCLE_1)
	s_and_not1_b32 vcc_lo, exec_lo, s0
	s_cbranch_vccnz .LBB63_1060
; %bb.1059:
	s_wait_loadcnt 0x0
	global_load_u8 v3, v[4:5], off
.LBB63_1060:
	s_mov_b32 s48, -1
.LBB63_1061:
	s_delay_alu instid0(SALU_CYCLE_1)
	s_and_not1_b32 vcc_lo, exec_lo, s48
	s_cbranch_vccnz .LBB63_1075
; %bb.1062:
	s_wait_loadcnt 0x0
	s_delay_alu instid0(VALU_DEP_1) | instskip(SKIP_2) | instid1(VALU_DEP_1)
	v_sub_nc_u32_e32 v4, 0, v3
	s_mov_b32 s47, 0
	s_mov_b32 s0, exec_lo
	v_max_i32_e32 v5, v3, v4
	v_cmpx_ne_u32_e32 0, v1
	s_cbranch_execz .LBB63_1066
; %bb.1063:
	v_sub_nc_u32_e32 v4, 0, v1
	s_delay_alu instid0(VALU_DEP_1)
	v_max_i32_e32 v6, v1, v4
.LBB63_1064:                            ; =>This Inner Loop Header: Depth=1
	s_delay_alu instid0(VALU_DEP_1) | instskip(NEXT) | instid1(VALU_DEP_1)
	v_mov_b32_e32 v4, v6
	v_cvt_f32_u32_e32 v6, v4
	v_sub_nc_u32_e32 v7, 0, v4
	s_delay_alu instid0(VALU_DEP_2) | instskip(SKIP_1) | instid1(TRANS32_DEP_1)
	v_rcp_iflag_f32_e32 v6, v6
	v_nop
	v_mul_f32_e32 v6, 0x4f7ffffe, v6
	s_delay_alu instid0(VALU_DEP_1) | instskip(NEXT) | instid1(VALU_DEP_1)
	v_cvt_u32_f32_e32 v6, v6
	v_mul_lo_u32 v7, v7, v6
	s_delay_alu instid0(VALU_DEP_1) | instskip(NEXT) | instid1(VALU_DEP_1)
	v_mul_hi_u32 v7, v6, v7
	v_add_nc_u32_e32 v6, v6, v7
	s_delay_alu instid0(VALU_DEP_1) | instskip(NEXT) | instid1(VALU_DEP_1)
	v_mul_hi_u32 v6, v5, v6
	v_mul_lo_u32 v6, v6, v4
	s_delay_alu instid0(VALU_DEP_1) | instskip(NEXT) | instid1(VALU_DEP_1)
	v_sub_nc_u32_e32 v5, v5, v6
	v_sub_nc_u32_e32 v6, v5, v4
	v_cmp_ge_u32_e32 vcc_lo, v5, v4
	s_delay_alu instid0(VALU_DEP_2) | instskip(NEXT) | instid1(VALU_DEP_1)
	v_cndmask_b32_e32 v5, v5, v6, vcc_lo
	v_sub_nc_u32_e32 v6, v5, v4
	v_cmp_ge_u32_e32 vcc_lo, v5, v4
	s_delay_alu instid0(VALU_DEP_2) | instskip(NEXT) | instid1(VALU_DEP_1)
	v_dual_cndmask_b32 v6, v5, v6 :: v_dual_mov_b32 v5, v4
	v_cmp_eq_u32_e32 vcc_lo, 0, v6
	s_or_b32 s47, vcc_lo, s47
	s_delay_alu instid0(SALU_CYCLE_1)
	s_and_not1_b32 exec_lo, exec_lo, s47
	s_cbranch_execnz .LBB63_1064
; %bb.1065:
	s_or_b32 exec_lo, exec_lo, s47
	v_mov_b32_e32 v5, v4
.LBB63_1066:
	s_or_b32 exec_lo, exec_lo, s0
	v_mov_b32_e32 v4, 0
	s_mov_b32 s0, exec_lo
	s_delay_alu instid0(VALU_DEP_2)
	v_cmpx_ne_u32_e32 0, v5
	s_cbranch_execz .LBB63_1068
; %bb.1067:
	v_sub_nc_u32_e32 v8, 0, v1
	s_delay_alu instid0(VALU_DEP_1) | instskip(NEXT) | instid1(VALU_DEP_1)
	v_dual_sub_nc_u32 v4, 0, v5 :: v_dual_max_i32 v8, v1, v8
	v_max_i32_e32 v4, v5, v4
	v_xor_b32_e32 v1, v1, v5
	s_delay_alu instid0(VALU_DEP_2) | instskip(SKIP_1) | instid1(VALU_DEP_2)
	v_cvt_f32_u32_e32 v6, v4
	v_sub_nc_u32_e32 v7, 0, v4
	v_rcp_iflag_f32_e32 v6, v6
	v_nop
	s_delay_alu instid0(TRANS32_DEP_1) | instskip(NEXT) | instid1(VALU_DEP_1)
	v_mul_f32_e32 v6, 0x4f7ffffe, v6
	v_cvt_u32_f32_e32 v6, v6
	s_delay_alu instid0(VALU_DEP_1) | instskip(NEXT) | instid1(VALU_DEP_1)
	v_mul_lo_u32 v7, v7, v6
	v_mul_hi_u32 v7, v6, v7
	s_delay_alu instid0(VALU_DEP_1) | instskip(NEXT) | instid1(VALU_DEP_1)
	v_add_nc_u32_e32 v6, v6, v7
	v_mul_hi_u32 v6, v8, v6
	s_delay_alu instid0(VALU_DEP_1) | instskip(NEXT) | instid1(VALU_DEP_1)
	v_mul_lo_u32 v7, v6, v4
	v_dual_sub_nc_u32 v7, v8, v7 :: v_dual_add_nc_u32 v8, 1, v6
	s_delay_alu instid0(VALU_DEP_1) | instskip(SKIP_1) | instid1(VALU_DEP_2)
	v_sub_nc_u32_e32 v9, v7, v4
	v_cmp_ge_u32_e32 vcc_lo, v7, v4
	v_dual_cndmask_b32 v6, v6, v8 :: v_dual_cndmask_b32 v5, v7, v9
	s_delay_alu instid0(VALU_DEP_1) | instskip(NEXT) | instid1(VALU_DEP_2)
	v_add_nc_u32_e32 v7, 1, v6
	v_cmp_ge_u32_e32 vcc_lo, v5, v4
	s_delay_alu instid0(VALU_DEP_2) | instskip(NEXT) | instid1(VALU_DEP_1)
	v_dual_cndmask_b32 v4, v6, v7 :: v_dual_ashrrev_i32 v1, 31, v1
	v_xor_b32_e32 v4, v4, v1
	s_delay_alu instid0(VALU_DEP_1) | instskip(NEXT) | instid1(VALU_DEP_1)
	v_sub_nc_u32_e32 v1, v4, v1
	v_mul_lo_u32 v1, v1, v3
	s_delay_alu instid0(VALU_DEP_1) | instskip(NEXT) | instid1(VALU_DEP_1)
	v_sub_nc_u32_e32 v3, 0, v1
	v_max_i32_e32 v4, v1, v3
.LBB63_1068:
	s_or_b32 exec_lo, exec_lo, s0
	v_mov_b32_e32 v3, 0
	s_and_b32 s47, s31, 0xff
	s_delay_alu instid0(SALU_CYCLE_1) | instskip(NEXT) | instid1(VALU_DEP_1)
	s_cmp_lt_i32 s47, 11
	v_add_nc_u64_e32 v[2:3], s[4:5], v[2:3]
	s_cbranch_scc1 .LBB63_1076
; %bb.1069:
	s_and_b32 s48, 0xffff, s47
	s_delay_alu instid0(SALU_CYCLE_1)
	s_cmp_gt_i32 s48, 25
	s_cbranch_scc0 .LBB63_1077
; %bb.1070:
	s_cmp_gt_i32 s48, 28
	s_cbranch_scc0 .LBB63_1078
; %bb.1071:
	;; [unrolled: 3-line block ×4, first 2 shown]
	s_mov_b32 s50, 0
	s_mov_b32 s0, -1
	s_cmp_eq_u32 s48, 46
	s_mov_b32 s49, 0
	s_cbranch_scc0 .LBB63_1081
; %bb.1074:
	v_cvt_f32_u32_e32 v1, v4
	s_mov_b32 s49, -1
	s_mov_b32 s0, 0
	s_delay_alu instid0(VALU_DEP_1) | instskip(NEXT) | instid1(VALU_DEP_1)
	v_bfe_u32 v5, v1, 16, 1
	v_add3_u32 v1, v1, v5, 0x7fff
	s_delay_alu instid0(VALU_DEP_1)
	v_lshrrev_b32_e32 v1, 16, v1
	global_store_b32 v[2:3], v1, off
	s_branch .LBB63_1081
.LBB63_1075:
	s_mov_b32 s50, 0
	s_mov_b32 s0, s43
	s_branch .LBB63_1192
.LBB63_1076:
	s_mov_b32 s48, -1
	s_mov_b32 s49, 0
	s_mov_b32 s0, s43
	s_branch .LBB63_1150
.LBB63_1077:
	s_mov_b32 s50, -1
	s_mov_b32 s49, 0
	s_mov_b32 s0, s43
	s_branch .LBB63_1108
.LBB63_1078:
	s_mov_b32 s50, -1
	s_mov_b32 s49, 0
	s_mov_b32 s0, s43
	s_branch .LBB63_1091
.LBB63_1079:
	s_mov_b32 s50, -1
	s_mov_b32 s49, 0
	s_mov_b32 s0, s43
	s_branch .LBB63_1087
.LBB63_1080:
	s_mov_b32 s50, -1
	s_mov_b32 s49, 0
	s_mov_b32 s0, s43
.LBB63_1081:
	s_and_b32 vcc_lo, exec_lo, s50
	s_cbranch_vccz .LBB63_1086
; %bb.1082:
	s_cmp_eq_u32 s48, 44
	s_mov_b32 s0, -1
	s_cbranch_scc0 .LBB63_1086
; %bb.1083:
	v_cvt_f32_u32_e32 v6, v4
	v_mov_b32_e32 v5, 0xff
	s_mov_b32 s49, exec_lo
	s_wait_xcnt 0x0
	s_delay_alu instid0(VALU_DEP_2) | instskip(NEXT) | instid1(VALU_DEP_1)
	v_lshrrev_b32_e32 v1, 23, v6
	v_cmpx_ne_u32_e32 0xff, v1
; %bb.1084:
	v_and_b32_e32 v5, 0x400000, v6
	v_and_or_b32 v6, 0x3fffff, v6, v1
	s_delay_alu instid0(VALU_DEP_2) | instskip(NEXT) | instid1(VALU_DEP_2)
	v_cmp_ne_u32_e32 vcc_lo, 0, v5
	v_cmp_ne_u32_e64 s0, 0, v6
	s_and_b32 s0, vcc_lo, s0
	s_delay_alu instid0(SALU_CYCLE_1) | instskip(NEXT) | instid1(VALU_DEP_1)
	v_cndmask_b32_e64 v5, 0, 1, s0
	v_add_nc_u32_e32 v5, v1, v5
; %bb.1085:
	s_or_b32 exec_lo, exec_lo, s49
	s_mov_b32 s49, -1
	s_mov_b32 s0, 0
	global_store_b8 v[2:3], v5, off
.LBB63_1086:
	s_mov_b32 s50, 0
.LBB63_1087:
	s_delay_alu instid0(SALU_CYCLE_1)
	s_and_b32 vcc_lo, exec_lo, s50
	s_cbranch_vccz .LBB63_1090
; %bb.1088:
	s_cmp_eq_u32 s48, 29
	s_mov_b32 s0, -1
	s_cbranch_scc0 .LBB63_1090
; %bb.1089:
	s_wait_xcnt 0x0
	v_mov_b32_e32 v5, 0
	s_mov_b32 s49, -1
	s_mov_b32 s0, 0
	s_mov_b32 s50, 0
	global_store_b64 v[2:3], v[4:5], off
	s_branch .LBB63_1091
.LBB63_1090:
	s_mov_b32 s50, 0
.LBB63_1091:
	s_delay_alu instid0(SALU_CYCLE_1)
	s_and_b32 vcc_lo, exec_lo, s50
	s_cbranch_vccz .LBB63_1107
; %bb.1092:
	s_cmp_lt_i32 s48, 27
	s_mov_b32 s49, -1
	s_cbranch_scc1 .LBB63_1098
; %bb.1093:
	s_cmp_gt_i32 s48, 27
	s_cbranch_scc0 .LBB63_1095
; %bb.1094:
	s_mov_b32 s49, 0
	global_store_b32 v[2:3], v4, off
.LBB63_1095:
	s_and_not1_b32 vcc_lo, exec_lo, s49
	s_cbranch_vccnz .LBB63_1097
; %bb.1096:
	global_store_b16 v[2:3], v4, off
.LBB63_1097:
	s_mov_b32 s49, 0
.LBB63_1098:
	s_delay_alu instid0(SALU_CYCLE_1)
	s_and_not1_b32 vcc_lo, exec_lo, s49
	s_cbranch_vccnz .LBB63_1106
; %bb.1099:
	s_wait_xcnt 0x0
	v_cvt_f32_u32_e32 v5, v4
	v_mov_b32_e32 v6, 0x80
	s_mov_b32 s49, exec_lo
	s_delay_alu instid0(VALU_DEP_2)
	v_cmpx_gt_u32_e32 0x43800000, v5
	s_cbranch_execz .LBB63_1105
; %bb.1100:
	s_mov_b32 s50, 0
	s_mov_b32 s51, exec_lo
                                        ; implicit-def: $vgpr1
	v_cmpx_lt_u32_e32 0x3bffffff, v5
	s_xor_b32 s51, exec_lo, s51
	s_cbranch_execz .LBB63_1220
; %bb.1101:
	v_bfe_u32 v1, v5, 20, 1
	s_mov_b32 s50, exec_lo
	s_delay_alu instid0(VALU_DEP_1) | instskip(NEXT) | instid1(VALU_DEP_1)
	v_add3_u32 v1, v5, v1, 0x487ffff
                                        ; implicit-def: $vgpr5
	v_lshrrev_b32_e32 v1, 20, v1
	s_and_not1_saveexec_b32 s51, s51
	s_cbranch_execnz .LBB63_1221
.LBB63_1102:
	s_or_b32 exec_lo, exec_lo, s51
	v_mov_b32_e32 v6, 0
	s_and_saveexec_b32 s51, s50
.LBB63_1103:
	v_mov_b32_e32 v6, v1
.LBB63_1104:
	s_or_b32 exec_lo, exec_lo, s51
.LBB63_1105:
	s_delay_alu instid0(SALU_CYCLE_1)
	s_or_b32 exec_lo, exec_lo, s49
	global_store_b8 v[2:3], v6, off
.LBB63_1106:
	s_mov_b32 s49, -1
.LBB63_1107:
	s_mov_b32 s50, 0
.LBB63_1108:
	s_delay_alu instid0(SALU_CYCLE_1)
	s_and_b32 vcc_lo, exec_lo, s50
	s_cbranch_vccz .LBB63_1149
; %bb.1109:
	s_cmp_gt_i32 s48, 22
	s_mov_b32 s50, -1
	s_cbranch_scc0 .LBB63_1141
; %bb.1110:
	s_cmp_lt_i32 s48, 24
	s_mov_b32 s49, -1
	s_cbranch_scc1 .LBB63_1130
; %bb.1111:
	s_cmp_gt_i32 s48, 24
	s_cbranch_scc0 .LBB63_1119
; %bb.1112:
	s_wait_xcnt 0x0
	v_cvt_f32_u32_e32 v5, v4
	v_mov_b32_e32 v6, 0x80
	s_mov_b32 s49, exec_lo
	s_delay_alu instid0(VALU_DEP_2)
	v_cmpx_gt_u32_e32 0x47800000, v5
	s_cbranch_execz .LBB63_1118
; %bb.1113:
	s_mov_b32 s50, 0
	s_mov_b32 s51, exec_lo
                                        ; implicit-def: $vgpr1
	v_cmpx_lt_u32_e32 0x37ffffff, v5
	s_xor_b32 s51, exec_lo, s51
	s_cbranch_execz .LBB63_2281
; %bb.1114:
	v_bfe_u32 v1, v5, 21, 1
	s_mov_b32 s50, exec_lo
	s_delay_alu instid0(VALU_DEP_1) | instskip(NEXT) | instid1(VALU_DEP_1)
	v_add3_u32 v1, v5, v1, 0x88fffff
                                        ; implicit-def: $vgpr5
	v_lshrrev_b32_e32 v1, 21, v1
	s_and_not1_saveexec_b32 s51, s51
	s_cbranch_execnz .LBB63_2282
.LBB63_1115:
	s_or_b32 exec_lo, exec_lo, s51
	v_mov_b32_e32 v6, 0
	s_and_saveexec_b32 s51, s50
.LBB63_1116:
	v_mov_b32_e32 v6, v1
.LBB63_1117:
	s_or_b32 exec_lo, exec_lo, s51
.LBB63_1118:
	s_delay_alu instid0(SALU_CYCLE_1)
	s_or_b32 exec_lo, exec_lo, s49
	s_mov_b32 s49, 0
	global_store_b8 v[2:3], v6, off
.LBB63_1119:
	s_and_b32 vcc_lo, exec_lo, s49
	s_cbranch_vccz .LBB63_1129
; %bb.1120:
	s_wait_xcnt 0x0
	v_cvt_f32_u32_e32 v5, v4
	s_mov_b32 s49, exec_lo
                                        ; implicit-def: $vgpr1
	s_delay_alu instid0(VALU_DEP_1)
	v_cmpx_gt_u32_e32 0x43f00000, v5
	s_xor_b32 s49, exec_lo, s49
	s_cbranch_execz .LBB63_1126
; %bb.1121:
	s_mov_b32 s50, exec_lo
                                        ; implicit-def: $vgpr1
	v_cmpx_lt_u32_e32 0x3c7fffff, v5
	s_xor_b32 s50, exec_lo, s50
; %bb.1122:
	v_bfe_u32 v1, v5, 20, 1
	s_delay_alu instid0(VALU_DEP_1) | instskip(NEXT) | instid1(VALU_DEP_1)
	v_add3_u32 v1, v5, v1, 0x407ffff
	v_and_b32_e32 v5, 0xff00000, v1
	v_lshrrev_b32_e32 v1, 20, v1
	s_delay_alu instid0(VALU_DEP_2) | instskip(NEXT) | instid1(VALU_DEP_2)
	v_cmp_ne_u32_e32 vcc_lo, 0x7f00000, v5
                                        ; implicit-def: $vgpr5
	v_cndmask_b32_e32 v1, 0x7e, v1, vcc_lo
; %bb.1123:
	s_and_not1_saveexec_b32 s50, s50
; %bb.1124:
	v_add_f32_e32 v1, 0x46800000, v5
; %bb.1125:
	s_or_b32 exec_lo, exec_lo, s50
                                        ; implicit-def: $vgpr5
.LBB63_1126:
	s_and_not1_saveexec_b32 s49, s49
; %bb.1127:
	v_mov_b32_e32 v1, 0x7f
	v_cmp_lt_u32_e32 vcc_lo, 0x7f800000, v5
	s_delay_alu instid0(VALU_DEP_2)
	v_cndmask_b32_e32 v1, 0x7e, v1, vcc_lo
; %bb.1128:
	s_or_b32 exec_lo, exec_lo, s49
	global_store_b8 v[2:3], v1, off
.LBB63_1129:
	s_mov_b32 s49, 0
.LBB63_1130:
	s_delay_alu instid0(SALU_CYCLE_1)
	s_and_not1_b32 vcc_lo, exec_lo, s49
	s_cbranch_vccnz .LBB63_1140
; %bb.1131:
	s_wait_xcnt 0x0
	v_cvt_f32_u32_e32 v5, v4
	s_mov_b32 s49, exec_lo
                                        ; implicit-def: $vgpr1
	s_delay_alu instid0(VALU_DEP_1)
	v_cmpx_gt_u32_e32 0x47800000, v5
	s_xor_b32 s49, exec_lo, s49
	s_cbranch_execz .LBB63_1137
; %bb.1132:
	s_mov_b32 s50, exec_lo
                                        ; implicit-def: $vgpr1
	v_cmpx_lt_u32_e32 0x387fffff, v5
	s_xor_b32 s50, exec_lo, s50
; %bb.1133:
	v_bfe_u32 v1, v5, 21, 1
	s_delay_alu instid0(VALU_DEP_1) | instskip(NEXT) | instid1(VALU_DEP_1)
	v_add3_u32 v1, v5, v1, 0x80fffff
                                        ; implicit-def: $vgpr5
	v_lshrrev_b32_e32 v1, 21, v1
; %bb.1134:
	s_and_not1_saveexec_b32 s50, s50
; %bb.1135:
	v_add_f32_e32 v1, 0x43000000, v5
; %bb.1136:
	s_or_b32 exec_lo, exec_lo, s50
                                        ; implicit-def: $vgpr5
.LBB63_1137:
	s_and_not1_saveexec_b32 s49, s49
; %bb.1138:
	v_mov_b32_e32 v1, 0x7f
	v_cmp_lt_u32_e32 vcc_lo, 0x7f800000, v5
	s_delay_alu instid0(VALU_DEP_2)
	v_cndmask_b32_e32 v1, 0x7c, v1, vcc_lo
; %bb.1139:
	s_or_b32 exec_lo, exec_lo, s49
	global_store_b8 v[2:3], v1, off
.LBB63_1140:
	s_mov_b32 s50, 0
	s_mov_b32 s49, -1
.LBB63_1141:
	s_and_not1_b32 vcc_lo, exec_lo, s50
	s_cbranch_vccnz .LBB63_1149
; %bb.1142:
	s_cmp_gt_i32 s48, 14
	s_mov_b32 s50, -1
	s_cbranch_scc0 .LBB63_1146
; %bb.1143:
	s_cmp_eq_u32 s48, 15
	s_mov_b32 s0, -1
	s_cbranch_scc0 .LBB63_1145
; %bb.1144:
	s_wait_xcnt 0x0
	v_cvt_f32_u32_e32 v1, v4
	s_mov_b32 s49, -1
	s_mov_b32 s0, 0
	s_delay_alu instid0(VALU_DEP_1) | instskip(NEXT) | instid1(VALU_DEP_1)
	v_bfe_u32 v5, v1, 16, 1
	v_add3_u32 v1, v1, v5, 0x7fff
	global_store_d16_hi_b16 v[2:3], v1, off
.LBB63_1145:
	s_mov_b32 s50, 0
.LBB63_1146:
	s_delay_alu instid0(SALU_CYCLE_1)
	s_and_b32 vcc_lo, exec_lo, s50
	s_cbranch_vccz .LBB63_1149
; %bb.1147:
	s_cmp_eq_u32 s48, 11
	s_mov_b32 s0, -1
	s_cbranch_scc0 .LBB63_1149
; %bb.1148:
	v_cmp_ne_u32_e32 vcc_lo, 0, v4
	s_mov_b32 s0, 0
	s_mov_b32 s49, -1
	s_wait_xcnt 0x0
	v_cndmask_b32_e64 v1, 0, 1, vcc_lo
	global_store_b8 v[2:3], v1, off
.LBB63_1149:
	s_mov_b32 s48, 0
.LBB63_1150:
	s_delay_alu instid0(SALU_CYCLE_1)
	s_and_b32 vcc_lo, exec_lo, s48
	s_cbranch_vccz .LBB63_1189
; %bb.1151:
	s_and_b32 s47, 0xffff, s47
	s_mov_b32 s48, -1
	s_cmp_lt_i32 s47, 5
	s_cbranch_scc1 .LBB63_1172
; %bb.1152:
	s_cmp_lt_i32 s47, 8
	s_cbranch_scc1 .LBB63_1162
; %bb.1153:
	;; [unrolled: 3-line block ×3, first 2 shown]
	s_cmp_gt_i32 s47, 9
	s_cbranch_scc0 .LBB63_1156
; %bb.1155:
	s_wait_xcnt 0x0
	v_cvt_f64_u32_e32 v[6:7], v4
	v_mov_b32_e32 v8, 0
	s_mov_b32 s48, 0
	s_delay_alu instid0(VALU_DEP_1)
	v_mov_b32_e32 v9, v8
	global_store_b128 v[2:3], v[6:9], off
.LBB63_1156:
	s_and_not1_b32 vcc_lo, exec_lo, s48
	s_cbranch_vccnz .LBB63_1158
; %bb.1157:
	s_wait_xcnt 0x0
	v_cvt_f32_u32_e32 v6, v4
	v_mov_b32_e32 v7, 0
	global_store_b64 v[2:3], v[6:7], off
.LBB63_1158:
	s_mov_b32 s48, 0
.LBB63_1159:
	s_delay_alu instid0(SALU_CYCLE_1)
	s_and_not1_b32 vcc_lo, exec_lo, s48
	s_cbranch_vccnz .LBB63_1161
; %bb.1160:
	s_wait_xcnt 0x0
	v_cvt_f32_u32_e32 v1, v4
	s_delay_alu instid0(VALU_DEP_1) | instskip(NEXT) | instid1(VALU_DEP_1)
	v_cvt_f16_f32_e32 v1, v1
	v_and_b32_e32 v1, 0xffff, v1
	global_store_b32 v[2:3], v1, off
.LBB63_1161:
	s_mov_b32 s48, 0
.LBB63_1162:
	s_delay_alu instid0(SALU_CYCLE_1)
	s_and_not1_b32 vcc_lo, exec_lo, s48
	s_cbranch_vccnz .LBB63_1171
; %bb.1163:
	s_cmp_lt_i32 s47, 6
	s_mov_b32 s48, -1
	s_cbranch_scc1 .LBB63_1169
; %bb.1164:
	s_cmp_gt_i32 s47, 6
	s_cbranch_scc0 .LBB63_1166
; %bb.1165:
	s_wait_xcnt 0x0
	v_cvt_f64_u32_e32 v[6:7], v4
	s_mov_b32 s48, 0
	global_store_b64 v[2:3], v[6:7], off
.LBB63_1166:
	s_and_not1_b32 vcc_lo, exec_lo, s48
	s_cbranch_vccnz .LBB63_1168
; %bb.1167:
	s_wait_xcnt 0x0
	v_cvt_f32_u32_e32 v1, v4
	global_store_b32 v[2:3], v1, off
.LBB63_1168:
	s_mov_b32 s48, 0
.LBB63_1169:
	s_delay_alu instid0(SALU_CYCLE_1)
	s_and_not1_b32 vcc_lo, exec_lo, s48
	s_cbranch_vccnz .LBB63_1171
; %bb.1170:
	s_wait_xcnt 0x0
	v_cvt_f32_u32_e32 v1, v4
	s_delay_alu instid0(VALU_DEP_1)
	v_cvt_f16_f32_e32 v1, v1
	global_store_b16 v[2:3], v1, off
.LBB63_1171:
	s_mov_b32 s48, 0
.LBB63_1172:
	s_delay_alu instid0(SALU_CYCLE_1)
	s_and_not1_b32 vcc_lo, exec_lo, s48
	s_cbranch_vccnz .LBB63_1188
; %bb.1173:
	s_cmp_lt_i32 s47, 2
	s_mov_b32 s48, -1
	s_cbranch_scc1 .LBB63_1183
; %bb.1174:
	s_cmp_lt_i32 s47, 3
	s_cbranch_scc1 .LBB63_1180
; %bb.1175:
	s_cmp_gt_i32 s47, 3
	s_cbranch_scc0 .LBB63_1177
; %bb.1176:
	s_wait_xcnt 0x0
	v_mov_b32_e32 v5, 0
	s_mov_b32 s48, 0
	global_store_b64 v[2:3], v[4:5], off
.LBB63_1177:
	s_and_not1_b32 vcc_lo, exec_lo, s48
	s_cbranch_vccnz .LBB63_1179
; %bb.1178:
	global_store_b32 v[2:3], v4, off
.LBB63_1179:
	s_mov_b32 s48, 0
.LBB63_1180:
	s_delay_alu instid0(SALU_CYCLE_1)
	s_and_not1_b32 vcc_lo, exec_lo, s48
	s_cbranch_vccnz .LBB63_1182
; %bb.1181:
	global_store_b16 v[2:3], v4, off
.LBB63_1182:
	s_mov_b32 s48, 0
.LBB63_1183:
	s_delay_alu instid0(SALU_CYCLE_1)
	s_and_not1_b32 vcc_lo, exec_lo, s48
	s_cbranch_vccnz .LBB63_1188
; %bb.1184:
	s_cmp_gt_i32 s47, 0
	s_mov_b32 s47, -1
	s_cbranch_scc0 .LBB63_1186
; %bb.1185:
	s_mov_b32 s47, 0
	global_store_b8 v[2:3], v4, off
.LBB63_1186:
	s_and_not1_b32 vcc_lo, exec_lo, s47
	s_cbranch_vccnz .LBB63_1188
; %bb.1187:
	global_store_b8 v[2:3], v4, off
.LBB63_1188:
	s_mov_b32 s49, -1
.LBB63_1189:
	s_delay_alu instid0(SALU_CYCLE_1)
	s_and_not1_b32 vcc_lo, exec_lo, s49
	s_cbranch_vccnz .LBB63_1191
; %bb.1190:
	v_add_nc_u32_e32 v0, 0x80, v0
	s_mov_b32 s50, -1
	s_branch .LBB63_1193
.LBB63_1191:
	s_mov_b32 s50, 0
.LBB63_1192:
                                        ; implicit-def: $vgpr0
.LBB63_1193:
	s_and_not1_b32 s47, s43, exec_lo
	s_and_b32 s0, s0, exec_lo
	s_and_b32 s25, s25, exec_lo
	s_or_b32 s48, s47, s0
	s_and_not1_b32 s0, s44, exec_lo
	s_and_not1_b32 s47, s42, exec_lo
	s_and_b32 s24, s24, exec_lo
	s_or_b32 s49, s0, s25
	s_or_b32 s47, s47, s24
	s_or_not1_b32 s51, s50, exec_lo
.LBB63_1194:
	s_wait_xcnt 0x0
	s_or_b32 exec_lo, exec_lo, s46
	s_mov_b32 s25, 0
	s_mov_b32 s50, 0
	;; [unrolled: 1-line block ×3, first 2 shown]
                                        ; implicit-def: $sgpr0
                                        ; implicit-def: $vgpr6_vgpr7
                                        ; implicit-def: $vgpr4
                                        ; implicit-def: $vgpr2
                                        ; implicit-def: $vgpr3
	s_and_saveexec_b32 s46, s51
	s_cbranch_execz .LBB63_1285
; %bb.1195:
	v_cmp_gt_i32_e32 vcc_lo, s36, v0
	s_mov_b32 s51, s47
                                        ; implicit-def: $sgpr0
                                        ; implicit-def: $vgpr6_vgpr7
                                        ; implicit-def: $vgpr4
                                        ; implicit-def: $vgpr2
                                        ; implicit-def: $vgpr3
	s_and_saveexec_b32 s36, vcc_lo
	s_cbranch_execz .LBB63_1284
; %bb.1196:
	s_and_not1_b32 vcc_lo, exec_lo, s29
	s_cbranch_vccnz .LBB63_1202
; %bb.1197:
	s_and_not1_b32 vcc_lo, exec_lo, s37
	s_cbranch_vccnz .LBB63_1203
; %bb.1198:
	s_wait_loadcnt 0x0
	v_dual_mov_b32 v2, 0 :: v_dual_mov_b32 v1, v0
	v_dual_mov_b32 v6, 0 :: v_dual_mov_b32 v4, 0
	s_add_co_i32 s0, s35, 1
	s_mov_b64 s[24:25], 0xffffffffffffffe8
	s_and_b32 s0, s0, 30
	s_add_nc_u64 s[24:25], s[2:3], s[24:25]
.LBB63_1199:                            ; =>This Inner Loop Header: Depth=1
	s_clause 0x1
	s_load_b128 s[52:55], s[24:25], 0x1c
	s_load_b64 s[50:51], s[24:25], 0x2c
	s_add_co_i32 s0, s0, -2
	s_delay_alu instid0(SALU_CYCLE_1) | instskip(SKIP_2) | instid1(VALU_DEP_1)
	s_cmp_eq_u32 s0, 0
	s_wait_kmcnt 0x0
	v_mul_hi_u32 v3, s53, v1
	v_add_nc_u32_e32 v3, v1, v3
	s_delay_alu instid0(VALU_DEP_1) | instskip(NEXT) | instid1(VALU_DEP_1)
	v_lshrrev_b32_e32 v3, s54, v3
	v_mul_hi_u32 v5, s50, v3
	v_mul_lo_u32 v7, v3, s52
	s_clause 0x1
	s_load_b128 s[56:59], s[24:25], 0xdc
	s_load_b64 s[52:53], s[24:25], 0xec
	s_wait_xcnt 0x0
	s_add_nc_u64 s[24:25], s[24:25], 24
	s_delay_alu instid0(VALU_DEP_1) | instskip(NEXT) | instid1(VALU_DEP_1)
	v_dual_add_nc_u32 v5, v3, v5 :: v_dual_sub_nc_u32 v7, v1, v7
	v_lshrrev_b32_e32 v1, s51, v5
	s_wait_kmcnt 0x0
	s_delay_alu instid0(VALU_DEP_2) | instskip(NEXT) | instid1(VALU_DEP_2)
	v_mad_u32 v2, v7, s56, v2
	v_mul_lo_u32 v5, v1, s55
	v_mad_u32 v4, v7, s58, v4
	v_mad_u32 v6, v7, s57, v6
	s_delay_alu instid0(VALU_DEP_3) | instskip(NEXT) | instid1(VALU_DEP_1)
	v_sub_nc_u32_e32 v3, v3, v5
	v_mad_u32 v2, v3, s59, v2
	s_delay_alu instid0(VALU_DEP_4) | instskip(NEXT) | instid1(VALU_DEP_4)
	v_mad_u32 v4, v3, s53, v4
	v_mad_u32 v6, v3, s52, v6
	s_cbranch_scc0 .LBB63_1199
; %bb.1200:
	s_bitcmp1_b32 s35, 0
	s_cselect_b32 s0, -1, 0
	s_delay_alu instid0(SALU_CYCLE_1)
	s_and_b32 vcc_lo, exec_lo, s0
	s_cbranch_vccnz .LBB63_1204
; %bb.1201:
	s_clause 0x1
	s_load_b96 s[52:54], s[24:25], 0x1c
	s_load_b96 s[56:58], s[24:25], 0xdc
	s_wait_kmcnt 0x0
	v_mul_hi_u32 v3, s53, v1
	s_delay_alu instid0(VALU_DEP_1) | instskip(NEXT) | instid1(VALU_DEP_1)
	v_add_nc_u32_e32 v3, v1, v3
	v_lshrrev_b32_e32 v3, s54, v3
	s_delay_alu instid0(VALU_DEP_1) | instskip(NEXT) | instid1(VALU_DEP_1)
	v_mul_lo_u32 v3, v3, s52
	v_sub_nc_u32_e32 v1, v1, v3
	s_delay_alu instid0(VALU_DEP_1)
	v_mad_u32 v2, v1, s56, v2
	v_mad_u32 v6, v1, s57, v6
	;; [unrolled: 1-line block ×3, first 2 shown]
	s_branch .LBB63_1204
.LBB63_1202:
	s_mov_b32 s0, -1
                                        ; implicit-def: $vgpr4
                                        ; implicit-def: $vgpr6
                                        ; implicit-def: $vgpr2
	s_branch .LBB63_1205
.LBB63_1203:
	v_dual_mov_b32 v4, 0 :: v_dual_mov_b32 v6, 0
	v_mov_b32_e32 v2, 0
.LBB63_1204:
	s_mov_b32 s0, 0
.LBB63_1205:
	s_delay_alu instid0(SALU_CYCLE_1)
	s_and_not1_b32 vcc_lo, exec_lo, s0
	s_cbranch_vccnz .LBB63_1208
; %bb.1206:
	s_wait_loadcnt 0x0
	v_mov_b32_e32 v1, 0
	s_and_not1_b32 vcc_lo, exec_lo, s34
	s_delay_alu instid0(VALU_DEP_1) | instskip(NEXT) | instid1(VALU_DEP_1)
	v_mul_u64_e32 v[2:3], s[18:19], v[0:1]
	v_add_nc_u32_e32 v2, v0, v3
	s_delay_alu instid0(VALU_DEP_1) | instskip(NEXT) | instid1(VALU_DEP_1)
	v_lshrrev_b32_e32 v8, s10, v2
	v_mul_lo_u32 v2, v8, s8
	s_delay_alu instid0(VALU_DEP_1) | instskip(NEXT) | instid1(VALU_DEP_1)
	v_sub_nc_u32_e32 v0, v0, v2
	v_mul_lo_u32 v2, v0, s12
	v_mul_lo_u32 v4, v0, s14
	;; [unrolled: 1-line block ×3, first 2 shown]
	s_cbranch_vccnz .LBB63_1208
; %bb.1207:
	v_mov_b32_e32 v9, v1
	s_delay_alu instid0(VALU_DEP_1) | instskip(NEXT) | instid1(VALU_DEP_1)
	v_mul_u64_e32 v[0:1], s[22:23], v[8:9]
	v_add_nc_u32_e32 v0, v8, v1
	s_delay_alu instid0(VALU_DEP_1) | instskip(NEXT) | instid1(VALU_DEP_1)
	v_lshrrev_b32_e32 v0, s1, v0
	v_mul_lo_u32 v0, v0, s11
	s_delay_alu instid0(VALU_DEP_1) | instskip(NEXT) | instid1(VALU_DEP_1)
	v_sub_nc_u32_e32 v0, v8, v0
	v_mad_u32 v2, v0, s15, v2
	v_mad_u32 v6, v0, s20, v6
	;; [unrolled: 1-line block ×3, first 2 shown]
.LBB63_1208:
	v_mov_b32_e32 v7, 0
	s_and_b32 s0, s33, 0xff
	s_delay_alu instid0(SALU_CYCLE_1) | instskip(NEXT) | instid1(VALU_DEP_1)
	s_cmp_lt_i32 s0, 11
	v_add_nc_u64_e32 v[6:7], s[6:7], v[6:7]
	s_cbranch_scc1 .LBB63_1215
; %bb.1209:
	s_and_b32 s6, 0xffff, s0
	s_mov_b32 s7, 0
	s_cmp_gt_i32 s6, 25
	s_cbranch_scc0 .LBB63_1216
; %bb.1210:
	s_cmp_gt_i32 s6, 28
	s_cbranch_scc0 .LBB63_1217
; %bb.1211:
	s_cmp_gt_i32 s6, 43
	s_cbranch_scc0 .LBB63_1218
; %bb.1212:
	s_cmp_gt_i32 s6, 45
	s_cbranch_scc0 .LBB63_1219
; %bb.1213:
	s_cmp_eq_u32 s6, 46
	s_mov_b32 s10, 0
	s_cbranch_scc0 .LBB63_1222
; %bb.1214:
	global_load_b32 v0, v[6:7], off
	s_mov_b32 s1, 0
	s_mov_b32 s8, -1
	s_wait_loadcnt 0x0
	v_lshlrev_b32_e32 v0, 16, v0
	s_delay_alu instid0(VALU_DEP_1)
	v_cvt_i32_f32_e32 v3, v0
	s_branch .LBB63_1224
.LBB63_1215:
	s_mov_b32 s6, -1
	s_mov_b32 s8, 0
	s_mov_b32 s7, 0
	;; [unrolled: 1-line block ×3, first 2 shown]
                                        ; implicit-def: $vgpr3
	s_branch .LBB63_1283
.LBB63_1216:
	s_mov_b32 s10, -1
	s_mov_b32 s8, 0
	s_mov_b32 s1, s47
                                        ; implicit-def: $vgpr3
	s_branch .LBB63_1251
.LBB63_1217:
	s_mov_b32 s10, -1
	s_mov_b32 s8, 0
	s_mov_b32 s1, s47
                                        ; implicit-def: $vgpr3
	s_branch .LBB63_1234
.LBB63_1218:
	s_mov_b32 s10, -1
	s_mov_b32 s8, 0
	s_mov_b32 s1, s47
                                        ; implicit-def: $vgpr3
	s_branch .LBB63_1229
.LBB63_1219:
	s_mov_b32 s10, -1
	s_mov_b32 s8, 0
	s_mov_b32 s1, s47
	s_branch .LBB63_1223
.LBB63_1220:
	s_and_not1_saveexec_b32 s51, s51
	s_cbranch_execz .LBB63_1102
.LBB63_1221:
	v_add_f32_e32 v1, 0x46000000, v5
	s_and_not1_b32 s50, s50, exec_lo
	s_delay_alu instid0(VALU_DEP_1) | instskip(NEXT) | instid1(VALU_DEP_1)
	v_and_b32_e32 v1, 0xff, v1
	v_cmp_ne_u32_e32 vcc_lo, 0, v1
	s_and_b32 s52, vcc_lo, exec_lo
	s_delay_alu instid0(SALU_CYCLE_1)
	s_or_b32 s50, s50, s52
	s_or_b32 exec_lo, exec_lo, s51
	v_mov_b32_e32 v6, 0
	s_and_saveexec_b32 s51, s50
	s_cbranch_execnz .LBB63_1103
	s_branch .LBB63_1104
.LBB63_1222:
	s_mov_b32 s1, -1
	s_mov_b32 s8, 0
.LBB63_1223:
                                        ; implicit-def: $vgpr3
.LBB63_1224:
	s_and_b32 vcc_lo, exec_lo, s10
	s_cbranch_vccz .LBB63_1228
; %bb.1225:
	s_cmp_eq_u32 s6, 44
	s_cbranch_scc0 .LBB63_1227
; %bb.1226:
	global_load_u8 v0, v[6:7], off
	s_mov_b32 s1, 0
	s_mov_b32 s8, -1
	s_wait_loadcnt 0x0
	v_lshlrev_b32_e32 v1, 23, v0
	v_cmp_ne_u32_e32 vcc_lo, 0, v0
	s_delay_alu instid0(VALU_DEP_2) | instskip(NEXT) | instid1(VALU_DEP_1)
	v_cvt_i32_f32_e32 v1, v1
	v_cndmask_b32_e32 v3, 0, v1, vcc_lo
	s_branch .LBB63_1228
.LBB63_1227:
	s_mov_b32 s1, -1
                                        ; implicit-def: $vgpr3
.LBB63_1228:
	s_mov_b32 s10, 0
.LBB63_1229:
	s_delay_alu instid0(SALU_CYCLE_1)
	s_and_b32 vcc_lo, exec_lo, s10
	s_cbranch_vccz .LBB63_1233
; %bb.1230:
	s_cmp_eq_u32 s6, 29
	s_cbranch_scc0 .LBB63_1232
; %bb.1231:
	s_wait_loadcnt 0x0
	global_load_b32 v3, v[6:7], off
	s_mov_b32 s1, 0
	s_mov_b32 s8, -1
	s_branch .LBB63_1233
.LBB63_1232:
	s_mov_b32 s1, -1
                                        ; implicit-def: $vgpr3
.LBB63_1233:
	s_mov_b32 s10, 0
.LBB63_1234:
	s_delay_alu instid0(SALU_CYCLE_1)
	s_and_b32 vcc_lo, exec_lo, s10
	s_cbranch_vccz .LBB63_1250
; %bb.1235:
	s_cmp_lt_i32 s6, 27
	s_cbranch_scc1 .LBB63_1238
; %bb.1236:
	s_cmp_gt_i32 s6, 27
	s_cbranch_scc0 .LBB63_1239
; %bb.1237:
	s_wait_loadcnt 0x0
	global_load_b32 v3, v[6:7], off
	s_mov_b32 s8, 0
	s_branch .LBB63_1240
.LBB63_1238:
	s_mov_b32 s8, -1
                                        ; implicit-def: $vgpr3
	s_branch .LBB63_1243
.LBB63_1239:
	s_mov_b32 s8, -1
                                        ; implicit-def: $vgpr3
.LBB63_1240:
	s_delay_alu instid0(SALU_CYCLE_1)
	s_and_not1_b32 vcc_lo, exec_lo, s8
	s_cbranch_vccnz .LBB63_1242
; %bb.1241:
	s_wait_loadcnt 0x0
	global_load_u16 v3, v[6:7], off
.LBB63_1242:
	s_mov_b32 s8, 0
.LBB63_1243:
	s_delay_alu instid0(SALU_CYCLE_1)
	s_and_not1_b32 vcc_lo, exec_lo, s8
	s_cbranch_vccnz .LBB63_1249
; %bb.1244:
	global_load_u8 v0, v[6:7], off
	s_mov_b32 s10, 0
	s_mov_b32 s8, exec_lo
	s_wait_loadcnt 0x0
	v_cmpx_lt_i16_e32 0x7f, v0
	s_xor_b32 s8, exec_lo, s8
	s_cbranch_execz .LBB63_1261
; %bb.1245:
	v_cmp_ne_u16_e32 vcc_lo, 0x80, v0
	s_and_b32 s10, vcc_lo, exec_lo
	s_and_not1_saveexec_b32 s8, s8
	s_cbranch_execnz .LBB63_1262
.LBB63_1246:
	s_or_b32 exec_lo, exec_lo, s8
	v_mov_b32_e32 v3, 0
	s_and_saveexec_b32 s8, s10
	s_cbranch_execz .LBB63_1248
.LBB63_1247:
	v_and_b32_e32 v1, 0xffff, v0
	s_delay_alu instid0(VALU_DEP_1) | instskip(SKIP_1) | instid1(VALU_DEP_2)
	v_dual_lshlrev_b32 v0, 24, v0 :: v_dual_bitop2_b32 v3, 7, v1 bitop3:0x40
	v_bfe_u32 v9, v1, 3, 4
	v_and_b32_e32 v0, 0x80000000, v0
	s_delay_alu instid0(VALU_DEP_3) | instskip(NEXT) | instid1(VALU_DEP_3)
	v_clz_i32_u32_e32 v5, v3
	v_cmp_eq_u32_e32 vcc_lo, 0, v9
	s_delay_alu instid0(VALU_DEP_2) | instskip(NEXT) | instid1(VALU_DEP_1)
	v_min_u32_e32 v5, 32, v5
	v_subrev_nc_u32_e32 v8, 28, v5
	v_sub_nc_u32_e32 v5, 29, v5
	s_delay_alu instid0(VALU_DEP_2) | instskip(NEXT) | instid1(VALU_DEP_2)
	v_lshlrev_b32_e32 v1, v8, v1
	v_cndmask_b32_e32 v5, v9, v5, vcc_lo
	s_delay_alu instid0(VALU_DEP_2) | instskip(NEXT) | instid1(VALU_DEP_1)
	v_and_b32_e32 v1, 7, v1
	v_cndmask_b32_e32 v1, v3, v1, vcc_lo
	s_delay_alu instid0(VALU_DEP_3) | instskip(NEXT) | instid1(VALU_DEP_2)
	v_lshl_add_u32 v3, v5, 23, 0x3b800000
	v_lshlrev_b32_e32 v1, 20, v1
	s_delay_alu instid0(VALU_DEP_1) | instskip(NEXT) | instid1(VALU_DEP_1)
	v_or3_b32 v0, v0, v3, v1
	v_cvt_i32_f32_e32 v3, v0
.LBB63_1248:
	s_or_b32 exec_lo, exec_lo, s8
.LBB63_1249:
	s_mov_b32 s8, -1
.LBB63_1250:
	s_mov_b32 s10, 0
.LBB63_1251:
	s_delay_alu instid0(SALU_CYCLE_1)
	s_and_b32 vcc_lo, exec_lo, s10
	s_cbranch_vccz .LBB63_1282
; %bb.1252:
	s_cmp_gt_i32 s6, 22
	s_cbranch_scc0 .LBB63_1260
; %bb.1253:
	s_cmp_lt_i32 s6, 24
	s_cbranch_scc1 .LBB63_1263
; %bb.1254:
	s_cmp_gt_i32 s6, 24
	s_cbranch_scc0 .LBB63_1264
; %bb.1255:
	global_load_u8 v0, v[6:7], off
	s_mov_b32 s8, 0
	s_mov_b32 s7, exec_lo
	s_wait_loadcnt 0x0
	v_cmpx_lt_i16_e32 0x7f, v0
	s_xor_b32 s7, exec_lo, s7
	s_cbranch_execz .LBB63_1276
; %bb.1256:
	v_cmp_ne_u16_e32 vcc_lo, 0x80, v0
	s_and_b32 s8, vcc_lo, exec_lo
	s_and_not1_saveexec_b32 s7, s7
	s_cbranch_execnz .LBB63_1277
.LBB63_1257:
	s_or_b32 exec_lo, exec_lo, s7
	v_mov_b32_e32 v3, 0
	s_and_saveexec_b32 s7, s8
	s_cbranch_execz .LBB63_1259
.LBB63_1258:
	v_and_b32_e32 v1, 0xffff, v0
	s_delay_alu instid0(VALU_DEP_1) | instskip(SKIP_1) | instid1(VALU_DEP_2)
	v_dual_lshlrev_b32 v0, 24, v0 :: v_dual_bitop2_b32 v3, 3, v1 bitop3:0x40
	v_bfe_u32 v9, v1, 2, 5
	v_and_b32_e32 v0, 0x80000000, v0
	s_delay_alu instid0(VALU_DEP_3) | instskip(NEXT) | instid1(VALU_DEP_3)
	v_clz_i32_u32_e32 v5, v3
	v_cmp_eq_u32_e32 vcc_lo, 0, v9
	s_delay_alu instid0(VALU_DEP_2) | instskip(NEXT) | instid1(VALU_DEP_1)
	v_min_u32_e32 v5, 32, v5
	v_subrev_nc_u32_e32 v8, 29, v5
	v_sub_nc_u32_e32 v5, 30, v5
	s_delay_alu instid0(VALU_DEP_2) | instskip(NEXT) | instid1(VALU_DEP_2)
	v_lshlrev_b32_e32 v1, v8, v1
	v_cndmask_b32_e32 v5, v9, v5, vcc_lo
	s_delay_alu instid0(VALU_DEP_2) | instskip(NEXT) | instid1(VALU_DEP_1)
	v_and_b32_e32 v1, 3, v1
	v_cndmask_b32_e32 v1, v3, v1, vcc_lo
	s_delay_alu instid0(VALU_DEP_3) | instskip(NEXT) | instid1(VALU_DEP_2)
	v_lshl_add_u32 v3, v5, 23, 0x37800000
	v_lshlrev_b32_e32 v1, 21, v1
	s_delay_alu instid0(VALU_DEP_1) | instskip(NEXT) | instid1(VALU_DEP_1)
	v_or3_b32 v0, v0, v3, v1
	v_cvt_i32_f32_e32 v3, v0
.LBB63_1259:
	s_or_b32 exec_lo, exec_lo, s7
	s_mov_b32 s7, 0
	s_branch .LBB63_1265
.LBB63_1260:
	s_mov_b32 s7, -1
                                        ; implicit-def: $vgpr3
	s_branch .LBB63_1271
.LBB63_1261:
	s_and_not1_saveexec_b32 s8, s8
	s_cbranch_execz .LBB63_1246
.LBB63_1262:
	v_cmp_ne_u16_e32 vcc_lo, 0, v0
	s_and_not1_b32 s10, s10, exec_lo
	s_and_b32 s11, vcc_lo, exec_lo
	s_delay_alu instid0(SALU_CYCLE_1)
	s_or_b32 s10, s10, s11
	s_or_b32 exec_lo, exec_lo, s8
	v_mov_b32_e32 v3, 0
	s_and_saveexec_b32 s8, s10
	s_cbranch_execnz .LBB63_1247
	s_branch .LBB63_1248
.LBB63_1263:
	s_mov_b32 s7, -1
                                        ; implicit-def: $vgpr3
	s_branch .LBB63_1268
.LBB63_1264:
	s_mov_b32 s7, -1
                                        ; implicit-def: $vgpr3
.LBB63_1265:
	s_delay_alu instid0(SALU_CYCLE_1)
	s_and_b32 vcc_lo, exec_lo, s7
	s_cbranch_vccz .LBB63_1267
; %bb.1266:
	global_load_u8 v0, v[6:7], off
	s_wait_loadcnt 0x0
	v_lshlrev_b32_e32 v0, 24, v0
	s_delay_alu instid0(VALU_DEP_1) | instskip(NEXT) | instid1(VALU_DEP_1)
	v_and_b32_e32 v1, 0x7f000000, v0
	v_clz_i32_u32_e32 v3, v1
	v_cmp_ne_u32_e32 vcc_lo, 0, v1
	v_add_nc_u32_e32 v8, 0x1000000, v1
	s_delay_alu instid0(VALU_DEP_3) | instskip(NEXT) | instid1(VALU_DEP_1)
	v_min_u32_e32 v3, 32, v3
	v_sub_nc_u32_e64 v3, v3, 4 clamp
	s_delay_alu instid0(VALU_DEP_1) | instskip(NEXT) | instid1(VALU_DEP_1)
	v_dual_lshlrev_b32 v5, v3, v1 :: v_dual_lshlrev_b32 v3, 23, v3
	v_lshrrev_b32_e32 v5, 4, v5
	s_delay_alu instid0(VALU_DEP_1) | instskip(NEXT) | instid1(VALU_DEP_1)
	v_dual_sub_nc_u32 v3, v5, v3 :: v_dual_ashrrev_i32 v5, 8, v8
	v_add_nc_u32_e32 v3, 0x3c000000, v3
	s_delay_alu instid0(VALU_DEP_1) | instskip(NEXT) | instid1(VALU_DEP_1)
	v_and_or_b32 v3, 0x7f800000, v5, v3
	v_cndmask_b32_e32 v1, 0, v3, vcc_lo
	s_delay_alu instid0(VALU_DEP_1) | instskip(NEXT) | instid1(VALU_DEP_1)
	v_and_or_b32 v0, 0x80000000, v0, v1
	v_cvt_i32_f32_e32 v3, v0
.LBB63_1267:
	s_mov_b32 s7, 0
.LBB63_1268:
	s_delay_alu instid0(SALU_CYCLE_1)
	s_and_not1_b32 vcc_lo, exec_lo, s7
	s_cbranch_vccnz .LBB63_1270
; %bb.1269:
	global_load_u8 v0, v[6:7], off
	s_wait_loadcnt 0x0
	v_lshlrev_b32_e32 v1, 25, v0
	v_lshlrev_b16 v0, 8, v0
	s_delay_alu instid0(VALU_DEP_1) | instskip(SKIP_1) | instid1(VALU_DEP_2)
	v_and_or_b32 v5, 0x7f00, v0, 0.5
	v_bfe_i32 v0, v0, 0, 16
	v_add_f32_e32 v5, -0.5, v5
	v_lshrrev_b32_e32 v3, 4, v1
	v_cmp_gt_u32_e32 vcc_lo, 0x8000000, v1
	s_delay_alu instid0(VALU_DEP_2) | instskip(NEXT) | instid1(VALU_DEP_1)
	v_or_b32_e32 v3, 0x70000000, v3
	v_mul_f32_e32 v3, 0x7800000, v3
	s_delay_alu instid0(VALU_DEP_1) | instskip(NEXT) | instid1(VALU_DEP_1)
	v_cndmask_b32_e32 v1, v3, v5, vcc_lo
	v_and_or_b32 v0, 0x80000000, v0, v1
	s_delay_alu instid0(VALU_DEP_1)
	v_cvt_i32_f32_e32 v3, v0
.LBB63_1270:
	s_mov_b32 s7, 0
	s_mov_b32 s8, -1
.LBB63_1271:
	s_and_not1_b32 vcc_lo, exec_lo, s7
	s_mov_b32 s7, 0
	s_cbranch_vccnz .LBB63_1282
; %bb.1272:
	s_cmp_gt_i32 s6, 14
	s_cbranch_scc0 .LBB63_1275
; %bb.1273:
	s_cmp_eq_u32 s6, 15
	s_cbranch_scc0 .LBB63_1278
; %bb.1274:
	global_load_u16 v0, v[6:7], off
	s_mov_b32 s1, 0
	s_mov_b32 s8, -1
	s_wait_loadcnt 0x0
	v_lshlrev_b32_e32 v0, 16, v0
	s_delay_alu instid0(VALU_DEP_1)
	v_cvt_i32_f32_e32 v3, v0
	s_branch .LBB63_1280
.LBB63_1275:
	s_mov_b32 s7, -1
	s_branch .LBB63_1279
.LBB63_1276:
	s_and_not1_saveexec_b32 s7, s7
	s_cbranch_execz .LBB63_1257
.LBB63_1277:
	v_cmp_ne_u16_e32 vcc_lo, 0, v0
	s_and_not1_b32 s8, s8, exec_lo
	s_and_b32 s10, vcc_lo, exec_lo
	s_delay_alu instid0(SALU_CYCLE_1)
	s_or_b32 s8, s8, s10
	s_or_b32 exec_lo, exec_lo, s7
	v_mov_b32_e32 v3, 0
	s_and_saveexec_b32 s7, s8
	s_cbranch_execnz .LBB63_1258
	s_branch .LBB63_1259
.LBB63_1278:
	s_mov_b32 s1, -1
.LBB63_1279:
                                        ; implicit-def: $vgpr3
.LBB63_1280:
	s_and_b32 vcc_lo, exec_lo, s7
	s_mov_b32 s7, 0
	s_cbranch_vccz .LBB63_1282
; %bb.1281:
	s_cmp_lg_u32 s6, 11
	s_mov_b32 s7, -1
	s_cselect_b32 s6, -1, 0
	s_and_not1_b32 s1, s1, exec_lo
	s_and_b32 s6, s6, exec_lo
	s_delay_alu instid0(SALU_CYCLE_1)
	s_or_b32 s1, s1, s6
.LBB63_1282:
	s_mov_b32 s6, 0
.LBB63_1283:
	s_delay_alu instid0(SALU_CYCLE_1)
	s_and_b32 s50, s6, exec_lo
	s_and_not1_b32 s6, s47, exec_lo
	s_and_b32 s1, s1, exec_lo
	s_and_b32 s24, s8, exec_lo
	;; [unrolled: 1-line block ×3, first 2 shown]
	s_or_b32 s51, s6, s1
.LBB63_1284:
	s_wait_xcnt 0x0
	s_or_b32 exec_lo, exec_lo, s36
	s_delay_alu instid0(SALU_CYCLE_1)
	s_and_not1_b32 s1, s47, exec_lo
	s_and_b32 s6, s51, exec_lo
	s_and_b32 s24, s24, exec_lo
	;; [unrolled: 1-line block ×4, first 2 shown]
	s_or_b32 s47, s1, s6
.LBB63_1285:
	s_or_b32 exec_lo, exec_lo, s46
	s_delay_alu instid0(SALU_CYCLE_1)
	s_and_not1_b32 s1, s43, exec_lo
	s_and_b32 s6, s48, exec_lo
	s_and_not1_b32 s7, s44, exec_lo
	s_and_b32 s8, s49, exec_lo
	s_or_b32 s43, s1, s6
	s_and_not1_b32 s1, s42, exec_lo
	s_and_b32 s6, s47, exec_lo
	s_or_b32 s44, s7, s8
	s_and_b32 s24, s24, exec_lo
	s_and_b32 s46, s50, exec_lo
	;; [unrolled: 1-line block ×3, first 2 shown]
	s_or_b32 s42, s1, s6
.LBB63_1286:
	s_or_b32 exec_lo, exec_lo, s45
	s_delay_alu instid0(SALU_CYCLE_1)
	s_and_not1_b32 s1, s38, exec_lo
	s_and_b32 s6, s43, exec_lo
	s_and_not1_b32 s7, s39, exec_lo
	s_and_b32 s8, s44, exec_lo
	s_or_b32 s38, s1, s6
	s_and_not1_b32 s1, s40, exec_lo
	s_and_b32 s6, s42, exec_lo
	s_or_b32 s39, s7, s8
	s_and_b32 s24, s24, exec_lo
	s_and_b32 s43, s46, exec_lo
	s_and_b32 s19, s25, exec_lo
	s_or_b32 s40, s1, s6
	s_or_b32 exec_lo, exec_lo, s41
	s_mov_b32 s1, 0
	s_and_saveexec_b32 s6, s40
	s_cbranch_execz .LBB63_400
.LBB63_1287:
	s_mov_b32 s1, exec_lo
	s_and_not1_b32 s19, s19, exec_lo
	s_trap 2
	s_or_b32 exec_lo, exec_lo, s6
	s_and_saveexec_b32 s6, s19
	s_delay_alu instid0(SALU_CYCLE_1)
	s_xor_b32 s6, exec_lo, s6
	s_cbranch_execnz .LBB63_401
.LBB63_1288:
	s_or_b32 exec_lo, exec_lo, s6
	s_and_saveexec_b32 s6, s43
	s_cbranch_execz .LBB63_1334
.LBB63_1289:
	s_sext_i32_i16 s7, s0
	s_delay_alu instid0(SALU_CYCLE_1)
	s_cmp_lt_i32 s7, 5
	s_cbranch_scc1 .LBB63_1294
; %bb.1290:
	s_cmp_lt_i32 s7, 8
	s_cbranch_scc1 .LBB63_1295
; %bb.1291:
	;; [unrolled: 3-line block ×3, first 2 shown]
	s_cmp_gt_i32 s7, 9
	s_cbranch_scc0 .LBB63_1297
; %bb.1293:
	s_wait_loadcnt 0x0
	global_load_b64 v[0:1], v[6:7], off
	s_mov_b32 s7, 0
	s_wait_loadcnt 0x0
	v_cvt_i32_f64_e32 v3, v[0:1]
	s_branch .LBB63_1298
.LBB63_1294:
                                        ; implicit-def: $vgpr3
	s_branch .LBB63_1315
.LBB63_1295:
                                        ; implicit-def: $vgpr3
	s_branch .LBB63_1304
.LBB63_1296:
	s_mov_b32 s7, -1
                                        ; implicit-def: $vgpr3
	s_branch .LBB63_1301
.LBB63_1297:
	s_mov_b32 s7, -1
                                        ; implicit-def: $vgpr3
.LBB63_1298:
	s_delay_alu instid0(SALU_CYCLE_1)
	s_and_not1_b32 vcc_lo, exec_lo, s7
	s_cbranch_vccnz .LBB63_1300
; %bb.1299:
	global_load_b32 v0, v[6:7], off
	s_wait_loadcnt 0x0
	v_cvt_i32_f32_e32 v3, v0
.LBB63_1300:
	s_mov_b32 s7, 0
.LBB63_1301:
	s_delay_alu instid0(SALU_CYCLE_1)
	s_and_not1_b32 vcc_lo, exec_lo, s7
	s_cbranch_vccnz .LBB63_1303
; %bb.1302:
	global_load_b32 v0, v[6:7], off
	s_wait_loadcnt 0x0
	v_cvt_f32_f16_e32 v0, v0
	s_delay_alu instid0(VALU_DEP_1)
	v_cvt_i32_f32_e32 v3, v0
.LBB63_1303:
	s_cbranch_execnz .LBB63_1314
.LBB63_1304:
	s_sext_i32_i16 s7, s0
	s_delay_alu instid0(SALU_CYCLE_1)
	s_cmp_lt_i32 s7, 6
	s_cbranch_scc1 .LBB63_1307
; %bb.1305:
	s_cmp_gt_i32 s7, 6
	s_cbranch_scc0 .LBB63_1308
; %bb.1306:
	s_wait_loadcnt 0x0
	global_load_b64 v[0:1], v[6:7], off
	s_mov_b32 s7, 0
	s_wait_loadcnt 0x0
	v_cvt_i32_f64_e32 v3, v[0:1]
	s_branch .LBB63_1309
.LBB63_1307:
	s_mov_b32 s7, -1
                                        ; implicit-def: $vgpr3
	s_branch .LBB63_1312
.LBB63_1308:
	s_mov_b32 s7, -1
                                        ; implicit-def: $vgpr3
.LBB63_1309:
	s_delay_alu instid0(SALU_CYCLE_1)
	s_and_not1_b32 vcc_lo, exec_lo, s7
	s_cbranch_vccnz .LBB63_1311
; %bb.1310:
	global_load_b32 v0, v[6:7], off
	s_wait_loadcnt 0x0
	v_cvt_i32_f32_e32 v3, v0
.LBB63_1311:
	s_mov_b32 s7, 0
.LBB63_1312:
	s_delay_alu instid0(SALU_CYCLE_1)
	s_and_not1_b32 vcc_lo, exec_lo, s7
	s_cbranch_vccnz .LBB63_1314
; %bb.1313:
	global_load_u16 v0, v[6:7], off
	s_wait_loadcnt 0x0
	v_cvt_f32_f16_e32 v0, v0
	s_delay_alu instid0(VALU_DEP_1)
	v_cvt_i32_f32_e32 v3, v0
.LBB63_1314:
	s_cbranch_execnz .LBB63_1333
.LBB63_1315:
	s_sext_i32_i16 s7, s0
	s_delay_alu instid0(SALU_CYCLE_1)
	s_cmp_lt_i32 s7, 2
	s_cbranch_scc1 .LBB63_1319
; %bb.1316:
	s_cmp_lt_i32 s7, 3
	s_cbranch_scc1 .LBB63_1320
; %bb.1317:
	s_cmp_gt_i32 s7, 3
	s_cbranch_scc0 .LBB63_1321
; %bb.1318:
	s_wait_loadcnt 0x0
	global_load_b32 v3, v[6:7], off
	s_mov_b32 s7, 0
	s_branch .LBB63_1322
.LBB63_1319:
                                        ; implicit-def: $vgpr3
	s_branch .LBB63_1328
.LBB63_1320:
	s_mov_b32 s7, -1
                                        ; implicit-def: $vgpr3
	s_branch .LBB63_1325
.LBB63_1321:
	s_mov_b32 s7, -1
                                        ; implicit-def: $vgpr3
.LBB63_1322:
	s_delay_alu instid0(SALU_CYCLE_1)
	s_and_not1_b32 vcc_lo, exec_lo, s7
	s_cbranch_vccnz .LBB63_1324
; %bb.1323:
	s_wait_loadcnt 0x0
	global_load_b32 v3, v[6:7], off
.LBB63_1324:
	s_mov_b32 s7, 0
.LBB63_1325:
	s_delay_alu instid0(SALU_CYCLE_1)
	s_and_not1_b32 vcc_lo, exec_lo, s7
	s_cbranch_vccnz .LBB63_1327
; %bb.1326:
	s_wait_loadcnt 0x0
	global_load_i16 v3, v[6:7], off
.LBB63_1327:
	s_cbranch_execnz .LBB63_1333
.LBB63_1328:
	s_sext_i32_i16 s0, s0
	s_delay_alu instid0(SALU_CYCLE_1)
	s_cmp_gt_i32 s0, 0
	s_mov_b32 s0, 0
	s_cbranch_scc0 .LBB63_1330
; %bb.1329:
	s_wait_loadcnt 0x0
	global_load_i8 v3, v[6:7], off
	s_branch .LBB63_1331
.LBB63_1330:
	s_mov_b32 s0, -1
                                        ; implicit-def: $vgpr3
.LBB63_1331:
	s_delay_alu instid0(SALU_CYCLE_1)
	s_and_not1_b32 vcc_lo, exec_lo, s0
	s_cbranch_vccnz .LBB63_1333
; %bb.1332:
	s_wait_loadcnt 0x0
	global_load_u8 v3, v[6:7], off
.LBB63_1333:
	s_or_b32 s24, s24, exec_lo
.LBB63_1334:
	s_wait_xcnt 0x0
	s_or_b32 exec_lo, exec_lo, s6
	s_mov_b32 s7, 0
	s_mov_b32 s10, 0
	s_mov_b32 s8, 0
                                        ; implicit-def: $sgpr0
                                        ; implicit-def: $vgpr0_vgpr1
                                        ; implicit-def: $vgpr6
	s_and_saveexec_b32 s6, s24
	s_cbranch_execz .LBB63_1342
; %bb.1335:
	v_mov_b32_e32 v5, 0
	s_and_b32 s0, s9, 0xff
	s_delay_alu instid0(SALU_CYCLE_1) | instskip(SKIP_1) | instid1(VALU_DEP_1)
	s_cmp_lt_i32 s0, 11
	s_wait_loadcnt 0x0
	v_add_nc_u64_e32 v[0:1], s[16:17], v[4:5]
	s_cbranch_scc1 .LBB63_1345
; %bb.1336:
	s_and_b32 s8, 0xffff, s0
	s_mov_b32 s9, 0
	s_cmp_gt_i32 s8, 25
	s_cbranch_scc0 .LBB63_1346
; %bb.1337:
	s_cmp_gt_i32 s8, 28
	s_cbranch_scc0 .LBB63_1347
; %bb.1338:
	;; [unrolled: 3-line block ×4, first 2 shown]
	s_cmp_eq_u32 s8, 46
	s_mov_b32 s11, 0
	s_cbranch_scc0 .LBB63_1350
; %bb.1341:
	global_load_b32 v4, v[0:1], off
	s_mov_b32 s10, -1
	s_wait_loadcnt 0x0
	v_lshlrev_b32_e32 v4, 16, v4
	s_delay_alu instid0(VALU_DEP_1)
	v_cvt_i32_f32_e32 v6, v4
	s_branch .LBB63_1352
.LBB63_1342:
	s_or_b32 exec_lo, exec_lo, s6
	s_and_saveexec_b32 s6, s39
	s_cbranch_execnz .LBB63_1411
.LBB63_1343:
	s_or_b32 exec_lo, exec_lo, s6
	s_and_saveexec_b32 s6, s7
	s_delay_alu instid0(SALU_CYCLE_1)
	s_xor_b32 s6, exec_lo, s6
	s_cbranch_execz .LBB63_1412
.LBB63_1344:
	s_wait_loadcnt 0x0
	global_load_u8 v4, v[0:1], off
	s_or_b32 s8, s8, exec_lo
	s_wait_loadcnt 0x0
	v_cmp_ne_u16_e32 vcc_lo, 0, v4
	v_cndmask_b32_e64 v6, 0, 1, vcc_lo
	s_wait_xcnt 0x0
	s_or_b32 exec_lo, exec_lo, s6
	s_and_saveexec_b32 s6, s10
	s_cbranch_execz .LBB63_1458
	s_branch .LBB63_1413
.LBB63_1345:
	s_mov_b32 s11, -1
	s_mov_b32 s9, 0
	s_mov_b32 s7, s39
                                        ; implicit-def: $vgpr6
	s_branch .LBB63_1410
.LBB63_1346:
	s_mov_b32 s7, s39
                                        ; implicit-def: $vgpr6
	s_cbranch_execnz .LBB63_1379
	s_branch .LBB63_1409
.LBB63_1347:
	s_mov_b32 s11, -1
	s_mov_b32 s7, s39
                                        ; implicit-def: $vgpr6
	s_branch .LBB63_1362
.LBB63_1348:
	s_mov_b32 s11, -1
	s_mov_b32 s7, s39
                                        ; implicit-def: $vgpr6
	s_branch .LBB63_1357
.LBB63_1349:
	s_mov_b32 s11, -1
	s_mov_b32 s7, s39
	s_branch .LBB63_1351
.LBB63_1350:
	s_mov_b32 s7, -1
.LBB63_1351:
                                        ; implicit-def: $vgpr6
.LBB63_1352:
	s_and_b32 vcc_lo, exec_lo, s11
	s_cbranch_vccz .LBB63_1356
; %bb.1353:
	s_cmp_eq_u32 s8, 44
	s_cbranch_scc0 .LBB63_1355
; %bb.1354:
	global_load_u8 v4, v[0:1], off
	s_mov_b32 s7, 0
	s_mov_b32 s10, -1
	s_wait_loadcnt 0x0
	v_lshlrev_b32_e32 v5, 23, v4
	v_cmp_ne_u32_e32 vcc_lo, 0, v4
	s_delay_alu instid0(VALU_DEP_2) | instskip(NEXT) | instid1(VALU_DEP_1)
	v_cvt_i32_f32_e32 v5, v5
	v_cndmask_b32_e32 v6, 0, v5, vcc_lo
	s_branch .LBB63_1356
.LBB63_1355:
	s_mov_b32 s7, -1
                                        ; implicit-def: $vgpr6
.LBB63_1356:
	s_mov_b32 s11, 0
.LBB63_1357:
	s_delay_alu instid0(SALU_CYCLE_1)
	s_and_b32 vcc_lo, exec_lo, s11
	s_cbranch_vccz .LBB63_1361
; %bb.1358:
	s_cmp_eq_u32 s8, 29
	s_cbranch_scc0 .LBB63_1360
; %bb.1359:
	global_load_b32 v6, v[0:1], off
	s_mov_b32 s7, 0
	s_mov_b32 s10, -1
	s_branch .LBB63_1361
.LBB63_1360:
	s_mov_b32 s7, -1
                                        ; implicit-def: $vgpr6
.LBB63_1361:
	s_mov_b32 s11, 0
.LBB63_1362:
	s_delay_alu instid0(SALU_CYCLE_1)
	s_and_b32 vcc_lo, exec_lo, s11
	s_cbranch_vccz .LBB63_1378
; %bb.1363:
	s_cmp_lt_i32 s8, 27
	s_cbranch_scc1 .LBB63_1366
; %bb.1364:
	s_cmp_gt_i32 s8, 27
	s_cbranch_scc0 .LBB63_1367
; %bb.1365:
	s_wait_loadcnt 0x0
	global_load_b32 v6, v[0:1], off
	s_mov_b32 s10, 0
	s_branch .LBB63_1368
.LBB63_1366:
	s_mov_b32 s10, -1
                                        ; implicit-def: $vgpr6
	s_branch .LBB63_1371
.LBB63_1367:
	s_mov_b32 s10, -1
                                        ; implicit-def: $vgpr6
.LBB63_1368:
	s_delay_alu instid0(SALU_CYCLE_1)
	s_and_not1_b32 vcc_lo, exec_lo, s10
	s_cbranch_vccnz .LBB63_1370
; %bb.1369:
	s_wait_loadcnt 0x0
	global_load_u16 v6, v[0:1], off
.LBB63_1370:
	s_mov_b32 s10, 0
.LBB63_1371:
	s_delay_alu instid0(SALU_CYCLE_1)
	s_and_not1_b32 vcc_lo, exec_lo, s10
	s_cbranch_vccnz .LBB63_1377
; %bb.1372:
	global_load_u8 v4, v[0:1], off
	s_mov_b32 s11, 0
	s_mov_b32 s10, exec_lo
	s_wait_loadcnt 0x0
	v_cmpx_lt_i16_e32 0x7f, v4
	s_xor_b32 s10, exec_lo, s10
	s_cbranch_execz .LBB63_1388
; %bb.1373:
	v_cmp_ne_u16_e32 vcc_lo, 0x80, v4
	s_and_b32 s11, vcc_lo, exec_lo
	s_and_not1_saveexec_b32 s10, s10
	s_cbranch_execnz .LBB63_1389
.LBB63_1374:
	s_or_b32 exec_lo, exec_lo, s10
	v_mov_b32_e32 v6, 0
	s_and_saveexec_b32 s10, s11
	s_cbranch_execz .LBB63_1376
.LBB63_1375:
	v_and_b32_e32 v5, 0xffff, v4
	s_delay_alu instid0(VALU_DEP_1) | instskip(SKIP_1) | instid1(VALU_DEP_2)
	v_and_b32_e32 v6, 7, v5
	v_bfe_u32 v9, v5, 3, 4
	v_clz_i32_u32_e32 v7, v6
	s_delay_alu instid0(VALU_DEP_2) | instskip(NEXT) | instid1(VALU_DEP_2)
	v_cmp_eq_u32_e32 vcc_lo, 0, v9
	v_min_u32_e32 v7, 32, v7
	s_delay_alu instid0(VALU_DEP_1) | instskip(NEXT) | instid1(VALU_DEP_1)
	v_subrev_nc_u32_e32 v8, 28, v7
	v_dual_lshlrev_b32 v5, v8, v5 :: v_dual_sub_nc_u32 v7, 29, v7
	s_delay_alu instid0(VALU_DEP_1) | instskip(NEXT) | instid1(VALU_DEP_1)
	v_dual_lshlrev_b32 v4, 24, v4 :: v_dual_bitop2_b32 v5, 7, v5 bitop3:0x40
	v_dual_cndmask_b32 v7, v9, v7, vcc_lo :: v_dual_cndmask_b32 v5, v6, v5, vcc_lo
	s_delay_alu instid0(VALU_DEP_2) | instskip(NEXT) | instid1(VALU_DEP_2)
	v_and_b32_e32 v4, 0x80000000, v4
	v_lshl_add_u32 v6, v7, 23, 0x3b800000
	s_delay_alu instid0(VALU_DEP_3) | instskip(NEXT) | instid1(VALU_DEP_1)
	v_lshlrev_b32_e32 v5, 20, v5
	v_or3_b32 v4, v4, v6, v5
	s_delay_alu instid0(VALU_DEP_1)
	v_cvt_i32_f32_e32 v6, v4
.LBB63_1376:
	s_or_b32 exec_lo, exec_lo, s10
.LBB63_1377:
	s_mov_b32 s10, -1
.LBB63_1378:
	s_branch .LBB63_1409
.LBB63_1379:
	s_cmp_gt_i32 s8, 22
	s_cbranch_scc0 .LBB63_1387
; %bb.1380:
	s_cmp_lt_i32 s8, 24
	s_cbranch_scc1 .LBB63_1390
; %bb.1381:
	s_cmp_gt_i32 s8, 24
	s_cbranch_scc0 .LBB63_1391
; %bb.1382:
	global_load_u8 v4, v[0:1], off
	s_mov_b32 s10, 0
	s_mov_b32 s9, exec_lo
	s_wait_loadcnt 0x0
	v_cmpx_lt_i16_e32 0x7f, v4
	s_xor_b32 s9, exec_lo, s9
	s_cbranch_execz .LBB63_1403
; %bb.1383:
	v_cmp_ne_u16_e32 vcc_lo, 0x80, v4
	s_and_b32 s10, vcc_lo, exec_lo
	s_and_not1_saveexec_b32 s9, s9
	s_cbranch_execnz .LBB63_1404
.LBB63_1384:
	s_or_b32 exec_lo, exec_lo, s9
	v_mov_b32_e32 v6, 0
	s_and_saveexec_b32 s9, s10
	s_cbranch_execz .LBB63_1386
.LBB63_1385:
	v_and_b32_e32 v5, 0xffff, v4
	s_delay_alu instid0(VALU_DEP_1) | instskip(SKIP_1) | instid1(VALU_DEP_2)
	v_and_b32_e32 v6, 3, v5
	v_bfe_u32 v9, v5, 2, 5
	v_clz_i32_u32_e32 v7, v6
	s_delay_alu instid0(VALU_DEP_2) | instskip(NEXT) | instid1(VALU_DEP_2)
	v_cmp_eq_u32_e32 vcc_lo, 0, v9
	v_min_u32_e32 v7, 32, v7
	s_delay_alu instid0(VALU_DEP_1) | instskip(NEXT) | instid1(VALU_DEP_1)
	v_subrev_nc_u32_e32 v8, 29, v7
	v_dual_lshlrev_b32 v5, v8, v5 :: v_dual_sub_nc_u32 v7, 30, v7
	s_delay_alu instid0(VALU_DEP_1) | instskip(NEXT) | instid1(VALU_DEP_1)
	v_dual_lshlrev_b32 v4, 24, v4 :: v_dual_bitop2_b32 v5, 3, v5 bitop3:0x40
	v_dual_cndmask_b32 v7, v9, v7, vcc_lo :: v_dual_cndmask_b32 v5, v6, v5, vcc_lo
	s_delay_alu instid0(VALU_DEP_2) | instskip(NEXT) | instid1(VALU_DEP_2)
	v_and_b32_e32 v4, 0x80000000, v4
	v_lshl_add_u32 v6, v7, 23, 0x37800000
	s_delay_alu instid0(VALU_DEP_3) | instskip(NEXT) | instid1(VALU_DEP_1)
	v_lshlrev_b32_e32 v5, 21, v5
	v_or3_b32 v4, v4, v6, v5
	s_delay_alu instid0(VALU_DEP_1)
	v_cvt_i32_f32_e32 v6, v4
.LBB63_1386:
	s_or_b32 exec_lo, exec_lo, s9
	s_mov_b32 s9, 0
	s_branch .LBB63_1392
.LBB63_1387:
	s_mov_b32 s9, -1
                                        ; implicit-def: $vgpr6
	s_branch .LBB63_1398
.LBB63_1388:
	s_and_not1_saveexec_b32 s10, s10
	s_cbranch_execz .LBB63_1374
.LBB63_1389:
	v_cmp_ne_u16_e32 vcc_lo, 0, v4
	s_and_not1_b32 s11, s11, exec_lo
	s_and_b32 s12, vcc_lo, exec_lo
	s_delay_alu instid0(SALU_CYCLE_1)
	s_or_b32 s11, s11, s12
	s_or_b32 exec_lo, exec_lo, s10
	v_mov_b32_e32 v6, 0
	s_and_saveexec_b32 s10, s11
	s_cbranch_execnz .LBB63_1375
	s_branch .LBB63_1376
.LBB63_1390:
	s_mov_b32 s9, -1
                                        ; implicit-def: $vgpr6
	s_branch .LBB63_1395
.LBB63_1391:
	s_mov_b32 s9, -1
                                        ; implicit-def: $vgpr6
.LBB63_1392:
	s_delay_alu instid0(SALU_CYCLE_1)
	s_and_b32 vcc_lo, exec_lo, s9
	s_cbranch_vccz .LBB63_1394
; %bb.1393:
	global_load_u8 v4, v[0:1], off
	s_wait_loadcnt 0x0
	v_lshlrev_b32_e32 v4, 24, v4
	s_delay_alu instid0(VALU_DEP_1) | instskip(NEXT) | instid1(VALU_DEP_1)
	v_and_b32_e32 v5, 0x7f000000, v4
	v_clz_i32_u32_e32 v6, v5
	v_cmp_ne_u32_e32 vcc_lo, 0, v5
	v_add_nc_u32_e32 v8, 0x1000000, v5
	s_delay_alu instid0(VALU_DEP_3) | instskip(NEXT) | instid1(VALU_DEP_1)
	v_min_u32_e32 v6, 32, v6
	v_sub_nc_u32_e64 v6, v6, 4 clamp
	s_delay_alu instid0(VALU_DEP_1) | instskip(NEXT) | instid1(VALU_DEP_1)
	v_dual_lshlrev_b32 v7, v6, v5 :: v_dual_lshlrev_b32 v6, 23, v6
	v_lshrrev_b32_e32 v7, 4, v7
	s_delay_alu instid0(VALU_DEP_1) | instskip(NEXT) | instid1(VALU_DEP_1)
	v_dual_sub_nc_u32 v6, v7, v6 :: v_dual_ashrrev_i32 v7, 8, v8
	v_add_nc_u32_e32 v6, 0x3c000000, v6
	s_delay_alu instid0(VALU_DEP_1) | instskip(NEXT) | instid1(VALU_DEP_1)
	v_and_or_b32 v6, 0x7f800000, v7, v6
	v_cndmask_b32_e32 v5, 0, v6, vcc_lo
	s_delay_alu instid0(VALU_DEP_1) | instskip(NEXT) | instid1(VALU_DEP_1)
	v_and_or_b32 v4, 0x80000000, v4, v5
	v_cvt_i32_f32_e32 v6, v4
.LBB63_1394:
	s_mov_b32 s9, 0
.LBB63_1395:
	s_delay_alu instid0(SALU_CYCLE_1)
	s_and_not1_b32 vcc_lo, exec_lo, s9
	s_cbranch_vccnz .LBB63_1397
; %bb.1396:
	global_load_u8 v4, v[0:1], off
	s_wait_loadcnt 0x0
	v_lshlrev_b32_e32 v5, 25, v4
	v_lshlrev_b16 v4, 8, v4
	s_delay_alu instid0(VALU_DEP_1) | instskip(SKIP_1) | instid1(VALU_DEP_2)
	v_and_or_b32 v7, 0x7f00, v4, 0.5
	v_bfe_i32 v4, v4, 0, 16
	v_dual_add_f32 v7, -0.5, v7 :: v_dual_lshrrev_b32 v6, 4, v5
	v_cmp_gt_u32_e32 vcc_lo, 0x8000000, v5
	s_delay_alu instid0(VALU_DEP_2) | instskip(NEXT) | instid1(VALU_DEP_1)
	v_or_b32_e32 v6, 0x70000000, v6
	v_mul_f32_e32 v6, 0x7800000, v6
	s_delay_alu instid0(VALU_DEP_1) | instskip(NEXT) | instid1(VALU_DEP_1)
	v_cndmask_b32_e32 v5, v6, v7, vcc_lo
	v_and_or_b32 v4, 0x80000000, v4, v5
	s_delay_alu instid0(VALU_DEP_1)
	v_cvt_i32_f32_e32 v6, v4
.LBB63_1397:
	s_mov_b32 s9, 0
	s_mov_b32 s10, -1
.LBB63_1398:
	s_and_not1_b32 vcc_lo, exec_lo, s9
	s_mov_b32 s9, 0
	s_cbranch_vccnz .LBB63_1409
; %bb.1399:
	s_cmp_gt_i32 s8, 14
	s_cbranch_scc0 .LBB63_1402
; %bb.1400:
	s_cmp_eq_u32 s8, 15
	s_cbranch_scc0 .LBB63_1405
; %bb.1401:
	global_load_u16 v4, v[0:1], off
	s_mov_b32 s7, 0
	s_mov_b32 s10, -1
	s_wait_loadcnt 0x0
	v_lshlrev_b32_e32 v4, 16, v4
	s_delay_alu instid0(VALU_DEP_1)
	v_cvt_i32_f32_e32 v6, v4
	s_branch .LBB63_1407
.LBB63_1402:
	s_mov_b32 s9, -1
	s_branch .LBB63_1406
.LBB63_1403:
	s_and_not1_saveexec_b32 s9, s9
	s_cbranch_execz .LBB63_1384
.LBB63_1404:
	v_cmp_ne_u16_e32 vcc_lo, 0, v4
	s_and_not1_b32 s10, s10, exec_lo
	s_and_b32 s11, vcc_lo, exec_lo
	s_delay_alu instid0(SALU_CYCLE_1)
	s_or_b32 s10, s10, s11
	s_or_b32 exec_lo, exec_lo, s9
	v_mov_b32_e32 v6, 0
	s_and_saveexec_b32 s9, s10
	s_cbranch_execnz .LBB63_1385
	s_branch .LBB63_1386
.LBB63_1405:
	s_mov_b32 s7, -1
.LBB63_1406:
                                        ; implicit-def: $vgpr6
.LBB63_1407:
	s_and_b32 vcc_lo, exec_lo, s9
	s_mov_b32 s9, 0
	s_cbranch_vccz .LBB63_1409
; %bb.1408:
	s_cmp_lg_u32 s8, 11
	s_mov_b32 s9, -1
	s_cselect_b32 s8, -1, 0
	s_and_not1_b32 s7, s7, exec_lo
	s_and_b32 s8, s8, exec_lo
	s_delay_alu instid0(SALU_CYCLE_1)
	s_or_b32 s7, s7, s8
.LBB63_1409:
	s_mov_b32 s11, 0
.LBB63_1410:
	s_and_b32 s8, s10, exec_lo
	s_and_b32 s10, s11, exec_lo
	s_and_not1_b32 s11, s39, exec_lo
	s_and_b32 s12, s7, exec_lo
	s_and_b32 s7, s9, exec_lo
	s_or_b32 s39, s11, s12
	s_wait_xcnt 0x0
	s_or_b32 exec_lo, exec_lo, s6
	s_and_saveexec_b32 s6, s39
	s_cbranch_execz .LBB63_1343
.LBB63_1411:
	s_or_b32 s1, s1, exec_lo
	s_and_not1_b32 s7, s7, exec_lo
	s_trap 2
	s_or_b32 exec_lo, exec_lo, s6
	s_and_saveexec_b32 s6, s7
	s_delay_alu instid0(SALU_CYCLE_1)
	s_xor_b32 s6, exec_lo, s6
	s_cbranch_execnz .LBB63_1344
.LBB63_1412:
	s_or_b32 exec_lo, exec_lo, s6
	s_and_saveexec_b32 s6, s10
	s_cbranch_execz .LBB63_1458
.LBB63_1413:
	s_sext_i32_i16 s7, s0
	s_delay_alu instid0(SALU_CYCLE_1)
	s_cmp_lt_i32 s7, 5
	s_cbranch_scc1 .LBB63_1418
; %bb.1414:
	s_cmp_lt_i32 s7, 8
	s_cbranch_scc1 .LBB63_1419
; %bb.1415:
	s_cmp_lt_i32 s7, 9
	s_cbranch_scc1 .LBB63_1420
; %bb.1416:
	s_cmp_gt_i32 s7, 9
	s_cbranch_scc0 .LBB63_1421
; %bb.1417:
	s_wait_loadcnt 0x0
	global_load_b64 v[4:5], v[0:1], off
	s_mov_b32 s7, 0
	s_wait_loadcnt 0x0
	v_cvt_i32_f64_e32 v6, v[4:5]
	s_branch .LBB63_1422
.LBB63_1418:
                                        ; implicit-def: $vgpr6
	s_branch .LBB63_1439
.LBB63_1419:
                                        ; implicit-def: $vgpr6
	s_branch .LBB63_1428
.LBB63_1420:
	s_mov_b32 s7, -1
                                        ; implicit-def: $vgpr6
	s_branch .LBB63_1425
.LBB63_1421:
	s_mov_b32 s7, -1
                                        ; implicit-def: $vgpr6
.LBB63_1422:
	s_delay_alu instid0(SALU_CYCLE_1)
	s_and_not1_b32 vcc_lo, exec_lo, s7
	s_cbranch_vccnz .LBB63_1424
; %bb.1423:
	s_wait_loadcnt 0x0
	global_load_b32 v4, v[0:1], off
	s_wait_loadcnt 0x0
	v_cvt_i32_f32_e32 v6, v4
.LBB63_1424:
	s_mov_b32 s7, 0
.LBB63_1425:
	s_delay_alu instid0(SALU_CYCLE_1)
	s_and_not1_b32 vcc_lo, exec_lo, s7
	s_cbranch_vccnz .LBB63_1427
; %bb.1426:
	s_wait_loadcnt 0x0
	global_load_b32 v4, v[0:1], off
	s_wait_loadcnt 0x0
	v_cvt_f32_f16_e32 v4, v4
	s_delay_alu instid0(VALU_DEP_1)
	v_cvt_i32_f32_e32 v6, v4
.LBB63_1427:
	s_cbranch_execnz .LBB63_1438
.LBB63_1428:
	s_sext_i32_i16 s7, s0
	s_delay_alu instid0(SALU_CYCLE_1)
	s_cmp_lt_i32 s7, 6
	s_cbranch_scc1 .LBB63_1431
; %bb.1429:
	s_cmp_gt_i32 s7, 6
	s_cbranch_scc0 .LBB63_1432
; %bb.1430:
	s_wait_loadcnt 0x0
	global_load_b64 v[4:5], v[0:1], off
	s_mov_b32 s7, 0
	s_wait_loadcnt 0x0
	v_cvt_i32_f64_e32 v6, v[4:5]
	s_branch .LBB63_1433
.LBB63_1431:
	s_mov_b32 s7, -1
                                        ; implicit-def: $vgpr6
	s_branch .LBB63_1436
.LBB63_1432:
	s_mov_b32 s7, -1
                                        ; implicit-def: $vgpr6
.LBB63_1433:
	s_delay_alu instid0(SALU_CYCLE_1)
	s_and_not1_b32 vcc_lo, exec_lo, s7
	s_cbranch_vccnz .LBB63_1435
; %bb.1434:
	s_wait_loadcnt 0x0
	global_load_b32 v4, v[0:1], off
	s_wait_loadcnt 0x0
	v_cvt_i32_f32_e32 v6, v4
.LBB63_1435:
	s_mov_b32 s7, 0
.LBB63_1436:
	s_delay_alu instid0(SALU_CYCLE_1)
	s_and_not1_b32 vcc_lo, exec_lo, s7
	s_cbranch_vccnz .LBB63_1438
; %bb.1437:
	s_wait_loadcnt 0x0
	global_load_u16 v4, v[0:1], off
	s_wait_loadcnt 0x0
	v_cvt_f32_f16_e32 v4, v4
	s_delay_alu instid0(VALU_DEP_1)
	v_cvt_i32_f32_e32 v6, v4
.LBB63_1438:
	s_cbranch_execnz .LBB63_1457
.LBB63_1439:
	s_sext_i32_i16 s7, s0
	s_delay_alu instid0(SALU_CYCLE_1)
	s_cmp_lt_i32 s7, 2
	s_cbranch_scc1 .LBB63_1443
; %bb.1440:
	s_cmp_lt_i32 s7, 3
	s_cbranch_scc1 .LBB63_1444
; %bb.1441:
	s_cmp_gt_i32 s7, 3
	s_cbranch_scc0 .LBB63_1445
; %bb.1442:
	s_wait_loadcnt 0x0
	global_load_b32 v6, v[0:1], off
	s_mov_b32 s7, 0
	s_branch .LBB63_1446
.LBB63_1443:
                                        ; implicit-def: $vgpr6
	s_branch .LBB63_1452
.LBB63_1444:
	s_mov_b32 s7, -1
                                        ; implicit-def: $vgpr6
	s_branch .LBB63_1449
.LBB63_1445:
	s_mov_b32 s7, -1
                                        ; implicit-def: $vgpr6
.LBB63_1446:
	s_delay_alu instid0(SALU_CYCLE_1)
	s_and_not1_b32 vcc_lo, exec_lo, s7
	s_cbranch_vccnz .LBB63_1448
; %bb.1447:
	s_wait_loadcnt 0x0
	global_load_b32 v6, v[0:1], off
.LBB63_1448:
	s_mov_b32 s7, 0
.LBB63_1449:
	s_delay_alu instid0(SALU_CYCLE_1)
	s_and_not1_b32 vcc_lo, exec_lo, s7
	s_cbranch_vccnz .LBB63_1451
; %bb.1450:
	s_wait_loadcnt 0x0
	global_load_i16 v6, v[0:1], off
.LBB63_1451:
	s_cbranch_execnz .LBB63_1457
.LBB63_1452:
	s_sext_i32_i16 s0, s0
	s_delay_alu instid0(SALU_CYCLE_1)
	s_cmp_gt_i32 s0, 0
	s_mov_b32 s0, 0
	s_cbranch_scc0 .LBB63_1454
; %bb.1453:
	s_wait_loadcnt 0x0
	global_load_i8 v6, v[0:1], off
	s_branch .LBB63_1455
.LBB63_1454:
	s_mov_b32 s0, -1
                                        ; implicit-def: $vgpr6
.LBB63_1455:
	s_delay_alu instid0(SALU_CYCLE_1)
	s_and_not1_b32 vcc_lo, exec_lo, s0
	s_cbranch_vccnz .LBB63_1457
; %bb.1456:
	s_wait_loadcnt 0x0
	global_load_u8 v6, v[0:1], off
.LBB63_1457:
	s_or_b32 s8, s8, exec_lo
.LBB63_1458:
	s_wait_xcnt 0x0
	s_or_b32 exec_lo, exec_lo, s6
	s_mov_b32 s0, 0
	s_mov_b32 s9, 0
                                        ; implicit-def: $sgpr6
                                        ; implicit-def: $vgpr4_vgpr5
                                        ; implicit-def: $vgpr0
	s_and_saveexec_b32 s7, s8
	s_cbranch_execz .LBB63_1472
; %bb.1459:
	s_wait_loadcnt 0x0
	s_delay_alu instid0(VALU_DEP_1) | instskip(SKIP_2) | instid1(VALU_DEP_1)
	v_sub_nc_u32_e32 v0, 0, v6
	s_mov_b32 s6, 0
	s_mov_b32 s0, exec_lo
	v_max_i32_e32 v1, v6, v0
	v_cmpx_ne_u32_e32 0, v3
	s_cbranch_execz .LBB63_1463
; %bb.1460:
	v_sub_nc_u32_e32 v0, 0, v3
	s_delay_alu instid0(VALU_DEP_1)
	v_max_i32_e32 v4, v3, v0
.LBB63_1461:                            ; =>This Inner Loop Header: Depth=1
	s_delay_alu instid0(VALU_DEP_1) | instskip(NEXT) | instid1(VALU_DEP_1)
	v_mov_b32_e32 v0, v4
	v_cvt_f32_u32_e32 v4, v0
	v_sub_nc_u32_e32 v5, 0, v0
	s_delay_alu instid0(VALU_DEP_2) | instskip(SKIP_1) | instid1(TRANS32_DEP_1)
	v_rcp_iflag_f32_e32 v4, v4
	v_nop
	v_mul_f32_e32 v4, 0x4f7ffffe, v4
	s_delay_alu instid0(VALU_DEP_1) | instskip(NEXT) | instid1(VALU_DEP_1)
	v_cvt_u32_f32_e32 v4, v4
	v_mul_lo_u32 v5, v5, v4
	s_delay_alu instid0(VALU_DEP_1) | instskip(NEXT) | instid1(VALU_DEP_1)
	v_mul_hi_u32 v5, v4, v5
	v_add_nc_u32_e32 v4, v4, v5
	s_delay_alu instid0(VALU_DEP_1) | instskip(NEXT) | instid1(VALU_DEP_1)
	v_mul_hi_u32 v4, v1, v4
	v_mul_lo_u32 v4, v4, v0
	s_delay_alu instid0(VALU_DEP_1) | instskip(NEXT) | instid1(VALU_DEP_1)
	v_sub_nc_u32_e32 v1, v1, v4
	v_sub_nc_u32_e32 v4, v1, v0
	v_cmp_ge_u32_e32 vcc_lo, v1, v0
	s_delay_alu instid0(VALU_DEP_2) | instskip(NEXT) | instid1(VALU_DEP_1)
	v_cndmask_b32_e32 v1, v1, v4, vcc_lo
	v_sub_nc_u32_e32 v4, v1, v0
	v_cmp_ge_u32_e32 vcc_lo, v1, v0
	s_delay_alu instid0(VALU_DEP_2) | instskip(NEXT) | instid1(VALU_DEP_1)
	v_dual_cndmask_b32 v4, v1, v4 :: v_dual_mov_b32 v1, v0
	v_cmp_eq_u32_e32 vcc_lo, 0, v4
	s_or_b32 s6, vcc_lo, s6
	s_delay_alu instid0(SALU_CYCLE_1)
	s_and_not1_b32 exec_lo, exec_lo, s6
	s_cbranch_execnz .LBB63_1461
; %bb.1462:
	s_or_b32 exec_lo, exec_lo, s6
	v_mov_b32_e32 v1, v0
.LBB63_1463:
	s_or_b32 exec_lo, exec_lo, s0
	v_mov_b32_e32 v0, 0
	s_mov_b32 s0, exec_lo
	s_delay_alu instid0(VALU_DEP_2)
	v_cmpx_ne_u32_e32 0, v1
	s_cbranch_execz .LBB63_1465
; %bb.1464:
	v_dual_sub_nc_u32 v0, 0, v1 :: v_dual_sub_nc_u32 v7, 0, v3
	s_delay_alu instid0(VALU_DEP_1) | instskip(NEXT) | instid1(VALU_DEP_2)
	v_max_i32_e32 v0, v1, v0
	v_max_i32_e32 v7, v3, v7
	v_xor_b32_e32 v1, v3, v1
	s_delay_alu instid0(VALU_DEP_3) | instskip(NEXT) | instid1(VALU_DEP_2)
	v_cvt_f32_u32_e32 v4, v0
	v_dual_sub_nc_u32 v5, 0, v0 :: v_dual_ashrrev_i32 v1, 31, v1
	s_delay_alu instid0(VALU_DEP_2) | instskip(SKIP_1) | instid1(TRANS32_DEP_1)
	v_rcp_iflag_f32_e32 v4, v4
	v_nop
	v_mul_f32_e32 v4, 0x4f7ffffe, v4
	s_delay_alu instid0(VALU_DEP_1) | instskip(NEXT) | instid1(VALU_DEP_1)
	v_cvt_u32_f32_e32 v4, v4
	v_mul_lo_u32 v5, v5, v4
	s_delay_alu instid0(VALU_DEP_1) | instskip(NEXT) | instid1(VALU_DEP_1)
	v_mul_hi_u32 v5, v4, v5
	v_add_nc_u32_e32 v4, v4, v5
	s_delay_alu instid0(VALU_DEP_1) | instskip(NEXT) | instid1(VALU_DEP_1)
	v_mul_hi_u32 v4, v7, v4
	v_mul_lo_u32 v5, v4, v0
	s_delay_alu instid0(VALU_DEP_1) | instskip(NEXT) | instid1(VALU_DEP_1)
	v_dual_sub_nc_u32 v5, v7, v5 :: v_dual_add_nc_u32 v7, 1, v4
	v_sub_nc_u32_e32 v8, v5, v0
	v_cmp_ge_u32_e32 vcc_lo, v5, v0
	s_delay_alu instid0(VALU_DEP_2) | instskip(NEXT) | instid1(VALU_DEP_1)
	v_dual_cndmask_b32 v4, v4, v7 :: v_dual_cndmask_b32 v3, v5, v8
	v_add_nc_u32_e32 v5, 1, v4
	s_delay_alu instid0(VALU_DEP_2) | instskip(NEXT) | instid1(VALU_DEP_2)
	v_cmp_ge_u32_e32 vcc_lo, v3, v0
	v_cndmask_b32_e32 v0, v4, v5, vcc_lo
	s_delay_alu instid0(VALU_DEP_1) | instskip(NEXT) | instid1(VALU_DEP_1)
	v_xor_b32_e32 v0, v0, v1
	v_sub_nc_u32_e32 v0, v0, v1
	s_delay_alu instid0(VALU_DEP_1) | instskip(NEXT) | instid1(VALU_DEP_1)
	v_mul_lo_u32 v0, v0, v6
	v_sub_nc_u32_e32 v1, 0, v0
	s_delay_alu instid0(VALU_DEP_1)
	v_max_i32_e32 v0, v0, v1
.LBB63_1465:
	s_or_b32 exec_lo, exec_lo, s0
	v_mov_b32_e32 v3, 0
	s_and_b32 s6, s31, 0xff
	s_delay_alu instid0(SALU_CYCLE_1) | instskip(NEXT) | instid1(VALU_DEP_1)
	s_cmp_lt_i32 s6, 11
	v_add_nc_u64_e32 v[4:5], s[4:5], v[2:3]
	s_cbranch_scc1 .LBB63_1475
; %bb.1466:
	s_and_b32 s4, 0xffff, s6
	s_mov_b32 s5, -1
	s_cmp_gt_i32 s4, 25
	s_mov_b32 s0, s38
	s_cbranch_scc0 .LBB63_1503
; %bb.1467:
	s_cmp_gt_i32 s4, 28
	s_mov_b32 s0, s38
	s_cbranch_scc0 .LBB63_1487
; %bb.1468:
	;; [unrolled: 4-line block ×4, first 2 shown]
	s_cmp_eq_u32 s4, 46
	s_mov_b32 s0, -1
	s_cbranch_scc0 .LBB63_1476
; %bb.1471:
	v_cvt_f32_u32_e32 v1, v0
	s_mov_b32 s0, 0
	s_mov_b32 s5, 0
	s_delay_alu instid0(VALU_DEP_1) | instskip(NEXT) | instid1(VALU_DEP_1)
	v_bfe_u32 v2, v1, 16, 1
	v_add3_u32 v1, v1, v2, 0x7fff
	s_delay_alu instid0(VALU_DEP_1)
	v_lshrrev_b32_e32 v1, 16, v1
	global_store_b32 v[4:5], v1, off
	s_branch .LBB63_1477
.LBB63_1472:
	s_or_b32 exec_lo, exec_lo, s7
	s_and_saveexec_b32 s4, s38
	s_cbranch_execnz .LBB63_1545
.LBB63_1473:
	s_or_b32 exec_lo, exec_lo, s4
	s_and_saveexec_b32 s4, s0
	s_delay_alu instid0(SALU_CYCLE_1)
	s_xor_b32 s0, exec_lo, s4
	s_cbranch_execz .LBB63_1546
.LBB63_1474:
	v_cmp_ne_u32_e32 vcc_lo, 0, v0
	s_wait_loadcnt 0x0
	v_cndmask_b32_e64 v1, 0, 1, vcc_lo
	global_store_b8 v[4:5], v1, off
	s_wait_xcnt 0x0
	s_or_b32 exec_lo, exec_lo, s0
	s_and_saveexec_b32 s0, s9
	s_delay_alu instid0(SALU_CYCLE_1)
	s_xor_b32 s0, exec_lo, s0
	s_cbranch_execz .LBB63_1584
	s_branch .LBB63_1547
.LBB63_1475:
	s_mov_b32 s8, 0
	s_mov_b32 s5, -1
	s_mov_b32 s0, s38
	s_branch .LBB63_1544
.LBB63_1476:
	s_mov_b32 s5, 0
.LBB63_1477:
	s_delay_alu instid0(SALU_CYCLE_1)
	s_and_b32 vcc_lo, exec_lo, s5
	s_cbranch_vccz .LBB63_1482
; %bb.1478:
	s_cmp_eq_u32 s4, 44
	s_mov_b32 s0, -1
	s_cbranch_scc0 .LBB63_1482
; %bb.1479:
	v_cvt_f32_u32_e32 v3, v0
	s_mov_b32 s5, exec_lo
	s_wait_xcnt 0x0
	s_delay_alu instid0(VALU_DEP_1) | instskip(NEXT) | instid1(VALU_DEP_1)
	v_dual_mov_b32 v2, 0xff :: v_dual_lshrrev_b32 v1, 23, v3
	v_cmpx_ne_u32_e32 0xff, v1
; %bb.1480:
	v_and_b32_e32 v2, 0x400000, v3
	v_and_or_b32 v3, 0x3fffff, v3, v1
	s_delay_alu instid0(VALU_DEP_2) | instskip(NEXT) | instid1(VALU_DEP_2)
	v_cmp_ne_u32_e32 vcc_lo, 0, v2
	v_cmp_ne_u32_e64 s0, 0, v3
	s_and_b32 s0, vcc_lo, s0
	s_delay_alu instid0(SALU_CYCLE_1) | instskip(NEXT) | instid1(VALU_DEP_1)
	v_cndmask_b32_e64 v2, 0, 1, s0
	v_add_nc_u32_e32 v2, v1, v2
; %bb.1481:
	s_or_b32 exec_lo, exec_lo, s5
	s_mov_b32 s0, 0
	global_store_b8 v[4:5], v2, off
.LBB63_1482:
	s_mov_b32 s5, 0
.LBB63_1483:
	s_delay_alu instid0(SALU_CYCLE_1)
	s_and_b32 vcc_lo, exec_lo, s5
	s_cbranch_vccz .LBB63_1486
; %bb.1484:
	s_cmp_eq_u32 s4, 29
	s_mov_b32 s0, -1
	s_cbranch_scc0 .LBB63_1486
; %bb.1485:
	s_wait_xcnt 0x0
	v_mov_b32_e32 v1, 0
	s_mov_b32 s0, 0
	s_mov_b32 s5, 0
	global_store_b64 v[4:5], v[0:1], off
	s_branch .LBB63_1487
.LBB63_1486:
	s_mov_b32 s5, 0
.LBB63_1487:
	s_delay_alu instid0(SALU_CYCLE_1)
	s_and_b32 vcc_lo, exec_lo, s5
	s_cbranch_vccz .LBB63_1502
; %bb.1488:
	s_cmp_lt_i32 s4, 27
	s_mov_b32 s5, -1
	s_cbranch_scc1 .LBB63_1494
; %bb.1489:
	s_cmp_gt_i32 s4, 27
	s_cbranch_scc0 .LBB63_1491
; %bb.1490:
	s_mov_b32 s5, 0
	global_store_b32 v[4:5], v0, off
.LBB63_1491:
	s_and_not1_b32 vcc_lo, exec_lo, s5
	s_cbranch_vccnz .LBB63_1493
; %bb.1492:
	global_store_b16 v[4:5], v0, off
.LBB63_1493:
	s_mov_b32 s5, 0
.LBB63_1494:
	s_delay_alu instid0(SALU_CYCLE_1)
	s_and_not1_b32 vcc_lo, exec_lo, s5
	s_cbranch_vccnz .LBB63_1502
; %bb.1495:
	s_wait_xcnt 0x0
	v_cvt_f32_u32_e32 v2, v0
	v_mov_b32_e32 v3, 0x80
	s_mov_b32 s5, exec_lo
	s_delay_alu instid0(VALU_DEP_2)
	v_cmpx_gt_u32_e32 0x43800000, v2
	s_cbranch_execz .LBB63_1501
; %bb.1496:
	s_mov_b32 s8, 0
	s_mov_b32 s9, exec_lo
                                        ; implicit-def: $vgpr1
	v_cmpx_lt_u32_e32 0x3bffffff, v2
	s_xor_b32 s9, exec_lo, s9
	s_cbranch_execz .LBB63_1643
; %bb.1497:
	v_bfe_u32 v1, v2, 20, 1
	s_mov_b32 s8, exec_lo
	s_delay_alu instid0(VALU_DEP_1) | instskip(NEXT) | instid1(VALU_DEP_1)
	v_add3_u32 v1, v2, v1, 0x487ffff
                                        ; implicit-def: $vgpr2
	v_lshrrev_b32_e32 v1, 20, v1
	s_and_not1_saveexec_b32 s9, s9
	s_cbranch_execnz .LBB63_1644
.LBB63_1498:
	s_or_b32 exec_lo, exec_lo, s9
	v_mov_b32_e32 v3, 0
	s_and_saveexec_b32 s9, s8
.LBB63_1499:
	v_mov_b32_e32 v3, v1
.LBB63_1500:
	s_or_b32 exec_lo, exec_lo, s9
.LBB63_1501:
	s_delay_alu instid0(SALU_CYCLE_1)
	s_or_b32 exec_lo, exec_lo, s5
	global_store_b8 v[4:5], v3, off
.LBB63_1502:
	s_mov_b32 s5, 0
.LBB63_1503:
	s_delay_alu instid0(SALU_CYCLE_1)
	s_and_b32 vcc_lo, exec_lo, s5
	s_mov_b32 s5, 0
	s_cbranch_vccz .LBB63_1543
; %bb.1504:
	s_cmp_gt_i32 s4, 22
	s_mov_b32 s8, -1
	s_cbranch_scc0 .LBB63_1536
; %bb.1505:
	s_cmp_lt_i32 s4, 24
	s_cbranch_scc1 .LBB63_1525
; %bb.1506:
	s_cmp_gt_i32 s4, 24
	s_cbranch_scc0 .LBB63_1514
; %bb.1507:
	s_wait_xcnt 0x0
	v_cvt_f32_u32_e32 v2, v0
	v_mov_b32_e32 v3, 0x80
	s_mov_b32 s8, exec_lo
	s_delay_alu instid0(VALU_DEP_2)
	v_cmpx_gt_u32_e32 0x47800000, v2
	s_cbranch_execz .LBB63_1513
; %bb.1508:
	s_mov_b32 s9, 0
	s_mov_b32 s10, exec_lo
                                        ; implicit-def: $vgpr1
	v_cmpx_lt_u32_e32 0x37ffffff, v2
	s_xor_b32 s10, exec_lo, s10
	s_cbranch_execz .LBB63_1764
; %bb.1509:
	v_bfe_u32 v1, v2, 21, 1
	s_mov_b32 s9, exec_lo
	s_delay_alu instid0(VALU_DEP_1) | instskip(NEXT) | instid1(VALU_DEP_1)
	v_add3_u32 v1, v2, v1, 0x88fffff
                                        ; implicit-def: $vgpr2
	v_lshrrev_b32_e32 v1, 21, v1
	s_and_not1_saveexec_b32 s10, s10
	s_cbranch_execnz .LBB63_1765
.LBB63_1510:
	s_or_b32 exec_lo, exec_lo, s10
	v_mov_b32_e32 v3, 0
	s_and_saveexec_b32 s10, s9
.LBB63_1511:
	v_mov_b32_e32 v3, v1
.LBB63_1512:
	s_or_b32 exec_lo, exec_lo, s10
.LBB63_1513:
	s_delay_alu instid0(SALU_CYCLE_1)
	s_or_b32 exec_lo, exec_lo, s8
	s_mov_b32 s8, 0
	global_store_b8 v[4:5], v3, off
.LBB63_1514:
	s_and_b32 vcc_lo, exec_lo, s8
	s_cbranch_vccz .LBB63_1524
; %bb.1515:
	s_wait_xcnt 0x0
	v_cvt_f32_u32_e32 v2, v0
	s_mov_b32 s8, exec_lo
                                        ; implicit-def: $vgpr1
	s_delay_alu instid0(VALU_DEP_1)
	v_cmpx_gt_u32_e32 0x43f00000, v2
	s_xor_b32 s8, exec_lo, s8
	s_cbranch_execz .LBB63_1521
; %bb.1516:
	s_mov_b32 s9, exec_lo
                                        ; implicit-def: $vgpr1
	v_cmpx_lt_u32_e32 0x3c7fffff, v2
	s_xor_b32 s9, exec_lo, s9
; %bb.1517:
	v_bfe_u32 v1, v2, 20, 1
	s_delay_alu instid0(VALU_DEP_1) | instskip(NEXT) | instid1(VALU_DEP_1)
	v_add3_u32 v1, v2, v1, 0x407ffff
	v_and_b32_e32 v2, 0xff00000, v1
	v_lshrrev_b32_e32 v1, 20, v1
	s_delay_alu instid0(VALU_DEP_2) | instskip(NEXT) | instid1(VALU_DEP_2)
	v_cmp_ne_u32_e32 vcc_lo, 0x7f00000, v2
                                        ; implicit-def: $vgpr2
	v_cndmask_b32_e32 v1, 0x7e, v1, vcc_lo
; %bb.1518:
	s_and_not1_saveexec_b32 s9, s9
; %bb.1519:
	v_add_f32_e32 v1, 0x46800000, v2
; %bb.1520:
	s_or_b32 exec_lo, exec_lo, s9
                                        ; implicit-def: $vgpr2
.LBB63_1521:
	s_and_not1_saveexec_b32 s8, s8
; %bb.1522:
	v_mov_b32_e32 v1, 0x7f
	v_cmp_lt_u32_e32 vcc_lo, 0x7f800000, v2
	s_delay_alu instid0(VALU_DEP_2)
	v_cndmask_b32_e32 v1, 0x7e, v1, vcc_lo
; %bb.1523:
	s_or_b32 exec_lo, exec_lo, s8
	global_store_b8 v[4:5], v1, off
.LBB63_1524:
	s_mov_b32 s8, 0
.LBB63_1525:
	s_delay_alu instid0(SALU_CYCLE_1)
	s_and_not1_b32 vcc_lo, exec_lo, s8
	s_cbranch_vccnz .LBB63_1535
; %bb.1526:
	s_wait_xcnt 0x0
	v_cvt_f32_u32_e32 v2, v0
	s_mov_b32 s8, exec_lo
                                        ; implicit-def: $vgpr1
	s_delay_alu instid0(VALU_DEP_1)
	v_cmpx_gt_u32_e32 0x47800000, v2
	s_xor_b32 s8, exec_lo, s8
	s_cbranch_execz .LBB63_1532
; %bb.1527:
	s_mov_b32 s9, exec_lo
                                        ; implicit-def: $vgpr1
	v_cmpx_lt_u32_e32 0x387fffff, v2
	s_xor_b32 s9, exec_lo, s9
; %bb.1528:
	v_bfe_u32 v1, v2, 21, 1
	s_delay_alu instid0(VALU_DEP_1) | instskip(NEXT) | instid1(VALU_DEP_1)
	v_add3_u32 v1, v2, v1, 0x80fffff
                                        ; implicit-def: $vgpr2
	v_lshrrev_b32_e32 v1, 21, v1
; %bb.1529:
	s_and_not1_saveexec_b32 s9, s9
; %bb.1530:
	v_add_f32_e32 v1, 0x43000000, v2
; %bb.1531:
	s_or_b32 exec_lo, exec_lo, s9
                                        ; implicit-def: $vgpr2
.LBB63_1532:
	s_and_not1_saveexec_b32 s8, s8
; %bb.1533:
	v_mov_b32_e32 v1, 0x7f
	v_cmp_lt_u32_e32 vcc_lo, 0x7f800000, v2
	s_delay_alu instid0(VALU_DEP_2)
	v_cndmask_b32_e32 v1, 0x7c, v1, vcc_lo
; %bb.1534:
	s_or_b32 exec_lo, exec_lo, s8
	global_store_b8 v[4:5], v1, off
.LBB63_1535:
	s_mov_b32 s8, 0
.LBB63_1536:
	s_delay_alu instid0(SALU_CYCLE_1)
	s_and_not1_b32 vcc_lo, exec_lo, s8
	s_mov_b32 s8, 0
	s_cbranch_vccnz .LBB63_1544
; %bb.1537:
	s_cmp_gt_i32 s4, 14
	s_mov_b32 s8, -1
	s_cbranch_scc0 .LBB63_1541
; %bb.1538:
	s_cmp_eq_u32 s4, 15
	s_mov_b32 s0, -1
	s_cbranch_scc0 .LBB63_1540
; %bb.1539:
	s_wait_xcnt 0x0
	v_cvt_f32_u32_e32 v1, v0
	s_mov_b32 s0, 0
	s_delay_alu instid0(VALU_DEP_1) | instskip(NEXT) | instid1(VALU_DEP_1)
	v_bfe_u32 v2, v1, 16, 1
	v_add3_u32 v1, v1, v2, 0x7fff
	global_store_d16_hi_b16 v[4:5], v1, off
.LBB63_1540:
	s_mov_b32 s8, 0
.LBB63_1541:
	s_delay_alu instid0(SALU_CYCLE_1)
	s_and_b32 vcc_lo, exec_lo, s8
	s_mov_b32 s8, 0
	s_cbranch_vccz .LBB63_1544
; %bb.1542:
	s_cmp_lg_u32 s4, 11
	s_mov_b32 s8, -1
	s_cselect_b32 s4, -1, 0
	s_and_not1_b32 s0, s0, exec_lo
	s_and_b32 s4, s4, exec_lo
	s_delay_alu instid0(SALU_CYCLE_1)
	s_or_b32 s0, s0, s4
	s_branch .LBB63_1544
.LBB63_1543:
	s_mov_b32 s8, 0
.LBB63_1544:
	s_and_b32 s9, s5, exec_lo
	s_and_not1_b32 s4, s38, exec_lo
	s_and_b32 s5, s0, exec_lo
	s_and_b32 s0, s8, exec_lo
	s_or_b32 s38, s4, s5
	s_wait_xcnt 0x0
	s_or_b32 exec_lo, exec_lo, s7
	s_and_saveexec_b32 s4, s38
	s_cbranch_execz .LBB63_1473
.LBB63_1545:
	s_or_b32 s1, s1, exec_lo
	s_and_not1_b32 s0, s0, exec_lo
	s_trap 2
	s_or_b32 exec_lo, exec_lo, s4
	s_and_saveexec_b32 s4, s0
	s_delay_alu instid0(SALU_CYCLE_1)
	s_xor_b32 s0, exec_lo, s4
	s_cbranch_execnz .LBB63_1474
.LBB63_1546:
	s_or_b32 exec_lo, exec_lo, s0
	s_and_saveexec_b32 s0, s9
	s_delay_alu instid0(SALU_CYCLE_1)
	s_xor_b32 s0, exec_lo, s0
	s_cbranch_execz .LBB63_1584
.LBB63_1547:
	s_sext_i32_i16 s5, s6
	s_mov_b32 s4, -1
	s_cmp_lt_i32 s5, 5
	s_cbranch_scc1 .LBB63_1568
; %bb.1548:
	s_cmp_lt_i32 s5, 8
	s_cbranch_scc1 .LBB63_1558
; %bb.1549:
	;; [unrolled: 3-line block ×3, first 2 shown]
	s_cmp_gt_i32 s5, 9
	s_cbranch_scc0 .LBB63_1552
; %bb.1551:
	s_wait_loadcnt 0x0
	v_cvt_f64_u32_e32 v[6:7], v0
	v_mov_b32_e32 v8, 0
	s_mov_b32 s4, 0
	s_delay_alu instid0(VALU_DEP_1)
	v_mov_b32_e32 v9, v8
	global_store_b128 v[4:5], v[6:9], off
.LBB63_1552:
	s_and_not1_b32 vcc_lo, exec_lo, s4
	s_cbranch_vccnz .LBB63_1554
; %bb.1553:
	v_cvt_f32_u32_e32 v2, v0
	s_wait_loadcnt 0x0
	v_mov_b32_e32 v3, 0
	global_store_b64 v[4:5], v[2:3], off
.LBB63_1554:
	s_mov_b32 s4, 0
.LBB63_1555:
	s_delay_alu instid0(SALU_CYCLE_1)
	s_and_not1_b32 vcc_lo, exec_lo, s4
	s_cbranch_vccnz .LBB63_1557
; %bb.1556:
	s_wait_loadcnt 0x0
	v_cvt_f32_u32_e32 v1, v0
	s_delay_alu instid0(VALU_DEP_1) | instskip(NEXT) | instid1(VALU_DEP_1)
	v_cvt_f16_f32_e32 v1, v1
	v_and_b32_e32 v1, 0xffff, v1
	global_store_b32 v[4:5], v1, off
.LBB63_1557:
	s_mov_b32 s4, 0
.LBB63_1558:
	s_delay_alu instid0(SALU_CYCLE_1)
	s_and_not1_b32 vcc_lo, exec_lo, s4
	s_cbranch_vccnz .LBB63_1567
; %bb.1559:
	s_sext_i32_i16 s5, s6
	s_mov_b32 s4, -1
	s_cmp_lt_i32 s5, 6
	s_cbranch_scc1 .LBB63_1565
; %bb.1560:
	s_cmp_gt_i32 s5, 6
	s_cbranch_scc0 .LBB63_1562
; %bb.1561:
	s_wait_loadcnt 0x0
	v_cvt_f64_u32_e32 v[2:3], v0
	s_mov_b32 s4, 0
	global_store_b64 v[4:5], v[2:3], off
.LBB63_1562:
	s_and_not1_b32 vcc_lo, exec_lo, s4
	s_cbranch_vccnz .LBB63_1564
; %bb.1563:
	s_wait_loadcnt 0x0
	v_cvt_f32_u32_e32 v1, v0
	global_store_b32 v[4:5], v1, off
.LBB63_1564:
	s_mov_b32 s4, 0
.LBB63_1565:
	s_delay_alu instid0(SALU_CYCLE_1)
	s_and_not1_b32 vcc_lo, exec_lo, s4
	s_cbranch_vccnz .LBB63_1567
; %bb.1566:
	s_wait_loadcnt 0x0
	v_cvt_f32_u32_e32 v1, v0
	s_delay_alu instid0(VALU_DEP_1)
	v_cvt_f16_f32_e32 v1, v1
	global_store_b16 v[4:5], v1, off
.LBB63_1567:
	s_mov_b32 s4, 0
.LBB63_1568:
	s_delay_alu instid0(SALU_CYCLE_1)
	s_and_not1_b32 vcc_lo, exec_lo, s4
	s_cbranch_vccnz .LBB63_1584
; %bb.1569:
	s_sext_i32_i16 s5, s6
	s_mov_b32 s4, -1
	s_cmp_lt_i32 s5, 2
	s_cbranch_scc1 .LBB63_1579
; %bb.1570:
	s_cmp_lt_i32 s5, 3
	s_cbranch_scc1 .LBB63_1576
; %bb.1571:
	s_cmp_gt_i32 s5, 3
	s_cbranch_scc0 .LBB63_1573
; %bb.1572:
	s_wait_loadcnt 0x0
	v_mov_b32_e32 v1, 0
	s_mov_b32 s4, 0
	global_store_b64 v[4:5], v[0:1], off
.LBB63_1573:
	s_and_not1_b32 vcc_lo, exec_lo, s4
	s_cbranch_vccnz .LBB63_1575
; %bb.1574:
	global_store_b32 v[4:5], v0, off
.LBB63_1575:
	s_mov_b32 s4, 0
.LBB63_1576:
	s_delay_alu instid0(SALU_CYCLE_1)
	s_and_not1_b32 vcc_lo, exec_lo, s4
	s_cbranch_vccnz .LBB63_1578
; %bb.1577:
	global_store_b16 v[4:5], v0, off
.LBB63_1578:
	s_mov_b32 s4, 0
.LBB63_1579:
	s_delay_alu instid0(SALU_CYCLE_1)
	s_and_not1_b32 vcc_lo, exec_lo, s4
	s_cbranch_vccnz .LBB63_1584
; %bb.1580:
	s_sext_i32_i16 s4, s6
	s_delay_alu instid0(SALU_CYCLE_1)
	s_cmp_gt_i32 s4, 0
	s_mov_b32 s4, -1
	s_cbranch_scc0 .LBB63_1582
; %bb.1581:
	s_mov_b32 s4, 0
	global_store_b8 v[4:5], v0, off
.LBB63_1582:
	s_and_not1_b32 vcc_lo, exec_lo, s4
	s_cbranch_vccnz .LBB63_1584
; %bb.1583:
	global_store_b8 v[4:5], v0, off
.LBB63_1584:
	s_wait_xcnt 0x0
	s_or_b32 exec_lo, exec_lo, s0
	s_delay_alu instid0(SALU_CYCLE_1)
	s_and_b32 s8, s1, exec_lo
                                        ; implicit-def: $vgpr1
                                        ; implicit-def: $vgpr0
.LBB63_1585:
	s_or_saveexec_b32 s9, s30
	s_mov_b32 s0, 0
                                        ; implicit-def: $vgpr2_vgpr3
                                        ; implicit-def: $sgpr1
                                        ; implicit-def: $vgpr8
	s_xor_b32 exec_lo, exec_lo, s9
	s_cbranch_execz .LBB63_2743
; %bb.1586:
	s_wait_loadcnt 0x0
	v_cndmask_b32_e64 v3, 0, 1, s29
	s_and_not1_b32 vcc_lo, exec_lo, s29
	s_cbranch_vccnz .LBB63_1592
; %bb.1587:
	s_cmp_lg_u32 s26, 0
	s_mov_b32 s4, 0
	s_cbranch_scc0 .LBB63_1596
; %bb.1588:
	s_min_u32 s5, s27, 15
	v_dual_mov_b32 v6, 0 :: v_dual_mov_b32 v2, v0
	v_dual_mov_b32 v22, 0 :: v_dual_mov_b32 v10, 0
	s_add_co_i32 s6, s5, 1
	s_mov_b64 s[0:1], 0xffffffffffffffe8
	s_and_b32 s6, s6, 30
	s_add_nc_u64 s[0:1], s[2:3], s[0:1]
.LBB63_1589:                            ; =>This Inner Loop Header: Depth=1
	s_clause 0x1
	s_load_b128 s[12:15], s[0:1], 0x1c
	s_load_b64 s[10:11], s[0:1], 0x2c
	s_add_co_i32 s6, s6, -2
	s_delay_alu instid0(SALU_CYCLE_1) | instskip(SKIP_2) | instid1(VALU_DEP_1)
	s_cmp_lg_u32 s6, 0
	s_wait_kmcnt 0x0
	v_mul_hi_u32 v4, s13, v2
	v_add_nc_u32_e32 v4, v2, v4
	s_delay_alu instid0(VALU_DEP_1) | instskip(NEXT) | instid1(VALU_DEP_1)
	v_lshrrev_b32_e32 v4, s14, v4
	v_mul_hi_u32 v5, s10, v4
	v_mul_lo_u32 v7, v4, s12
	s_clause 0x1
	s_load_b128 s[16:19], s[0:1], 0xdc
	s_load_b64 s[12:13], s[0:1], 0xec
	s_wait_xcnt 0x0
	s_add_nc_u64 s[0:1], s[0:1], 24
	s_delay_alu instid0(VALU_DEP_1) | instskip(NEXT) | instid1(VALU_DEP_1)
	v_dual_add_nc_u32 v5, v4, v5 :: v_dual_sub_nc_u32 v7, v2, v7
	v_lshrrev_b32_e32 v2, s11, v5
	s_wait_kmcnt 0x0
	s_delay_alu instid0(VALU_DEP_2) | instskip(NEXT) | instid1(VALU_DEP_2)
	v_mad_u32 v6, v7, s16, v6
	v_mul_lo_u32 v5, v2, s15
	v_mad_u32 v8, v7, s18, v10
	v_mad_u32 v7, v7, s17, v22
	s_delay_alu instid0(VALU_DEP_3) | instskip(NEXT) | instid1(VALU_DEP_1)
	v_sub_nc_u32_e32 v4, v4, v5
	v_mad_u32 v6, v4, s19, v6
	s_delay_alu instid0(VALU_DEP_4) | instskip(NEXT) | instid1(VALU_DEP_4)
	v_mad_u32 v10, v4, s13, v8
	v_mad_u32 v22, v4, s12, v7
	s_cbranch_scc1 .LBB63_1589
; %bb.1590:
	s_bitcmp1_b32 s5, 0
	s_cselect_b32 s5, -1, 0
	s_delay_alu instid0(SALU_CYCLE_1)
	s_and_b32 vcc_lo, exec_lo, s5
	s_cbranch_vccnz .LBB63_1593
; %bb.1591:
	s_clause 0x1
	s_load_b96 s[12:14], s[0:1], 0x1c
	s_load_b96 s[16:18], s[0:1], 0xdc
	s_wait_kmcnt 0x0
	v_mul_hi_u32 v4, s13, v2
	s_delay_alu instid0(VALU_DEP_1) | instskip(NEXT) | instid1(VALU_DEP_1)
	v_add_nc_u32_e32 v4, v2, v4
	v_lshrrev_b32_e32 v4, s14, v4
	s_delay_alu instid0(VALU_DEP_1) | instskip(NEXT) | instid1(VALU_DEP_1)
	v_mul_lo_u32 v4, v4, s12
	v_sub_nc_u32_e32 v2, v2, v4
	s_delay_alu instid0(VALU_DEP_1)
	v_mad_u32 v6, v2, s16, v6
	v_mad_u32 v22, v2, s17, v22
	;; [unrolled: 1-line block ×3, first 2 shown]
	s_and_not1_b32 vcc_lo, exec_lo, s4
	s_cbranch_vccz .LBB63_1594
	s_branch .LBB63_1597
.LBB63_1592:
	s_mov_b32 s4, -1
                                        ; implicit-def: $vgpr10
                                        ; implicit-def: $vgpr22
                                        ; implicit-def: $vgpr6
.LBB63_1593:
	s_delay_alu instid0(SALU_CYCLE_1)
	s_and_not1_b32 vcc_lo, exec_lo, s4
	s_cbranch_vccnz .LBB63_1597
.LBB63_1594:
	s_clause 0x1
	s_load_b96 s[4:6], s[2:3], 0x4
	s_load_b96 s[12:14], s[2:3], 0xc4
	s_cmp_lt_u32 s26, 2
	s_wait_kmcnt 0x0
	v_mul_hi_u32 v2, s5, v0
	s_delay_alu instid0(VALU_DEP_1) | instskip(NEXT) | instid1(VALU_DEP_1)
	v_add_nc_u32_e32 v2, v0, v2
	v_lshrrev_b32_e32 v2, s6, v2
	s_delay_alu instid0(VALU_DEP_1) | instskip(NEXT) | instid1(VALU_DEP_1)
	v_mul_lo_u32 v4, v2, s4
	v_sub_nc_u32_e32 v4, v0, v4
	s_delay_alu instid0(VALU_DEP_1)
	v_mul_lo_u32 v6, v4, s12
	v_mul_lo_u32 v10, v4, s14
	;; [unrolled: 1-line block ×3, first 2 shown]
	s_cbranch_scc1 .LBB63_1597
; %bb.1595:
	s_clause 0x1
	s_load_b96 s[4:6], s[2:3], 0x10
	s_load_b96 s[12:14], s[2:3], 0xd0
	s_wait_kmcnt 0x0
	v_mul_hi_u32 v4, s5, v2
	s_delay_alu instid0(VALU_DEP_1) | instskip(NEXT) | instid1(VALU_DEP_1)
	v_add_nc_u32_e32 v4, v2, v4
	v_lshrrev_b32_e32 v4, s6, v4
	s_delay_alu instid0(VALU_DEP_1) | instskip(NEXT) | instid1(VALU_DEP_1)
	v_mul_lo_u32 v4, v4, s4
	v_sub_nc_u32_e32 v2, v2, v4
	s_delay_alu instid0(VALU_DEP_1)
	v_mad_u32 v6, v2, s12, v6
	v_mad_u32 v22, v2, s13, v22
	v_mad_u32 v10, v2, s14, v10
	s_branch .LBB63_1597
.LBB63_1596:
	v_dual_mov_b32 v10, 0 :: v_dual_mov_b32 v22, 0
	v_mov_b32_e32 v6, 0
	s_and_not1_b32 vcc_lo, exec_lo, s4
	s_cbranch_vccz .LBB63_1594
.LBB63_1597:
	v_cmp_ne_u32_e32 vcc_lo, 1, v3
	v_add_nc_u32_e32 v2, 0x80, v0
	s_cbranch_vccnz .LBB63_1603
; %bb.1598:
	s_cmp_lg_u32 s26, 0
	s_mov_b32 s4, 0
	s_cbranch_scc0 .LBB63_1607
; %bb.1599:
	s_min_u32 s5, s27, 15
	v_dual_mov_b32 v4, 0 :: v_dual_mov_b32 v5, v2
	v_dual_mov_b32 v20, 0 :: v_dual_mov_b32 v14, 0
	s_add_co_i32 s6, s5, 1
	s_mov_b64 s[0:1], 0xffffffffffffffe8
	s_and_b32 s6, s6, 30
	s_add_nc_u64 s[0:1], s[2:3], s[0:1]
.LBB63_1600:                            ; =>This Inner Loop Header: Depth=1
	s_clause 0x1
	s_load_b128 s[12:15], s[0:1], 0x1c
	s_load_b64 s[10:11], s[0:1], 0x2c
	s_add_co_i32 s6, s6, -2
	s_delay_alu instid0(SALU_CYCLE_1) | instskip(SKIP_2) | instid1(VALU_DEP_1)
	s_cmp_lg_u32 s6, 0
	s_wait_kmcnt 0x0
	v_mul_hi_u32 v7, s13, v5
	v_add_nc_u32_e32 v7, v5, v7
	s_delay_alu instid0(VALU_DEP_1) | instskip(NEXT) | instid1(VALU_DEP_1)
	v_lshrrev_b32_e32 v7, s14, v7
	v_mul_hi_u32 v8, s10, v7
	v_mul_lo_u32 v9, v7, s12
	s_clause 0x1
	s_load_b128 s[16:19], s[0:1], 0xdc
	s_load_b64 s[12:13], s[0:1], 0xec
	s_wait_xcnt 0x0
	s_add_nc_u64 s[0:1], s[0:1], 24
	s_delay_alu instid0(VALU_DEP_1) | instskip(NEXT) | instid1(VALU_DEP_1)
	v_dual_add_nc_u32 v8, v7, v8 :: v_dual_sub_nc_u32 v9, v5, v9
	v_lshrrev_b32_e32 v5, s11, v8
	s_wait_kmcnt 0x0
	s_delay_alu instid0(VALU_DEP_2) | instskip(NEXT) | instid1(VALU_DEP_2)
	v_mad_u32 v4, v9, s16, v4
	v_mul_lo_u32 v8, v5, s15
	v_mad_u32 v11, v9, s18, v14
	v_mad_u32 v9, v9, s17, v20
	s_delay_alu instid0(VALU_DEP_3) | instskip(NEXT) | instid1(VALU_DEP_1)
	v_sub_nc_u32_e32 v7, v7, v8
	v_mad_u32 v4, v7, s19, v4
	s_delay_alu instid0(VALU_DEP_4) | instskip(NEXT) | instid1(VALU_DEP_4)
	v_mad_u32 v14, v7, s13, v11
	v_mad_u32 v20, v7, s12, v9
	s_cbranch_scc1 .LBB63_1600
; %bb.1601:
	s_bitcmp1_b32 s5, 0
	s_cselect_b32 s5, -1, 0
	s_delay_alu instid0(SALU_CYCLE_1)
	s_and_b32 vcc_lo, exec_lo, s5
	s_cbranch_vccnz .LBB63_1604
; %bb.1602:
	s_clause 0x1
	s_load_b96 s[12:14], s[0:1], 0x1c
	s_load_b96 s[16:18], s[0:1], 0xdc
	s_wait_kmcnt 0x0
	v_mul_hi_u32 v7, s13, v5
	s_delay_alu instid0(VALU_DEP_1) | instskip(NEXT) | instid1(VALU_DEP_1)
	v_add_nc_u32_e32 v7, v5, v7
	v_lshrrev_b32_e32 v7, s14, v7
	s_delay_alu instid0(VALU_DEP_1) | instskip(NEXT) | instid1(VALU_DEP_1)
	v_mul_lo_u32 v7, v7, s12
	v_sub_nc_u32_e32 v5, v5, v7
	s_delay_alu instid0(VALU_DEP_1)
	v_mad_u32 v4, v5, s16, v4
	v_mad_u32 v20, v5, s17, v20
	;; [unrolled: 1-line block ×3, first 2 shown]
	s_and_not1_b32 vcc_lo, exec_lo, s4
	s_cbranch_vccz .LBB63_1605
	s_branch .LBB63_1608
.LBB63_1603:
	s_mov_b32 s4, -1
                                        ; implicit-def: $vgpr14
                                        ; implicit-def: $vgpr20
                                        ; implicit-def: $vgpr4
.LBB63_1604:
	s_delay_alu instid0(SALU_CYCLE_1)
	s_and_not1_b32 vcc_lo, exec_lo, s4
	s_cbranch_vccnz .LBB63_1608
.LBB63_1605:
	s_clause 0x1
	s_load_b96 s[4:6], s[2:3], 0x4
	s_load_b96 s[12:14], s[2:3], 0xc4
	s_cmp_lt_u32 s26, 2
	s_wait_kmcnt 0x0
	v_mul_hi_u32 v4, s5, v2
	s_delay_alu instid0(VALU_DEP_1) | instskip(NEXT) | instid1(VALU_DEP_1)
	v_add_nc_u32_e32 v4, v2, v4
	v_lshrrev_b32_e32 v5, s6, v4
	s_delay_alu instid0(VALU_DEP_1) | instskip(NEXT) | instid1(VALU_DEP_1)
	v_mul_lo_u32 v4, v5, s4
	v_sub_nc_u32_e32 v2, v2, v4
	s_delay_alu instid0(VALU_DEP_1)
	v_mul_lo_u32 v4, v2, s12
	v_mul_lo_u32 v14, v2, s14
	;; [unrolled: 1-line block ×3, first 2 shown]
	s_cbranch_scc1 .LBB63_1608
; %bb.1606:
	s_clause 0x1
	s_load_b96 s[4:6], s[2:3], 0x10
	s_load_b96 s[12:14], s[2:3], 0xd0
	s_wait_kmcnt 0x0
	v_mul_hi_u32 v2, s5, v5
	s_delay_alu instid0(VALU_DEP_1) | instskip(NEXT) | instid1(VALU_DEP_1)
	v_add_nc_u32_e32 v2, v5, v2
	v_lshrrev_b32_e32 v2, s6, v2
	s_delay_alu instid0(VALU_DEP_1) | instskip(NEXT) | instid1(VALU_DEP_1)
	v_mul_lo_u32 v2, v2, s4
	v_sub_nc_u32_e32 v2, v5, v2
	s_delay_alu instid0(VALU_DEP_1)
	v_mad_u32 v4, v2, s12, v4
	v_mad_u32 v20, v2, s13, v20
	;; [unrolled: 1-line block ×3, first 2 shown]
	s_branch .LBB63_1608
.LBB63_1607:
	v_dual_mov_b32 v14, 0 :: v_dual_mov_b32 v20, 0
	v_mov_b32_e32 v4, 0
	s_and_not1_b32 vcc_lo, exec_lo, s4
	s_cbranch_vccz .LBB63_1605
.LBB63_1608:
	v_cmp_ne_u32_e32 vcc_lo, 1, v3
	v_add_nc_u32_e32 v0, 0x100, v0
	s_cbranch_vccnz .LBB63_1614
; %bb.1609:
	s_cmp_lg_u32 s26, 0
	s_mov_b32 s4, 0
	s_cbranch_scc0 .LBB63_1618
; %bb.1610:
	s_min_u32 s5, s27, 15
	v_dual_mov_b32 v2, 0 :: v_dual_mov_b32 v5, v0
	v_dual_mov_b32 v18, 0 :: v_dual_mov_b32 v16, 0
	s_add_co_i32 s6, s5, 1
	s_mov_b64 s[0:1], 0xffffffffffffffe8
	s_and_b32 s6, s6, 30
	s_add_nc_u64 s[0:1], s[2:3], s[0:1]
.LBB63_1611:                            ; =>This Inner Loop Header: Depth=1
	s_clause 0x1
	s_load_b128 s[12:15], s[0:1], 0x1c
	s_load_b64 s[10:11], s[0:1], 0x2c
	s_add_co_i32 s6, s6, -2
	s_delay_alu instid0(SALU_CYCLE_1) | instskip(SKIP_2) | instid1(VALU_DEP_1)
	s_cmp_lg_u32 s6, 0
	s_wait_kmcnt 0x0
	v_mul_hi_u32 v7, s13, v5
	v_add_nc_u32_e32 v7, v5, v7
	s_delay_alu instid0(VALU_DEP_1) | instskip(NEXT) | instid1(VALU_DEP_1)
	v_lshrrev_b32_e32 v7, s14, v7
	v_mul_hi_u32 v8, s10, v7
	v_mul_lo_u32 v9, v7, s12
	s_clause 0x1
	s_load_b128 s[16:19], s[0:1], 0xdc
	s_load_b64 s[12:13], s[0:1], 0xec
	s_wait_xcnt 0x0
	s_add_nc_u64 s[0:1], s[0:1], 24
	s_delay_alu instid0(VALU_DEP_1) | instskip(NEXT) | instid1(VALU_DEP_1)
	v_dual_add_nc_u32 v8, v7, v8 :: v_dual_sub_nc_u32 v9, v5, v9
	v_lshrrev_b32_e32 v5, s11, v8
	s_wait_kmcnt 0x0
	s_delay_alu instid0(VALU_DEP_2) | instskip(NEXT) | instid1(VALU_DEP_2)
	v_mad_u32 v2, v9, s16, v2
	v_mul_lo_u32 v8, v5, s15
	v_mad_u32 v11, v9, s18, v16
	v_mad_u32 v9, v9, s17, v18
	s_delay_alu instid0(VALU_DEP_3) | instskip(NEXT) | instid1(VALU_DEP_1)
	v_sub_nc_u32_e32 v7, v7, v8
	v_mad_u32 v2, v7, s19, v2
	s_delay_alu instid0(VALU_DEP_4) | instskip(NEXT) | instid1(VALU_DEP_4)
	v_mad_u32 v16, v7, s13, v11
	v_mad_u32 v18, v7, s12, v9
	s_cbranch_scc1 .LBB63_1611
; %bb.1612:
	s_bitcmp1_b32 s5, 0
	s_cselect_b32 s5, -1, 0
	s_delay_alu instid0(SALU_CYCLE_1)
	s_and_b32 vcc_lo, exec_lo, s5
	s_cbranch_vccnz .LBB63_1615
; %bb.1613:
	s_clause 0x1
	s_load_b96 s[12:14], s[0:1], 0x1c
	s_load_b96 s[16:18], s[0:1], 0xdc
	s_wait_kmcnt 0x0
	v_mul_hi_u32 v7, s13, v5
	s_delay_alu instid0(VALU_DEP_1) | instskip(NEXT) | instid1(VALU_DEP_1)
	v_add_nc_u32_e32 v7, v5, v7
	v_lshrrev_b32_e32 v7, s14, v7
	s_delay_alu instid0(VALU_DEP_1) | instskip(NEXT) | instid1(VALU_DEP_1)
	v_mul_lo_u32 v7, v7, s12
	v_sub_nc_u32_e32 v5, v5, v7
	s_delay_alu instid0(VALU_DEP_1)
	v_mad_u32 v2, v5, s16, v2
	v_mad_u32 v18, v5, s17, v18
	;; [unrolled: 1-line block ×3, first 2 shown]
	s_and_not1_b32 vcc_lo, exec_lo, s4
	s_cbranch_vccz .LBB63_1616
	s_branch .LBB63_1619
.LBB63_1614:
	s_mov_b32 s4, -1
                                        ; implicit-def: $vgpr16
                                        ; implicit-def: $vgpr18
                                        ; implicit-def: $vgpr2
.LBB63_1615:
	s_delay_alu instid0(SALU_CYCLE_1)
	s_and_not1_b32 vcc_lo, exec_lo, s4
	s_cbranch_vccnz .LBB63_1619
.LBB63_1616:
	s_clause 0x1
	s_load_b96 s[4:6], s[2:3], 0x4
	s_load_b96 s[12:14], s[2:3], 0xc4
	s_cmp_lt_u32 s26, 2
	s_wait_kmcnt 0x0
	v_mul_hi_u32 v2, s5, v0
	s_delay_alu instid0(VALU_DEP_1) | instskip(NEXT) | instid1(VALU_DEP_1)
	v_add_nc_u32_e32 v2, v0, v2
	v_lshrrev_b32_e32 v5, s6, v2
	s_delay_alu instid0(VALU_DEP_1) | instskip(NEXT) | instid1(VALU_DEP_1)
	v_mul_lo_u32 v2, v5, s4
	v_sub_nc_u32_e32 v0, v0, v2
	s_delay_alu instid0(VALU_DEP_1)
	v_mul_lo_u32 v2, v0, s12
	v_mul_lo_u32 v16, v0, s14
	v_mul_lo_u32 v18, v0, s13
	s_cbranch_scc1 .LBB63_1619
; %bb.1617:
	s_clause 0x1
	s_load_b96 s[4:6], s[2:3], 0x10
	s_load_b96 s[12:14], s[2:3], 0xd0
	s_wait_kmcnt 0x0
	v_mul_hi_u32 v0, s5, v5
	s_delay_alu instid0(VALU_DEP_1) | instskip(NEXT) | instid1(VALU_DEP_1)
	v_add_nc_u32_e32 v0, v5, v0
	v_lshrrev_b32_e32 v0, s6, v0
	s_delay_alu instid0(VALU_DEP_1) | instskip(NEXT) | instid1(VALU_DEP_1)
	v_mul_lo_u32 v0, v0, s4
	v_sub_nc_u32_e32 v0, v5, v0
	s_delay_alu instid0(VALU_DEP_1)
	v_mad_u32 v2, v0, s12, v2
	v_mad_u32 v18, v0, s13, v18
	;; [unrolled: 1-line block ×3, first 2 shown]
	s_branch .LBB63_1619
.LBB63_1618:
	v_dual_mov_b32 v16, 0 :: v_dual_mov_b32 v18, 0
	v_mov_b32_e32 v2, 0
	s_and_not1_b32 vcc_lo, exec_lo, s4
	s_cbranch_vccz .LBB63_1616
.LBB63_1619:
	v_cmp_ne_u32_e32 vcc_lo, 1, v3
	s_cbranch_vccnz .LBB63_1625
; %bb.1620:
	s_cmp_lg_u32 s26, 0
	s_mov_b32 s4, 0
	s_cbranch_scc0 .LBB63_1629
; %bb.1621:
	s_min_u32 s5, s27, 15
	v_dual_mov_b32 v0, 0 :: v_dual_mov_b32 v3, v1
	v_dual_mov_b32 v12, 0 :: v_dual_mov_b32 v8, 0
	s_add_co_i32 s6, s5, 1
	s_mov_b64 s[0:1], 0xffffffffffffffe8
	s_and_b32 s6, s6, 30
	s_add_nc_u64 s[0:1], s[2:3], s[0:1]
.LBB63_1622:                            ; =>This Inner Loop Header: Depth=1
	s_clause 0x1
	s_load_b128 s[12:15], s[0:1], 0x1c
	s_load_b64 s[10:11], s[0:1], 0x2c
	s_add_co_i32 s6, s6, -2
	s_delay_alu instid0(SALU_CYCLE_1) | instskip(SKIP_2) | instid1(VALU_DEP_1)
	s_cmp_lg_u32 s6, 0
	s_wait_kmcnt 0x0
	v_mul_hi_u32 v5, s13, v3
	v_add_nc_u32_e32 v5, v3, v5
	s_delay_alu instid0(VALU_DEP_1) | instskip(NEXT) | instid1(VALU_DEP_1)
	v_lshrrev_b32_e32 v5, s14, v5
	v_mul_hi_u32 v7, s10, v5
	v_mul_lo_u32 v9, v5, s12
	s_clause 0x1
	s_load_b128 s[16:19], s[0:1], 0xdc
	s_load_b64 s[12:13], s[0:1], 0xec
	s_wait_xcnt 0x0
	s_add_nc_u64 s[0:1], s[0:1], 24
	s_delay_alu instid0(VALU_DEP_1) | instskip(NEXT) | instid1(VALU_DEP_1)
	v_dual_add_nc_u32 v7, v5, v7 :: v_dual_sub_nc_u32 v9, v3, v9
	v_lshrrev_b32_e32 v3, s11, v7
	s_wait_kmcnt 0x0
	s_delay_alu instid0(VALU_DEP_2) | instskip(NEXT) | instid1(VALU_DEP_2)
	v_mad_u32 v0, v9, s16, v0
	v_mul_lo_u32 v7, v3, s15
	v_mad_u32 v8, v9, s18, v8
	v_mad_u32 v9, v9, s17, v12
	s_delay_alu instid0(VALU_DEP_3) | instskip(NEXT) | instid1(VALU_DEP_1)
	v_sub_nc_u32_e32 v5, v5, v7
	v_mad_u32 v0, v5, s19, v0
	s_delay_alu instid0(VALU_DEP_4) | instskip(NEXT) | instid1(VALU_DEP_4)
	v_mad_u32 v8, v5, s13, v8
	v_mad_u32 v12, v5, s12, v9
	s_cbranch_scc1 .LBB63_1622
; %bb.1623:
	s_bitcmp1_b32 s5, 0
	s_cselect_b32 s5, -1, 0
	s_delay_alu instid0(SALU_CYCLE_1)
	s_and_b32 vcc_lo, exec_lo, s5
	s_cbranch_vccnz .LBB63_1626
; %bb.1624:
	s_clause 0x1
	s_load_b96 s[12:14], s[0:1], 0x1c
	s_load_b96 s[16:18], s[0:1], 0xdc
	s_wait_kmcnt 0x0
	v_mul_hi_u32 v5, s13, v3
	s_delay_alu instid0(VALU_DEP_1) | instskip(NEXT) | instid1(VALU_DEP_1)
	v_add_nc_u32_e32 v5, v3, v5
	v_lshrrev_b32_e32 v5, s14, v5
	s_delay_alu instid0(VALU_DEP_1) | instskip(NEXT) | instid1(VALU_DEP_1)
	v_mul_lo_u32 v5, v5, s12
	v_sub_nc_u32_e32 v3, v3, v5
	s_delay_alu instid0(VALU_DEP_1)
	v_mad_u32 v0, v3, s16, v0
	v_mad_u32 v12, v3, s17, v12
	;; [unrolled: 1-line block ×3, first 2 shown]
	s_and_not1_b32 vcc_lo, exec_lo, s4
	s_cbranch_vccz .LBB63_1627
	s_branch .LBB63_1630
.LBB63_1625:
	s_mov_b32 s4, -1
                                        ; implicit-def: $vgpr8
                                        ; implicit-def: $vgpr12
                                        ; implicit-def: $vgpr0
.LBB63_1626:
	s_delay_alu instid0(SALU_CYCLE_1)
	s_and_not1_b32 vcc_lo, exec_lo, s4
	s_cbranch_vccnz .LBB63_1630
.LBB63_1627:
	s_clause 0x1
	s_load_b96 s[4:6], s[2:3], 0x4
	s_load_b96 s[12:14], s[2:3], 0xc4
	s_cmp_lt_u32 s26, 2
	s_wait_kmcnt 0x0
	v_mul_hi_u32 v0, s5, v1
	s_delay_alu instid0(VALU_DEP_1) | instskip(NEXT) | instid1(VALU_DEP_1)
	v_add_nc_u32_e32 v0, v1, v0
	v_lshrrev_b32_e32 v3, s6, v0
	s_delay_alu instid0(VALU_DEP_1) | instskip(NEXT) | instid1(VALU_DEP_1)
	v_mul_lo_u32 v0, v3, s4
	v_sub_nc_u32_e32 v1, v1, v0
	s_delay_alu instid0(VALU_DEP_1)
	v_mul_lo_u32 v0, v1, s12
	v_mul_lo_u32 v8, v1, s14
	;; [unrolled: 1-line block ×3, first 2 shown]
	s_cbranch_scc1 .LBB63_1630
; %bb.1628:
	s_clause 0x1
	s_load_b96 s[4:6], s[2:3], 0x10
	s_load_b96 s[12:14], s[2:3], 0xd0
	s_wait_kmcnt 0x0
	v_mul_hi_u32 v1, s5, v3
	s_delay_alu instid0(VALU_DEP_1) | instskip(NEXT) | instid1(VALU_DEP_1)
	v_add_nc_u32_e32 v1, v3, v1
	v_lshrrev_b32_e32 v1, s6, v1
	s_delay_alu instid0(VALU_DEP_1) | instskip(NEXT) | instid1(VALU_DEP_1)
	v_mul_lo_u32 v1, v1, s4
	v_sub_nc_u32_e32 v1, v3, v1
	s_delay_alu instid0(VALU_DEP_1)
	v_mad_u32 v0, v1, s12, v0
	v_mad_u32 v12, v1, s13, v12
	;; [unrolled: 1-line block ×3, first 2 shown]
	s_branch .LBB63_1630
.LBB63_1629:
	v_dual_mov_b32 v8, 0 :: v_dual_mov_b32 v12, 0
	v_mov_b32_e32 v0, 0
	s_and_not1_b32 vcc_lo, exec_lo, s4
	s_cbranch_vccz .LBB63_1627
.LBB63_1630:
	v_mov_b32_e32 v23, 0
	s_load_b128 s[4:7], s[2:3], 0x188
	global_load_u8 v1, v23, s[2:3] offset:418
	s_wait_kmcnt 0x0
	v_add_nc_u64_e32 v[22:23], s[6:7], v[22:23]
	s_wait_loadcnt 0x0
	v_and_b32_e32 v3, 0xffff, v1
	v_readfirstlane_b32 s11, v1
	s_delay_alu instid0(VALU_DEP_2)
	v_cmp_gt_i32_e32 vcc_lo, 11, v3
	s_cbranch_vccnz .LBB63_1637
; %bb.1631:
	s_and_b32 s0, 0xffff, s11
	s_mov_b32 s12, 0
	s_cmp_gt_i32 s0, 25
	s_cbranch_scc0 .LBB63_1639
; %bb.1632:
	s_cmp_gt_i32 s0, 28
	s_cbranch_scc0 .LBB63_1640
; %bb.1633:
	;; [unrolled: 3-line block ×4, first 2 shown]
	s_cmp_eq_u32 s0, 46
	s_mov_b32 s10, 0
	s_cbranch_scc0 .LBB63_1645
; %bb.1636:
	global_load_b32 v1, v[22:23], off
	s_mov_b32 s1, 0
	s_mov_b32 s13, -1
	s_wait_loadcnt 0x0
	v_lshlrev_b32_e32 v1, 16, v1
	s_delay_alu instid0(VALU_DEP_1)
	v_cvt_i32_f32_e32 v1, v1
	s_branch .LBB63_1647
.LBB63_1637:
	s_mov_b32 s13, 0
	s_mov_b32 s10, s8
                                        ; implicit-def: $vgpr1
	s_cbranch_execnz .LBB63_1705
.LBB63_1638:
	s_and_not1_b32 vcc_lo, exec_lo, s13
	s_cbranch_vccz .LBB63_1750
	s_branch .LBB63_2741
.LBB63_1639:
	s_mov_b32 s13, 0
	s_mov_b32 s1, 0
                                        ; implicit-def: $vgpr1
	s_cbranch_execnz .LBB63_1672
	s_branch .LBB63_1701
.LBB63_1640:
	s_mov_b32 s13, 0
	s_mov_b32 s1, 0
                                        ; implicit-def: $vgpr1
	s_cbranch_execz .LBB63_1671
	s_branch .LBB63_1656
.LBB63_1641:
	s_mov_b32 s13, 0
	s_mov_b32 s1, 0
                                        ; implicit-def: $vgpr1
	s_cbranch_execnz .LBB63_1652
	s_branch .LBB63_1655
.LBB63_1642:
	s_mov_b32 s10, -1
	s_mov_b32 s13, 0
	s_mov_b32 s1, 0
	s_branch .LBB63_1646
.LBB63_1643:
	s_and_not1_saveexec_b32 s9, s9
	s_cbranch_execz .LBB63_1498
.LBB63_1644:
	v_add_f32_e32 v1, 0x46000000, v2
	s_and_not1_b32 s8, s8, exec_lo
	s_delay_alu instid0(VALU_DEP_1) | instskip(NEXT) | instid1(VALU_DEP_1)
	v_and_b32_e32 v1, 0xff, v1
	v_cmp_ne_u32_e32 vcc_lo, 0, v1
	s_and_b32 s10, vcc_lo, exec_lo
	s_delay_alu instid0(SALU_CYCLE_1)
	s_or_b32 s8, s8, s10
	s_or_b32 exec_lo, exec_lo, s9
	v_mov_b32_e32 v3, 0
	s_and_saveexec_b32 s9, s8
	s_cbranch_execnz .LBB63_1499
	s_branch .LBB63_1500
.LBB63_1645:
	s_mov_b32 s1, -1
	s_mov_b32 s13, 0
.LBB63_1646:
                                        ; implicit-def: $vgpr1
.LBB63_1647:
	s_and_b32 vcc_lo, exec_lo, s10
	s_cbranch_vccz .LBB63_1650
; %bb.1648:
	s_cmp_eq_u32 s0, 44
	s_cbranch_scc0 .LBB63_1651
; %bb.1649:
	global_load_u8 v1, v[22:23], off
	s_mov_b32 s1, 0
	s_mov_b32 s13, -1
	s_wait_loadcnt 0x0
	v_lshlrev_b32_e32 v3, 23, v1
	v_cmp_ne_u32_e32 vcc_lo, 0, v1
	s_delay_alu instid0(VALU_DEP_2) | instskip(NEXT) | instid1(VALU_DEP_1)
	v_cvt_i32_f32_e32 v3, v3
	v_cndmask_b32_e32 v1, 0, v3, vcc_lo
.LBB63_1650:
	s_branch .LBB63_1655
.LBB63_1651:
	s_mov_b32 s1, -1
                                        ; implicit-def: $vgpr1
	s_branch .LBB63_1655
.LBB63_1652:
	s_cmp_eq_u32 s0, 29
	s_cbranch_scc0 .LBB63_1654
; %bb.1653:
	global_load_b32 v1, v[22:23], off
	s_mov_b32 s1, 0
	s_mov_b32 s13, -1
	s_branch .LBB63_1655
.LBB63_1654:
	s_mov_b32 s1, -1
                                        ; implicit-def: $vgpr1
.LBB63_1655:
	s_branch .LBB63_1671
.LBB63_1656:
	s_cmp_lt_i32 s0, 27
	s_cbranch_scc1 .LBB63_1659
; %bb.1657:
	s_cmp_gt_i32 s0, 27
	s_cbranch_scc0 .LBB63_1660
; %bb.1658:
	s_wait_loadcnt 0x0
	global_load_b32 v1, v[22:23], off
	s_mov_b32 s10, 0
	s_branch .LBB63_1661
.LBB63_1659:
	s_mov_b32 s10, -1
                                        ; implicit-def: $vgpr1
	s_branch .LBB63_1664
.LBB63_1660:
	s_mov_b32 s10, -1
                                        ; implicit-def: $vgpr1
.LBB63_1661:
	s_delay_alu instid0(SALU_CYCLE_1)
	s_and_not1_b32 vcc_lo, exec_lo, s10
	s_cbranch_vccnz .LBB63_1663
; %bb.1662:
	s_wait_loadcnt 0x0
	global_load_u16 v1, v[22:23], off
.LBB63_1663:
	s_mov_b32 s10, 0
.LBB63_1664:
	s_delay_alu instid0(SALU_CYCLE_1)
	s_and_not1_b32 vcc_lo, exec_lo, s10
	s_cbranch_vccnz .LBB63_1670
; %bb.1665:
	global_load_u8 v3, v[22:23], off
	s_mov_b32 s13, 0
	s_mov_b32 s10, exec_lo
	s_wait_loadcnt 0x0
	v_cmpx_lt_i16_e32 0x7f, v3
	s_xor_b32 s10, exec_lo, s10
	s_cbranch_execz .LBB63_1681
; %bb.1666:
	v_cmp_ne_u16_e32 vcc_lo, 0x80, v3
	s_and_b32 s13, vcc_lo, exec_lo
	s_and_not1_saveexec_b32 s10, s10
	s_cbranch_execnz .LBB63_1682
.LBB63_1667:
	s_or_b32 exec_lo, exec_lo, s10
	v_mov_b32_e32 v1, 0
	s_and_saveexec_b32 s10, s13
	s_cbranch_execz .LBB63_1669
.LBB63_1668:
	v_and_b32_e32 v1, 0xffff, v3
	s_delay_alu instid0(VALU_DEP_1) | instskip(SKIP_1) | instid1(VALU_DEP_2)
	v_and_b32_e32 v5, 7, v1
	v_bfe_u32 v11, v1, 3, 4
	v_clz_i32_u32_e32 v7, v5
	s_delay_alu instid0(VALU_DEP_2) | instskip(NEXT) | instid1(VALU_DEP_2)
	v_cmp_eq_u32_e32 vcc_lo, 0, v11
	v_min_u32_e32 v7, 32, v7
	s_delay_alu instid0(VALU_DEP_1) | instskip(NEXT) | instid1(VALU_DEP_1)
	v_subrev_nc_u32_e32 v9, 28, v7
	v_dual_lshlrev_b32 v1, v9, v1 :: v_dual_sub_nc_u32 v7, 29, v7
	s_delay_alu instid0(VALU_DEP_1) | instskip(NEXT) | instid1(VALU_DEP_1)
	v_dual_lshlrev_b32 v3, 24, v3 :: v_dual_bitop2_b32 v1, 7, v1 bitop3:0x40
	v_dual_cndmask_b32 v1, v5, v1, vcc_lo :: v_dual_cndmask_b32 v7, v11, v7, vcc_lo
	s_delay_alu instid0(VALU_DEP_2) | instskip(NEXT) | instid1(VALU_DEP_2)
	v_and_b32_e32 v3, 0x80000000, v3
	v_lshlrev_b32_e32 v1, 20, v1
	s_delay_alu instid0(VALU_DEP_3) | instskip(NEXT) | instid1(VALU_DEP_1)
	v_lshl_add_u32 v5, v7, 23, 0x3b800000
	v_or3_b32 v1, v3, v5, v1
	s_delay_alu instid0(VALU_DEP_1)
	v_cvt_i32_f32_e32 v1, v1
.LBB63_1669:
	s_or_b32 exec_lo, exec_lo, s10
.LBB63_1670:
	s_mov_b32 s13, -1
.LBB63_1671:
	s_branch .LBB63_1701
.LBB63_1672:
	s_cmp_gt_i32 s0, 22
	s_cbranch_scc0 .LBB63_1680
; %bb.1673:
	s_cmp_lt_i32 s0, 24
	s_cbranch_scc1 .LBB63_1683
; %bb.1674:
	s_cmp_gt_i32 s0, 24
	s_cbranch_scc0 .LBB63_1684
; %bb.1675:
	global_load_u8 v3, v[22:23], off
	s_mov_b32 s10, exec_lo
	s_wait_loadcnt 0x0
	v_cmpx_lt_i16_e32 0x7f, v3
	s_xor_b32 s10, exec_lo, s10
	s_cbranch_execz .LBB63_1695
; %bb.1676:
	v_cmp_ne_u16_e32 vcc_lo, 0x80, v3
	s_and_b32 s12, vcc_lo, exec_lo
	s_and_not1_saveexec_b32 s10, s10
	s_cbranch_execnz .LBB63_1696
.LBB63_1677:
	s_or_b32 exec_lo, exec_lo, s10
	v_mov_b32_e32 v1, 0
	s_and_saveexec_b32 s10, s12
	s_cbranch_execz .LBB63_1679
.LBB63_1678:
	v_and_b32_e32 v1, 0xffff, v3
	s_delay_alu instid0(VALU_DEP_1) | instskip(SKIP_1) | instid1(VALU_DEP_2)
	v_and_b32_e32 v5, 3, v1
	v_bfe_u32 v11, v1, 2, 5
	v_clz_i32_u32_e32 v7, v5
	s_delay_alu instid0(VALU_DEP_2) | instskip(NEXT) | instid1(VALU_DEP_2)
	v_cmp_eq_u32_e32 vcc_lo, 0, v11
	v_min_u32_e32 v7, 32, v7
	s_delay_alu instid0(VALU_DEP_1) | instskip(NEXT) | instid1(VALU_DEP_1)
	v_subrev_nc_u32_e32 v9, 29, v7
	v_dual_lshlrev_b32 v1, v9, v1 :: v_dual_sub_nc_u32 v7, 30, v7
	s_delay_alu instid0(VALU_DEP_1) | instskip(NEXT) | instid1(VALU_DEP_1)
	v_dual_lshlrev_b32 v3, 24, v3 :: v_dual_bitop2_b32 v1, 3, v1 bitop3:0x40
	v_dual_cndmask_b32 v1, v5, v1, vcc_lo :: v_dual_cndmask_b32 v7, v11, v7, vcc_lo
	s_delay_alu instid0(VALU_DEP_2) | instskip(NEXT) | instid1(VALU_DEP_2)
	v_and_b32_e32 v3, 0x80000000, v3
	v_lshlrev_b32_e32 v1, 21, v1
	s_delay_alu instid0(VALU_DEP_3) | instskip(NEXT) | instid1(VALU_DEP_1)
	v_lshl_add_u32 v5, v7, 23, 0x37800000
	v_or3_b32 v1, v3, v5, v1
	s_delay_alu instid0(VALU_DEP_1)
	v_cvt_i32_f32_e32 v1, v1
.LBB63_1679:
	s_or_b32 exec_lo, exec_lo, s10
	s_mov_b32 s10, 0
	s_branch .LBB63_1685
.LBB63_1680:
                                        ; implicit-def: $vgpr1
	s_mov_b32 s12, 0
	s_branch .LBB63_1691
.LBB63_1681:
	s_and_not1_saveexec_b32 s10, s10
	s_cbranch_execz .LBB63_1667
.LBB63_1682:
	v_cmp_ne_u16_e32 vcc_lo, 0, v3
	s_and_not1_b32 s13, s13, exec_lo
	s_and_b32 s14, vcc_lo, exec_lo
	s_delay_alu instid0(SALU_CYCLE_1)
	s_or_b32 s13, s13, s14
	s_or_b32 exec_lo, exec_lo, s10
	v_mov_b32_e32 v1, 0
	s_and_saveexec_b32 s10, s13
	s_cbranch_execnz .LBB63_1668
	s_branch .LBB63_1669
.LBB63_1683:
	s_mov_b32 s10, -1
                                        ; implicit-def: $vgpr1
	s_branch .LBB63_1688
.LBB63_1684:
	s_mov_b32 s10, -1
                                        ; implicit-def: $vgpr1
.LBB63_1685:
	s_delay_alu instid0(SALU_CYCLE_1)
	s_and_b32 vcc_lo, exec_lo, s10
	s_cbranch_vccz .LBB63_1687
; %bb.1686:
	s_wait_loadcnt 0x0
	global_load_u8 v1, v[22:23], off
	s_wait_loadcnt 0x0
	v_lshlrev_b32_e32 v1, 24, v1
	s_delay_alu instid0(VALU_DEP_1) | instskip(NEXT) | instid1(VALU_DEP_1)
	v_and_b32_e32 v3, 0x7f000000, v1
	v_clz_i32_u32_e32 v5, v3
	v_add_nc_u32_e32 v9, 0x1000000, v3
	v_cmp_ne_u32_e32 vcc_lo, 0, v3
	s_delay_alu instid0(VALU_DEP_3) | instskip(NEXT) | instid1(VALU_DEP_1)
	v_min_u32_e32 v5, 32, v5
	v_sub_nc_u32_e64 v5, v5, 4 clamp
	s_delay_alu instid0(VALU_DEP_1) | instskip(NEXT) | instid1(VALU_DEP_1)
	v_dual_lshlrev_b32 v7, v5, v3 :: v_dual_lshlrev_b32 v5, 23, v5
	v_lshrrev_b32_e32 v7, 4, v7
	s_delay_alu instid0(VALU_DEP_1) | instskip(SKIP_1) | instid1(VALU_DEP_2)
	v_sub_nc_u32_e32 v5, v7, v5
	v_ashrrev_i32_e32 v7, 8, v9
	v_add_nc_u32_e32 v5, 0x3c000000, v5
	s_delay_alu instid0(VALU_DEP_1) | instskip(NEXT) | instid1(VALU_DEP_1)
	v_and_or_b32 v5, 0x7f800000, v7, v5
	v_cndmask_b32_e32 v3, 0, v5, vcc_lo
	s_delay_alu instid0(VALU_DEP_1) | instskip(NEXT) | instid1(VALU_DEP_1)
	v_and_or_b32 v1, 0x80000000, v1, v3
	v_cvt_i32_f32_e32 v1, v1
.LBB63_1687:
	s_mov_b32 s10, 0
.LBB63_1688:
	s_delay_alu instid0(SALU_CYCLE_1)
	s_and_not1_b32 vcc_lo, exec_lo, s10
	s_cbranch_vccnz .LBB63_1690
; %bb.1689:
	s_wait_loadcnt 0x0
	global_load_u8 v1, v[22:23], off
	s_wait_loadcnt 0x0
	v_lshlrev_b32_e32 v3, 25, v1
	v_lshlrev_b16 v1, 8, v1
	s_delay_alu instid0(VALU_DEP_1) | instskip(SKIP_1) | instid1(VALU_DEP_2)
	v_and_or_b32 v7, 0x7f00, v1, 0.5
	v_bfe_i32 v1, v1, 0, 16
	v_add_f32_e32 v7, -0.5, v7
	v_lshrrev_b32_e32 v5, 4, v3
	v_cmp_gt_u32_e32 vcc_lo, 0x8000000, v3
	s_delay_alu instid0(VALU_DEP_2) | instskip(NEXT) | instid1(VALU_DEP_1)
	v_or_b32_e32 v5, 0x70000000, v5
	v_mul_f32_e32 v5, 0x7800000, v5
	s_delay_alu instid0(VALU_DEP_1) | instskip(NEXT) | instid1(VALU_DEP_1)
	v_cndmask_b32_e32 v3, v5, v7, vcc_lo
	v_and_or_b32 v1, 0x80000000, v1, v3
	s_delay_alu instid0(VALU_DEP_1)
	v_cvt_i32_f32_e32 v1, v1
.LBB63_1690:
	s_mov_b32 s13, -1
	s_mov_b32 s12, 0
	s_cbranch_execnz .LBB63_1701
.LBB63_1691:
	s_cmp_gt_i32 s0, 14
	s_cbranch_scc0 .LBB63_1694
; %bb.1692:
	s_cmp_eq_u32 s0, 15
	s_cbranch_scc0 .LBB63_1697
; %bb.1693:
	s_wait_loadcnt 0x0
	global_load_u16 v1, v[22:23], off
	s_mov_b32 s1, 0
	s_mov_b32 s13, -1
	s_wait_loadcnt 0x0
	v_lshlrev_b32_e32 v1, 16, v1
	s_delay_alu instid0(VALU_DEP_1)
	v_cvt_i32_f32_e32 v1, v1
	s_branch .LBB63_1698
.LBB63_1694:
	s_mov_b32 s10, -1
                                        ; implicit-def: $vgpr1
	s_branch .LBB63_1699
.LBB63_1695:
	s_and_not1_saveexec_b32 s10, s10
	s_cbranch_execz .LBB63_1677
.LBB63_1696:
	v_cmp_ne_u16_e32 vcc_lo, 0, v3
	s_and_not1_b32 s12, s12, exec_lo
	s_and_b32 s13, vcc_lo, exec_lo
	s_delay_alu instid0(SALU_CYCLE_1)
	s_or_b32 s12, s12, s13
	s_or_b32 exec_lo, exec_lo, s10
	v_mov_b32_e32 v1, 0
	s_and_saveexec_b32 s10, s12
	s_cbranch_execnz .LBB63_1678
	s_branch .LBB63_1679
.LBB63_1697:
	s_mov_b32 s1, -1
                                        ; implicit-def: $vgpr1
.LBB63_1698:
	s_mov_b32 s10, 0
.LBB63_1699:
	s_delay_alu instid0(SALU_CYCLE_1)
	s_and_b32 vcc_lo, exec_lo, s10
	s_cbranch_vccz .LBB63_1701
; %bb.1700:
	s_cmp_lg_u32 s0, 11
	s_mov_b32 s12, -1
	s_cselect_b32 s1, -1, 0
.LBB63_1701:
	s_delay_alu instid0(SALU_CYCLE_1)
	s_and_b32 vcc_lo, exec_lo, s1
	s_mov_b32 s10, s8
	s_cbranch_vccnz .LBB63_1762
; %bb.1702:
	s_and_not1_b32 vcc_lo, exec_lo, s12
	s_cbranch_vccnz .LBB63_1704
.LBB63_1703:
	s_wait_loadcnt 0x0
	global_load_u8 v1, v[22:23], off
	s_mov_b32 s13, -1
	s_wait_loadcnt 0x0
	v_cmp_ne_u16_e32 vcc_lo, 0, v1
	v_cndmask_b32_e64 v1, 0, 1, vcc_lo
.LBB63_1704:
	s_branch .LBB63_1638
.LBB63_1705:
	s_and_b32 s0, 0xffff, s11
	s_delay_alu instid0(SALU_CYCLE_1)
	s_cmp_lt_i32 s0, 5
	s_cbranch_scc1 .LBB63_1710
; %bb.1706:
	s_cmp_lt_i32 s0, 8
	s_cbranch_scc1 .LBB63_1711
; %bb.1707:
	;; [unrolled: 3-line block ×3, first 2 shown]
	s_cmp_gt_i32 s0, 9
	s_cbranch_scc0 .LBB63_1713
; %bb.1709:
	global_load_b64 v[24:25], v[22:23], off
	s_mov_b32 s1, 0
	s_wait_loadcnt 0x0
	v_cvt_i32_f64_e32 v1, v[24:25]
	s_branch .LBB63_1714
.LBB63_1710:
                                        ; implicit-def: $vgpr1
	s_branch .LBB63_1731
.LBB63_1711:
                                        ; implicit-def: $vgpr1
	s_branch .LBB63_1720
.LBB63_1712:
	s_mov_b32 s1, -1
                                        ; implicit-def: $vgpr1
	s_branch .LBB63_1717
.LBB63_1713:
	s_mov_b32 s1, -1
                                        ; implicit-def: $vgpr1
.LBB63_1714:
	s_delay_alu instid0(SALU_CYCLE_1)
	s_and_not1_b32 vcc_lo, exec_lo, s1
	s_cbranch_vccnz .LBB63_1716
; %bb.1715:
	s_wait_loadcnt 0x0
	global_load_b32 v1, v[22:23], off
	s_wait_loadcnt 0x0
	v_cvt_i32_f32_e32 v1, v1
.LBB63_1716:
	s_mov_b32 s1, 0
.LBB63_1717:
	s_delay_alu instid0(SALU_CYCLE_1)
	s_and_not1_b32 vcc_lo, exec_lo, s1
	s_cbranch_vccnz .LBB63_1719
; %bb.1718:
	s_wait_loadcnt 0x0
	global_load_b32 v1, v[22:23], off
	s_wait_loadcnt 0x0
	v_cvt_f32_f16_e32 v1, v1
	s_delay_alu instid0(VALU_DEP_1)
	v_cvt_i32_f32_e32 v1, v1
.LBB63_1719:
	s_cbranch_execnz .LBB63_1730
.LBB63_1720:
	s_cmp_lt_i32 s0, 6
	s_cbranch_scc1 .LBB63_1723
; %bb.1721:
	s_cmp_gt_i32 s0, 6
	s_cbranch_scc0 .LBB63_1724
; %bb.1722:
	global_load_b64 v[24:25], v[22:23], off
	s_mov_b32 s1, 0
	s_wait_loadcnt 0x0
	v_cvt_i32_f64_e32 v1, v[24:25]
	s_branch .LBB63_1725
.LBB63_1723:
	s_mov_b32 s1, -1
                                        ; implicit-def: $vgpr1
	s_branch .LBB63_1728
.LBB63_1724:
	s_mov_b32 s1, -1
                                        ; implicit-def: $vgpr1
.LBB63_1725:
	s_delay_alu instid0(SALU_CYCLE_1)
	s_and_not1_b32 vcc_lo, exec_lo, s1
	s_cbranch_vccnz .LBB63_1727
; %bb.1726:
	s_wait_loadcnt 0x0
	global_load_b32 v1, v[22:23], off
	s_wait_loadcnt 0x0
	v_cvt_i32_f32_e32 v1, v1
.LBB63_1727:
	s_mov_b32 s1, 0
.LBB63_1728:
	s_delay_alu instid0(SALU_CYCLE_1)
	s_and_not1_b32 vcc_lo, exec_lo, s1
	s_cbranch_vccnz .LBB63_1730
; %bb.1729:
	s_wait_loadcnt 0x0
	global_load_u16 v1, v[22:23], off
	s_wait_loadcnt 0x0
	v_cvt_f32_f16_e32 v1, v1
	s_delay_alu instid0(VALU_DEP_1)
	v_cvt_i32_f32_e32 v1, v1
.LBB63_1730:
	s_cbranch_execnz .LBB63_1749
.LBB63_1731:
	s_cmp_lt_i32 s0, 2
	s_cbranch_scc1 .LBB63_1735
; %bb.1732:
	s_cmp_lt_i32 s0, 3
	s_cbranch_scc1 .LBB63_1736
; %bb.1733:
	s_cmp_gt_i32 s0, 3
	s_cbranch_scc0 .LBB63_1737
; %bb.1734:
	s_wait_loadcnt 0x0
	global_load_b32 v1, v[22:23], off
	s_mov_b32 s1, 0
	s_branch .LBB63_1738
.LBB63_1735:
                                        ; implicit-def: $vgpr1
	s_branch .LBB63_1744
.LBB63_1736:
	s_mov_b32 s1, -1
                                        ; implicit-def: $vgpr1
	s_branch .LBB63_1741
.LBB63_1737:
	s_mov_b32 s1, -1
                                        ; implicit-def: $vgpr1
.LBB63_1738:
	s_delay_alu instid0(SALU_CYCLE_1)
	s_and_not1_b32 vcc_lo, exec_lo, s1
	s_cbranch_vccnz .LBB63_1740
; %bb.1739:
	s_wait_loadcnt 0x0
	global_load_b32 v1, v[22:23], off
.LBB63_1740:
	s_mov_b32 s1, 0
.LBB63_1741:
	s_delay_alu instid0(SALU_CYCLE_1)
	s_and_not1_b32 vcc_lo, exec_lo, s1
	s_cbranch_vccnz .LBB63_1743
; %bb.1742:
	s_wait_loadcnt 0x0
	global_load_i16 v1, v[22:23], off
.LBB63_1743:
	s_cbranch_execnz .LBB63_1749
.LBB63_1744:
	s_cmp_gt_i32 s0, 0
	s_mov_b32 s0, 0
	s_cbranch_scc0 .LBB63_1746
; %bb.1745:
	s_wait_loadcnt 0x0
	global_load_i8 v1, v[22:23], off
	s_branch .LBB63_1747
.LBB63_1746:
	s_mov_b32 s0, -1
                                        ; implicit-def: $vgpr1
.LBB63_1747:
	s_delay_alu instid0(SALU_CYCLE_1)
	s_and_not1_b32 vcc_lo, exec_lo, s0
	s_cbranch_vccnz .LBB63_1749
; %bb.1748:
	s_wait_loadcnt 0x0
	global_load_u8 v1, v[22:23], off
.LBB63_1749:
.LBB63_1750:
	v_mov_b32_e32 v11, 0
	s_load_b64 s[0:1], s[2:3], 0x198
	global_load_u8 v3, v11, s[2:3] offset:419
	s_wait_kmcnt 0x0
	v_add_nc_u64_e32 v[10:11], s[0:1], v[10:11]
	s_wait_loadcnt 0x0
	v_and_b32_e32 v5, 0xffff, v3
	v_readfirstlane_b32 s12, v3
	s_delay_alu instid0(VALU_DEP_2)
	v_cmp_gt_i32_e32 vcc_lo, 11, v5
	s_cbranch_vccnz .LBB63_1757
; %bb.1751:
	s_and_b32 s13, 0xffff, s12
	s_mov_b32 s15, 0
	s_cmp_gt_i32 s13, 25
	s_cbranch_scc0 .LBB63_1759
; %bb.1752:
	s_cmp_gt_i32 s13, 28
	s_cbranch_scc0 .LBB63_1760
; %bb.1753:
	;; [unrolled: 3-line block ×4, first 2 shown]
	s_cmp_eq_u32 s13, 46
	s_mov_b32 s17, 0
	s_cbranch_scc0 .LBB63_1766
; %bb.1756:
	global_load_b32 v3, v[10:11], off
	s_mov_b32 s14, 0
	s_mov_b32 s16, -1
	s_wait_loadcnt 0x0
	v_lshlrev_b32_e32 v3, 16, v3
	s_delay_alu instid0(VALU_DEP_1)
	v_cvt_i32_f32_e32 v3, v3
	s_branch .LBB63_1768
.LBB63_1757:
	s_mov_b32 s16, 0
                                        ; implicit-def: $vgpr3
	s_cbranch_execnz .LBB63_1829
.LBB63_1758:
	s_and_not1_b32 vcc_lo, exec_lo, s16
	s_cbranch_vccnz .LBB63_2741
	s_branch .LBB63_1876
.LBB63_1759:
	s_mov_b32 s16, 0
	s_mov_b32 s14, 0
                                        ; implicit-def: $vgpr3
	s_cbranch_execnz .LBB63_1795
	s_branch .LBB63_1825
.LBB63_1760:
	s_mov_b32 s17, -1
	s_mov_b32 s16, 0
	s_mov_b32 s14, 0
                                        ; implicit-def: $vgpr3
	s_branch .LBB63_1778
.LBB63_1761:
	s_mov_b32 s17, -1
	s_mov_b32 s16, 0
	s_mov_b32 s14, 0
                                        ; implicit-def: $vgpr3
	s_branch .LBB63_1773
.LBB63_1762:
	s_or_b32 s10, s8, exec_lo
	s_trap 2
	s_cbranch_execz .LBB63_1703
	s_branch .LBB63_1704
.LBB63_1763:
	s_mov_b32 s17, -1
	s_mov_b32 s16, 0
	s_mov_b32 s14, 0
	s_branch .LBB63_1767
.LBB63_1764:
	s_and_not1_saveexec_b32 s10, s10
	s_cbranch_execz .LBB63_1510
.LBB63_1765:
	v_add_f32_e32 v1, 0x42800000, v2
	s_and_not1_b32 s9, s9, exec_lo
	s_delay_alu instid0(VALU_DEP_1) | instskip(NEXT) | instid1(VALU_DEP_1)
	v_and_b32_e32 v1, 0xff, v1
	v_cmp_ne_u32_e32 vcc_lo, 0, v1
	s_and_b32 s11, vcc_lo, exec_lo
	s_delay_alu instid0(SALU_CYCLE_1)
	s_or_b32 s9, s9, s11
	s_or_b32 exec_lo, exec_lo, s10
	v_mov_b32_e32 v3, 0
	s_and_saveexec_b32 s10, s9
	s_cbranch_execnz .LBB63_1511
	s_branch .LBB63_1512
.LBB63_1766:
	s_mov_b32 s14, -1
	s_mov_b32 s16, 0
.LBB63_1767:
                                        ; implicit-def: $vgpr3
.LBB63_1768:
	s_and_b32 vcc_lo, exec_lo, s17
	s_cbranch_vccz .LBB63_1772
; %bb.1769:
	s_cmp_eq_u32 s13, 44
	s_cbranch_scc0 .LBB63_1771
; %bb.1770:
	global_load_u8 v3, v[10:11], off
	s_mov_b32 s14, 0
	s_mov_b32 s16, -1
	s_wait_loadcnt 0x0
	v_lshlrev_b32_e32 v5, 23, v3
	v_cmp_ne_u32_e32 vcc_lo, 0, v3
	s_delay_alu instid0(VALU_DEP_2) | instskip(NEXT) | instid1(VALU_DEP_1)
	v_cvt_i32_f32_e32 v5, v5
	v_cndmask_b32_e32 v3, 0, v5, vcc_lo
	s_branch .LBB63_1772
.LBB63_1771:
	s_mov_b32 s14, -1
                                        ; implicit-def: $vgpr3
.LBB63_1772:
	s_mov_b32 s17, 0
.LBB63_1773:
	s_delay_alu instid0(SALU_CYCLE_1)
	s_and_b32 vcc_lo, exec_lo, s17
	s_cbranch_vccz .LBB63_1777
; %bb.1774:
	s_cmp_eq_u32 s13, 29
	s_cbranch_scc0 .LBB63_1776
; %bb.1775:
	global_load_b32 v3, v[10:11], off
	s_mov_b32 s14, 0
	s_mov_b32 s16, -1
	s_branch .LBB63_1777
.LBB63_1776:
	s_mov_b32 s14, -1
                                        ; implicit-def: $vgpr3
.LBB63_1777:
	s_mov_b32 s17, 0
.LBB63_1778:
	s_delay_alu instid0(SALU_CYCLE_1)
	s_and_b32 vcc_lo, exec_lo, s17
	s_cbranch_vccz .LBB63_1794
; %bb.1779:
	s_cmp_lt_i32 s13, 27
	s_cbranch_scc1 .LBB63_1782
; %bb.1780:
	s_cmp_gt_i32 s13, 27
	s_cbranch_scc0 .LBB63_1783
; %bb.1781:
	s_wait_loadcnt 0x0
	global_load_b32 v3, v[10:11], off
	s_mov_b32 s16, 0
	s_branch .LBB63_1784
.LBB63_1782:
	s_mov_b32 s16, -1
                                        ; implicit-def: $vgpr3
	s_branch .LBB63_1787
.LBB63_1783:
	s_mov_b32 s16, -1
                                        ; implicit-def: $vgpr3
.LBB63_1784:
	s_delay_alu instid0(SALU_CYCLE_1)
	s_and_not1_b32 vcc_lo, exec_lo, s16
	s_cbranch_vccnz .LBB63_1786
; %bb.1785:
	s_wait_loadcnt 0x0
	global_load_u16 v3, v[10:11], off
.LBB63_1786:
	s_mov_b32 s16, 0
.LBB63_1787:
	s_delay_alu instid0(SALU_CYCLE_1)
	s_and_not1_b32 vcc_lo, exec_lo, s16
	s_cbranch_vccnz .LBB63_1793
; %bb.1788:
	global_load_u8 v5, v[10:11], off
	s_mov_b32 s17, 0
	s_mov_b32 s16, exec_lo
	s_wait_loadcnt 0x0
	v_cmpx_lt_i16_e32 0x7f, v5
	s_xor_b32 s16, exec_lo, s16
	s_cbranch_execz .LBB63_1804
; %bb.1789:
	v_cmp_ne_u16_e32 vcc_lo, 0x80, v5
	s_and_b32 s17, vcc_lo, exec_lo
	s_and_not1_saveexec_b32 s16, s16
	s_cbranch_execnz .LBB63_1805
.LBB63_1790:
	s_or_b32 exec_lo, exec_lo, s16
	v_mov_b32_e32 v3, 0
	s_and_saveexec_b32 s16, s17
	s_cbranch_execz .LBB63_1792
.LBB63_1791:
	v_and_b32_e32 v3, 0xffff, v5
	s_delay_alu instid0(VALU_DEP_1) | instskip(SKIP_1) | instid1(VALU_DEP_2)
	v_and_b32_e32 v7, 7, v3
	v_bfe_u32 v15, v3, 3, 4
	v_clz_i32_u32_e32 v9, v7
	s_delay_alu instid0(VALU_DEP_2) | instskip(NEXT) | instid1(VALU_DEP_2)
	v_cmp_eq_u32_e32 vcc_lo, 0, v15
	v_min_u32_e32 v9, 32, v9
	s_delay_alu instid0(VALU_DEP_1) | instskip(NEXT) | instid1(VALU_DEP_1)
	v_subrev_nc_u32_e32 v13, 28, v9
	v_dual_lshlrev_b32 v3, v13, v3 :: v_dual_sub_nc_u32 v9, 29, v9
	s_delay_alu instid0(VALU_DEP_1) | instskip(NEXT) | instid1(VALU_DEP_1)
	v_dual_lshlrev_b32 v5, 24, v5 :: v_dual_bitop2_b32 v3, 7, v3 bitop3:0x40
	v_cndmask_b32_e32 v3, v7, v3, vcc_lo
	s_delay_alu instid0(VALU_DEP_3) | instskip(NEXT) | instid1(VALU_DEP_3)
	v_cndmask_b32_e32 v9, v15, v9, vcc_lo
	v_and_b32_e32 v5, 0x80000000, v5
	s_delay_alu instid0(VALU_DEP_3) | instskip(NEXT) | instid1(VALU_DEP_3)
	v_lshlrev_b32_e32 v3, 20, v3
	v_lshl_add_u32 v7, v9, 23, 0x3b800000
	s_delay_alu instid0(VALU_DEP_1) | instskip(NEXT) | instid1(VALU_DEP_1)
	v_or3_b32 v3, v5, v7, v3
	v_cvt_i32_f32_e32 v3, v3
.LBB63_1792:
	s_or_b32 exec_lo, exec_lo, s16
.LBB63_1793:
	s_mov_b32 s16, -1
.LBB63_1794:
	s_branch .LBB63_1825
.LBB63_1795:
	s_cmp_gt_i32 s13, 22
	s_cbranch_scc0 .LBB63_1803
; %bb.1796:
	s_cmp_lt_i32 s13, 24
	s_cbranch_scc1 .LBB63_1806
; %bb.1797:
	s_cmp_gt_i32 s13, 24
	s_cbranch_scc0 .LBB63_1807
; %bb.1798:
	global_load_u8 v5, v[10:11], off
	s_mov_b32 s16, 0
	s_mov_b32 s15, exec_lo
	s_wait_loadcnt 0x0
	v_cmpx_lt_i16_e32 0x7f, v5
	s_xor_b32 s15, exec_lo, s15
	s_cbranch_execz .LBB63_1819
; %bb.1799:
	v_cmp_ne_u16_e32 vcc_lo, 0x80, v5
	s_and_b32 s16, vcc_lo, exec_lo
	s_and_not1_saveexec_b32 s15, s15
	s_cbranch_execnz .LBB63_1820
.LBB63_1800:
	s_or_b32 exec_lo, exec_lo, s15
	v_mov_b32_e32 v3, 0
	s_and_saveexec_b32 s15, s16
	s_cbranch_execz .LBB63_1802
.LBB63_1801:
	v_and_b32_e32 v3, 0xffff, v5
	s_delay_alu instid0(VALU_DEP_1) | instskip(SKIP_1) | instid1(VALU_DEP_2)
	v_and_b32_e32 v7, 3, v3
	v_bfe_u32 v15, v3, 2, 5
	v_clz_i32_u32_e32 v9, v7
	s_delay_alu instid0(VALU_DEP_2) | instskip(NEXT) | instid1(VALU_DEP_2)
	v_cmp_eq_u32_e32 vcc_lo, 0, v15
	v_min_u32_e32 v9, 32, v9
	s_delay_alu instid0(VALU_DEP_1) | instskip(NEXT) | instid1(VALU_DEP_1)
	v_subrev_nc_u32_e32 v13, 29, v9
	v_dual_lshlrev_b32 v3, v13, v3 :: v_dual_sub_nc_u32 v9, 30, v9
	s_delay_alu instid0(VALU_DEP_1) | instskip(NEXT) | instid1(VALU_DEP_1)
	v_dual_lshlrev_b32 v5, 24, v5 :: v_dual_bitop2_b32 v3, 3, v3 bitop3:0x40
	v_cndmask_b32_e32 v3, v7, v3, vcc_lo
	s_delay_alu instid0(VALU_DEP_3) | instskip(NEXT) | instid1(VALU_DEP_3)
	v_cndmask_b32_e32 v9, v15, v9, vcc_lo
	v_and_b32_e32 v5, 0x80000000, v5
	s_delay_alu instid0(VALU_DEP_3) | instskip(NEXT) | instid1(VALU_DEP_3)
	v_lshlrev_b32_e32 v3, 21, v3
	v_lshl_add_u32 v7, v9, 23, 0x37800000
	s_delay_alu instid0(VALU_DEP_1) | instskip(NEXT) | instid1(VALU_DEP_1)
	v_or3_b32 v3, v5, v7, v3
	v_cvt_i32_f32_e32 v3, v3
.LBB63_1802:
	s_or_b32 exec_lo, exec_lo, s15
	s_mov_b32 s15, 0
	s_branch .LBB63_1808
.LBB63_1803:
	s_mov_b32 s15, -1
                                        ; implicit-def: $vgpr3
	s_branch .LBB63_1814
.LBB63_1804:
	s_and_not1_saveexec_b32 s16, s16
	s_cbranch_execz .LBB63_1790
.LBB63_1805:
	v_cmp_ne_u16_e32 vcc_lo, 0, v5
	s_and_not1_b32 s17, s17, exec_lo
	s_and_b32 s18, vcc_lo, exec_lo
	s_delay_alu instid0(SALU_CYCLE_1)
	s_or_b32 s17, s17, s18
	s_or_b32 exec_lo, exec_lo, s16
	v_mov_b32_e32 v3, 0
	s_and_saveexec_b32 s16, s17
	s_cbranch_execnz .LBB63_1791
	s_branch .LBB63_1792
.LBB63_1806:
	s_mov_b32 s15, -1
                                        ; implicit-def: $vgpr3
	s_branch .LBB63_1811
.LBB63_1807:
	s_mov_b32 s15, -1
                                        ; implicit-def: $vgpr3
.LBB63_1808:
	s_delay_alu instid0(SALU_CYCLE_1)
	s_and_b32 vcc_lo, exec_lo, s15
	s_cbranch_vccz .LBB63_1810
; %bb.1809:
	s_wait_loadcnt 0x0
	global_load_u8 v3, v[10:11], off
	s_wait_loadcnt 0x0
	v_lshlrev_b32_e32 v3, 24, v3
	s_delay_alu instid0(VALU_DEP_1) | instskip(NEXT) | instid1(VALU_DEP_1)
	v_and_b32_e32 v5, 0x7f000000, v3
	v_clz_i32_u32_e32 v7, v5
	v_add_nc_u32_e32 v13, 0x1000000, v5
	v_cmp_ne_u32_e32 vcc_lo, 0, v5
	s_delay_alu instid0(VALU_DEP_3) | instskip(NEXT) | instid1(VALU_DEP_1)
	v_min_u32_e32 v7, 32, v7
	v_sub_nc_u32_e64 v7, v7, 4 clamp
	s_delay_alu instid0(VALU_DEP_1) | instskip(NEXT) | instid1(VALU_DEP_1)
	v_dual_lshlrev_b32 v9, v7, v5 :: v_dual_lshlrev_b32 v7, 23, v7
	v_lshrrev_b32_e32 v9, 4, v9
	s_delay_alu instid0(VALU_DEP_1) | instskip(NEXT) | instid1(VALU_DEP_1)
	v_dual_sub_nc_u32 v7, v9, v7 :: v_dual_ashrrev_i32 v9, 8, v13
	v_add_nc_u32_e32 v7, 0x3c000000, v7
	s_delay_alu instid0(VALU_DEP_1) | instskip(NEXT) | instid1(VALU_DEP_1)
	v_and_or_b32 v7, 0x7f800000, v9, v7
	v_cndmask_b32_e32 v5, 0, v7, vcc_lo
	s_delay_alu instid0(VALU_DEP_1) | instskip(NEXT) | instid1(VALU_DEP_1)
	v_and_or_b32 v3, 0x80000000, v3, v5
	v_cvt_i32_f32_e32 v3, v3
.LBB63_1810:
	s_mov_b32 s15, 0
.LBB63_1811:
	s_delay_alu instid0(SALU_CYCLE_1)
	s_and_not1_b32 vcc_lo, exec_lo, s15
	s_cbranch_vccnz .LBB63_1813
; %bb.1812:
	s_wait_loadcnt 0x0
	global_load_u8 v3, v[10:11], off
	s_wait_loadcnt 0x0
	v_lshlrev_b32_e32 v5, 25, v3
	v_lshlrev_b16 v3, 8, v3
	s_delay_alu instid0(VALU_DEP_1) | instskip(SKIP_1) | instid1(VALU_DEP_2)
	v_and_or_b32 v9, 0x7f00, v3, 0.5
	v_bfe_i32 v3, v3, 0, 16
	v_add_f32_e32 v9, -0.5, v9
	v_lshrrev_b32_e32 v7, 4, v5
	v_cmp_gt_u32_e32 vcc_lo, 0x8000000, v5
	s_delay_alu instid0(VALU_DEP_2) | instskip(NEXT) | instid1(VALU_DEP_1)
	v_or_b32_e32 v7, 0x70000000, v7
	v_mul_f32_e32 v7, 0x7800000, v7
	s_delay_alu instid0(VALU_DEP_1) | instskip(NEXT) | instid1(VALU_DEP_1)
	v_cndmask_b32_e32 v5, v7, v9, vcc_lo
	v_and_or_b32 v3, 0x80000000, v3, v5
	s_delay_alu instid0(VALU_DEP_1)
	v_cvt_i32_f32_e32 v3, v3
.LBB63_1813:
	s_mov_b32 s15, 0
	s_mov_b32 s16, -1
.LBB63_1814:
	s_and_not1_b32 vcc_lo, exec_lo, s15
	s_mov_b32 s15, 0
	s_cbranch_vccnz .LBB63_1825
; %bb.1815:
	s_cmp_gt_i32 s13, 14
	s_cbranch_scc0 .LBB63_1818
; %bb.1816:
	s_cmp_eq_u32 s13, 15
	s_cbranch_scc0 .LBB63_1821
; %bb.1817:
	s_wait_loadcnt 0x0
	global_load_u16 v3, v[10:11], off
	s_mov_b32 s14, 0
	s_mov_b32 s16, -1
	s_wait_loadcnt 0x0
	v_lshlrev_b32_e32 v3, 16, v3
	s_delay_alu instid0(VALU_DEP_1)
	v_cvt_i32_f32_e32 v3, v3
	s_branch .LBB63_1823
.LBB63_1818:
	s_mov_b32 s15, -1
	s_branch .LBB63_1822
.LBB63_1819:
	s_and_not1_saveexec_b32 s15, s15
	s_cbranch_execz .LBB63_1800
.LBB63_1820:
	v_cmp_ne_u16_e32 vcc_lo, 0, v5
	s_and_not1_b32 s16, s16, exec_lo
	s_and_b32 s17, vcc_lo, exec_lo
	s_delay_alu instid0(SALU_CYCLE_1)
	s_or_b32 s16, s16, s17
	s_or_b32 exec_lo, exec_lo, s15
	v_mov_b32_e32 v3, 0
	s_and_saveexec_b32 s15, s16
	s_cbranch_execnz .LBB63_1801
	s_branch .LBB63_1802
.LBB63_1821:
	s_mov_b32 s14, -1
.LBB63_1822:
                                        ; implicit-def: $vgpr3
.LBB63_1823:
	s_and_b32 vcc_lo, exec_lo, s15
	s_mov_b32 s15, 0
	s_cbranch_vccz .LBB63_1825
; %bb.1824:
	s_cmp_lg_u32 s13, 11
	s_mov_b32 s15, -1
	s_cselect_b32 s14, -1, 0
.LBB63_1825:
	s_delay_alu instid0(SALU_CYCLE_1)
	s_and_b32 vcc_lo, exec_lo, s14
	s_cbranch_vccnz .LBB63_1894
; %bb.1826:
	s_and_not1_b32 vcc_lo, exec_lo, s15
	s_cbranch_vccnz .LBB63_1828
.LBB63_1827:
	s_wait_loadcnt 0x0
	global_load_u8 v3, v[10:11], off
	s_mov_b32 s16, -1
	s_wait_loadcnt 0x0
	v_cmp_ne_u16_e32 vcc_lo, 0, v3
	v_cndmask_b32_e64 v3, 0, 1, vcc_lo
.LBB63_1828:
	s_branch .LBB63_1758
.LBB63_1829:
	s_and_b32 s13, 0xffff, s12
	s_delay_alu instid0(SALU_CYCLE_1)
	s_cmp_lt_i32 s13, 5
	s_cbranch_scc1 .LBB63_1834
; %bb.1830:
	s_cmp_lt_i32 s13, 8
	s_cbranch_scc1 .LBB63_1835
; %bb.1831:
	;; [unrolled: 3-line block ×3, first 2 shown]
	s_cmp_gt_i32 s13, 9
	s_cbranch_scc0 .LBB63_1837
; %bb.1833:
	global_load_b64 v[22:23], v[10:11], off
	s_mov_b32 s14, 0
	s_wait_loadcnt 0x0
	v_cvt_i32_f64_e32 v3, v[22:23]
	s_branch .LBB63_1838
.LBB63_1834:
                                        ; implicit-def: $vgpr3
	s_branch .LBB63_1856
.LBB63_1835:
	s_mov_b32 s14, -1
                                        ; implicit-def: $vgpr3
	s_branch .LBB63_1844
.LBB63_1836:
	s_mov_b32 s14, -1
                                        ; implicit-def: $vgpr3
	s_branch .LBB63_1841
.LBB63_1837:
	s_mov_b32 s14, -1
                                        ; implicit-def: $vgpr3
.LBB63_1838:
	s_delay_alu instid0(SALU_CYCLE_1)
	s_and_not1_b32 vcc_lo, exec_lo, s14
	s_cbranch_vccnz .LBB63_1840
; %bb.1839:
	s_wait_loadcnt 0x0
	global_load_b32 v3, v[10:11], off
	s_wait_loadcnt 0x0
	v_cvt_i32_f32_e32 v3, v3
.LBB63_1840:
	s_mov_b32 s14, 0
.LBB63_1841:
	s_delay_alu instid0(SALU_CYCLE_1)
	s_and_not1_b32 vcc_lo, exec_lo, s14
	s_cbranch_vccnz .LBB63_1843
; %bb.1842:
	s_wait_loadcnt 0x0
	global_load_b32 v3, v[10:11], off
	s_wait_loadcnt 0x0
	v_cvt_f32_f16_e32 v3, v3
	s_delay_alu instid0(VALU_DEP_1)
	v_cvt_i32_f32_e32 v3, v3
.LBB63_1843:
	s_mov_b32 s14, 0
.LBB63_1844:
	s_delay_alu instid0(SALU_CYCLE_1)
	s_and_not1_b32 vcc_lo, exec_lo, s14
	s_cbranch_vccnz .LBB63_1855
; %bb.1845:
	s_cmp_lt_i32 s13, 6
	s_cbranch_scc1 .LBB63_1848
; %bb.1846:
	s_cmp_gt_i32 s13, 6
	s_cbranch_scc0 .LBB63_1849
; %bb.1847:
	global_load_b64 v[22:23], v[10:11], off
	s_mov_b32 s14, 0
	s_wait_loadcnt 0x0
	v_cvt_i32_f64_e32 v3, v[22:23]
	s_branch .LBB63_1850
.LBB63_1848:
	s_mov_b32 s14, -1
                                        ; implicit-def: $vgpr3
	s_branch .LBB63_1853
.LBB63_1849:
	s_mov_b32 s14, -1
                                        ; implicit-def: $vgpr3
.LBB63_1850:
	s_delay_alu instid0(SALU_CYCLE_1)
	s_and_not1_b32 vcc_lo, exec_lo, s14
	s_cbranch_vccnz .LBB63_1852
; %bb.1851:
	s_wait_loadcnt 0x0
	global_load_b32 v3, v[10:11], off
	s_wait_loadcnt 0x0
	v_cvt_i32_f32_e32 v3, v3
.LBB63_1852:
	s_mov_b32 s14, 0
.LBB63_1853:
	s_delay_alu instid0(SALU_CYCLE_1)
	s_and_not1_b32 vcc_lo, exec_lo, s14
	s_cbranch_vccnz .LBB63_1855
; %bb.1854:
	s_wait_loadcnt 0x0
	global_load_u16 v3, v[10:11], off
	s_wait_loadcnt 0x0
	v_cvt_f32_f16_e32 v3, v3
	s_delay_alu instid0(VALU_DEP_1)
	v_cvt_i32_f32_e32 v3, v3
.LBB63_1855:
	s_cbranch_execnz .LBB63_1875
.LBB63_1856:
	s_cmp_lt_i32 s13, 2
	s_cbranch_scc1 .LBB63_1860
; %bb.1857:
	s_cmp_lt_i32 s13, 3
	s_cbranch_scc1 .LBB63_1861
; %bb.1858:
	s_cmp_gt_i32 s13, 3
	s_cbranch_scc0 .LBB63_1862
; %bb.1859:
	s_wait_loadcnt 0x0
	global_load_b32 v3, v[10:11], off
	s_mov_b32 s14, 0
	s_branch .LBB63_1863
.LBB63_1860:
	s_mov_b32 s14, -1
                                        ; implicit-def: $vgpr3
	s_branch .LBB63_1869
.LBB63_1861:
	s_mov_b32 s14, -1
                                        ; implicit-def: $vgpr3
	s_branch .LBB63_1866
.LBB63_1862:
	s_mov_b32 s14, -1
                                        ; implicit-def: $vgpr3
.LBB63_1863:
	s_delay_alu instid0(SALU_CYCLE_1)
	s_and_not1_b32 vcc_lo, exec_lo, s14
	s_cbranch_vccnz .LBB63_1865
; %bb.1864:
	s_wait_loadcnt 0x0
	global_load_b32 v3, v[10:11], off
.LBB63_1865:
	s_mov_b32 s14, 0
.LBB63_1866:
	s_delay_alu instid0(SALU_CYCLE_1)
	s_and_not1_b32 vcc_lo, exec_lo, s14
	s_cbranch_vccnz .LBB63_1868
; %bb.1867:
	s_wait_loadcnt 0x0
	global_load_i16 v3, v[10:11], off
.LBB63_1868:
	s_mov_b32 s14, 0
.LBB63_1869:
	s_delay_alu instid0(SALU_CYCLE_1)
	s_and_not1_b32 vcc_lo, exec_lo, s14
	s_cbranch_vccnz .LBB63_1875
; %bb.1870:
	s_cmp_gt_i32 s13, 0
	s_mov_b32 s13, 0
	s_cbranch_scc0 .LBB63_1872
; %bb.1871:
	s_wait_loadcnt 0x0
	global_load_i8 v3, v[10:11], off
	s_branch .LBB63_1873
.LBB63_1872:
	s_mov_b32 s13, -1
                                        ; implicit-def: $vgpr3
.LBB63_1873:
	s_delay_alu instid0(SALU_CYCLE_1)
	s_and_not1_b32 vcc_lo, exec_lo, s13
	s_cbranch_vccnz .LBB63_1875
; %bb.1874:
	s_wait_loadcnt 0x0
	global_load_u8 v3, v[10:11], off
.LBB63_1875:
.LBB63_1876:
	s_wait_loadcnt 0x0
	s_delay_alu instid0(VALU_DEP_1) | instskip(SKIP_2) | instid1(VALU_DEP_1)
	v_sub_nc_u32_e32 v5, 0, v3
	s_mov_b32 s14, 0
	s_mov_b32 s13, exec_lo
	v_max_i32_e32 v5, v3, v5
	s_wait_xcnt 0x0
	v_cmpx_ne_u32_e32 0, v1
	s_cbranch_execz .LBB63_1880
; %bb.1877:
	v_sub_nc_u32_e32 v7, 0, v1
	s_delay_alu instid0(VALU_DEP_1)
	v_max_i32_e32 v9, v1, v7
.LBB63_1878:                            ; =>This Inner Loop Header: Depth=1
	s_delay_alu instid0(VALU_DEP_1) | instskip(NEXT) | instid1(VALU_DEP_1)
	v_mov_b32_e32 v7, v9
	v_cvt_f32_u32_e32 v9, v7
	v_sub_nc_u32_e32 v10, 0, v7
	s_delay_alu instid0(VALU_DEP_2) | instskip(SKIP_1) | instid1(TRANS32_DEP_1)
	v_rcp_iflag_f32_e32 v9, v9
	v_nop
	v_mul_f32_e32 v9, 0x4f7ffffe, v9
	s_delay_alu instid0(VALU_DEP_1) | instskip(NEXT) | instid1(VALU_DEP_1)
	v_cvt_u32_f32_e32 v9, v9
	v_mul_lo_u32 v10, v10, v9
	s_delay_alu instid0(VALU_DEP_1) | instskip(NEXT) | instid1(VALU_DEP_1)
	v_mul_hi_u32 v10, v9, v10
	v_add_nc_u32_e32 v9, v9, v10
	s_delay_alu instid0(VALU_DEP_1) | instskip(NEXT) | instid1(VALU_DEP_1)
	v_mul_hi_u32 v9, v5, v9
	v_mul_lo_u32 v9, v9, v7
	s_delay_alu instid0(VALU_DEP_1) | instskip(NEXT) | instid1(VALU_DEP_1)
	v_sub_nc_u32_e32 v5, v5, v9
	v_sub_nc_u32_e32 v9, v5, v7
	v_cmp_ge_u32_e32 vcc_lo, v5, v7
	s_delay_alu instid0(VALU_DEP_2) | instskip(NEXT) | instid1(VALU_DEP_1)
	v_cndmask_b32_e32 v5, v5, v9, vcc_lo
	v_sub_nc_u32_e32 v9, v5, v7
	v_cmp_ge_u32_e32 vcc_lo, v5, v7
	s_delay_alu instid0(VALU_DEP_2) | instskip(NEXT) | instid1(VALU_DEP_1)
	v_dual_cndmask_b32 v9, v5, v9, vcc_lo :: v_dual_mov_b32 v5, v7
	v_cmp_eq_u32_e32 vcc_lo, 0, v9
	s_or_b32 s14, vcc_lo, s14
	s_delay_alu instid0(SALU_CYCLE_1)
	s_and_not1_b32 exec_lo, exec_lo, s14
	s_cbranch_execnz .LBB63_1878
; %bb.1879:
	s_or_b32 exec_lo, exec_lo, s14
	v_mov_b32_e32 v5, v7
.LBB63_1880:
	s_or_b32 exec_lo, exec_lo, s13
	v_mov_b32_e32 v10, 0
	s_mov_b32 s13, exec_lo
	s_delay_alu instid0(VALU_DEP_2)
	v_cmpx_ne_u32_e32 0, v5
	s_cbranch_execz .LBB63_1882
; %bb.1881:
	v_sub_nc_u32_e32 v11, 0, v1
	s_delay_alu instid0(VALU_DEP_1) | instskip(NEXT) | instid1(VALU_DEP_1)
	v_dual_sub_nc_u32 v7, 0, v5 :: v_dual_max_i32 v11, v1, v11
	v_max_i32_e32 v7, v5, v7
	v_xor_b32_e32 v1, v1, v5
	s_delay_alu instid0(VALU_DEP_2) | instskip(SKIP_1) | instid1(VALU_DEP_2)
	v_cvt_f32_u32_e32 v9, v7
	v_sub_nc_u32_e32 v10, 0, v7
	v_rcp_iflag_f32_e32 v9, v9
	v_nop
	s_delay_alu instid0(TRANS32_DEP_1) | instskip(NEXT) | instid1(VALU_DEP_1)
	v_mul_f32_e32 v9, 0x4f7ffffe, v9
	v_cvt_u32_f32_e32 v9, v9
	s_delay_alu instid0(VALU_DEP_1) | instskip(NEXT) | instid1(VALU_DEP_1)
	v_mul_lo_u32 v10, v10, v9
	v_mul_hi_u32 v10, v9, v10
	s_delay_alu instid0(VALU_DEP_1) | instskip(NEXT) | instid1(VALU_DEP_1)
	v_add_nc_u32_e32 v9, v9, v10
	v_mul_hi_u32 v9, v11, v9
	s_delay_alu instid0(VALU_DEP_1) | instskip(NEXT) | instid1(VALU_DEP_1)
	v_mul_lo_u32 v10, v9, v7
	v_dual_sub_nc_u32 v10, v11, v10 :: v_dual_add_nc_u32 v11, 1, v9
	s_delay_alu instid0(VALU_DEP_1) | instskip(SKIP_1) | instid1(VALU_DEP_2)
	v_sub_nc_u32_e32 v13, v10, v7
	v_cmp_ge_u32_e32 vcc_lo, v10, v7
	v_dual_cndmask_b32 v9, v9, v11, vcc_lo :: v_dual_cndmask_b32 v5, v10, v13, vcc_lo
	s_delay_alu instid0(VALU_DEP_1) | instskip(NEXT) | instid1(VALU_DEP_2)
	v_add_nc_u32_e32 v10, 1, v9
	v_cmp_ge_u32_e32 vcc_lo, v5, v7
	s_delay_alu instid0(VALU_DEP_2) | instskip(NEXT) | instid1(VALU_DEP_1)
	v_dual_ashrrev_i32 v1, 31, v1 :: v_dual_cndmask_b32 v5, v9, v10, vcc_lo
	v_xor_b32_e32 v5, v5, v1
	s_delay_alu instid0(VALU_DEP_1) | instskip(NEXT) | instid1(VALU_DEP_1)
	v_sub_nc_u32_e32 v1, v5, v1
	v_mul_lo_u32 v1, v1, v3
	s_delay_alu instid0(VALU_DEP_1) | instskip(NEXT) | instid1(VALU_DEP_1)
	v_sub_nc_u32_e32 v3, 0, v1
	v_max_i32_e32 v10, v1, v3
.LBB63_1882:
	s_or_b32 exec_lo, exec_lo, s13
	v_mov_b32_e32 v21, 0
	s_and_b32 s11, 0xffff, s11
	s_delay_alu instid0(SALU_CYCLE_1) | instskip(NEXT) | instid1(VALU_DEP_1)
	s_cmp_lt_i32 s11, 11
	v_add_nc_u64_e32 v[20:21], s[6:7], v[20:21]
	s_cbranch_scc1 .LBB63_1889
; %bb.1883:
	s_cmp_gt_i32 s11, 25
	s_mov_b32 s14, 0
	s_cbranch_scc0 .LBB63_1891
; %bb.1884:
	s_cmp_gt_i32 s11, 28
	s_cbranch_scc0 .LBB63_1892
; %bb.1885:
	s_cmp_gt_i32 s11, 43
	;; [unrolled: 3-line block ×3, first 2 shown]
	s_cbranch_scc0 .LBB63_1895
; %bb.1887:
	s_cmp_eq_u32 s11, 46
	s_mov_b32 s16, 0
	s_cbranch_scc0 .LBB63_1896
; %bb.1888:
	global_load_b32 v1, v[20:21], off
	s_mov_b32 s13, 0
	s_mov_b32 s15, -1
	s_wait_loadcnt 0x0
	v_lshlrev_b32_e32 v1, 16, v1
	s_delay_alu instid0(VALU_DEP_1)
	v_cvt_i32_f32_e32 v1, v1
	s_branch .LBB63_1898
.LBB63_1889:
	s_mov_b32 s15, 0
                                        ; implicit-def: $vgpr1
	s_cbranch_execnz .LBB63_1960
.LBB63_1890:
	s_and_not1_b32 vcc_lo, exec_lo, s15
	s_cbranch_vccnz .LBB63_2741
	s_branch .LBB63_2008
.LBB63_1891:
	s_mov_b32 s16, -1
	s_mov_b32 s15, 0
	s_mov_b32 s13, 0
                                        ; implicit-def: $vgpr1
	s_branch .LBB63_1925
.LBB63_1892:
	s_mov_b32 s16, -1
	s_mov_b32 s15, 0
	s_mov_b32 s13, 0
                                        ; implicit-def: $vgpr1
	s_branch .LBB63_1908
.LBB63_1893:
	s_mov_b32 s16, -1
	s_mov_b32 s15, 0
	s_mov_b32 s13, 0
                                        ; implicit-def: $vgpr1
	s_branch .LBB63_1903
.LBB63_1894:
	s_or_b32 s10, s10, exec_lo
	s_trap 2
	s_cbranch_execz .LBB63_1827
	s_branch .LBB63_1828
.LBB63_1895:
	s_mov_b32 s16, -1
	s_mov_b32 s15, 0
	s_mov_b32 s13, 0
	s_branch .LBB63_1897
.LBB63_1896:
	s_mov_b32 s13, -1
	s_mov_b32 s15, 0
.LBB63_1897:
                                        ; implicit-def: $vgpr1
.LBB63_1898:
	s_and_b32 vcc_lo, exec_lo, s16
	s_cbranch_vccz .LBB63_1902
; %bb.1899:
	s_cmp_eq_u32 s11, 44
	s_cbranch_scc0 .LBB63_1901
; %bb.1900:
	global_load_u8 v1, v[20:21], off
	s_mov_b32 s13, 0
	s_mov_b32 s15, -1
	s_wait_loadcnt 0x0
	v_lshlrev_b32_e32 v3, 23, v1
	v_cmp_ne_u32_e32 vcc_lo, 0, v1
	s_delay_alu instid0(VALU_DEP_2) | instskip(NEXT) | instid1(VALU_DEP_1)
	v_cvt_i32_f32_e32 v3, v3
	v_cndmask_b32_e32 v1, 0, v3, vcc_lo
	s_branch .LBB63_1902
.LBB63_1901:
	s_mov_b32 s13, -1
                                        ; implicit-def: $vgpr1
.LBB63_1902:
	s_mov_b32 s16, 0
.LBB63_1903:
	s_delay_alu instid0(SALU_CYCLE_1)
	s_and_b32 vcc_lo, exec_lo, s16
	s_cbranch_vccz .LBB63_1907
; %bb.1904:
	s_cmp_eq_u32 s11, 29
	s_cbranch_scc0 .LBB63_1906
; %bb.1905:
	global_load_b32 v1, v[20:21], off
	s_mov_b32 s13, 0
	s_mov_b32 s15, -1
	s_branch .LBB63_1907
.LBB63_1906:
	s_mov_b32 s13, -1
                                        ; implicit-def: $vgpr1
.LBB63_1907:
	s_mov_b32 s16, 0
.LBB63_1908:
	s_delay_alu instid0(SALU_CYCLE_1)
	s_and_b32 vcc_lo, exec_lo, s16
	s_cbranch_vccz .LBB63_1924
; %bb.1909:
	s_cmp_lt_i32 s11, 27
	s_cbranch_scc1 .LBB63_1912
; %bb.1910:
	s_cmp_gt_i32 s11, 27
	s_cbranch_scc0 .LBB63_1913
; %bb.1911:
	s_wait_loadcnt 0x0
	global_load_b32 v1, v[20:21], off
	s_mov_b32 s15, 0
	s_branch .LBB63_1914
.LBB63_1912:
	s_mov_b32 s15, -1
                                        ; implicit-def: $vgpr1
	s_branch .LBB63_1917
.LBB63_1913:
	s_mov_b32 s15, -1
                                        ; implicit-def: $vgpr1
.LBB63_1914:
	s_delay_alu instid0(SALU_CYCLE_1)
	s_and_not1_b32 vcc_lo, exec_lo, s15
	s_cbranch_vccnz .LBB63_1916
; %bb.1915:
	s_wait_loadcnt 0x0
	global_load_u16 v1, v[20:21], off
.LBB63_1916:
	s_mov_b32 s15, 0
.LBB63_1917:
	s_delay_alu instid0(SALU_CYCLE_1)
	s_and_not1_b32 vcc_lo, exec_lo, s15
	s_cbranch_vccnz .LBB63_1923
; %bb.1918:
	global_load_u8 v3, v[20:21], off
	s_mov_b32 s16, 0
	s_mov_b32 s15, exec_lo
	s_wait_loadcnt 0x0
	v_cmpx_lt_i16_e32 0x7f, v3
	s_xor_b32 s15, exec_lo, s15
	s_cbranch_execz .LBB63_1935
; %bb.1919:
	v_cmp_ne_u16_e32 vcc_lo, 0x80, v3
	s_and_b32 s16, vcc_lo, exec_lo
	s_and_not1_saveexec_b32 s15, s15
	s_cbranch_execnz .LBB63_1936
.LBB63_1920:
	s_or_b32 exec_lo, exec_lo, s15
	v_mov_b32_e32 v1, 0
	s_and_saveexec_b32 s15, s16
	s_cbranch_execz .LBB63_1922
.LBB63_1921:
	v_and_b32_e32 v1, 0xffff, v3
	s_delay_alu instid0(VALU_DEP_1) | instskip(SKIP_1) | instid1(VALU_DEP_2)
	v_and_b32_e32 v5, 7, v1
	v_bfe_u32 v11, v1, 3, 4
	v_clz_i32_u32_e32 v7, v5
	s_delay_alu instid0(VALU_DEP_2) | instskip(NEXT) | instid1(VALU_DEP_2)
	v_cmp_eq_u32_e32 vcc_lo, 0, v11
	v_min_u32_e32 v7, 32, v7
	s_delay_alu instid0(VALU_DEP_1) | instskip(NEXT) | instid1(VALU_DEP_1)
	v_subrev_nc_u32_e32 v9, 28, v7
	v_dual_lshlrev_b32 v1, v9, v1 :: v_dual_sub_nc_u32 v7, 29, v7
	s_delay_alu instid0(VALU_DEP_1) | instskip(NEXT) | instid1(VALU_DEP_1)
	v_dual_lshlrev_b32 v3, 24, v3 :: v_dual_bitop2_b32 v1, 7, v1 bitop3:0x40
	v_dual_cndmask_b32 v1, v5, v1, vcc_lo :: v_dual_cndmask_b32 v7, v11, v7, vcc_lo
	s_delay_alu instid0(VALU_DEP_2) | instskip(NEXT) | instid1(VALU_DEP_2)
	v_and_b32_e32 v3, 0x80000000, v3
	v_lshlrev_b32_e32 v1, 20, v1
	s_delay_alu instid0(VALU_DEP_3) | instskip(NEXT) | instid1(VALU_DEP_1)
	v_lshl_add_u32 v5, v7, 23, 0x3b800000
	v_or3_b32 v1, v3, v5, v1
	s_delay_alu instid0(VALU_DEP_1)
	v_cvt_i32_f32_e32 v1, v1
.LBB63_1922:
	s_or_b32 exec_lo, exec_lo, s15
.LBB63_1923:
	s_mov_b32 s15, -1
.LBB63_1924:
	s_mov_b32 s16, 0
.LBB63_1925:
	s_delay_alu instid0(SALU_CYCLE_1)
	s_and_b32 vcc_lo, exec_lo, s16
	s_cbranch_vccz .LBB63_1956
; %bb.1926:
	s_cmp_gt_i32 s11, 22
	s_cbranch_scc0 .LBB63_1934
; %bb.1927:
	s_cmp_lt_i32 s11, 24
	s_cbranch_scc1 .LBB63_1937
; %bb.1928:
	s_cmp_gt_i32 s11, 24
	s_cbranch_scc0 .LBB63_1938
; %bb.1929:
	global_load_u8 v3, v[20:21], off
	s_mov_b32 s15, 0
	s_mov_b32 s14, exec_lo
	s_wait_loadcnt 0x0
	v_cmpx_lt_i16_e32 0x7f, v3
	s_xor_b32 s14, exec_lo, s14
	s_cbranch_execz .LBB63_1950
; %bb.1930:
	v_cmp_ne_u16_e32 vcc_lo, 0x80, v3
	s_and_b32 s15, vcc_lo, exec_lo
	s_and_not1_saveexec_b32 s14, s14
	s_cbranch_execnz .LBB63_1951
.LBB63_1931:
	s_or_b32 exec_lo, exec_lo, s14
	v_mov_b32_e32 v1, 0
	s_and_saveexec_b32 s14, s15
	s_cbranch_execz .LBB63_1933
.LBB63_1932:
	v_and_b32_e32 v1, 0xffff, v3
	s_delay_alu instid0(VALU_DEP_1) | instskip(SKIP_1) | instid1(VALU_DEP_2)
	v_and_b32_e32 v5, 3, v1
	v_bfe_u32 v11, v1, 2, 5
	v_clz_i32_u32_e32 v7, v5
	s_delay_alu instid0(VALU_DEP_2) | instskip(NEXT) | instid1(VALU_DEP_2)
	v_cmp_eq_u32_e32 vcc_lo, 0, v11
	v_min_u32_e32 v7, 32, v7
	s_delay_alu instid0(VALU_DEP_1) | instskip(NEXT) | instid1(VALU_DEP_1)
	v_subrev_nc_u32_e32 v9, 29, v7
	v_dual_lshlrev_b32 v1, v9, v1 :: v_dual_sub_nc_u32 v7, 30, v7
	s_delay_alu instid0(VALU_DEP_1) | instskip(NEXT) | instid1(VALU_DEP_1)
	v_dual_lshlrev_b32 v3, 24, v3 :: v_dual_bitop2_b32 v1, 3, v1 bitop3:0x40
	v_dual_cndmask_b32 v1, v5, v1, vcc_lo :: v_dual_cndmask_b32 v7, v11, v7, vcc_lo
	s_delay_alu instid0(VALU_DEP_2) | instskip(NEXT) | instid1(VALU_DEP_2)
	v_and_b32_e32 v3, 0x80000000, v3
	v_lshlrev_b32_e32 v1, 21, v1
	s_delay_alu instid0(VALU_DEP_3) | instskip(NEXT) | instid1(VALU_DEP_1)
	v_lshl_add_u32 v5, v7, 23, 0x37800000
	v_or3_b32 v1, v3, v5, v1
	s_delay_alu instid0(VALU_DEP_1)
	v_cvt_i32_f32_e32 v1, v1
.LBB63_1933:
	s_or_b32 exec_lo, exec_lo, s14
	s_mov_b32 s14, 0
	s_branch .LBB63_1939
.LBB63_1934:
	s_mov_b32 s14, -1
                                        ; implicit-def: $vgpr1
	s_branch .LBB63_1945
.LBB63_1935:
	s_and_not1_saveexec_b32 s15, s15
	s_cbranch_execz .LBB63_1920
.LBB63_1936:
	v_cmp_ne_u16_e32 vcc_lo, 0, v3
	s_and_not1_b32 s16, s16, exec_lo
	s_and_b32 s17, vcc_lo, exec_lo
	s_delay_alu instid0(SALU_CYCLE_1)
	s_or_b32 s16, s16, s17
	s_or_b32 exec_lo, exec_lo, s15
	v_mov_b32_e32 v1, 0
	s_and_saveexec_b32 s15, s16
	s_cbranch_execnz .LBB63_1921
	s_branch .LBB63_1922
.LBB63_1937:
	s_mov_b32 s14, -1
                                        ; implicit-def: $vgpr1
	s_branch .LBB63_1942
.LBB63_1938:
	s_mov_b32 s14, -1
                                        ; implicit-def: $vgpr1
.LBB63_1939:
	s_delay_alu instid0(SALU_CYCLE_1)
	s_and_b32 vcc_lo, exec_lo, s14
	s_cbranch_vccz .LBB63_1941
; %bb.1940:
	s_wait_loadcnt 0x0
	global_load_u8 v1, v[20:21], off
	s_wait_loadcnt 0x0
	v_lshlrev_b32_e32 v1, 24, v1
	s_delay_alu instid0(VALU_DEP_1) | instskip(NEXT) | instid1(VALU_DEP_1)
	v_and_b32_e32 v3, 0x7f000000, v1
	v_clz_i32_u32_e32 v5, v3
	v_add_nc_u32_e32 v9, 0x1000000, v3
	v_cmp_ne_u32_e32 vcc_lo, 0, v3
	s_delay_alu instid0(VALU_DEP_3) | instskip(NEXT) | instid1(VALU_DEP_1)
	v_min_u32_e32 v5, 32, v5
	v_sub_nc_u32_e64 v5, v5, 4 clamp
	s_delay_alu instid0(VALU_DEP_1) | instskip(NEXT) | instid1(VALU_DEP_1)
	v_dual_lshlrev_b32 v7, v5, v3 :: v_dual_lshlrev_b32 v5, 23, v5
	v_lshrrev_b32_e32 v7, 4, v7
	s_delay_alu instid0(VALU_DEP_1) | instskip(SKIP_1) | instid1(VALU_DEP_2)
	v_sub_nc_u32_e32 v5, v7, v5
	v_ashrrev_i32_e32 v7, 8, v9
	v_add_nc_u32_e32 v5, 0x3c000000, v5
	s_delay_alu instid0(VALU_DEP_1) | instskip(NEXT) | instid1(VALU_DEP_1)
	v_and_or_b32 v5, 0x7f800000, v7, v5
	v_cndmask_b32_e32 v3, 0, v5, vcc_lo
	s_delay_alu instid0(VALU_DEP_1) | instskip(NEXT) | instid1(VALU_DEP_1)
	v_and_or_b32 v1, 0x80000000, v1, v3
	v_cvt_i32_f32_e32 v1, v1
.LBB63_1941:
	s_mov_b32 s14, 0
.LBB63_1942:
	s_delay_alu instid0(SALU_CYCLE_1)
	s_and_not1_b32 vcc_lo, exec_lo, s14
	s_cbranch_vccnz .LBB63_1944
; %bb.1943:
	s_wait_loadcnt 0x0
	global_load_u8 v1, v[20:21], off
	s_wait_loadcnt 0x0
	v_lshlrev_b32_e32 v3, 25, v1
	v_lshlrev_b16 v1, 8, v1
	s_delay_alu instid0(VALU_DEP_1) | instskip(SKIP_1) | instid1(VALU_DEP_2)
	v_and_or_b32 v7, 0x7f00, v1, 0.5
	v_bfe_i32 v1, v1, 0, 16
	v_add_f32_e32 v7, -0.5, v7
	v_lshrrev_b32_e32 v5, 4, v3
	v_cmp_gt_u32_e32 vcc_lo, 0x8000000, v3
	s_delay_alu instid0(VALU_DEP_2) | instskip(NEXT) | instid1(VALU_DEP_1)
	v_or_b32_e32 v5, 0x70000000, v5
	v_mul_f32_e32 v5, 0x7800000, v5
	s_delay_alu instid0(VALU_DEP_1) | instskip(NEXT) | instid1(VALU_DEP_1)
	v_cndmask_b32_e32 v3, v5, v7, vcc_lo
	v_and_or_b32 v1, 0x80000000, v1, v3
	s_delay_alu instid0(VALU_DEP_1)
	v_cvt_i32_f32_e32 v1, v1
.LBB63_1944:
	s_mov_b32 s14, 0
	s_mov_b32 s15, -1
.LBB63_1945:
	s_and_not1_b32 vcc_lo, exec_lo, s14
	s_mov_b32 s14, 0
	s_cbranch_vccnz .LBB63_1956
; %bb.1946:
	s_cmp_gt_i32 s11, 14
	s_cbranch_scc0 .LBB63_1949
; %bb.1947:
	s_cmp_eq_u32 s11, 15
	s_cbranch_scc0 .LBB63_1952
; %bb.1948:
	s_wait_loadcnt 0x0
	global_load_u16 v1, v[20:21], off
	s_mov_b32 s13, 0
	s_mov_b32 s15, -1
	s_wait_loadcnt 0x0
	v_lshlrev_b32_e32 v1, 16, v1
	s_delay_alu instid0(VALU_DEP_1)
	v_cvt_i32_f32_e32 v1, v1
	s_branch .LBB63_1954
.LBB63_1949:
	s_mov_b32 s14, -1
	s_branch .LBB63_1953
.LBB63_1950:
	s_and_not1_saveexec_b32 s14, s14
	s_cbranch_execz .LBB63_1931
.LBB63_1951:
	v_cmp_ne_u16_e32 vcc_lo, 0, v3
	s_and_not1_b32 s15, s15, exec_lo
	s_and_b32 s16, vcc_lo, exec_lo
	s_delay_alu instid0(SALU_CYCLE_1)
	s_or_b32 s15, s15, s16
	s_or_b32 exec_lo, exec_lo, s14
	v_mov_b32_e32 v1, 0
	s_and_saveexec_b32 s14, s15
	s_cbranch_execnz .LBB63_1932
	s_branch .LBB63_1933
.LBB63_1952:
	s_mov_b32 s13, -1
.LBB63_1953:
                                        ; implicit-def: $vgpr1
.LBB63_1954:
	s_and_b32 vcc_lo, exec_lo, s14
	s_mov_b32 s14, 0
	s_cbranch_vccz .LBB63_1956
; %bb.1955:
	s_cmp_lg_u32 s11, 11
	s_mov_b32 s14, -1
	s_cselect_b32 s13, -1, 0
.LBB63_1956:
	s_delay_alu instid0(SALU_CYCLE_1)
	s_and_b32 vcc_lo, exec_lo, s13
	s_cbranch_vccnz .LBB63_2019
; %bb.1957:
	s_and_not1_b32 vcc_lo, exec_lo, s14
	s_cbranch_vccnz .LBB63_1959
.LBB63_1958:
	s_wait_loadcnt 0x0
	global_load_u8 v1, v[20:21], off
	s_mov_b32 s15, -1
	s_wait_loadcnt 0x0
	v_cmp_ne_u16_e32 vcc_lo, 0, v1
	v_cndmask_b32_e64 v1, 0, 1, vcc_lo
.LBB63_1959:
	s_branch .LBB63_1890
.LBB63_1960:
	s_cmp_lt_i32 s11, 5
	s_cbranch_scc1 .LBB63_1965
; %bb.1961:
	s_cmp_lt_i32 s11, 8
	s_cbranch_scc1 .LBB63_1966
; %bb.1962:
	;; [unrolled: 3-line block ×3, first 2 shown]
	s_cmp_gt_i32 s11, 9
	s_cbranch_scc0 .LBB63_1968
; %bb.1964:
	global_load_b64 v[22:23], v[20:21], off
	s_mov_b32 s13, 0
	s_wait_loadcnt 0x0
	v_cvt_i32_f64_e32 v1, v[22:23]
	s_branch .LBB63_1969
.LBB63_1965:
	s_mov_b32 s13, -1
                                        ; implicit-def: $vgpr1
	s_branch .LBB63_1987
.LBB63_1966:
	s_mov_b32 s13, -1
                                        ; implicit-def: $vgpr1
	s_branch .LBB63_1975
.LBB63_1967:
	s_mov_b32 s13, -1
                                        ; implicit-def: $vgpr1
	s_branch .LBB63_1972
.LBB63_1968:
	s_mov_b32 s13, -1
                                        ; implicit-def: $vgpr1
.LBB63_1969:
	s_delay_alu instid0(SALU_CYCLE_1)
	s_and_not1_b32 vcc_lo, exec_lo, s13
	s_cbranch_vccnz .LBB63_1971
; %bb.1970:
	s_wait_loadcnt 0x0
	global_load_b32 v1, v[20:21], off
	s_wait_loadcnt 0x0
	v_cvt_i32_f32_e32 v1, v1
.LBB63_1971:
	s_mov_b32 s13, 0
.LBB63_1972:
	s_delay_alu instid0(SALU_CYCLE_1)
	s_and_not1_b32 vcc_lo, exec_lo, s13
	s_cbranch_vccnz .LBB63_1974
; %bb.1973:
	s_wait_loadcnt 0x0
	global_load_b32 v1, v[20:21], off
	s_wait_loadcnt 0x0
	v_cvt_f32_f16_e32 v1, v1
	s_delay_alu instid0(VALU_DEP_1)
	v_cvt_i32_f32_e32 v1, v1
.LBB63_1974:
	s_mov_b32 s13, 0
.LBB63_1975:
	s_delay_alu instid0(SALU_CYCLE_1)
	s_and_not1_b32 vcc_lo, exec_lo, s13
	s_cbranch_vccnz .LBB63_1986
; %bb.1976:
	s_cmp_lt_i32 s11, 6
	s_cbranch_scc1 .LBB63_1979
; %bb.1977:
	s_cmp_gt_i32 s11, 6
	s_cbranch_scc0 .LBB63_1980
; %bb.1978:
	global_load_b64 v[22:23], v[20:21], off
	s_mov_b32 s13, 0
	s_wait_loadcnt 0x0
	v_cvt_i32_f64_e32 v1, v[22:23]
	s_branch .LBB63_1981
.LBB63_1979:
	s_mov_b32 s13, -1
                                        ; implicit-def: $vgpr1
	s_branch .LBB63_1984
.LBB63_1980:
	s_mov_b32 s13, -1
                                        ; implicit-def: $vgpr1
.LBB63_1981:
	s_delay_alu instid0(SALU_CYCLE_1)
	s_and_not1_b32 vcc_lo, exec_lo, s13
	s_cbranch_vccnz .LBB63_1983
; %bb.1982:
	s_wait_loadcnt 0x0
	global_load_b32 v1, v[20:21], off
	s_wait_loadcnt 0x0
	v_cvt_i32_f32_e32 v1, v1
.LBB63_1983:
	s_mov_b32 s13, 0
.LBB63_1984:
	s_delay_alu instid0(SALU_CYCLE_1)
	s_and_not1_b32 vcc_lo, exec_lo, s13
	s_cbranch_vccnz .LBB63_1986
; %bb.1985:
	s_wait_loadcnt 0x0
	global_load_u16 v1, v[20:21], off
	s_wait_loadcnt 0x0
	v_cvt_f32_f16_e32 v1, v1
	s_delay_alu instid0(VALU_DEP_1)
	v_cvt_i32_f32_e32 v1, v1
.LBB63_1986:
	s_mov_b32 s13, 0
.LBB63_1987:
	s_delay_alu instid0(SALU_CYCLE_1)
	s_and_not1_b32 vcc_lo, exec_lo, s13
	s_cbranch_vccnz .LBB63_2007
; %bb.1988:
	s_cmp_lt_i32 s11, 2
	s_cbranch_scc1 .LBB63_1992
; %bb.1989:
	s_cmp_lt_i32 s11, 3
	s_cbranch_scc1 .LBB63_1993
; %bb.1990:
	s_cmp_gt_i32 s11, 3
	s_cbranch_scc0 .LBB63_1994
; %bb.1991:
	s_wait_loadcnt 0x0
	global_load_b32 v1, v[20:21], off
	s_mov_b32 s13, 0
	s_branch .LBB63_1995
.LBB63_1992:
	s_mov_b32 s13, -1
                                        ; implicit-def: $vgpr1
	s_branch .LBB63_2001
.LBB63_1993:
	s_mov_b32 s13, -1
                                        ; implicit-def: $vgpr1
	s_branch .LBB63_1998
.LBB63_1994:
	s_mov_b32 s13, -1
                                        ; implicit-def: $vgpr1
.LBB63_1995:
	s_delay_alu instid0(SALU_CYCLE_1)
	s_and_not1_b32 vcc_lo, exec_lo, s13
	s_cbranch_vccnz .LBB63_1997
; %bb.1996:
	s_wait_loadcnt 0x0
	global_load_b32 v1, v[20:21], off
.LBB63_1997:
	s_mov_b32 s13, 0
.LBB63_1998:
	s_delay_alu instid0(SALU_CYCLE_1)
	s_and_not1_b32 vcc_lo, exec_lo, s13
	s_cbranch_vccnz .LBB63_2000
; %bb.1999:
	s_wait_loadcnt 0x0
	global_load_i16 v1, v[20:21], off
.LBB63_2000:
	s_mov_b32 s13, 0
.LBB63_2001:
	s_delay_alu instid0(SALU_CYCLE_1)
	s_and_not1_b32 vcc_lo, exec_lo, s13
	s_cbranch_vccnz .LBB63_2007
; %bb.2002:
	s_cmp_gt_i32 s11, 0
	s_mov_b32 s13, 0
	s_cbranch_scc0 .LBB63_2004
; %bb.2003:
	s_wait_loadcnt 0x0
	global_load_i8 v1, v[20:21], off
	s_branch .LBB63_2005
.LBB63_2004:
	s_mov_b32 s13, -1
                                        ; implicit-def: $vgpr1
.LBB63_2005:
	s_delay_alu instid0(SALU_CYCLE_1)
	s_and_not1_b32 vcc_lo, exec_lo, s13
	s_cbranch_vccnz .LBB63_2007
; %bb.2006:
	s_wait_loadcnt 0x0
	global_load_u8 v1, v[20:21], off
.LBB63_2007:
.LBB63_2008:
	v_mov_b32_e32 v15, 0
	s_and_b32 s12, 0xffff, s12
	s_delay_alu instid0(SALU_CYCLE_1) | instskip(NEXT) | instid1(VALU_DEP_1)
	s_cmp_lt_i32 s12, 11
	v_add_nc_u64_e32 v[14:15], s[0:1], v[14:15]
	s_cbranch_scc1 .LBB63_2015
; %bb.2009:
	s_cmp_gt_i32 s12, 25
	s_mov_b32 s14, 0
	s_cbranch_scc0 .LBB63_2016
; %bb.2010:
	s_cmp_gt_i32 s12, 28
	s_cbranch_scc0 .LBB63_2017
; %bb.2011:
	s_cmp_gt_i32 s12, 43
	;; [unrolled: 3-line block ×3, first 2 shown]
	s_cbranch_scc0 .LBB63_2020
; %bb.2013:
	s_cmp_eq_u32 s12, 46
	s_mov_b32 s16, 0
	s_cbranch_scc0 .LBB63_2021
; %bb.2014:
	global_load_b32 v3, v[14:15], off
	s_mov_b32 s13, 0
	s_mov_b32 s15, -1
	s_wait_loadcnt 0x0
	v_lshlrev_b32_e32 v3, 16, v3
	s_delay_alu instid0(VALU_DEP_1)
	v_cvt_i32_f32_e32 v3, v3
	s_branch .LBB63_2023
.LBB63_2015:
	s_mov_b32 s13, -1
	s_mov_b32 s15, 0
                                        ; implicit-def: $vgpr3
	s_branch .LBB63_2085
.LBB63_2016:
	s_mov_b32 s16, -1
	s_mov_b32 s15, 0
	s_mov_b32 s13, 0
                                        ; implicit-def: $vgpr3
	s_branch .LBB63_2050
.LBB63_2017:
	s_mov_b32 s16, -1
	s_mov_b32 s15, 0
	s_mov_b32 s13, 0
                                        ; implicit-def: $vgpr3
	s_branch .LBB63_2033
.LBB63_2018:
	s_mov_b32 s16, -1
	s_mov_b32 s15, 0
	s_mov_b32 s13, 0
                                        ; implicit-def: $vgpr3
	s_branch .LBB63_2028
.LBB63_2019:
	s_or_b32 s10, s10, exec_lo
	s_trap 2
	s_cbranch_execz .LBB63_1958
	s_branch .LBB63_1959
.LBB63_2020:
	s_mov_b32 s16, -1
	s_mov_b32 s15, 0
	s_mov_b32 s13, 0
	s_branch .LBB63_2022
.LBB63_2021:
	s_mov_b32 s13, -1
	s_mov_b32 s15, 0
.LBB63_2022:
                                        ; implicit-def: $vgpr3
.LBB63_2023:
	s_and_b32 vcc_lo, exec_lo, s16
	s_cbranch_vccz .LBB63_2027
; %bb.2024:
	s_cmp_eq_u32 s12, 44
	s_cbranch_scc0 .LBB63_2026
; %bb.2025:
	global_load_u8 v3, v[14:15], off
	s_mov_b32 s13, 0
	s_mov_b32 s15, -1
	s_wait_loadcnt 0x0
	v_lshlrev_b32_e32 v5, 23, v3
	v_cmp_ne_u32_e32 vcc_lo, 0, v3
	s_delay_alu instid0(VALU_DEP_2) | instskip(NEXT) | instid1(VALU_DEP_1)
	v_cvt_i32_f32_e32 v5, v5
	v_cndmask_b32_e32 v3, 0, v5, vcc_lo
	s_branch .LBB63_2027
.LBB63_2026:
	s_mov_b32 s13, -1
                                        ; implicit-def: $vgpr3
.LBB63_2027:
	s_mov_b32 s16, 0
.LBB63_2028:
	s_delay_alu instid0(SALU_CYCLE_1)
	s_and_b32 vcc_lo, exec_lo, s16
	s_cbranch_vccz .LBB63_2032
; %bb.2029:
	s_cmp_eq_u32 s12, 29
	s_cbranch_scc0 .LBB63_2031
; %bb.2030:
	global_load_b32 v3, v[14:15], off
	s_mov_b32 s13, 0
	s_mov_b32 s15, -1
	s_branch .LBB63_2032
.LBB63_2031:
	s_mov_b32 s13, -1
                                        ; implicit-def: $vgpr3
.LBB63_2032:
	s_mov_b32 s16, 0
.LBB63_2033:
	s_delay_alu instid0(SALU_CYCLE_1)
	s_and_b32 vcc_lo, exec_lo, s16
	s_cbranch_vccz .LBB63_2049
; %bb.2034:
	s_cmp_lt_i32 s12, 27
	s_cbranch_scc1 .LBB63_2037
; %bb.2035:
	s_cmp_gt_i32 s12, 27
	s_cbranch_scc0 .LBB63_2038
; %bb.2036:
	s_wait_loadcnt 0x0
	global_load_b32 v3, v[14:15], off
	s_mov_b32 s15, 0
	s_branch .LBB63_2039
.LBB63_2037:
	s_mov_b32 s15, -1
                                        ; implicit-def: $vgpr3
	s_branch .LBB63_2042
.LBB63_2038:
	s_mov_b32 s15, -1
                                        ; implicit-def: $vgpr3
.LBB63_2039:
	s_delay_alu instid0(SALU_CYCLE_1)
	s_and_not1_b32 vcc_lo, exec_lo, s15
	s_cbranch_vccnz .LBB63_2041
; %bb.2040:
	s_wait_loadcnt 0x0
	global_load_u16 v3, v[14:15], off
.LBB63_2041:
	s_mov_b32 s15, 0
.LBB63_2042:
	s_delay_alu instid0(SALU_CYCLE_1)
	s_and_not1_b32 vcc_lo, exec_lo, s15
	s_cbranch_vccnz .LBB63_2048
; %bb.2043:
	global_load_u8 v5, v[14:15], off
	s_mov_b32 s16, 0
	s_mov_b32 s15, exec_lo
	s_wait_loadcnt 0x0
	v_cmpx_lt_i16_e32 0x7f, v5
	s_xor_b32 s15, exec_lo, s15
	s_cbranch_execz .LBB63_2060
; %bb.2044:
	v_cmp_ne_u16_e32 vcc_lo, 0x80, v5
	s_and_b32 s16, vcc_lo, exec_lo
	s_and_not1_saveexec_b32 s15, s15
	s_cbranch_execnz .LBB63_2061
.LBB63_2045:
	s_or_b32 exec_lo, exec_lo, s15
	v_mov_b32_e32 v3, 0
	s_and_saveexec_b32 s15, s16
	s_cbranch_execz .LBB63_2047
.LBB63_2046:
	v_and_b32_e32 v3, 0xffff, v5
	s_delay_alu instid0(VALU_DEP_1) | instskip(SKIP_1) | instid1(VALU_DEP_2)
	v_and_b32_e32 v7, 7, v3
	v_bfe_u32 v13, v3, 3, 4
	v_clz_i32_u32_e32 v9, v7
	s_delay_alu instid0(VALU_DEP_2) | instskip(NEXT) | instid1(VALU_DEP_2)
	v_cmp_eq_u32_e32 vcc_lo, 0, v13
	v_min_u32_e32 v9, 32, v9
	s_delay_alu instid0(VALU_DEP_1) | instskip(NEXT) | instid1(VALU_DEP_1)
	v_subrev_nc_u32_e32 v11, 28, v9
	v_dual_lshlrev_b32 v3, v11, v3 :: v_dual_sub_nc_u32 v9, 29, v9
	s_delay_alu instid0(VALU_DEP_1) | instskip(NEXT) | instid1(VALU_DEP_1)
	v_dual_lshlrev_b32 v5, 24, v5 :: v_dual_bitop2_b32 v3, 7, v3 bitop3:0x40
	v_dual_cndmask_b32 v3, v7, v3, vcc_lo :: v_dual_cndmask_b32 v9, v13, v9, vcc_lo
	s_delay_alu instid0(VALU_DEP_2) | instskip(NEXT) | instid1(VALU_DEP_2)
	v_and_b32_e32 v5, 0x80000000, v5
	v_lshlrev_b32_e32 v3, 20, v3
	s_delay_alu instid0(VALU_DEP_3) | instskip(NEXT) | instid1(VALU_DEP_1)
	v_lshl_add_u32 v7, v9, 23, 0x3b800000
	v_or3_b32 v3, v5, v7, v3
	s_delay_alu instid0(VALU_DEP_1)
	v_cvt_i32_f32_e32 v3, v3
.LBB63_2047:
	s_or_b32 exec_lo, exec_lo, s15
.LBB63_2048:
	s_mov_b32 s15, -1
.LBB63_2049:
	s_mov_b32 s16, 0
.LBB63_2050:
	s_delay_alu instid0(SALU_CYCLE_1)
	s_and_b32 vcc_lo, exec_lo, s16
	s_cbranch_vccz .LBB63_2081
; %bb.2051:
	s_cmp_gt_i32 s12, 22
	s_cbranch_scc0 .LBB63_2059
; %bb.2052:
	s_cmp_lt_i32 s12, 24
	s_cbranch_scc1 .LBB63_2062
; %bb.2053:
	s_cmp_gt_i32 s12, 24
	s_cbranch_scc0 .LBB63_2063
; %bb.2054:
	global_load_u8 v5, v[14:15], off
	s_mov_b32 s15, 0
	s_mov_b32 s14, exec_lo
	s_wait_loadcnt 0x0
	v_cmpx_lt_i16_e32 0x7f, v5
	s_xor_b32 s14, exec_lo, s14
	s_cbranch_execz .LBB63_2075
; %bb.2055:
	v_cmp_ne_u16_e32 vcc_lo, 0x80, v5
	s_and_b32 s15, vcc_lo, exec_lo
	s_and_not1_saveexec_b32 s14, s14
	s_cbranch_execnz .LBB63_2076
.LBB63_2056:
	s_or_b32 exec_lo, exec_lo, s14
	v_mov_b32_e32 v3, 0
	s_and_saveexec_b32 s14, s15
	s_cbranch_execz .LBB63_2058
.LBB63_2057:
	v_and_b32_e32 v3, 0xffff, v5
	s_delay_alu instid0(VALU_DEP_1) | instskip(SKIP_1) | instid1(VALU_DEP_2)
	v_and_b32_e32 v7, 3, v3
	v_bfe_u32 v13, v3, 2, 5
	v_clz_i32_u32_e32 v9, v7
	s_delay_alu instid0(VALU_DEP_2) | instskip(NEXT) | instid1(VALU_DEP_2)
	v_cmp_eq_u32_e32 vcc_lo, 0, v13
	v_min_u32_e32 v9, 32, v9
	s_delay_alu instid0(VALU_DEP_1) | instskip(NEXT) | instid1(VALU_DEP_1)
	v_subrev_nc_u32_e32 v11, 29, v9
	v_dual_lshlrev_b32 v3, v11, v3 :: v_dual_sub_nc_u32 v9, 30, v9
	s_delay_alu instid0(VALU_DEP_1) | instskip(NEXT) | instid1(VALU_DEP_1)
	v_dual_lshlrev_b32 v5, 24, v5 :: v_dual_bitop2_b32 v3, 3, v3 bitop3:0x40
	v_dual_cndmask_b32 v3, v7, v3, vcc_lo :: v_dual_cndmask_b32 v9, v13, v9, vcc_lo
	s_delay_alu instid0(VALU_DEP_2) | instskip(NEXT) | instid1(VALU_DEP_2)
	v_and_b32_e32 v5, 0x80000000, v5
	v_lshlrev_b32_e32 v3, 21, v3
	s_delay_alu instid0(VALU_DEP_3) | instskip(NEXT) | instid1(VALU_DEP_1)
	v_lshl_add_u32 v7, v9, 23, 0x37800000
	v_or3_b32 v3, v5, v7, v3
	s_delay_alu instid0(VALU_DEP_1)
	v_cvt_i32_f32_e32 v3, v3
.LBB63_2058:
	s_or_b32 exec_lo, exec_lo, s14
	s_mov_b32 s14, 0
	s_branch .LBB63_2064
.LBB63_2059:
	s_mov_b32 s14, -1
                                        ; implicit-def: $vgpr3
	s_branch .LBB63_2070
.LBB63_2060:
	s_and_not1_saveexec_b32 s15, s15
	s_cbranch_execz .LBB63_2045
.LBB63_2061:
	v_cmp_ne_u16_e32 vcc_lo, 0, v5
	s_and_not1_b32 s16, s16, exec_lo
	s_and_b32 s17, vcc_lo, exec_lo
	s_delay_alu instid0(SALU_CYCLE_1)
	s_or_b32 s16, s16, s17
	s_or_b32 exec_lo, exec_lo, s15
	v_mov_b32_e32 v3, 0
	s_and_saveexec_b32 s15, s16
	s_cbranch_execnz .LBB63_2046
	s_branch .LBB63_2047
.LBB63_2062:
	s_mov_b32 s14, -1
                                        ; implicit-def: $vgpr3
	s_branch .LBB63_2067
.LBB63_2063:
	s_mov_b32 s14, -1
                                        ; implicit-def: $vgpr3
.LBB63_2064:
	s_delay_alu instid0(SALU_CYCLE_1)
	s_and_b32 vcc_lo, exec_lo, s14
	s_cbranch_vccz .LBB63_2066
; %bb.2065:
	s_wait_loadcnt 0x0
	global_load_u8 v3, v[14:15], off
	s_wait_loadcnt 0x0
	v_lshlrev_b32_e32 v3, 24, v3
	s_delay_alu instid0(VALU_DEP_1) | instskip(NEXT) | instid1(VALU_DEP_1)
	v_and_b32_e32 v5, 0x7f000000, v3
	v_clz_i32_u32_e32 v7, v5
	v_add_nc_u32_e32 v11, 0x1000000, v5
	v_cmp_ne_u32_e32 vcc_lo, 0, v5
	s_delay_alu instid0(VALU_DEP_3) | instskip(NEXT) | instid1(VALU_DEP_1)
	v_min_u32_e32 v7, 32, v7
	v_sub_nc_u32_e64 v7, v7, 4 clamp
	s_delay_alu instid0(VALU_DEP_1) | instskip(NEXT) | instid1(VALU_DEP_1)
	v_dual_lshlrev_b32 v9, v7, v5 :: v_dual_lshlrev_b32 v7, 23, v7
	v_lshrrev_b32_e32 v9, 4, v9
	s_delay_alu instid0(VALU_DEP_1) | instskip(SKIP_1) | instid1(VALU_DEP_2)
	v_sub_nc_u32_e32 v7, v9, v7
	v_ashrrev_i32_e32 v9, 8, v11
	v_add_nc_u32_e32 v7, 0x3c000000, v7
	s_delay_alu instid0(VALU_DEP_1) | instskip(NEXT) | instid1(VALU_DEP_1)
	v_and_or_b32 v7, 0x7f800000, v9, v7
	v_cndmask_b32_e32 v5, 0, v7, vcc_lo
	s_delay_alu instid0(VALU_DEP_1) | instskip(NEXT) | instid1(VALU_DEP_1)
	v_and_or_b32 v3, 0x80000000, v3, v5
	v_cvt_i32_f32_e32 v3, v3
.LBB63_2066:
	s_mov_b32 s14, 0
.LBB63_2067:
	s_delay_alu instid0(SALU_CYCLE_1)
	s_and_not1_b32 vcc_lo, exec_lo, s14
	s_cbranch_vccnz .LBB63_2069
; %bb.2068:
	s_wait_loadcnt 0x0
	global_load_u8 v3, v[14:15], off
	s_wait_loadcnt 0x0
	v_lshlrev_b32_e32 v5, 25, v3
	v_lshlrev_b16 v3, 8, v3
	s_delay_alu instid0(VALU_DEP_1) | instskip(SKIP_1) | instid1(VALU_DEP_2)
	v_and_or_b32 v9, 0x7f00, v3, 0.5
	v_bfe_i32 v3, v3, 0, 16
	v_add_f32_e32 v9, -0.5, v9
	v_lshrrev_b32_e32 v7, 4, v5
	v_cmp_gt_u32_e32 vcc_lo, 0x8000000, v5
	s_delay_alu instid0(VALU_DEP_2) | instskip(NEXT) | instid1(VALU_DEP_1)
	v_or_b32_e32 v7, 0x70000000, v7
	v_mul_f32_e32 v7, 0x7800000, v7
	s_delay_alu instid0(VALU_DEP_1) | instskip(NEXT) | instid1(VALU_DEP_1)
	v_cndmask_b32_e32 v5, v7, v9, vcc_lo
	v_and_or_b32 v3, 0x80000000, v3, v5
	s_delay_alu instid0(VALU_DEP_1)
	v_cvt_i32_f32_e32 v3, v3
.LBB63_2069:
	s_mov_b32 s14, 0
	s_mov_b32 s15, -1
.LBB63_2070:
	s_and_not1_b32 vcc_lo, exec_lo, s14
	s_mov_b32 s14, 0
	s_cbranch_vccnz .LBB63_2081
; %bb.2071:
	s_cmp_gt_i32 s12, 14
	s_cbranch_scc0 .LBB63_2074
; %bb.2072:
	s_cmp_eq_u32 s12, 15
	s_cbranch_scc0 .LBB63_2077
; %bb.2073:
	s_wait_loadcnt 0x0
	global_load_u16 v3, v[14:15], off
	s_mov_b32 s13, 0
	s_mov_b32 s15, -1
	s_wait_loadcnt 0x0
	v_lshlrev_b32_e32 v3, 16, v3
	s_delay_alu instid0(VALU_DEP_1)
	v_cvt_i32_f32_e32 v3, v3
	s_branch .LBB63_2079
.LBB63_2074:
	s_mov_b32 s14, -1
	s_branch .LBB63_2078
.LBB63_2075:
	s_and_not1_saveexec_b32 s14, s14
	s_cbranch_execz .LBB63_2056
.LBB63_2076:
	v_cmp_ne_u16_e32 vcc_lo, 0, v5
	s_and_not1_b32 s15, s15, exec_lo
	s_and_b32 s16, vcc_lo, exec_lo
	s_delay_alu instid0(SALU_CYCLE_1)
	s_or_b32 s15, s15, s16
	s_or_b32 exec_lo, exec_lo, s14
	v_mov_b32_e32 v3, 0
	s_and_saveexec_b32 s14, s15
	s_cbranch_execnz .LBB63_2057
	s_branch .LBB63_2058
.LBB63_2077:
	s_mov_b32 s13, -1
.LBB63_2078:
                                        ; implicit-def: $vgpr3
.LBB63_2079:
	s_and_b32 vcc_lo, exec_lo, s14
	s_mov_b32 s14, 0
	s_cbranch_vccz .LBB63_2081
; %bb.2080:
	s_cmp_lg_u32 s12, 11
	s_mov_b32 s14, -1
	s_cselect_b32 s13, -1, 0
.LBB63_2081:
	s_delay_alu instid0(SALU_CYCLE_1)
	s_and_b32 vcc_lo, exec_lo, s13
	s_cbranch_vccnz .LBB63_2152
; %bb.2082:
	s_and_not1_b32 vcc_lo, exec_lo, s14
	s_cbranch_vccnz .LBB63_2084
.LBB63_2083:
	s_wait_loadcnt 0x0
	global_load_u8 v3, v[14:15], off
	s_mov_b32 s15, -1
	s_wait_loadcnt 0x0
	v_cmp_ne_u16_e32 vcc_lo, 0, v3
	v_cndmask_b32_e64 v3, 0, 1, vcc_lo
.LBB63_2084:
	s_mov_b32 s13, 0
.LBB63_2085:
	s_delay_alu instid0(SALU_CYCLE_1)
	s_and_b32 vcc_lo, exec_lo, s13
	s_cbranch_vccz .LBB63_2134
; %bb.2086:
	s_cmp_lt_i32 s12, 5
	s_cbranch_scc1 .LBB63_2091
; %bb.2087:
	s_cmp_lt_i32 s12, 8
	s_cbranch_scc1 .LBB63_2092
	;; [unrolled: 3-line block ×3, first 2 shown]
; %bb.2089:
	s_cmp_gt_i32 s12, 9
	s_cbranch_scc0 .LBB63_2094
; %bb.2090:
	global_load_b64 v[20:21], v[14:15], off
	s_mov_b32 s13, 0
	s_wait_loadcnt 0x0
	v_cvt_i32_f64_e32 v3, v[20:21]
	s_branch .LBB63_2095
.LBB63_2091:
	s_mov_b32 s13, -1
                                        ; implicit-def: $vgpr3
	s_branch .LBB63_2113
.LBB63_2092:
	s_mov_b32 s13, -1
                                        ; implicit-def: $vgpr3
	s_branch .LBB63_2101
.LBB63_2093:
	s_mov_b32 s13, -1
                                        ; implicit-def: $vgpr3
	s_branch .LBB63_2098
.LBB63_2094:
	s_mov_b32 s13, -1
                                        ; implicit-def: $vgpr3
.LBB63_2095:
	s_delay_alu instid0(SALU_CYCLE_1)
	s_and_not1_b32 vcc_lo, exec_lo, s13
	s_cbranch_vccnz .LBB63_2097
; %bb.2096:
	s_wait_loadcnt 0x0
	global_load_b32 v3, v[14:15], off
	s_wait_loadcnt 0x0
	v_cvt_i32_f32_e32 v3, v3
.LBB63_2097:
	s_mov_b32 s13, 0
.LBB63_2098:
	s_delay_alu instid0(SALU_CYCLE_1)
	s_and_not1_b32 vcc_lo, exec_lo, s13
	s_cbranch_vccnz .LBB63_2100
; %bb.2099:
	s_wait_loadcnt 0x0
	global_load_b32 v3, v[14:15], off
	s_wait_loadcnt 0x0
	v_cvt_f32_f16_e32 v3, v3
	s_delay_alu instid0(VALU_DEP_1)
	v_cvt_i32_f32_e32 v3, v3
.LBB63_2100:
	s_mov_b32 s13, 0
.LBB63_2101:
	s_delay_alu instid0(SALU_CYCLE_1)
	s_and_not1_b32 vcc_lo, exec_lo, s13
	s_cbranch_vccnz .LBB63_2112
; %bb.2102:
	s_cmp_lt_i32 s12, 6
	s_cbranch_scc1 .LBB63_2105
; %bb.2103:
	s_cmp_gt_i32 s12, 6
	s_cbranch_scc0 .LBB63_2106
; %bb.2104:
	global_load_b64 v[20:21], v[14:15], off
	s_mov_b32 s13, 0
	s_wait_loadcnt 0x0
	v_cvt_i32_f64_e32 v3, v[20:21]
	s_branch .LBB63_2107
.LBB63_2105:
	s_mov_b32 s13, -1
                                        ; implicit-def: $vgpr3
	s_branch .LBB63_2110
.LBB63_2106:
	s_mov_b32 s13, -1
                                        ; implicit-def: $vgpr3
.LBB63_2107:
	s_delay_alu instid0(SALU_CYCLE_1)
	s_and_not1_b32 vcc_lo, exec_lo, s13
	s_cbranch_vccnz .LBB63_2109
; %bb.2108:
	s_wait_loadcnt 0x0
	global_load_b32 v3, v[14:15], off
	s_wait_loadcnt 0x0
	v_cvt_i32_f32_e32 v3, v3
.LBB63_2109:
	s_mov_b32 s13, 0
.LBB63_2110:
	s_delay_alu instid0(SALU_CYCLE_1)
	s_and_not1_b32 vcc_lo, exec_lo, s13
	s_cbranch_vccnz .LBB63_2112
; %bb.2111:
	s_wait_loadcnt 0x0
	global_load_u16 v3, v[14:15], off
	s_wait_loadcnt 0x0
	v_cvt_f32_f16_e32 v3, v3
	s_delay_alu instid0(VALU_DEP_1)
	v_cvt_i32_f32_e32 v3, v3
.LBB63_2112:
	s_mov_b32 s13, 0
.LBB63_2113:
	s_delay_alu instid0(SALU_CYCLE_1)
	s_and_not1_b32 vcc_lo, exec_lo, s13
	s_cbranch_vccnz .LBB63_2133
; %bb.2114:
	s_cmp_lt_i32 s12, 2
	s_cbranch_scc1 .LBB63_2118
; %bb.2115:
	s_cmp_lt_i32 s12, 3
	s_cbranch_scc1 .LBB63_2119
; %bb.2116:
	s_cmp_gt_i32 s12, 3
	s_cbranch_scc0 .LBB63_2120
; %bb.2117:
	s_wait_loadcnt 0x0
	global_load_b32 v3, v[14:15], off
	s_mov_b32 s13, 0
	s_branch .LBB63_2121
.LBB63_2118:
	s_mov_b32 s13, -1
                                        ; implicit-def: $vgpr3
	s_branch .LBB63_2127
.LBB63_2119:
	s_mov_b32 s13, -1
                                        ; implicit-def: $vgpr3
	s_branch .LBB63_2124
.LBB63_2120:
	s_mov_b32 s13, -1
                                        ; implicit-def: $vgpr3
.LBB63_2121:
	s_delay_alu instid0(SALU_CYCLE_1)
	s_and_not1_b32 vcc_lo, exec_lo, s13
	s_cbranch_vccnz .LBB63_2123
; %bb.2122:
	s_wait_loadcnt 0x0
	global_load_b32 v3, v[14:15], off
.LBB63_2123:
	s_mov_b32 s13, 0
.LBB63_2124:
	s_delay_alu instid0(SALU_CYCLE_1)
	s_and_not1_b32 vcc_lo, exec_lo, s13
	s_cbranch_vccnz .LBB63_2126
; %bb.2125:
	s_wait_loadcnt 0x0
	global_load_i16 v3, v[14:15], off
.LBB63_2126:
	s_mov_b32 s13, 0
.LBB63_2127:
	s_delay_alu instid0(SALU_CYCLE_1)
	s_and_not1_b32 vcc_lo, exec_lo, s13
	s_cbranch_vccnz .LBB63_2133
; %bb.2128:
	s_cmp_gt_i32 s12, 0
	s_mov_b32 s13, 0
	s_cbranch_scc0 .LBB63_2130
; %bb.2129:
	s_wait_loadcnt 0x0
	global_load_i8 v3, v[14:15], off
	s_branch .LBB63_2131
.LBB63_2130:
	s_mov_b32 s13, -1
                                        ; implicit-def: $vgpr3
.LBB63_2131:
	s_delay_alu instid0(SALU_CYCLE_1)
	s_and_not1_b32 vcc_lo, exec_lo, s13
	s_cbranch_vccnz .LBB63_2133
; %bb.2132:
	s_wait_loadcnt 0x0
	global_load_u8 v3, v[14:15], off
.LBB63_2133:
	s_mov_b32 s15, -1
.LBB63_2134:
	s_delay_alu instid0(SALU_CYCLE_1)
	s_and_not1_b32 vcc_lo, exec_lo, s15
	s_cbranch_vccnz .LBB63_2741
; %bb.2135:
	s_wait_loadcnt 0x0
	s_delay_alu instid0(VALU_DEP_1) | instskip(SKIP_2) | instid1(VALU_DEP_1)
	v_sub_nc_u32_e32 v5, 0, v3
	s_mov_b32 s14, 0
	s_mov_b32 s13, exec_lo
	v_max_i32_e32 v7, v3, v5
	v_sub_nc_u32_e32 v5, 0, v1
	s_wait_xcnt 0x0
	v_cmpx_ne_u32_e32 0, v1
	s_cbranch_execz .LBB63_2139
; %bb.2136:
	s_delay_alu instid0(VALU_DEP_2)
	v_max_i32_e32 v11, v1, v5
.LBB63_2137:                            ; =>This Inner Loop Header: Depth=1
	s_delay_alu instid0(VALU_DEP_1) | instskip(NEXT) | instid1(VALU_DEP_1)
	v_mov_b32_e32 v9, v11
	v_cvt_f32_u32_e32 v11, v9
	v_sub_nc_u32_e32 v13, 0, v9
	s_delay_alu instid0(VALU_DEP_2) | instskip(SKIP_1) | instid1(TRANS32_DEP_1)
	v_rcp_iflag_f32_e32 v11, v11
	v_nop
	v_mul_f32_e32 v11, 0x4f7ffffe, v11
	s_delay_alu instid0(VALU_DEP_1) | instskip(NEXT) | instid1(VALU_DEP_1)
	v_cvt_u32_f32_e32 v11, v11
	v_mul_lo_u32 v13, v13, v11
	s_delay_alu instid0(VALU_DEP_1) | instskip(NEXT) | instid1(VALU_DEP_1)
	v_mul_hi_u32 v13, v11, v13
	v_add_nc_u32_e32 v11, v11, v13
	s_delay_alu instid0(VALU_DEP_1) | instskip(NEXT) | instid1(VALU_DEP_1)
	v_mul_hi_u32 v11, v7, v11
	v_mul_lo_u32 v11, v11, v9
	s_delay_alu instid0(VALU_DEP_1) | instskip(NEXT) | instid1(VALU_DEP_1)
	v_sub_nc_u32_e32 v7, v7, v11
	v_sub_nc_u32_e32 v11, v7, v9
	v_cmp_ge_u32_e32 vcc_lo, v7, v9
	s_delay_alu instid0(VALU_DEP_2) | instskip(NEXT) | instid1(VALU_DEP_1)
	v_cndmask_b32_e32 v7, v7, v11, vcc_lo
	v_sub_nc_u32_e32 v11, v7, v9
	v_cmp_ge_u32_e32 vcc_lo, v7, v9
	s_delay_alu instid0(VALU_DEP_2) | instskip(NEXT) | instid1(VALU_DEP_1)
	v_dual_cndmask_b32 v11, v7, v11, vcc_lo :: v_dual_mov_b32 v7, v9
	v_cmp_eq_u32_e32 vcc_lo, 0, v11
	s_or_b32 s14, vcc_lo, s14
	s_delay_alu instid0(SALU_CYCLE_1)
	s_and_not1_b32 exec_lo, exec_lo, s14
	s_cbranch_execnz .LBB63_2137
; %bb.2138:
	s_or_b32 exec_lo, exec_lo, s14
	v_mov_b32_e32 v7, v9
.LBB63_2139:
	s_or_b32 exec_lo, exec_lo, s13
	v_mov_b32_e32 v14, 0
	s_mov_b32 s13, exec_lo
	s_delay_alu instid0(VALU_DEP_2)
	v_cmpx_ne_u32_e32 0, v7
	s_cbranch_execz .LBB63_2141
; %bb.2140:
	v_dual_sub_nc_u32 v9, 0, v7 :: v_dual_max_i32 v5, v1, v5
	v_xor_b32_e32 v1, v1, v7
	s_delay_alu instid0(VALU_DEP_2) | instskip(NEXT) | instid1(VALU_DEP_2)
	v_max_i32_e32 v9, v7, v9
	v_ashrrev_i32_e32 v1, 31, v1
	s_delay_alu instid0(VALU_DEP_2) | instskip(SKIP_1) | instid1(VALU_DEP_2)
	v_cvt_f32_u32_e32 v11, v9
	v_sub_nc_u32_e32 v13, 0, v9
	v_rcp_iflag_f32_e32 v11, v11
	v_nop
	s_delay_alu instid0(TRANS32_DEP_1) | instskip(NEXT) | instid1(VALU_DEP_1)
	v_mul_f32_e32 v11, 0x4f7ffffe, v11
	v_cvt_u32_f32_e32 v11, v11
	s_delay_alu instid0(VALU_DEP_1) | instskip(NEXT) | instid1(VALU_DEP_1)
	v_mul_lo_u32 v13, v13, v11
	v_mul_hi_u32 v13, v11, v13
	s_delay_alu instid0(VALU_DEP_1) | instskip(NEXT) | instid1(VALU_DEP_1)
	v_add_nc_u32_e32 v11, v11, v13
	v_mul_hi_u32 v11, v5, v11
	s_delay_alu instid0(VALU_DEP_1) | instskip(NEXT) | instid1(VALU_DEP_1)
	v_mul_lo_u32 v13, v11, v9
	v_dual_sub_nc_u32 v5, v5, v13 :: v_dual_add_nc_u32 v13, 1, v11
	s_delay_alu instid0(VALU_DEP_1) | instskip(SKIP_1) | instid1(VALU_DEP_2)
	v_sub_nc_u32_e32 v14, v5, v9
	v_cmp_ge_u32_e32 vcc_lo, v5, v9
	v_dual_cndmask_b32 v11, v11, v13, vcc_lo :: v_dual_cndmask_b32 v5, v5, v14, vcc_lo
	s_delay_alu instid0(VALU_DEP_1) | instskip(NEXT) | instid1(VALU_DEP_2)
	v_add_nc_u32_e32 v7, 1, v11
	v_cmp_ge_u32_e32 vcc_lo, v5, v9
	s_delay_alu instid0(VALU_DEP_2) | instskip(NEXT) | instid1(VALU_DEP_1)
	v_cndmask_b32_e32 v5, v11, v7, vcc_lo
	v_xor_b32_e32 v5, v5, v1
	s_delay_alu instid0(VALU_DEP_1) | instskip(NEXT) | instid1(VALU_DEP_1)
	v_sub_nc_u32_e32 v1, v5, v1
	v_mul_lo_u32 v1, v1, v3
	s_delay_alu instid0(VALU_DEP_1) | instskip(NEXT) | instid1(VALU_DEP_1)
	v_sub_nc_u32_e32 v3, 0, v1
	v_max_i32_e32 v14, v1, v3
.LBB63_2141:
	s_or_b32 exec_lo, exec_lo, s13
	v_mov_b32_e32 v19, 0
	s_cmp_lt_i32 s11, 11
	s_delay_alu instid0(VALU_DEP_1)
	v_add_nc_u64_e32 v[18:19], s[6:7], v[18:19]
	s_cbranch_scc1 .LBB63_2148
; %bb.2142:
	s_cmp_gt_i32 s11, 25
	s_mov_b32 s14, 0
	s_cbranch_scc0 .LBB63_2149
; %bb.2143:
	s_cmp_gt_i32 s11, 28
	s_cbranch_scc0 .LBB63_2150
; %bb.2144:
	s_cmp_gt_i32 s11, 43
	;; [unrolled: 3-line block ×3, first 2 shown]
	s_cbranch_scc0 .LBB63_2153
; %bb.2146:
	s_cmp_eq_u32 s11, 46
	s_mov_b32 s16, 0
	s_cbranch_scc0 .LBB63_2154
; %bb.2147:
	global_load_b32 v1, v[18:19], off
	s_mov_b32 s13, 0
	s_mov_b32 s15, -1
	s_wait_loadcnt 0x0
	v_lshlrev_b32_e32 v1, 16, v1
	s_delay_alu instid0(VALU_DEP_1)
	v_cvt_i32_f32_e32 v1, v1
	s_branch .LBB63_2156
.LBB63_2148:
	s_mov_b32 s13, -1
	s_mov_b32 s15, 0
                                        ; implicit-def: $vgpr1
	s_branch .LBB63_2218
.LBB63_2149:
	s_mov_b32 s16, -1
	s_mov_b32 s15, 0
	s_mov_b32 s13, 0
                                        ; implicit-def: $vgpr1
	s_branch .LBB63_2183
.LBB63_2150:
	s_mov_b32 s16, -1
	s_mov_b32 s15, 0
	s_mov_b32 s13, 0
                                        ; implicit-def: $vgpr1
	s_branch .LBB63_2166
.LBB63_2151:
	s_mov_b32 s16, -1
	s_mov_b32 s15, 0
	s_mov_b32 s13, 0
                                        ; implicit-def: $vgpr1
	s_branch .LBB63_2161
.LBB63_2152:
	s_or_b32 s10, s10, exec_lo
	s_trap 2
	s_cbranch_execz .LBB63_2083
	s_branch .LBB63_2084
.LBB63_2153:
	s_mov_b32 s16, -1
	s_mov_b32 s15, 0
	s_mov_b32 s13, 0
	s_branch .LBB63_2155
.LBB63_2154:
	s_mov_b32 s13, -1
	s_mov_b32 s15, 0
.LBB63_2155:
                                        ; implicit-def: $vgpr1
.LBB63_2156:
	s_and_b32 vcc_lo, exec_lo, s16
	s_cbranch_vccz .LBB63_2160
; %bb.2157:
	s_cmp_eq_u32 s11, 44
	s_cbranch_scc0 .LBB63_2159
; %bb.2158:
	global_load_u8 v1, v[18:19], off
	s_mov_b32 s13, 0
	s_mov_b32 s15, -1
	s_wait_loadcnt 0x0
	v_lshlrev_b32_e32 v3, 23, v1
	v_cmp_ne_u32_e32 vcc_lo, 0, v1
	s_delay_alu instid0(VALU_DEP_2) | instskip(NEXT) | instid1(VALU_DEP_1)
	v_cvt_i32_f32_e32 v3, v3
	v_cndmask_b32_e32 v1, 0, v3, vcc_lo
	s_branch .LBB63_2160
.LBB63_2159:
	s_mov_b32 s13, -1
                                        ; implicit-def: $vgpr1
.LBB63_2160:
	s_mov_b32 s16, 0
.LBB63_2161:
	s_delay_alu instid0(SALU_CYCLE_1)
	s_and_b32 vcc_lo, exec_lo, s16
	s_cbranch_vccz .LBB63_2165
; %bb.2162:
	s_cmp_eq_u32 s11, 29
	s_cbranch_scc0 .LBB63_2164
; %bb.2163:
	global_load_b32 v1, v[18:19], off
	s_mov_b32 s13, 0
	s_mov_b32 s15, -1
	s_branch .LBB63_2165
.LBB63_2164:
	s_mov_b32 s13, -1
                                        ; implicit-def: $vgpr1
.LBB63_2165:
	s_mov_b32 s16, 0
.LBB63_2166:
	s_delay_alu instid0(SALU_CYCLE_1)
	s_and_b32 vcc_lo, exec_lo, s16
	s_cbranch_vccz .LBB63_2182
; %bb.2167:
	s_cmp_lt_i32 s11, 27
	s_cbranch_scc1 .LBB63_2170
; %bb.2168:
	s_cmp_gt_i32 s11, 27
	s_cbranch_scc0 .LBB63_2171
; %bb.2169:
	s_wait_loadcnt 0x0
	global_load_b32 v1, v[18:19], off
	s_mov_b32 s15, 0
	s_branch .LBB63_2172
.LBB63_2170:
	s_mov_b32 s15, -1
                                        ; implicit-def: $vgpr1
	s_branch .LBB63_2175
.LBB63_2171:
	s_mov_b32 s15, -1
                                        ; implicit-def: $vgpr1
.LBB63_2172:
	s_delay_alu instid0(SALU_CYCLE_1)
	s_and_not1_b32 vcc_lo, exec_lo, s15
	s_cbranch_vccnz .LBB63_2174
; %bb.2173:
	s_wait_loadcnt 0x0
	global_load_u16 v1, v[18:19], off
.LBB63_2174:
	s_mov_b32 s15, 0
.LBB63_2175:
	s_delay_alu instid0(SALU_CYCLE_1)
	s_and_not1_b32 vcc_lo, exec_lo, s15
	s_cbranch_vccnz .LBB63_2181
; %bb.2176:
	global_load_u8 v3, v[18:19], off
	s_mov_b32 s16, 0
	s_mov_b32 s15, exec_lo
	s_wait_loadcnt 0x0
	v_cmpx_lt_i16_e32 0x7f, v3
	s_xor_b32 s15, exec_lo, s15
	s_cbranch_execz .LBB63_2193
; %bb.2177:
	v_cmp_ne_u16_e32 vcc_lo, 0x80, v3
	s_and_b32 s16, vcc_lo, exec_lo
	s_and_not1_saveexec_b32 s15, s15
	s_cbranch_execnz .LBB63_2194
.LBB63_2178:
	s_or_b32 exec_lo, exec_lo, s15
	v_mov_b32_e32 v1, 0
	s_and_saveexec_b32 s15, s16
	s_cbranch_execz .LBB63_2180
.LBB63_2179:
	v_and_b32_e32 v1, 0xffff, v3
	s_delay_alu instid0(VALU_DEP_1) | instskip(SKIP_1) | instid1(VALU_DEP_2)
	v_and_b32_e32 v5, 7, v1
	v_bfe_u32 v11, v1, 3, 4
	v_clz_i32_u32_e32 v7, v5
	s_delay_alu instid0(VALU_DEP_2) | instskip(NEXT) | instid1(VALU_DEP_2)
	v_cmp_eq_u32_e32 vcc_lo, 0, v11
	v_min_u32_e32 v7, 32, v7
	s_delay_alu instid0(VALU_DEP_1) | instskip(NEXT) | instid1(VALU_DEP_1)
	v_subrev_nc_u32_e32 v9, 28, v7
	v_dual_lshlrev_b32 v1, v9, v1 :: v_dual_sub_nc_u32 v7, 29, v7
	s_delay_alu instid0(VALU_DEP_1) | instskip(NEXT) | instid1(VALU_DEP_1)
	v_dual_lshlrev_b32 v3, 24, v3 :: v_dual_bitop2_b32 v1, 7, v1 bitop3:0x40
	v_dual_cndmask_b32 v1, v5, v1, vcc_lo :: v_dual_cndmask_b32 v7, v11, v7, vcc_lo
	s_delay_alu instid0(VALU_DEP_2) | instskip(NEXT) | instid1(VALU_DEP_2)
	v_and_b32_e32 v3, 0x80000000, v3
	v_lshlrev_b32_e32 v1, 20, v1
	s_delay_alu instid0(VALU_DEP_3) | instskip(NEXT) | instid1(VALU_DEP_1)
	v_lshl_add_u32 v5, v7, 23, 0x3b800000
	v_or3_b32 v1, v3, v5, v1
	s_delay_alu instid0(VALU_DEP_1)
	v_cvt_i32_f32_e32 v1, v1
.LBB63_2180:
	s_or_b32 exec_lo, exec_lo, s15
.LBB63_2181:
	s_mov_b32 s15, -1
.LBB63_2182:
	s_mov_b32 s16, 0
.LBB63_2183:
	s_delay_alu instid0(SALU_CYCLE_1)
	s_and_b32 vcc_lo, exec_lo, s16
	s_cbranch_vccz .LBB63_2214
; %bb.2184:
	s_cmp_gt_i32 s11, 22
	s_cbranch_scc0 .LBB63_2192
; %bb.2185:
	s_cmp_lt_i32 s11, 24
	s_cbranch_scc1 .LBB63_2195
; %bb.2186:
	s_cmp_gt_i32 s11, 24
	s_cbranch_scc0 .LBB63_2196
; %bb.2187:
	global_load_u8 v3, v[18:19], off
	s_mov_b32 s15, 0
	s_mov_b32 s14, exec_lo
	s_wait_loadcnt 0x0
	v_cmpx_lt_i16_e32 0x7f, v3
	s_xor_b32 s14, exec_lo, s14
	s_cbranch_execz .LBB63_2208
; %bb.2188:
	v_cmp_ne_u16_e32 vcc_lo, 0x80, v3
	s_and_b32 s15, vcc_lo, exec_lo
	s_and_not1_saveexec_b32 s14, s14
	s_cbranch_execnz .LBB63_2209
.LBB63_2189:
	s_or_b32 exec_lo, exec_lo, s14
	v_mov_b32_e32 v1, 0
	s_and_saveexec_b32 s14, s15
	s_cbranch_execz .LBB63_2191
.LBB63_2190:
	v_and_b32_e32 v1, 0xffff, v3
	s_delay_alu instid0(VALU_DEP_1) | instskip(SKIP_1) | instid1(VALU_DEP_2)
	v_and_b32_e32 v5, 3, v1
	v_bfe_u32 v11, v1, 2, 5
	v_clz_i32_u32_e32 v7, v5
	s_delay_alu instid0(VALU_DEP_2) | instskip(NEXT) | instid1(VALU_DEP_2)
	v_cmp_eq_u32_e32 vcc_lo, 0, v11
	v_min_u32_e32 v7, 32, v7
	s_delay_alu instid0(VALU_DEP_1) | instskip(NEXT) | instid1(VALU_DEP_1)
	v_subrev_nc_u32_e32 v9, 29, v7
	v_dual_lshlrev_b32 v1, v9, v1 :: v_dual_sub_nc_u32 v7, 30, v7
	s_delay_alu instid0(VALU_DEP_1) | instskip(NEXT) | instid1(VALU_DEP_1)
	v_dual_lshlrev_b32 v3, 24, v3 :: v_dual_bitop2_b32 v1, 3, v1 bitop3:0x40
	v_dual_cndmask_b32 v1, v5, v1, vcc_lo :: v_dual_cndmask_b32 v7, v11, v7, vcc_lo
	s_delay_alu instid0(VALU_DEP_2) | instskip(NEXT) | instid1(VALU_DEP_2)
	v_and_b32_e32 v3, 0x80000000, v3
	v_lshlrev_b32_e32 v1, 21, v1
	s_delay_alu instid0(VALU_DEP_3) | instskip(NEXT) | instid1(VALU_DEP_1)
	v_lshl_add_u32 v5, v7, 23, 0x37800000
	v_or3_b32 v1, v3, v5, v1
	s_delay_alu instid0(VALU_DEP_1)
	v_cvt_i32_f32_e32 v1, v1
.LBB63_2191:
	s_or_b32 exec_lo, exec_lo, s14
	s_mov_b32 s14, 0
	s_branch .LBB63_2197
.LBB63_2192:
	s_mov_b32 s14, -1
                                        ; implicit-def: $vgpr1
	s_branch .LBB63_2203
.LBB63_2193:
	s_and_not1_saveexec_b32 s15, s15
	s_cbranch_execz .LBB63_2178
.LBB63_2194:
	v_cmp_ne_u16_e32 vcc_lo, 0, v3
	s_and_not1_b32 s16, s16, exec_lo
	s_and_b32 s17, vcc_lo, exec_lo
	s_delay_alu instid0(SALU_CYCLE_1)
	s_or_b32 s16, s16, s17
	s_or_b32 exec_lo, exec_lo, s15
	v_mov_b32_e32 v1, 0
	s_and_saveexec_b32 s15, s16
	s_cbranch_execnz .LBB63_2179
	s_branch .LBB63_2180
.LBB63_2195:
	s_mov_b32 s14, -1
                                        ; implicit-def: $vgpr1
	s_branch .LBB63_2200
.LBB63_2196:
	s_mov_b32 s14, -1
                                        ; implicit-def: $vgpr1
.LBB63_2197:
	s_delay_alu instid0(SALU_CYCLE_1)
	s_and_b32 vcc_lo, exec_lo, s14
	s_cbranch_vccz .LBB63_2199
; %bb.2198:
	s_wait_loadcnt 0x0
	global_load_u8 v1, v[18:19], off
	s_wait_loadcnt 0x0
	v_lshlrev_b32_e32 v1, 24, v1
	s_delay_alu instid0(VALU_DEP_1) | instskip(NEXT) | instid1(VALU_DEP_1)
	v_and_b32_e32 v3, 0x7f000000, v1
	v_clz_i32_u32_e32 v5, v3
	v_add_nc_u32_e32 v9, 0x1000000, v3
	v_cmp_ne_u32_e32 vcc_lo, 0, v3
	s_delay_alu instid0(VALU_DEP_3) | instskip(NEXT) | instid1(VALU_DEP_1)
	v_min_u32_e32 v5, 32, v5
	v_sub_nc_u32_e64 v5, v5, 4 clamp
	s_delay_alu instid0(VALU_DEP_1) | instskip(NEXT) | instid1(VALU_DEP_1)
	v_dual_lshlrev_b32 v7, v5, v3 :: v_dual_lshlrev_b32 v5, 23, v5
	v_lshrrev_b32_e32 v7, 4, v7
	s_delay_alu instid0(VALU_DEP_1) | instskip(SKIP_1) | instid1(VALU_DEP_2)
	v_sub_nc_u32_e32 v5, v7, v5
	v_ashrrev_i32_e32 v7, 8, v9
	v_add_nc_u32_e32 v5, 0x3c000000, v5
	s_delay_alu instid0(VALU_DEP_1) | instskip(NEXT) | instid1(VALU_DEP_1)
	v_and_or_b32 v5, 0x7f800000, v7, v5
	v_cndmask_b32_e32 v3, 0, v5, vcc_lo
	s_delay_alu instid0(VALU_DEP_1) | instskip(NEXT) | instid1(VALU_DEP_1)
	v_and_or_b32 v1, 0x80000000, v1, v3
	v_cvt_i32_f32_e32 v1, v1
.LBB63_2199:
	s_mov_b32 s14, 0
.LBB63_2200:
	s_delay_alu instid0(SALU_CYCLE_1)
	s_and_not1_b32 vcc_lo, exec_lo, s14
	s_cbranch_vccnz .LBB63_2202
; %bb.2201:
	s_wait_loadcnt 0x0
	global_load_u8 v1, v[18:19], off
	s_wait_loadcnt 0x0
	v_lshlrev_b32_e32 v3, 25, v1
	v_lshlrev_b16 v1, 8, v1
	s_delay_alu instid0(VALU_DEP_1) | instskip(SKIP_1) | instid1(VALU_DEP_2)
	v_and_or_b32 v7, 0x7f00, v1, 0.5
	v_bfe_i32 v1, v1, 0, 16
	v_add_f32_e32 v7, -0.5, v7
	v_lshrrev_b32_e32 v5, 4, v3
	v_cmp_gt_u32_e32 vcc_lo, 0x8000000, v3
	s_delay_alu instid0(VALU_DEP_2) | instskip(NEXT) | instid1(VALU_DEP_1)
	v_or_b32_e32 v5, 0x70000000, v5
	v_mul_f32_e32 v5, 0x7800000, v5
	s_delay_alu instid0(VALU_DEP_1) | instskip(NEXT) | instid1(VALU_DEP_1)
	v_cndmask_b32_e32 v3, v5, v7, vcc_lo
	v_and_or_b32 v1, 0x80000000, v1, v3
	s_delay_alu instid0(VALU_DEP_1)
	v_cvt_i32_f32_e32 v1, v1
.LBB63_2202:
	s_mov_b32 s14, 0
	s_mov_b32 s15, -1
.LBB63_2203:
	s_and_not1_b32 vcc_lo, exec_lo, s14
	s_mov_b32 s14, 0
	s_cbranch_vccnz .LBB63_2214
; %bb.2204:
	s_cmp_gt_i32 s11, 14
	s_cbranch_scc0 .LBB63_2207
; %bb.2205:
	s_cmp_eq_u32 s11, 15
	s_cbranch_scc0 .LBB63_2210
; %bb.2206:
	s_wait_loadcnt 0x0
	global_load_u16 v1, v[18:19], off
	s_mov_b32 s13, 0
	s_mov_b32 s15, -1
	s_wait_loadcnt 0x0
	v_lshlrev_b32_e32 v1, 16, v1
	s_delay_alu instid0(VALU_DEP_1)
	v_cvt_i32_f32_e32 v1, v1
	s_branch .LBB63_2212
.LBB63_2207:
	s_mov_b32 s14, -1
	s_branch .LBB63_2211
.LBB63_2208:
	s_and_not1_saveexec_b32 s14, s14
	s_cbranch_execz .LBB63_2189
.LBB63_2209:
	v_cmp_ne_u16_e32 vcc_lo, 0, v3
	s_and_not1_b32 s15, s15, exec_lo
	s_and_b32 s16, vcc_lo, exec_lo
	s_delay_alu instid0(SALU_CYCLE_1)
	s_or_b32 s15, s15, s16
	s_or_b32 exec_lo, exec_lo, s14
	v_mov_b32_e32 v1, 0
	s_and_saveexec_b32 s14, s15
	s_cbranch_execnz .LBB63_2190
	s_branch .LBB63_2191
.LBB63_2210:
	s_mov_b32 s13, -1
.LBB63_2211:
                                        ; implicit-def: $vgpr1
.LBB63_2212:
	s_and_b32 vcc_lo, exec_lo, s14
	s_mov_b32 s14, 0
	s_cbranch_vccz .LBB63_2214
; %bb.2213:
	s_cmp_lg_u32 s11, 11
	s_mov_b32 s14, -1
	s_cselect_b32 s13, -1, 0
.LBB63_2214:
	s_delay_alu instid0(SALU_CYCLE_1)
	s_and_b32 vcc_lo, exec_lo, s13
	s_cbranch_vccnz .LBB63_2279
; %bb.2215:
	s_and_not1_b32 vcc_lo, exec_lo, s14
	s_cbranch_vccnz .LBB63_2217
.LBB63_2216:
	s_wait_loadcnt 0x0
	global_load_u8 v1, v[18:19], off
	s_mov_b32 s15, -1
	s_wait_loadcnt 0x0
	v_cmp_ne_u16_e32 vcc_lo, 0, v1
	v_cndmask_b32_e64 v1, 0, 1, vcc_lo
.LBB63_2217:
	s_mov_b32 s13, 0
.LBB63_2218:
	s_delay_alu instid0(SALU_CYCLE_1)
	s_and_b32 vcc_lo, exec_lo, s13
	s_cbranch_vccz .LBB63_2267
; %bb.2219:
	s_cmp_lt_i32 s11, 5
	s_cbranch_scc1 .LBB63_2224
; %bb.2220:
	s_cmp_lt_i32 s11, 8
	s_cbranch_scc1 .LBB63_2225
; %bb.2221:
	s_cmp_lt_i32 s11, 9
	s_cbranch_scc1 .LBB63_2226
; %bb.2222:
	s_cmp_gt_i32 s11, 9
	s_cbranch_scc0 .LBB63_2227
; %bb.2223:
	global_load_b64 v[20:21], v[18:19], off
	s_mov_b32 s13, 0
	s_wait_loadcnt 0x0
	v_cvt_i32_f64_e32 v1, v[20:21]
	s_branch .LBB63_2228
.LBB63_2224:
	s_mov_b32 s13, -1
                                        ; implicit-def: $vgpr1
	s_branch .LBB63_2246
.LBB63_2225:
	s_mov_b32 s13, -1
                                        ; implicit-def: $vgpr1
	s_branch .LBB63_2234
.LBB63_2226:
	s_mov_b32 s13, -1
                                        ; implicit-def: $vgpr1
	s_branch .LBB63_2231
.LBB63_2227:
	s_mov_b32 s13, -1
                                        ; implicit-def: $vgpr1
.LBB63_2228:
	s_delay_alu instid0(SALU_CYCLE_1)
	s_and_not1_b32 vcc_lo, exec_lo, s13
	s_cbranch_vccnz .LBB63_2230
; %bb.2229:
	s_wait_loadcnt 0x0
	global_load_b32 v1, v[18:19], off
	s_wait_loadcnt 0x0
	v_cvt_i32_f32_e32 v1, v1
.LBB63_2230:
	s_mov_b32 s13, 0
.LBB63_2231:
	s_delay_alu instid0(SALU_CYCLE_1)
	s_and_not1_b32 vcc_lo, exec_lo, s13
	s_cbranch_vccnz .LBB63_2233
; %bb.2232:
	s_wait_loadcnt 0x0
	global_load_b32 v1, v[18:19], off
	s_wait_loadcnt 0x0
	v_cvt_f32_f16_e32 v1, v1
	s_delay_alu instid0(VALU_DEP_1)
	v_cvt_i32_f32_e32 v1, v1
.LBB63_2233:
	s_mov_b32 s13, 0
.LBB63_2234:
	s_delay_alu instid0(SALU_CYCLE_1)
	s_and_not1_b32 vcc_lo, exec_lo, s13
	s_cbranch_vccnz .LBB63_2245
; %bb.2235:
	s_cmp_lt_i32 s11, 6
	s_cbranch_scc1 .LBB63_2238
; %bb.2236:
	s_cmp_gt_i32 s11, 6
	s_cbranch_scc0 .LBB63_2239
; %bb.2237:
	global_load_b64 v[20:21], v[18:19], off
	s_mov_b32 s13, 0
	s_wait_loadcnt 0x0
	v_cvt_i32_f64_e32 v1, v[20:21]
	s_branch .LBB63_2240
.LBB63_2238:
	s_mov_b32 s13, -1
                                        ; implicit-def: $vgpr1
	s_branch .LBB63_2243
.LBB63_2239:
	s_mov_b32 s13, -1
                                        ; implicit-def: $vgpr1
.LBB63_2240:
	s_delay_alu instid0(SALU_CYCLE_1)
	s_and_not1_b32 vcc_lo, exec_lo, s13
	s_cbranch_vccnz .LBB63_2242
; %bb.2241:
	s_wait_loadcnt 0x0
	global_load_b32 v1, v[18:19], off
	s_wait_loadcnt 0x0
	v_cvt_i32_f32_e32 v1, v1
.LBB63_2242:
	s_mov_b32 s13, 0
.LBB63_2243:
	s_delay_alu instid0(SALU_CYCLE_1)
	s_and_not1_b32 vcc_lo, exec_lo, s13
	s_cbranch_vccnz .LBB63_2245
; %bb.2244:
	s_wait_loadcnt 0x0
	global_load_u16 v1, v[18:19], off
	s_wait_loadcnt 0x0
	v_cvt_f32_f16_e32 v1, v1
	s_delay_alu instid0(VALU_DEP_1)
	v_cvt_i32_f32_e32 v1, v1
.LBB63_2245:
	s_mov_b32 s13, 0
.LBB63_2246:
	s_delay_alu instid0(SALU_CYCLE_1)
	s_and_not1_b32 vcc_lo, exec_lo, s13
	s_cbranch_vccnz .LBB63_2266
; %bb.2247:
	s_cmp_lt_i32 s11, 2
	s_cbranch_scc1 .LBB63_2251
; %bb.2248:
	s_cmp_lt_i32 s11, 3
	s_cbranch_scc1 .LBB63_2252
; %bb.2249:
	s_cmp_gt_i32 s11, 3
	s_cbranch_scc0 .LBB63_2253
; %bb.2250:
	s_wait_loadcnt 0x0
	global_load_b32 v1, v[18:19], off
	s_mov_b32 s13, 0
	s_branch .LBB63_2254
.LBB63_2251:
	s_mov_b32 s13, -1
                                        ; implicit-def: $vgpr1
	s_branch .LBB63_2260
.LBB63_2252:
	s_mov_b32 s13, -1
                                        ; implicit-def: $vgpr1
	s_branch .LBB63_2257
.LBB63_2253:
	s_mov_b32 s13, -1
                                        ; implicit-def: $vgpr1
.LBB63_2254:
	s_delay_alu instid0(SALU_CYCLE_1)
	s_and_not1_b32 vcc_lo, exec_lo, s13
	s_cbranch_vccnz .LBB63_2256
; %bb.2255:
	s_wait_loadcnt 0x0
	global_load_b32 v1, v[18:19], off
.LBB63_2256:
	s_mov_b32 s13, 0
.LBB63_2257:
	s_delay_alu instid0(SALU_CYCLE_1)
	s_and_not1_b32 vcc_lo, exec_lo, s13
	s_cbranch_vccnz .LBB63_2259
; %bb.2258:
	s_wait_loadcnt 0x0
	global_load_i16 v1, v[18:19], off
.LBB63_2259:
	s_mov_b32 s13, 0
.LBB63_2260:
	s_delay_alu instid0(SALU_CYCLE_1)
	s_and_not1_b32 vcc_lo, exec_lo, s13
	s_cbranch_vccnz .LBB63_2266
; %bb.2261:
	s_cmp_gt_i32 s11, 0
	s_mov_b32 s13, 0
	s_cbranch_scc0 .LBB63_2263
; %bb.2262:
	s_wait_loadcnt 0x0
	global_load_i8 v1, v[18:19], off
	s_branch .LBB63_2264
.LBB63_2263:
	s_mov_b32 s13, -1
                                        ; implicit-def: $vgpr1
.LBB63_2264:
	s_delay_alu instid0(SALU_CYCLE_1)
	s_and_not1_b32 vcc_lo, exec_lo, s13
	s_cbranch_vccnz .LBB63_2266
; %bb.2265:
	s_wait_loadcnt 0x0
	global_load_u8 v1, v[18:19], off
.LBB63_2266:
	s_mov_b32 s15, -1
.LBB63_2267:
	s_delay_alu instid0(SALU_CYCLE_1)
	s_and_not1_b32 vcc_lo, exec_lo, s15
	s_cbranch_vccnz .LBB63_2741
; %bb.2268:
	v_mov_b32_e32 v17, 0
	s_cmp_lt_i32 s12, 11
	s_delay_alu instid0(VALU_DEP_1)
	v_add_nc_u64_e32 v[16:17], s[0:1], v[16:17]
	s_cbranch_scc1 .LBB63_2275
; %bb.2269:
	s_cmp_gt_i32 s12, 25
	s_mov_b32 s14, 0
	s_cbranch_scc0 .LBB63_2276
; %bb.2270:
	s_cmp_gt_i32 s12, 28
	s_cbranch_scc0 .LBB63_2277
; %bb.2271:
	s_cmp_gt_i32 s12, 43
	;; [unrolled: 3-line block ×3, first 2 shown]
	s_cbranch_scc0 .LBB63_2280
; %bb.2273:
	s_cmp_eq_u32 s12, 46
	s_mov_b32 s16, 0
	s_cbranch_scc0 .LBB63_2283
; %bb.2274:
	global_load_b32 v3, v[16:17], off
	s_mov_b32 s13, 0
	s_mov_b32 s15, -1
	s_wait_loadcnt 0x0
	v_lshlrev_b32_e32 v3, 16, v3
	s_delay_alu instid0(VALU_DEP_1)
	v_cvt_i32_f32_e32 v3, v3
	s_branch .LBB63_2285
.LBB63_2275:
	s_mov_b32 s13, -1
	s_mov_b32 s15, 0
                                        ; implicit-def: $vgpr3
	s_branch .LBB63_2347
.LBB63_2276:
	s_mov_b32 s16, -1
	s_mov_b32 s15, 0
	s_mov_b32 s13, 0
                                        ; implicit-def: $vgpr3
	s_branch .LBB63_2312
.LBB63_2277:
	s_mov_b32 s16, -1
	s_mov_b32 s15, 0
	s_mov_b32 s13, 0
                                        ; implicit-def: $vgpr3
	s_branch .LBB63_2295
.LBB63_2278:
	s_mov_b32 s16, -1
	s_mov_b32 s15, 0
	s_mov_b32 s13, 0
                                        ; implicit-def: $vgpr3
	s_branch .LBB63_2290
.LBB63_2279:
	s_or_b32 s10, s10, exec_lo
	s_trap 2
	s_cbranch_execz .LBB63_2216
	s_branch .LBB63_2217
.LBB63_2280:
	s_mov_b32 s16, -1
	s_mov_b32 s15, 0
	s_mov_b32 s13, 0
	s_branch .LBB63_2284
.LBB63_2281:
	s_and_not1_saveexec_b32 s51, s51
	s_cbranch_execz .LBB63_1115
.LBB63_2282:
	v_add_f32_e32 v1, 0x42800000, v5
	s_and_not1_b32 s50, s50, exec_lo
	s_delay_alu instid0(VALU_DEP_1) | instskip(NEXT) | instid1(VALU_DEP_1)
	v_and_b32_e32 v1, 0xff, v1
	v_cmp_ne_u32_e32 vcc_lo, 0, v1
	s_and_b32 s52, vcc_lo, exec_lo
	s_delay_alu instid0(SALU_CYCLE_1)
	s_or_b32 s50, s50, s52
	s_or_b32 exec_lo, exec_lo, s51
	v_mov_b32_e32 v6, 0
	s_and_saveexec_b32 s51, s50
	s_cbranch_execnz .LBB63_1116
	s_branch .LBB63_1117
.LBB63_2283:
	s_mov_b32 s13, -1
	s_mov_b32 s15, 0
.LBB63_2284:
                                        ; implicit-def: $vgpr3
.LBB63_2285:
	s_and_b32 vcc_lo, exec_lo, s16
	s_cbranch_vccz .LBB63_2289
; %bb.2286:
	s_cmp_eq_u32 s12, 44
	s_cbranch_scc0 .LBB63_2288
; %bb.2287:
	global_load_u8 v3, v[16:17], off
	s_mov_b32 s13, 0
	s_mov_b32 s15, -1
	s_wait_loadcnt 0x0
	v_lshlrev_b32_e32 v5, 23, v3
	v_cmp_ne_u32_e32 vcc_lo, 0, v3
	s_delay_alu instid0(VALU_DEP_2) | instskip(NEXT) | instid1(VALU_DEP_1)
	v_cvt_i32_f32_e32 v5, v5
	v_cndmask_b32_e32 v3, 0, v5, vcc_lo
	s_branch .LBB63_2289
.LBB63_2288:
	s_mov_b32 s13, -1
                                        ; implicit-def: $vgpr3
.LBB63_2289:
	s_mov_b32 s16, 0
.LBB63_2290:
	s_delay_alu instid0(SALU_CYCLE_1)
	s_and_b32 vcc_lo, exec_lo, s16
	s_cbranch_vccz .LBB63_2294
; %bb.2291:
	s_cmp_eq_u32 s12, 29
	s_cbranch_scc0 .LBB63_2293
; %bb.2292:
	global_load_b32 v3, v[16:17], off
	s_mov_b32 s13, 0
	s_mov_b32 s15, -1
	s_branch .LBB63_2294
.LBB63_2293:
	s_mov_b32 s13, -1
                                        ; implicit-def: $vgpr3
.LBB63_2294:
	s_mov_b32 s16, 0
.LBB63_2295:
	s_delay_alu instid0(SALU_CYCLE_1)
	s_and_b32 vcc_lo, exec_lo, s16
	s_cbranch_vccz .LBB63_2311
; %bb.2296:
	s_cmp_lt_i32 s12, 27
	s_cbranch_scc1 .LBB63_2299
; %bb.2297:
	s_cmp_gt_i32 s12, 27
	s_cbranch_scc0 .LBB63_2300
; %bb.2298:
	s_wait_loadcnt 0x0
	global_load_b32 v3, v[16:17], off
	s_mov_b32 s15, 0
	s_branch .LBB63_2301
.LBB63_2299:
	s_mov_b32 s15, -1
                                        ; implicit-def: $vgpr3
	s_branch .LBB63_2304
.LBB63_2300:
	s_mov_b32 s15, -1
                                        ; implicit-def: $vgpr3
.LBB63_2301:
	s_delay_alu instid0(SALU_CYCLE_1)
	s_and_not1_b32 vcc_lo, exec_lo, s15
	s_cbranch_vccnz .LBB63_2303
; %bb.2302:
	s_wait_loadcnt 0x0
	global_load_u16 v3, v[16:17], off
.LBB63_2303:
	s_mov_b32 s15, 0
.LBB63_2304:
	s_delay_alu instid0(SALU_CYCLE_1)
	s_and_not1_b32 vcc_lo, exec_lo, s15
	s_cbranch_vccnz .LBB63_2310
; %bb.2305:
	global_load_u8 v5, v[16:17], off
	s_mov_b32 s16, 0
	s_mov_b32 s15, exec_lo
	s_wait_loadcnt 0x0
	v_cmpx_lt_i16_e32 0x7f, v5
	s_xor_b32 s15, exec_lo, s15
	s_cbranch_execz .LBB63_2322
; %bb.2306:
	v_cmp_ne_u16_e32 vcc_lo, 0x80, v5
	s_and_b32 s16, vcc_lo, exec_lo
	s_and_not1_saveexec_b32 s15, s15
	s_cbranch_execnz .LBB63_2323
.LBB63_2307:
	s_or_b32 exec_lo, exec_lo, s15
	v_mov_b32_e32 v3, 0
	s_and_saveexec_b32 s15, s16
	s_cbranch_execz .LBB63_2309
.LBB63_2308:
	v_and_b32_e32 v3, 0xffff, v5
	s_delay_alu instid0(VALU_DEP_1) | instskip(SKIP_1) | instid1(VALU_DEP_2)
	v_and_b32_e32 v7, 7, v3
	v_bfe_u32 v13, v3, 3, 4
	v_clz_i32_u32_e32 v9, v7
	s_delay_alu instid0(VALU_DEP_2) | instskip(NEXT) | instid1(VALU_DEP_2)
	v_cmp_eq_u32_e32 vcc_lo, 0, v13
	v_min_u32_e32 v9, 32, v9
	s_delay_alu instid0(VALU_DEP_1) | instskip(NEXT) | instid1(VALU_DEP_1)
	v_subrev_nc_u32_e32 v11, 28, v9
	v_dual_lshlrev_b32 v3, v11, v3 :: v_dual_sub_nc_u32 v9, 29, v9
	s_delay_alu instid0(VALU_DEP_1) | instskip(NEXT) | instid1(VALU_DEP_1)
	v_dual_lshlrev_b32 v5, 24, v5 :: v_dual_bitop2_b32 v3, 7, v3 bitop3:0x40
	v_dual_cndmask_b32 v3, v7, v3, vcc_lo :: v_dual_cndmask_b32 v9, v13, v9, vcc_lo
	s_delay_alu instid0(VALU_DEP_2) | instskip(NEXT) | instid1(VALU_DEP_2)
	v_and_b32_e32 v5, 0x80000000, v5
	v_lshlrev_b32_e32 v3, 20, v3
	s_delay_alu instid0(VALU_DEP_3) | instskip(NEXT) | instid1(VALU_DEP_1)
	v_lshl_add_u32 v7, v9, 23, 0x3b800000
	v_or3_b32 v3, v5, v7, v3
	s_delay_alu instid0(VALU_DEP_1)
	v_cvt_i32_f32_e32 v3, v3
.LBB63_2309:
	s_or_b32 exec_lo, exec_lo, s15
.LBB63_2310:
	s_mov_b32 s15, -1
.LBB63_2311:
	s_mov_b32 s16, 0
.LBB63_2312:
	s_delay_alu instid0(SALU_CYCLE_1)
	s_and_b32 vcc_lo, exec_lo, s16
	s_cbranch_vccz .LBB63_2343
; %bb.2313:
	s_cmp_gt_i32 s12, 22
	s_cbranch_scc0 .LBB63_2321
; %bb.2314:
	s_cmp_lt_i32 s12, 24
	s_cbranch_scc1 .LBB63_2324
; %bb.2315:
	s_cmp_gt_i32 s12, 24
	s_cbranch_scc0 .LBB63_2325
; %bb.2316:
	global_load_u8 v5, v[16:17], off
	s_mov_b32 s15, 0
	s_mov_b32 s14, exec_lo
	s_wait_loadcnt 0x0
	v_cmpx_lt_i16_e32 0x7f, v5
	s_xor_b32 s14, exec_lo, s14
	s_cbranch_execz .LBB63_2337
; %bb.2317:
	v_cmp_ne_u16_e32 vcc_lo, 0x80, v5
	s_and_b32 s15, vcc_lo, exec_lo
	s_and_not1_saveexec_b32 s14, s14
	s_cbranch_execnz .LBB63_2338
.LBB63_2318:
	s_or_b32 exec_lo, exec_lo, s14
	v_mov_b32_e32 v3, 0
	s_and_saveexec_b32 s14, s15
	s_cbranch_execz .LBB63_2320
.LBB63_2319:
	v_and_b32_e32 v3, 0xffff, v5
	s_delay_alu instid0(VALU_DEP_1) | instskip(SKIP_1) | instid1(VALU_DEP_2)
	v_and_b32_e32 v7, 3, v3
	v_bfe_u32 v13, v3, 2, 5
	v_clz_i32_u32_e32 v9, v7
	s_delay_alu instid0(VALU_DEP_2) | instskip(NEXT) | instid1(VALU_DEP_2)
	v_cmp_eq_u32_e32 vcc_lo, 0, v13
	v_min_u32_e32 v9, 32, v9
	s_delay_alu instid0(VALU_DEP_1) | instskip(NEXT) | instid1(VALU_DEP_1)
	v_subrev_nc_u32_e32 v11, 29, v9
	v_dual_lshlrev_b32 v3, v11, v3 :: v_dual_sub_nc_u32 v9, 30, v9
	s_delay_alu instid0(VALU_DEP_1) | instskip(NEXT) | instid1(VALU_DEP_1)
	v_dual_lshlrev_b32 v5, 24, v5 :: v_dual_bitop2_b32 v3, 3, v3 bitop3:0x40
	v_dual_cndmask_b32 v3, v7, v3, vcc_lo :: v_dual_cndmask_b32 v9, v13, v9, vcc_lo
	s_delay_alu instid0(VALU_DEP_2) | instskip(NEXT) | instid1(VALU_DEP_2)
	v_and_b32_e32 v5, 0x80000000, v5
	v_lshlrev_b32_e32 v3, 21, v3
	s_delay_alu instid0(VALU_DEP_3) | instskip(NEXT) | instid1(VALU_DEP_1)
	v_lshl_add_u32 v7, v9, 23, 0x37800000
	v_or3_b32 v3, v5, v7, v3
	s_delay_alu instid0(VALU_DEP_1)
	v_cvt_i32_f32_e32 v3, v3
.LBB63_2320:
	s_or_b32 exec_lo, exec_lo, s14
	s_mov_b32 s14, 0
	s_branch .LBB63_2326
.LBB63_2321:
	s_mov_b32 s14, -1
                                        ; implicit-def: $vgpr3
	s_branch .LBB63_2332
.LBB63_2322:
	s_and_not1_saveexec_b32 s15, s15
	s_cbranch_execz .LBB63_2307
.LBB63_2323:
	v_cmp_ne_u16_e32 vcc_lo, 0, v5
	s_and_not1_b32 s16, s16, exec_lo
	s_and_b32 s17, vcc_lo, exec_lo
	s_delay_alu instid0(SALU_CYCLE_1)
	s_or_b32 s16, s16, s17
	s_or_b32 exec_lo, exec_lo, s15
	v_mov_b32_e32 v3, 0
	s_and_saveexec_b32 s15, s16
	s_cbranch_execnz .LBB63_2308
	s_branch .LBB63_2309
.LBB63_2324:
	s_mov_b32 s14, -1
                                        ; implicit-def: $vgpr3
	s_branch .LBB63_2329
.LBB63_2325:
	s_mov_b32 s14, -1
                                        ; implicit-def: $vgpr3
.LBB63_2326:
	s_delay_alu instid0(SALU_CYCLE_1)
	s_and_b32 vcc_lo, exec_lo, s14
	s_cbranch_vccz .LBB63_2328
; %bb.2327:
	s_wait_loadcnt 0x0
	global_load_u8 v3, v[16:17], off
	s_wait_loadcnt 0x0
	v_lshlrev_b32_e32 v3, 24, v3
	s_delay_alu instid0(VALU_DEP_1) | instskip(NEXT) | instid1(VALU_DEP_1)
	v_and_b32_e32 v5, 0x7f000000, v3
	v_clz_i32_u32_e32 v7, v5
	v_add_nc_u32_e32 v11, 0x1000000, v5
	v_cmp_ne_u32_e32 vcc_lo, 0, v5
	s_delay_alu instid0(VALU_DEP_3) | instskip(NEXT) | instid1(VALU_DEP_1)
	v_min_u32_e32 v7, 32, v7
	v_sub_nc_u32_e64 v7, v7, 4 clamp
	s_delay_alu instid0(VALU_DEP_1) | instskip(NEXT) | instid1(VALU_DEP_1)
	v_dual_lshlrev_b32 v9, v7, v5 :: v_dual_lshlrev_b32 v7, 23, v7
	v_lshrrev_b32_e32 v9, 4, v9
	s_delay_alu instid0(VALU_DEP_1) | instskip(SKIP_1) | instid1(VALU_DEP_2)
	v_sub_nc_u32_e32 v7, v9, v7
	v_ashrrev_i32_e32 v9, 8, v11
	v_add_nc_u32_e32 v7, 0x3c000000, v7
	s_delay_alu instid0(VALU_DEP_1) | instskip(NEXT) | instid1(VALU_DEP_1)
	v_and_or_b32 v7, 0x7f800000, v9, v7
	v_cndmask_b32_e32 v5, 0, v7, vcc_lo
	s_delay_alu instid0(VALU_DEP_1) | instskip(NEXT) | instid1(VALU_DEP_1)
	v_and_or_b32 v3, 0x80000000, v3, v5
	v_cvt_i32_f32_e32 v3, v3
.LBB63_2328:
	s_mov_b32 s14, 0
.LBB63_2329:
	s_delay_alu instid0(SALU_CYCLE_1)
	s_and_not1_b32 vcc_lo, exec_lo, s14
	s_cbranch_vccnz .LBB63_2331
; %bb.2330:
	s_wait_loadcnt 0x0
	global_load_u8 v3, v[16:17], off
	s_wait_loadcnt 0x0
	v_lshlrev_b32_e32 v5, 25, v3
	v_lshlrev_b16 v3, 8, v3
	s_delay_alu instid0(VALU_DEP_1) | instskip(SKIP_1) | instid1(VALU_DEP_2)
	v_and_or_b32 v9, 0x7f00, v3, 0.5
	v_bfe_i32 v3, v3, 0, 16
	v_add_f32_e32 v9, -0.5, v9
	v_lshrrev_b32_e32 v7, 4, v5
	v_cmp_gt_u32_e32 vcc_lo, 0x8000000, v5
	s_delay_alu instid0(VALU_DEP_2) | instskip(NEXT) | instid1(VALU_DEP_1)
	v_or_b32_e32 v7, 0x70000000, v7
	v_mul_f32_e32 v7, 0x7800000, v7
	s_delay_alu instid0(VALU_DEP_1) | instskip(NEXT) | instid1(VALU_DEP_1)
	v_cndmask_b32_e32 v5, v7, v9, vcc_lo
	v_and_or_b32 v3, 0x80000000, v3, v5
	s_delay_alu instid0(VALU_DEP_1)
	v_cvt_i32_f32_e32 v3, v3
.LBB63_2331:
	s_mov_b32 s14, 0
	s_mov_b32 s15, -1
.LBB63_2332:
	s_and_not1_b32 vcc_lo, exec_lo, s14
	s_mov_b32 s14, 0
	s_cbranch_vccnz .LBB63_2343
; %bb.2333:
	s_cmp_gt_i32 s12, 14
	s_cbranch_scc0 .LBB63_2336
; %bb.2334:
	s_cmp_eq_u32 s12, 15
	s_cbranch_scc0 .LBB63_2339
; %bb.2335:
	s_wait_loadcnt 0x0
	global_load_u16 v3, v[16:17], off
	s_mov_b32 s13, 0
	s_mov_b32 s15, -1
	s_wait_loadcnt 0x0
	v_lshlrev_b32_e32 v3, 16, v3
	s_delay_alu instid0(VALU_DEP_1)
	v_cvt_i32_f32_e32 v3, v3
	s_branch .LBB63_2341
.LBB63_2336:
	s_mov_b32 s14, -1
	s_branch .LBB63_2340
.LBB63_2337:
	s_and_not1_saveexec_b32 s14, s14
	s_cbranch_execz .LBB63_2318
.LBB63_2338:
	v_cmp_ne_u16_e32 vcc_lo, 0, v5
	s_and_not1_b32 s15, s15, exec_lo
	s_and_b32 s16, vcc_lo, exec_lo
	s_delay_alu instid0(SALU_CYCLE_1)
	s_or_b32 s15, s15, s16
	s_or_b32 exec_lo, exec_lo, s14
	v_mov_b32_e32 v3, 0
	s_and_saveexec_b32 s14, s15
	s_cbranch_execnz .LBB63_2319
	s_branch .LBB63_2320
.LBB63_2339:
	s_mov_b32 s13, -1
.LBB63_2340:
                                        ; implicit-def: $vgpr3
.LBB63_2341:
	s_and_b32 vcc_lo, exec_lo, s14
	s_mov_b32 s14, 0
	s_cbranch_vccz .LBB63_2343
; %bb.2342:
	s_cmp_lg_u32 s12, 11
	s_mov_b32 s14, -1
	s_cselect_b32 s13, -1, 0
.LBB63_2343:
	s_delay_alu instid0(SALU_CYCLE_1)
	s_and_b32 vcc_lo, exec_lo, s13
	s_cbranch_vccnz .LBB63_2414
; %bb.2344:
	s_and_not1_b32 vcc_lo, exec_lo, s14
	s_cbranch_vccnz .LBB63_2346
.LBB63_2345:
	s_wait_loadcnt 0x0
	global_load_u8 v3, v[16:17], off
	s_mov_b32 s15, -1
	s_wait_loadcnt 0x0
	v_cmp_ne_u16_e32 vcc_lo, 0, v3
	v_cndmask_b32_e64 v3, 0, 1, vcc_lo
.LBB63_2346:
	s_mov_b32 s13, 0
.LBB63_2347:
	s_delay_alu instid0(SALU_CYCLE_1)
	s_and_b32 vcc_lo, exec_lo, s13
	s_cbranch_vccz .LBB63_2396
; %bb.2348:
	s_cmp_lt_i32 s12, 5
	s_cbranch_scc1 .LBB63_2353
; %bb.2349:
	s_cmp_lt_i32 s12, 8
	s_cbranch_scc1 .LBB63_2354
	;; [unrolled: 3-line block ×3, first 2 shown]
; %bb.2351:
	s_cmp_gt_i32 s12, 9
	s_cbranch_scc0 .LBB63_2356
; %bb.2352:
	global_load_b64 v[18:19], v[16:17], off
	s_mov_b32 s13, 0
	s_wait_loadcnt 0x0
	v_cvt_i32_f64_e32 v3, v[18:19]
	s_branch .LBB63_2357
.LBB63_2353:
	s_mov_b32 s13, -1
                                        ; implicit-def: $vgpr3
	s_branch .LBB63_2375
.LBB63_2354:
	s_mov_b32 s13, -1
                                        ; implicit-def: $vgpr3
	s_branch .LBB63_2363
.LBB63_2355:
	s_mov_b32 s13, -1
                                        ; implicit-def: $vgpr3
	s_branch .LBB63_2360
.LBB63_2356:
	s_mov_b32 s13, -1
                                        ; implicit-def: $vgpr3
.LBB63_2357:
	s_delay_alu instid0(SALU_CYCLE_1)
	s_and_not1_b32 vcc_lo, exec_lo, s13
	s_cbranch_vccnz .LBB63_2359
; %bb.2358:
	s_wait_loadcnt 0x0
	global_load_b32 v3, v[16:17], off
	s_wait_loadcnt 0x0
	v_cvt_i32_f32_e32 v3, v3
.LBB63_2359:
	s_mov_b32 s13, 0
.LBB63_2360:
	s_delay_alu instid0(SALU_CYCLE_1)
	s_and_not1_b32 vcc_lo, exec_lo, s13
	s_cbranch_vccnz .LBB63_2362
; %bb.2361:
	s_wait_loadcnt 0x0
	global_load_b32 v3, v[16:17], off
	s_wait_loadcnt 0x0
	v_cvt_f32_f16_e32 v3, v3
	s_delay_alu instid0(VALU_DEP_1)
	v_cvt_i32_f32_e32 v3, v3
.LBB63_2362:
	s_mov_b32 s13, 0
.LBB63_2363:
	s_delay_alu instid0(SALU_CYCLE_1)
	s_and_not1_b32 vcc_lo, exec_lo, s13
	s_cbranch_vccnz .LBB63_2374
; %bb.2364:
	s_cmp_lt_i32 s12, 6
	s_cbranch_scc1 .LBB63_2367
; %bb.2365:
	s_cmp_gt_i32 s12, 6
	s_cbranch_scc0 .LBB63_2368
; %bb.2366:
	global_load_b64 v[18:19], v[16:17], off
	s_mov_b32 s13, 0
	s_wait_loadcnt 0x0
	v_cvt_i32_f64_e32 v3, v[18:19]
	s_branch .LBB63_2369
.LBB63_2367:
	s_mov_b32 s13, -1
                                        ; implicit-def: $vgpr3
	s_branch .LBB63_2372
.LBB63_2368:
	s_mov_b32 s13, -1
                                        ; implicit-def: $vgpr3
.LBB63_2369:
	s_delay_alu instid0(SALU_CYCLE_1)
	s_and_not1_b32 vcc_lo, exec_lo, s13
	s_cbranch_vccnz .LBB63_2371
; %bb.2370:
	s_wait_loadcnt 0x0
	global_load_b32 v3, v[16:17], off
	s_wait_loadcnt 0x0
	v_cvt_i32_f32_e32 v3, v3
.LBB63_2371:
	s_mov_b32 s13, 0
.LBB63_2372:
	s_delay_alu instid0(SALU_CYCLE_1)
	s_and_not1_b32 vcc_lo, exec_lo, s13
	s_cbranch_vccnz .LBB63_2374
; %bb.2373:
	s_wait_loadcnt 0x0
	global_load_u16 v3, v[16:17], off
	s_wait_loadcnt 0x0
	v_cvt_f32_f16_e32 v3, v3
	s_delay_alu instid0(VALU_DEP_1)
	v_cvt_i32_f32_e32 v3, v3
.LBB63_2374:
	s_mov_b32 s13, 0
.LBB63_2375:
	s_delay_alu instid0(SALU_CYCLE_1)
	s_and_not1_b32 vcc_lo, exec_lo, s13
	s_cbranch_vccnz .LBB63_2395
; %bb.2376:
	s_cmp_lt_i32 s12, 2
	s_cbranch_scc1 .LBB63_2380
; %bb.2377:
	s_cmp_lt_i32 s12, 3
	s_cbranch_scc1 .LBB63_2381
; %bb.2378:
	s_cmp_gt_i32 s12, 3
	s_cbranch_scc0 .LBB63_2382
; %bb.2379:
	s_wait_loadcnt 0x0
	global_load_b32 v3, v[16:17], off
	s_mov_b32 s13, 0
	s_branch .LBB63_2383
.LBB63_2380:
	s_mov_b32 s13, -1
                                        ; implicit-def: $vgpr3
	s_branch .LBB63_2389
.LBB63_2381:
	s_mov_b32 s13, -1
                                        ; implicit-def: $vgpr3
	s_branch .LBB63_2386
.LBB63_2382:
	s_mov_b32 s13, -1
                                        ; implicit-def: $vgpr3
.LBB63_2383:
	s_delay_alu instid0(SALU_CYCLE_1)
	s_and_not1_b32 vcc_lo, exec_lo, s13
	s_cbranch_vccnz .LBB63_2385
; %bb.2384:
	s_wait_loadcnt 0x0
	global_load_b32 v3, v[16:17], off
.LBB63_2385:
	s_mov_b32 s13, 0
.LBB63_2386:
	s_delay_alu instid0(SALU_CYCLE_1)
	s_and_not1_b32 vcc_lo, exec_lo, s13
	s_cbranch_vccnz .LBB63_2388
; %bb.2387:
	s_wait_loadcnt 0x0
	global_load_i16 v3, v[16:17], off
.LBB63_2388:
	s_mov_b32 s13, 0
.LBB63_2389:
	s_delay_alu instid0(SALU_CYCLE_1)
	s_and_not1_b32 vcc_lo, exec_lo, s13
	s_cbranch_vccnz .LBB63_2395
; %bb.2390:
	s_cmp_gt_i32 s12, 0
	s_mov_b32 s13, 0
	s_cbranch_scc0 .LBB63_2392
; %bb.2391:
	s_wait_loadcnt 0x0
	global_load_i8 v3, v[16:17], off
	s_branch .LBB63_2393
.LBB63_2392:
	s_mov_b32 s13, -1
                                        ; implicit-def: $vgpr3
.LBB63_2393:
	s_delay_alu instid0(SALU_CYCLE_1)
	s_and_not1_b32 vcc_lo, exec_lo, s13
	s_cbranch_vccnz .LBB63_2395
; %bb.2394:
	s_wait_loadcnt 0x0
	global_load_u8 v3, v[16:17], off
.LBB63_2395:
	s_mov_b32 s15, -1
.LBB63_2396:
	s_delay_alu instid0(SALU_CYCLE_1)
	s_and_not1_b32 vcc_lo, exec_lo, s15
	s_cbranch_vccnz .LBB63_2741
; %bb.2397:
	s_wait_loadcnt 0x0
	s_delay_alu instid0(VALU_DEP_1) | instskip(SKIP_2) | instid1(VALU_DEP_1)
	v_sub_nc_u32_e32 v5, 0, v3
	s_mov_b32 s14, 0
	s_mov_b32 s13, exec_lo
	v_max_i32_e32 v5, v3, v5
	s_wait_xcnt 0x0
	v_cmpx_ne_u32_e32 0, v1
	s_cbranch_execz .LBB63_2401
; %bb.2398:
	v_sub_nc_u32_e32 v7, 0, v1
	s_delay_alu instid0(VALU_DEP_1)
	v_max_i32_e32 v9, v1, v7
.LBB63_2399:                            ; =>This Inner Loop Header: Depth=1
	s_delay_alu instid0(VALU_DEP_1) | instskip(NEXT) | instid1(VALU_DEP_1)
	v_mov_b32_e32 v7, v9
	v_cvt_f32_u32_e32 v9, v7
	v_sub_nc_u32_e32 v11, 0, v7
	s_delay_alu instid0(VALU_DEP_2) | instskip(SKIP_1) | instid1(TRANS32_DEP_1)
	v_rcp_iflag_f32_e32 v9, v9
	v_nop
	v_mul_f32_e32 v9, 0x4f7ffffe, v9
	s_delay_alu instid0(VALU_DEP_1) | instskip(NEXT) | instid1(VALU_DEP_1)
	v_cvt_u32_f32_e32 v9, v9
	v_mul_lo_u32 v11, v11, v9
	s_delay_alu instid0(VALU_DEP_1) | instskip(NEXT) | instid1(VALU_DEP_1)
	v_mul_hi_u32 v11, v9, v11
	v_add_nc_u32_e32 v9, v9, v11
	s_delay_alu instid0(VALU_DEP_1) | instskip(NEXT) | instid1(VALU_DEP_1)
	v_mul_hi_u32 v9, v5, v9
	v_mul_lo_u32 v9, v9, v7
	s_delay_alu instid0(VALU_DEP_1) | instskip(NEXT) | instid1(VALU_DEP_1)
	v_sub_nc_u32_e32 v5, v5, v9
	v_sub_nc_u32_e32 v9, v5, v7
	v_cmp_ge_u32_e32 vcc_lo, v5, v7
	s_delay_alu instid0(VALU_DEP_2) | instskip(NEXT) | instid1(VALU_DEP_1)
	v_cndmask_b32_e32 v5, v5, v9, vcc_lo
	v_sub_nc_u32_e32 v9, v5, v7
	v_cmp_ge_u32_e32 vcc_lo, v5, v7
	s_delay_alu instid0(VALU_DEP_2) | instskip(NEXT) | instid1(VALU_DEP_1)
	v_dual_cndmask_b32 v9, v5, v9, vcc_lo :: v_dual_mov_b32 v5, v7
	v_cmp_eq_u32_e32 vcc_lo, 0, v9
	s_or_b32 s14, vcc_lo, s14
	s_delay_alu instid0(SALU_CYCLE_1)
	s_and_not1_b32 exec_lo, exec_lo, s14
	s_cbranch_execnz .LBB63_2399
; %bb.2400:
	s_or_b32 exec_lo, exec_lo, s14
	v_mov_b32_e32 v5, v7
.LBB63_2401:
	s_or_b32 exec_lo, exec_lo, s13
	v_mov_b32_e32 v16, 0
	s_mov_b32 s13, exec_lo
	s_delay_alu instid0(VALU_DEP_2)
	v_cmpx_ne_u32_e32 0, v5
	s_cbranch_execz .LBB63_2403
; %bb.2402:
	v_sub_nc_u32_e32 v7, 0, v5
	s_delay_alu instid0(VALU_DEP_1) | instskip(NEXT) | instid1(VALU_DEP_1)
	v_dual_sub_nc_u32 v13, 0, v1 :: v_dual_max_i32 v7, v5, v7
	v_dual_sub_nc_u32 v11, 0, v7 :: v_dual_max_i32 v13, v1, v13
	v_cvt_f32_u32_e32 v9, v7
	s_delay_alu instid0(VALU_DEP_1) | instskip(SKIP_1) | instid1(TRANS32_DEP_1)
	v_rcp_iflag_f32_e32 v9, v9
	v_nop
	v_mul_f32_e32 v9, 0x4f7ffffe, v9
	s_delay_alu instid0(VALU_DEP_1) | instskip(NEXT) | instid1(VALU_DEP_1)
	v_cvt_u32_f32_e32 v9, v9
	v_mul_lo_u32 v11, v11, v9
	s_delay_alu instid0(VALU_DEP_1) | instskip(NEXT) | instid1(VALU_DEP_1)
	v_mul_hi_u32 v11, v9, v11
	v_add_nc_u32_e32 v9, v9, v11
	s_delay_alu instid0(VALU_DEP_1) | instskip(NEXT) | instid1(VALU_DEP_1)
	v_mul_hi_u32 v9, v13, v9
	v_mul_lo_u32 v11, v9, v7
	s_delay_alu instid0(VALU_DEP_1) | instskip(NEXT) | instid1(VALU_DEP_1)
	v_dual_sub_nc_u32 v11, v13, v11 :: v_dual_add_nc_u32 v13, 1, v9
	v_cmp_ge_u32_e32 vcc_lo, v11, v7
	s_delay_alu instid0(VALU_DEP_2) | instskip(NEXT) | instid1(VALU_DEP_1)
	v_dual_sub_nc_u32 v15, v11, v7 :: v_dual_cndmask_b32 v9, v9, v13, vcc_lo
	v_dual_cndmask_b32 v5, v11, v15, vcc_lo :: v_dual_bitop2_b32 v1, v1, v5 bitop3:0x14
	s_delay_alu instid0(VALU_DEP_2) | instskip(NEXT) | instid1(VALU_DEP_2)
	v_add_nc_u32_e32 v11, 1, v9
	v_cmp_ge_u32_e32 vcc_lo, v5, v7
	s_delay_alu instid0(VALU_DEP_2) | instskip(NEXT) | instid1(VALU_DEP_1)
	v_dual_ashrrev_i32 v1, 31, v1 :: v_dual_cndmask_b32 v5, v9, v11, vcc_lo
	v_xor_b32_e32 v5, v5, v1
	s_delay_alu instid0(VALU_DEP_1) | instskip(NEXT) | instid1(VALU_DEP_1)
	v_sub_nc_u32_e32 v1, v5, v1
	v_mul_lo_u32 v1, v1, v3
	s_delay_alu instid0(VALU_DEP_1) | instskip(NEXT) | instid1(VALU_DEP_1)
	v_sub_nc_u32_e32 v3, 0, v1
	v_max_i32_e32 v16, v1, v3
.LBB63_2403:
	s_or_b32 exec_lo, exec_lo, s13
	v_mov_b32_e32 v13, 0
	s_cmp_lt_i32 s11, 11
	s_delay_alu instid0(VALU_DEP_1)
	v_add_nc_u64_e32 v[12:13], s[6:7], v[12:13]
	s_cbranch_scc1 .LBB63_2410
; %bb.2404:
	s_cmp_gt_i32 s11, 25
	s_mov_b32 s7, 0
	s_cbranch_scc0 .LBB63_2411
; %bb.2405:
	s_cmp_gt_i32 s11, 28
	s_cbranch_scc0 .LBB63_2412
; %bb.2406:
	s_cmp_gt_i32 s11, 43
	;; [unrolled: 3-line block ×3, first 2 shown]
	s_cbranch_scc0 .LBB63_2415
; %bb.2408:
	s_cmp_eq_u32 s11, 46
	s_mov_b32 s14, 0
	s_cbranch_scc0 .LBB63_2416
; %bb.2409:
	global_load_b32 v1, v[12:13], off
	s_mov_b32 s6, 0
	s_mov_b32 s13, -1
	s_wait_loadcnt 0x0
	v_lshlrev_b32_e32 v1, 16, v1
	s_delay_alu instid0(VALU_DEP_1)
	v_cvt_i32_f32_e32 v1, v1
	s_branch .LBB63_2418
.LBB63_2410:
	s_mov_b32 s6, -1
	s_mov_b32 s13, 0
                                        ; implicit-def: $vgpr1
	s_branch .LBB63_2480
.LBB63_2411:
	s_mov_b32 s14, -1
	s_mov_b32 s13, 0
	s_mov_b32 s6, 0
                                        ; implicit-def: $vgpr1
	s_branch .LBB63_2445
.LBB63_2412:
	s_mov_b32 s14, -1
	s_mov_b32 s13, 0
	s_mov_b32 s6, 0
                                        ; implicit-def: $vgpr1
	s_branch .LBB63_2428
.LBB63_2413:
	s_mov_b32 s14, -1
	s_mov_b32 s13, 0
	s_mov_b32 s6, 0
                                        ; implicit-def: $vgpr1
	s_branch .LBB63_2423
.LBB63_2414:
	s_or_b32 s10, s10, exec_lo
	s_trap 2
	s_cbranch_execz .LBB63_2345
	s_branch .LBB63_2346
.LBB63_2415:
	s_mov_b32 s14, -1
	s_mov_b32 s13, 0
	s_mov_b32 s6, 0
	s_branch .LBB63_2417
.LBB63_2416:
	s_mov_b32 s6, -1
	s_mov_b32 s13, 0
.LBB63_2417:
                                        ; implicit-def: $vgpr1
.LBB63_2418:
	s_and_b32 vcc_lo, exec_lo, s14
	s_cbranch_vccz .LBB63_2422
; %bb.2419:
	s_cmp_eq_u32 s11, 44
	s_cbranch_scc0 .LBB63_2421
; %bb.2420:
	global_load_u8 v1, v[12:13], off
	s_mov_b32 s6, 0
	s_mov_b32 s13, -1
	s_wait_loadcnt 0x0
	v_lshlrev_b32_e32 v3, 23, v1
	v_cmp_ne_u32_e32 vcc_lo, 0, v1
	s_delay_alu instid0(VALU_DEP_2) | instskip(NEXT) | instid1(VALU_DEP_1)
	v_cvt_i32_f32_e32 v3, v3
	v_cndmask_b32_e32 v1, 0, v3, vcc_lo
	s_branch .LBB63_2422
.LBB63_2421:
	s_mov_b32 s6, -1
                                        ; implicit-def: $vgpr1
.LBB63_2422:
	s_mov_b32 s14, 0
.LBB63_2423:
	s_delay_alu instid0(SALU_CYCLE_1)
	s_and_b32 vcc_lo, exec_lo, s14
	s_cbranch_vccz .LBB63_2427
; %bb.2424:
	s_cmp_eq_u32 s11, 29
	s_cbranch_scc0 .LBB63_2426
; %bb.2425:
	global_load_b32 v1, v[12:13], off
	s_mov_b32 s6, 0
	s_mov_b32 s13, -1
	s_branch .LBB63_2427
.LBB63_2426:
	s_mov_b32 s6, -1
                                        ; implicit-def: $vgpr1
.LBB63_2427:
	s_mov_b32 s14, 0
.LBB63_2428:
	s_delay_alu instid0(SALU_CYCLE_1)
	s_and_b32 vcc_lo, exec_lo, s14
	s_cbranch_vccz .LBB63_2444
; %bb.2429:
	s_cmp_lt_i32 s11, 27
	s_cbranch_scc1 .LBB63_2432
; %bb.2430:
	s_cmp_gt_i32 s11, 27
	s_cbranch_scc0 .LBB63_2433
; %bb.2431:
	s_wait_loadcnt 0x0
	global_load_b32 v1, v[12:13], off
	s_mov_b32 s13, 0
	s_branch .LBB63_2434
.LBB63_2432:
	s_mov_b32 s13, -1
                                        ; implicit-def: $vgpr1
	s_branch .LBB63_2437
.LBB63_2433:
	s_mov_b32 s13, -1
                                        ; implicit-def: $vgpr1
.LBB63_2434:
	s_delay_alu instid0(SALU_CYCLE_1)
	s_and_not1_b32 vcc_lo, exec_lo, s13
	s_cbranch_vccnz .LBB63_2436
; %bb.2435:
	s_wait_loadcnt 0x0
	global_load_u16 v1, v[12:13], off
.LBB63_2436:
	s_mov_b32 s13, 0
.LBB63_2437:
	s_delay_alu instid0(SALU_CYCLE_1)
	s_and_not1_b32 vcc_lo, exec_lo, s13
	s_cbranch_vccnz .LBB63_2443
; %bb.2438:
	global_load_u8 v3, v[12:13], off
	s_mov_b32 s14, 0
	s_mov_b32 s13, exec_lo
	s_wait_loadcnt 0x0
	v_cmpx_lt_i16_e32 0x7f, v3
	s_xor_b32 s13, exec_lo, s13
	s_cbranch_execz .LBB63_2455
; %bb.2439:
	v_cmp_ne_u16_e32 vcc_lo, 0x80, v3
	s_and_b32 s14, vcc_lo, exec_lo
	s_and_not1_saveexec_b32 s13, s13
	s_cbranch_execnz .LBB63_2456
.LBB63_2440:
	s_or_b32 exec_lo, exec_lo, s13
	v_mov_b32_e32 v1, 0
	s_and_saveexec_b32 s13, s14
	s_cbranch_execz .LBB63_2442
.LBB63_2441:
	v_and_b32_e32 v1, 0xffff, v3
	s_delay_alu instid0(VALU_DEP_1) | instskip(SKIP_1) | instid1(VALU_DEP_2)
	v_and_b32_e32 v5, 7, v1
	v_bfe_u32 v11, v1, 3, 4
	v_clz_i32_u32_e32 v7, v5
	s_delay_alu instid0(VALU_DEP_2) | instskip(NEXT) | instid1(VALU_DEP_2)
	v_cmp_eq_u32_e32 vcc_lo, 0, v11
	v_min_u32_e32 v7, 32, v7
	s_delay_alu instid0(VALU_DEP_1) | instskip(NEXT) | instid1(VALU_DEP_1)
	v_subrev_nc_u32_e32 v9, 28, v7
	v_dual_lshlrev_b32 v1, v9, v1 :: v_dual_sub_nc_u32 v7, 29, v7
	s_delay_alu instid0(VALU_DEP_1) | instskip(NEXT) | instid1(VALU_DEP_1)
	v_dual_lshlrev_b32 v3, 24, v3 :: v_dual_bitop2_b32 v1, 7, v1 bitop3:0x40
	v_dual_cndmask_b32 v1, v5, v1, vcc_lo :: v_dual_cndmask_b32 v7, v11, v7, vcc_lo
	s_delay_alu instid0(VALU_DEP_2) | instskip(NEXT) | instid1(VALU_DEP_2)
	v_and_b32_e32 v3, 0x80000000, v3
	v_lshlrev_b32_e32 v1, 20, v1
	s_delay_alu instid0(VALU_DEP_3) | instskip(NEXT) | instid1(VALU_DEP_1)
	v_lshl_add_u32 v5, v7, 23, 0x3b800000
	v_or3_b32 v1, v3, v5, v1
	s_delay_alu instid0(VALU_DEP_1)
	v_cvt_i32_f32_e32 v1, v1
.LBB63_2442:
	s_or_b32 exec_lo, exec_lo, s13
.LBB63_2443:
	s_mov_b32 s13, -1
.LBB63_2444:
	s_mov_b32 s14, 0
.LBB63_2445:
	s_delay_alu instid0(SALU_CYCLE_1)
	s_and_b32 vcc_lo, exec_lo, s14
	s_cbranch_vccz .LBB63_2476
; %bb.2446:
	s_cmp_gt_i32 s11, 22
	s_cbranch_scc0 .LBB63_2454
; %bb.2447:
	s_cmp_lt_i32 s11, 24
	s_cbranch_scc1 .LBB63_2457
; %bb.2448:
	s_cmp_gt_i32 s11, 24
	s_cbranch_scc0 .LBB63_2458
; %bb.2449:
	global_load_u8 v3, v[12:13], off
	s_mov_b32 s13, 0
	s_mov_b32 s7, exec_lo
	s_wait_loadcnt 0x0
	v_cmpx_lt_i16_e32 0x7f, v3
	s_xor_b32 s7, exec_lo, s7
	s_cbranch_execz .LBB63_2470
; %bb.2450:
	v_cmp_ne_u16_e32 vcc_lo, 0x80, v3
	s_and_b32 s13, vcc_lo, exec_lo
	s_and_not1_saveexec_b32 s7, s7
	s_cbranch_execnz .LBB63_2471
.LBB63_2451:
	s_or_b32 exec_lo, exec_lo, s7
	v_mov_b32_e32 v1, 0
	s_and_saveexec_b32 s7, s13
	s_cbranch_execz .LBB63_2453
.LBB63_2452:
	v_and_b32_e32 v1, 0xffff, v3
	s_delay_alu instid0(VALU_DEP_1) | instskip(SKIP_1) | instid1(VALU_DEP_2)
	v_and_b32_e32 v5, 3, v1
	v_bfe_u32 v11, v1, 2, 5
	v_clz_i32_u32_e32 v7, v5
	s_delay_alu instid0(VALU_DEP_2) | instskip(NEXT) | instid1(VALU_DEP_2)
	v_cmp_eq_u32_e32 vcc_lo, 0, v11
	v_min_u32_e32 v7, 32, v7
	s_delay_alu instid0(VALU_DEP_1) | instskip(NEXT) | instid1(VALU_DEP_1)
	v_subrev_nc_u32_e32 v9, 29, v7
	v_dual_lshlrev_b32 v1, v9, v1 :: v_dual_sub_nc_u32 v7, 30, v7
	s_delay_alu instid0(VALU_DEP_1) | instskip(NEXT) | instid1(VALU_DEP_1)
	v_dual_lshlrev_b32 v3, 24, v3 :: v_dual_bitop2_b32 v1, 3, v1 bitop3:0x40
	v_dual_cndmask_b32 v1, v5, v1, vcc_lo :: v_dual_cndmask_b32 v7, v11, v7, vcc_lo
	s_delay_alu instid0(VALU_DEP_2) | instskip(NEXT) | instid1(VALU_DEP_2)
	v_and_b32_e32 v3, 0x80000000, v3
	v_lshlrev_b32_e32 v1, 21, v1
	s_delay_alu instid0(VALU_DEP_3) | instskip(NEXT) | instid1(VALU_DEP_1)
	v_lshl_add_u32 v5, v7, 23, 0x37800000
	v_or3_b32 v1, v3, v5, v1
	s_delay_alu instid0(VALU_DEP_1)
	v_cvt_i32_f32_e32 v1, v1
.LBB63_2453:
	s_or_b32 exec_lo, exec_lo, s7
	s_mov_b32 s7, 0
	s_branch .LBB63_2459
.LBB63_2454:
	s_mov_b32 s7, -1
                                        ; implicit-def: $vgpr1
	s_branch .LBB63_2465
.LBB63_2455:
	s_and_not1_saveexec_b32 s13, s13
	s_cbranch_execz .LBB63_2440
.LBB63_2456:
	v_cmp_ne_u16_e32 vcc_lo, 0, v3
	s_and_not1_b32 s14, s14, exec_lo
	s_and_b32 s15, vcc_lo, exec_lo
	s_delay_alu instid0(SALU_CYCLE_1)
	s_or_b32 s14, s14, s15
	s_or_b32 exec_lo, exec_lo, s13
	v_mov_b32_e32 v1, 0
	s_and_saveexec_b32 s13, s14
	s_cbranch_execnz .LBB63_2441
	s_branch .LBB63_2442
.LBB63_2457:
	s_mov_b32 s7, -1
                                        ; implicit-def: $vgpr1
	s_branch .LBB63_2462
.LBB63_2458:
	s_mov_b32 s7, -1
                                        ; implicit-def: $vgpr1
.LBB63_2459:
	s_delay_alu instid0(SALU_CYCLE_1)
	s_and_b32 vcc_lo, exec_lo, s7
	s_cbranch_vccz .LBB63_2461
; %bb.2460:
	s_wait_loadcnt 0x0
	global_load_u8 v1, v[12:13], off
	s_wait_loadcnt 0x0
	v_lshlrev_b32_e32 v1, 24, v1
	s_delay_alu instid0(VALU_DEP_1) | instskip(NEXT) | instid1(VALU_DEP_1)
	v_and_b32_e32 v3, 0x7f000000, v1
	v_clz_i32_u32_e32 v5, v3
	v_add_nc_u32_e32 v9, 0x1000000, v3
	v_cmp_ne_u32_e32 vcc_lo, 0, v3
	s_delay_alu instid0(VALU_DEP_3) | instskip(NEXT) | instid1(VALU_DEP_1)
	v_min_u32_e32 v5, 32, v5
	v_sub_nc_u32_e64 v5, v5, 4 clamp
	s_delay_alu instid0(VALU_DEP_1) | instskip(NEXT) | instid1(VALU_DEP_1)
	v_dual_lshlrev_b32 v7, v5, v3 :: v_dual_lshlrev_b32 v5, 23, v5
	v_lshrrev_b32_e32 v7, 4, v7
	s_delay_alu instid0(VALU_DEP_1) | instskip(SKIP_1) | instid1(VALU_DEP_2)
	v_sub_nc_u32_e32 v5, v7, v5
	v_ashrrev_i32_e32 v7, 8, v9
	v_add_nc_u32_e32 v5, 0x3c000000, v5
	s_delay_alu instid0(VALU_DEP_1) | instskip(NEXT) | instid1(VALU_DEP_1)
	v_and_or_b32 v5, 0x7f800000, v7, v5
	v_cndmask_b32_e32 v3, 0, v5, vcc_lo
	s_delay_alu instid0(VALU_DEP_1) | instskip(NEXT) | instid1(VALU_DEP_1)
	v_and_or_b32 v1, 0x80000000, v1, v3
	v_cvt_i32_f32_e32 v1, v1
.LBB63_2461:
	s_mov_b32 s7, 0
.LBB63_2462:
	s_delay_alu instid0(SALU_CYCLE_1)
	s_and_not1_b32 vcc_lo, exec_lo, s7
	s_cbranch_vccnz .LBB63_2464
; %bb.2463:
	s_wait_loadcnt 0x0
	global_load_u8 v1, v[12:13], off
	s_wait_loadcnt 0x0
	v_lshlrev_b32_e32 v3, 25, v1
	v_lshlrev_b16 v1, 8, v1
	s_delay_alu instid0(VALU_DEP_1) | instskip(SKIP_1) | instid1(VALU_DEP_2)
	v_and_or_b32 v7, 0x7f00, v1, 0.5
	v_bfe_i32 v1, v1, 0, 16
	v_add_f32_e32 v7, -0.5, v7
	v_lshrrev_b32_e32 v5, 4, v3
	v_cmp_gt_u32_e32 vcc_lo, 0x8000000, v3
	s_delay_alu instid0(VALU_DEP_2) | instskip(NEXT) | instid1(VALU_DEP_1)
	v_or_b32_e32 v5, 0x70000000, v5
	v_mul_f32_e32 v5, 0x7800000, v5
	s_delay_alu instid0(VALU_DEP_1) | instskip(NEXT) | instid1(VALU_DEP_1)
	v_cndmask_b32_e32 v3, v5, v7, vcc_lo
	v_and_or_b32 v1, 0x80000000, v1, v3
	s_delay_alu instid0(VALU_DEP_1)
	v_cvt_i32_f32_e32 v1, v1
.LBB63_2464:
	s_mov_b32 s7, 0
	s_mov_b32 s13, -1
.LBB63_2465:
	s_and_not1_b32 vcc_lo, exec_lo, s7
	s_mov_b32 s7, 0
	s_cbranch_vccnz .LBB63_2476
; %bb.2466:
	s_cmp_gt_i32 s11, 14
	s_cbranch_scc0 .LBB63_2469
; %bb.2467:
	s_cmp_eq_u32 s11, 15
	s_cbranch_scc0 .LBB63_2472
; %bb.2468:
	s_wait_loadcnt 0x0
	global_load_u16 v1, v[12:13], off
	s_mov_b32 s6, 0
	s_mov_b32 s13, -1
	s_wait_loadcnt 0x0
	v_lshlrev_b32_e32 v1, 16, v1
	s_delay_alu instid0(VALU_DEP_1)
	v_cvt_i32_f32_e32 v1, v1
	s_branch .LBB63_2474
.LBB63_2469:
	s_mov_b32 s7, -1
	s_branch .LBB63_2473
.LBB63_2470:
	s_and_not1_saveexec_b32 s7, s7
	s_cbranch_execz .LBB63_2451
.LBB63_2471:
	v_cmp_ne_u16_e32 vcc_lo, 0, v3
	s_and_not1_b32 s13, s13, exec_lo
	s_and_b32 s14, vcc_lo, exec_lo
	s_delay_alu instid0(SALU_CYCLE_1)
	s_or_b32 s13, s13, s14
	s_or_b32 exec_lo, exec_lo, s7
	v_mov_b32_e32 v1, 0
	s_and_saveexec_b32 s7, s13
	s_cbranch_execnz .LBB63_2452
	s_branch .LBB63_2453
.LBB63_2472:
	s_mov_b32 s6, -1
.LBB63_2473:
                                        ; implicit-def: $vgpr1
.LBB63_2474:
	s_and_b32 vcc_lo, exec_lo, s7
	s_mov_b32 s7, 0
	s_cbranch_vccz .LBB63_2476
; %bb.2475:
	s_cmp_lg_u32 s11, 11
	s_mov_b32 s7, -1
	s_cselect_b32 s6, -1, 0
.LBB63_2476:
	s_delay_alu instid0(SALU_CYCLE_1)
	s_and_b32 vcc_lo, exec_lo, s6
	s_cbranch_vccnz .LBB63_2541
; %bb.2477:
	s_and_not1_b32 vcc_lo, exec_lo, s7
	s_cbranch_vccnz .LBB63_2479
.LBB63_2478:
	s_wait_loadcnt 0x0
	global_load_u8 v1, v[12:13], off
	s_mov_b32 s13, -1
	s_wait_loadcnt 0x0
	v_cmp_ne_u16_e32 vcc_lo, 0, v1
	v_cndmask_b32_e64 v1, 0, 1, vcc_lo
.LBB63_2479:
	s_mov_b32 s6, 0
.LBB63_2480:
	s_delay_alu instid0(SALU_CYCLE_1)
	s_and_b32 vcc_lo, exec_lo, s6
	s_cbranch_vccz .LBB63_2529
; %bb.2481:
	s_cmp_lt_i32 s11, 5
	s_cbranch_scc1 .LBB63_2486
; %bb.2482:
	s_cmp_lt_i32 s11, 8
	s_cbranch_scc1 .LBB63_2487
; %bb.2483:
	s_cmp_lt_i32 s11, 9
	s_cbranch_scc1 .LBB63_2488
; %bb.2484:
	s_cmp_gt_i32 s11, 9
	s_cbranch_scc0 .LBB63_2489
; %bb.2485:
	global_load_b64 v[18:19], v[12:13], off
	s_mov_b32 s6, 0
	s_wait_loadcnt 0x0
	v_cvt_i32_f64_e32 v1, v[18:19]
	s_branch .LBB63_2490
.LBB63_2486:
	s_mov_b32 s6, -1
                                        ; implicit-def: $vgpr1
	s_branch .LBB63_2508
.LBB63_2487:
	s_mov_b32 s6, -1
                                        ; implicit-def: $vgpr1
	s_branch .LBB63_2496
.LBB63_2488:
	s_mov_b32 s6, -1
                                        ; implicit-def: $vgpr1
	s_branch .LBB63_2493
.LBB63_2489:
	s_mov_b32 s6, -1
                                        ; implicit-def: $vgpr1
.LBB63_2490:
	s_delay_alu instid0(SALU_CYCLE_1)
	s_and_not1_b32 vcc_lo, exec_lo, s6
	s_cbranch_vccnz .LBB63_2492
; %bb.2491:
	s_wait_loadcnt 0x0
	global_load_b32 v1, v[12:13], off
	s_wait_loadcnt 0x0
	v_cvt_i32_f32_e32 v1, v1
.LBB63_2492:
	s_mov_b32 s6, 0
.LBB63_2493:
	s_delay_alu instid0(SALU_CYCLE_1)
	s_and_not1_b32 vcc_lo, exec_lo, s6
	s_cbranch_vccnz .LBB63_2495
; %bb.2494:
	s_wait_loadcnt 0x0
	global_load_b32 v1, v[12:13], off
	s_wait_loadcnt 0x0
	v_cvt_f32_f16_e32 v1, v1
	s_delay_alu instid0(VALU_DEP_1)
	v_cvt_i32_f32_e32 v1, v1
.LBB63_2495:
	s_mov_b32 s6, 0
.LBB63_2496:
	s_delay_alu instid0(SALU_CYCLE_1)
	s_and_not1_b32 vcc_lo, exec_lo, s6
	s_cbranch_vccnz .LBB63_2507
; %bb.2497:
	s_cmp_lt_i32 s11, 6
	s_cbranch_scc1 .LBB63_2500
; %bb.2498:
	s_cmp_gt_i32 s11, 6
	s_cbranch_scc0 .LBB63_2501
; %bb.2499:
	global_load_b64 v[18:19], v[12:13], off
	s_mov_b32 s6, 0
	s_wait_loadcnt 0x0
	v_cvt_i32_f64_e32 v1, v[18:19]
	s_branch .LBB63_2502
.LBB63_2500:
	s_mov_b32 s6, -1
                                        ; implicit-def: $vgpr1
	s_branch .LBB63_2505
.LBB63_2501:
	s_mov_b32 s6, -1
                                        ; implicit-def: $vgpr1
.LBB63_2502:
	s_delay_alu instid0(SALU_CYCLE_1)
	s_and_not1_b32 vcc_lo, exec_lo, s6
	s_cbranch_vccnz .LBB63_2504
; %bb.2503:
	s_wait_loadcnt 0x0
	global_load_b32 v1, v[12:13], off
	s_wait_loadcnt 0x0
	v_cvt_i32_f32_e32 v1, v1
.LBB63_2504:
	s_mov_b32 s6, 0
.LBB63_2505:
	s_delay_alu instid0(SALU_CYCLE_1)
	s_and_not1_b32 vcc_lo, exec_lo, s6
	s_cbranch_vccnz .LBB63_2507
; %bb.2506:
	s_wait_loadcnt 0x0
	global_load_u16 v1, v[12:13], off
	s_wait_loadcnt 0x0
	v_cvt_f32_f16_e32 v1, v1
	s_delay_alu instid0(VALU_DEP_1)
	v_cvt_i32_f32_e32 v1, v1
.LBB63_2507:
	s_mov_b32 s6, 0
.LBB63_2508:
	s_delay_alu instid0(SALU_CYCLE_1)
	s_and_not1_b32 vcc_lo, exec_lo, s6
	s_cbranch_vccnz .LBB63_2528
; %bb.2509:
	s_cmp_lt_i32 s11, 2
	s_cbranch_scc1 .LBB63_2513
; %bb.2510:
	s_cmp_lt_i32 s11, 3
	s_cbranch_scc1 .LBB63_2514
; %bb.2511:
	s_cmp_gt_i32 s11, 3
	s_cbranch_scc0 .LBB63_2515
; %bb.2512:
	s_wait_loadcnt 0x0
	global_load_b32 v1, v[12:13], off
	s_mov_b32 s6, 0
	s_branch .LBB63_2516
.LBB63_2513:
	s_mov_b32 s6, -1
                                        ; implicit-def: $vgpr1
	s_branch .LBB63_2522
.LBB63_2514:
	s_mov_b32 s6, -1
                                        ; implicit-def: $vgpr1
	s_branch .LBB63_2519
.LBB63_2515:
	s_mov_b32 s6, -1
                                        ; implicit-def: $vgpr1
.LBB63_2516:
	s_delay_alu instid0(SALU_CYCLE_1)
	s_and_not1_b32 vcc_lo, exec_lo, s6
	s_cbranch_vccnz .LBB63_2518
; %bb.2517:
	s_wait_loadcnt 0x0
	global_load_b32 v1, v[12:13], off
.LBB63_2518:
	s_mov_b32 s6, 0
.LBB63_2519:
	s_delay_alu instid0(SALU_CYCLE_1)
	s_and_not1_b32 vcc_lo, exec_lo, s6
	s_cbranch_vccnz .LBB63_2521
; %bb.2520:
	s_wait_loadcnt 0x0
	global_load_i16 v1, v[12:13], off
.LBB63_2521:
	s_mov_b32 s6, 0
.LBB63_2522:
	s_delay_alu instid0(SALU_CYCLE_1)
	s_and_not1_b32 vcc_lo, exec_lo, s6
	s_cbranch_vccnz .LBB63_2528
; %bb.2523:
	s_cmp_gt_i32 s11, 0
	s_mov_b32 s6, 0
	s_cbranch_scc0 .LBB63_2525
; %bb.2524:
	s_wait_loadcnt 0x0
	global_load_i8 v1, v[12:13], off
	s_branch .LBB63_2526
.LBB63_2525:
	s_mov_b32 s6, -1
                                        ; implicit-def: $vgpr1
.LBB63_2526:
	s_delay_alu instid0(SALU_CYCLE_1)
	s_and_not1_b32 vcc_lo, exec_lo, s6
	s_cbranch_vccnz .LBB63_2528
; %bb.2527:
	s_wait_loadcnt 0x0
	global_load_u8 v1, v[12:13], off
.LBB63_2528:
	s_mov_b32 s13, -1
.LBB63_2529:
	s_delay_alu instid0(SALU_CYCLE_1)
	s_and_not1_b32 vcc_lo, exec_lo, s13
	s_cbranch_vccnz .LBB63_2741
; %bb.2530:
	v_mov_b32_e32 v9, 0
	s_cmp_lt_i32 s12, 11
	s_delay_alu instid0(VALU_DEP_1)
	v_add_nc_u64_e32 v[8:9], s[0:1], v[8:9]
	s_cbranch_scc1 .LBB63_2537
; %bb.2531:
	s_cmp_gt_i32 s12, 25
	s_mov_b32 s1, 0
	s_cbranch_scc0 .LBB63_2538
; %bb.2532:
	s_cmp_gt_i32 s12, 28
	s_cbranch_scc0 .LBB63_2539
; %bb.2533:
	s_cmp_gt_i32 s12, 43
	;; [unrolled: 3-line block ×3, first 2 shown]
	s_cbranch_scc0 .LBB63_2542
; %bb.2535:
	s_cmp_eq_u32 s12, 46
	s_mov_b32 s7, 0
	s_cbranch_scc0 .LBB63_2543
; %bb.2536:
	global_load_b32 v3, v[8:9], off
	s_mov_b32 s0, 0
	s_mov_b32 s6, -1
	s_wait_loadcnt 0x0
	v_lshlrev_b32_e32 v3, 16, v3
	s_delay_alu instid0(VALU_DEP_1)
	v_cvt_i32_f32_e32 v3, v3
	s_branch .LBB63_2545
.LBB63_2537:
	s_mov_b32 s0, -1
	s_mov_b32 s6, 0
                                        ; implicit-def: $vgpr3
	s_branch .LBB63_2607
.LBB63_2538:
	s_mov_b32 s7, -1
	s_mov_b32 s6, 0
	s_mov_b32 s0, 0
                                        ; implicit-def: $vgpr3
	s_branch .LBB63_2572
.LBB63_2539:
	s_mov_b32 s7, -1
	s_mov_b32 s6, 0
	s_mov_b32 s0, 0
                                        ; implicit-def: $vgpr3
	s_branch .LBB63_2555
.LBB63_2540:
	s_mov_b32 s7, -1
	s_mov_b32 s6, 0
	s_mov_b32 s0, 0
                                        ; implicit-def: $vgpr3
	s_branch .LBB63_2550
.LBB63_2541:
	s_or_b32 s10, s10, exec_lo
	s_trap 2
	s_cbranch_execz .LBB63_2478
	s_branch .LBB63_2479
.LBB63_2542:
	s_mov_b32 s7, -1
	s_mov_b32 s6, 0
	s_mov_b32 s0, 0
	s_branch .LBB63_2544
.LBB63_2543:
	s_mov_b32 s0, -1
	s_mov_b32 s6, 0
.LBB63_2544:
                                        ; implicit-def: $vgpr3
.LBB63_2545:
	s_and_b32 vcc_lo, exec_lo, s7
	s_cbranch_vccz .LBB63_2549
; %bb.2546:
	s_cmp_eq_u32 s12, 44
	s_cbranch_scc0 .LBB63_2548
; %bb.2547:
	global_load_u8 v3, v[8:9], off
	s_mov_b32 s0, 0
	s_mov_b32 s6, -1
	s_wait_loadcnt 0x0
	v_lshlrev_b32_e32 v5, 23, v3
	v_cmp_ne_u32_e32 vcc_lo, 0, v3
	s_delay_alu instid0(VALU_DEP_2) | instskip(NEXT) | instid1(VALU_DEP_1)
	v_cvt_i32_f32_e32 v5, v5
	v_cndmask_b32_e32 v3, 0, v5, vcc_lo
	s_branch .LBB63_2549
.LBB63_2548:
	s_mov_b32 s0, -1
                                        ; implicit-def: $vgpr3
.LBB63_2549:
	s_mov_b32 s7, 0
.LBB63_2550:
	s_delay_alu instid0(SALU_CYCLE_1)
	s_and_b32 vcc_lo, exec_lo, s7
	s_cbranch_vccz .LBB63_2554
; %bb.2551:
	s_cmp_eq_u32 s12, 29
	s_cbranch_scc0 .LBB63_2553
; %bb.2552:
	global_load_b32 v3, v[8:9], off
	s_mov_b32 s0, 0
	s_mov_b32 s6, -1
	s_branch .LBB63_2554
.LBB63_2553:
	s_mov_b32 s0, -1
                                        ; implicit-def: $vgpr3
.LBB63_2554:
	s_mov_b32 s7, 0
.LBB63_2555:
	s_delay_alu instid0(SALU_CYCLE_1)
	s_and_b32 vcc_lo, exec_lo, s7
	s_cbranch_vccz .LBB63_2571
; %bb.2556:
	s_cmp_lt_i32 s12, 27
	s_cbranch_scc1 .LBB63_2559
; %bb.2557:
	s_cmp_gt_i32 s12, 27
	s_cbranch_scc0 .LBB63_2560
; %bb.2558:
	s_wait_loadcnt 0x0
	global_load_b32 v3, v[8:9], off
	s_mov_b32 s6, 0
	s_branch .LBB63_2561
.LBB63_2559:
	s_mov_b32 s6, -1
                                        ; implicit-def: $vgpr3
	s_branch .LBB63_2564
.LBB63_2560:
	s_mov_b32 s6, -1
                                        ; implicit-def: $vgpr3
.LBB63_2561:
	s_delay_alu instid0(SALU_CYCLE_1)
	s_and_not1_b32 vcc_lo, exec_lo, s6
	s_cbranch_vccnz .LBB63_2563
; %bb.2562:
	s_wait_loadcnt 0x0
	global_load_u16 v3, v[8:9], off
.LBB63_2563:
	s_mov_b32 s6, 0
.LBB63_2564:
	s_delay_alu instid0(SALU_CYCLE_1)
	s_and_not1_b32 vcc_lo, exec_lo, s6
	s_cbranch_vccnz .LBB63_2570
; %bb.2565:
	global_load_u8 v5, v[8:9], off
	s_mov_b32 s7, 0
	s_mov_b32 s6, exec_lo
	s_wait_loadcnt 0x0
	v_cmpx_lt_i16_e32 0x7f, v5
	s_xor_b32 s6, exec_lo, s6
	s_cbranch_execz .LBB63_2582
; %bb.2566:
	v_cmp_ne_u16_e32 vcc_lo, 0x80, v5
	s_and_b32 s7, vcc_lo, exec_lo
	s_and_not1_saveexec_b32 s6, s6
	s_cbranch_execnz .LBB63_2583
.LBB63_2567:
	s_or_b32 exec_lo, exec_lo, s6
	v_mov_b32_e32 v3, 0
	s_and_saveexec_b32 s6, s7
	s_cbranch_execz .LBB63_2569
.LBB63_2568:
	v_and_b32_e32 v3, 0xffff, v5
	s_delay_alu instid0(VALU_DEP_1) | instskip(SKIP_1) | instid1(VALU_DEP_2)
	v_dual_lshlrev_b32 v5, 24, v5 :: v_dual_bitop2_b32 v7, 7, v3 bitop3:0x40
	v_bfe_u32 v13, v3, 3, 4
	v_and_b32_e32 v5, 0x80000000, v5
	s_delay_alu instid0(VALU_DEP_3) | instskip(NEXT) | instid1(VALU_DEP_3)
	v_clz_i32_u32_e32 v11, v7
	v_cmp_eq_u32_e32 vcc_lo, 0, v13
	s_delay_alu instid0(VALU_DEP_2) | instskip(NEXT) | instid1(VALU_DEP_1)
	v_min_u32_e32 v11, 32, v11
	v_subrev_nc_u32_e32 v12, 28, v11
	v_sub_nc_u32_e32 v11, 29, v11
	s_delay_alu instid0(VALU_DEP_2) | instskip(NEXT) | instid1(VALU_DEP_2)
	v_lshlrev_b32_e32 v3, v12, v3
	v_cndmask_b32_e32 v11, v13, v11, vcc_lo
	s_delay_alu instid0(VALU_DEP_2) | instskip(NEXT) | instid1(VALU_DEP_1)
	v_and_b32_e32 v3, 7, v3
	v_cndmask_b32_e32 v3, v7, v3, vcc_lo
	s_delay_alu instid0(VALU_DEP_3) | instskip(NEXT) | instid1(VALU_DEP_2)
	v_lshl_add_u32 v7, v11, 23, 0x3b800000
	v_lshlrev_b32_e32 v3, 20, v3
	s_delay_alu instid0(VALU_DEP_1) | instskip(NEXT) | instid1(VALU_DEP_1)
	v_or3_b32 v3, v5, v7, v3
	v_cvt_i32_f32_e32 v3, v3
.LBB63_2569:
	s_or_b32 exec_lo, exec_lo, s6
.LBB63_2570:
	s_mov_b32 s6, -1
.LBB63_2571:
	s_mov_b32 s7, 0
.LBB63_2572:
	s_delay_alu instid0(SALU_CYCLE_1)
	s_and_b32 vcc_lo, exec_lo, s7
	s_cbranch_vccz .LBB63_2603
; %bb.2573:
	s_cmp_gt_i32 s12, 22
	s_cbranch_scc0 .LBB63_2581
; %bb.2574:
	s_cmp_lt_i32 s12, 24
	s_cbranch_scc1 .LBB63_2584
; %bb.2575:
	s_cmp_gt_i32 s12, 24
	s_cbranch_scc0 .LBB63_2585
; %bb.2576:
	global_load_u8 v5, v[8:9], off
	s_mov_b32 s6, 0
	s_mov_b32 s1, exec_lo
	s_wait_loadcnt 0x0
	v_cmpx_lt_i16_e32 0x7f, v5
	s_xor_b32 s1, exec_lo, s1
	s_cbranch_execz .LBB63_2597
; %bb.2577:
	v_cmp_ne_u16_e32 vcc_lo, 0x80, v5
	s_and_b32 s6, vcc_lo, exec_lo
	s_and_not1_saveexec_b32 s1, s1
	s_cbranch_execnz .LBB63_2598
.LBB63_2578:
	s_or_b32 exec_lo, exec_lo, s1
	v_mov_b32_e32 v3, 0
	s_and_saveexec_b32 s1, s6
	s_cbranch_execz .LBB63_2580
.LBB63_2579:
	v_and_b32_e32 v3, 0xffff, v5
	s_delay_alu instid0(VALU_DEP_1) | instskip(SKIP_1) | instid1(VALU_DEP_2)
	v_dual_lshlrev_b32 v5, 24, v5 :: v_dual_bitop2_b32 v7, 3, v3 bitop3:0x40
	v_bfe_u32 v13, v3, 2, 5
	v_and_b32_e32 v5, 0x80000000, v5
	s_delay_alu instid0(VALU_DEP_3) | instskip(NEXT) | instid1(VALU_DEP_3)
	v_clz_i32_u32_e32 v11, v7
	v_cmp_eq_u32_e32 vcc_lo, 0, v13
	s_delay_alu instid0(VALU_DEP_2) | instskip(NEXT) | instid1(VALU_DEP_1)
	v_min_u32_e32 v11, 32, v11
	v_subrev_nc_u32_e32 v12, 29, v11
	v_sub_nc_u32_e32 v11, 30, v11
	s_delay_alu instid0(VALU_DEP_2) | instskip(NEXT) | instid1(VALU_DEP_2)
	v_lshlrev_b32_e32 v3, v12, v3
	v_cndmask_b32_e32 v11, v13, v11, vcc_lo
	s_delay_alu instid0(VALU_DEP_2) | instskip(NEXT) | instid1(VALU_DEP_1)
	v_and_b32_e32 v3, 3, v3
	v_cndmask_b32_e32 v3, v7, v3, vcc_lo
	s_delay_alu instid0(VALU_DEP_3) | instskip(NEXT) | instid1(VALU_DEP_2)
	v_lshl_add_u32 v7, v11, 23, 0x37800000
	v_lshlrev_b32_e32 v3, 21, v3
	s_delay_alu instid0(VALU_DEP_1) | instskip(NEXT) | instid1(VALU_DEP_1)
	v_or3_b32 v3, v5, v7, v3
	v_cvt_i32_f32_e32 v3, v3
.LBB63_2580:
	s_or_b32 exec_lo, exec_lo, s1
	s_mov_b32 s1, 0
	s_branch .LBB63_2586
.LBB63_2581:
	s_mov_b32 s1, -1
                                        ; implicit-def: $vgpr3
	s_branch .LBB63_2592
.LBB63_2582:
	s_and_not1_saveexec_b32 s6, s6
	s_cbranch_execz .LBB63_2567
.LBB63_2583:
	v_cmp_ne_u16_e32 vcc_lo, 0, v5
	s_and_not1_b32 s7, s7, exec_lo
	s_and_b32 s11, vcc_lo, exec_lo
	s_delay_alu instid0(SALU_CYCLE_1)
	s_or_b32 s7, s7, s11
	s_or_b32 exec_lo, exec_lo, s6
	v_mov_b32_e32 v3, 0
	s_and_saveexec_b32 s6, s7
	s_cbranch_execnz .LBB63_2568
	s_branch .LBB63_2569
.LBB63_2584:
	s_mov_b32 s1, -1
                                        ; implicit-def: $vgpr3
	s_branch .LBB63_2589
.LBB63_2585:
	s_mov_b32 s1, -1
                                        ; implicit-def: $vgpr3
.LBB63_2586:
	s_delay_alu instid0(SALU_CYCLE_1)
	s_and_b32 vcc_lo, exec_lo, s1
	s_cbranch_vccz .LBB63_2588
; %bb.2587:
	s_wait_loadcnt 0x0
	global_load_u8 v3, v[8:9], off
	s_wait_loadcnt 0x0
	v_lshlrev_b32_e32 v3, 24, v3
	s_delay_alu instid0(VALU_DEP_1) | instskip(NEXT) | instid1(VALU_DEP_1)
	v_and_b32_e32 v5, 0x7f000000, v3
	v_clz_i32_u32_e32 v7, v5
	v_cmp_ne_u32_e32 vcc_lo, 0, v5
	s_wait_xcnt 0x1
	v_add_nc_u32_e32 v12, 0x1000000, v5
	s_delay_alu instid0(VALU_DEP_3) | instskip(NEXT) | instid1(VALU_DEP_1)
	v_min_u32_e32 v7, 32, v7
	v_sub_nc_u32_e64 v7, v7, 4 clamp
	s_delay_alu instid0(VALU_DEP_1) | instskip(NEXT) | instid1(VALU_DEP_1)
	v_dual_lshlrev_b32 v11, v7, v5 :: v_dual_lshlrev_b32 v7, 23, v7
	v_lshrrev_b32_e32 v11, 4, v11
	s_delay_alu instid0(VALU_DEP_1) | instskip(NEXT) | instid1(VALU_DEP_1)
	v_dual_sub_nc_u32 v7, v11, v7 :: v_dual_ashrrev_i32 v11, 8, v12
	v_add_nc_u32_e32 v7, 0x3c000000, v7
	s_delay_alu instid0(VALU_DEP_1) | instskip(NEXT) | instid1(VALU_DEP_1)
	v_and_or_b32 v7, 0x7f800000, v11, v7
	v_cndmask_b32_e32 v5, 0, v7, vcc_lo
	s_delay_alu instid0(VALU_DEP_1) | instskip(NEXT) | instid1(VALU_DEP_1)
	v_and_or_b32 v3, 0x80000000, v3, v5
	v_cvt_i32_f32_e32 v3, v3
.LBB63_2588:
	s_mov_b32 s1, 0
.LBB63_2589:
	s_delay_alu instid0(SALU_CYCLE_1)
	s_and_not1_b32 vcc_lo, exec_lo, s1
	s_cbranch_vccnz .LBB63_2591
; %bb.2590:
	s_wait_loadcnt 0x0
	global_load_u8 v3, v[8:9], off
	s_wait_loadcnt 0x0
	v_lshlrev_b32_e32 v5, 25, v3
	v_lshlrev_b16 v3, 8, v3
	s_delay_alu instid0(VALU_DEP_2) | instskip(NEXT) | instid1(VALU_DEP_2)
	v_cmp_gt_u32_e32 vcc_lo, 0x8000000, v5
	v_and_or_b32 v11, 0x7f00, v3, 0.5
	v_lshrrev_b32_e32 v7, 4, v5
	v_bfe_i32 v3, v3, 0, 16
	s_delay_alu instid0(VALU_DEP_3) | instskip(NEXT) | instid1(VALU_DEP_3)
	v_add_f32_e32 v11, -0.5, v11
	v_or_b32_e32 v7, 0x70000000, v7
	s_delay_alu instid0(VALU_DEP_1) | instskip(NEXT) | instid1(VALU_DEP_1)
	v_mul_f32_e32 v7, 0x7800000, v7
	v_cndmask_b32_e32 v5, v7, v11, vcc_lo
	s_delay_alu instid0(VALU_DEP_1) | instskip(NEXT) | instid1(VALU_DEP_1)
	v_and_or_b32 v3, 0x80000000, v3, v5
	v_cvt_i32_f32_e32 v3, v3
.LBB63_2591:
	s_mov_b32 s1, 0
	s_mov_b32 s6, -1
.LBB63_2592:
	s_and_not1_b32 vcc_lo, exec_lo, s1
	s_mov_b32 s1, 0
	s_cbranch_vccnz .LBB63_2603
; %bb.2593:
	s_cmp_gt_i32 s12, 14
	s_cbranch_scc0 .LBB63_2596
; %bb.2594:
	s_cmp_eq_u32 s12, 15
	s_cbranch_scc0 .LBB63_2599
; %bb.2595:
	s_wait_loadcnt 0x0
	global_load_u16 v3, v[8:9], off
	s_mov_b32 s0, 0
	s_mov_b32 s6, -1
	s_wait_loadcnt 0x0
	v_lshlrev_b32_e32 v3, 16, v3
	s_delay_alu instid0(VALU_DEP_1)
	v_cvt_i32_f32_e32 v3, v3
	s_branch .LBB63_2601
.LBB63_2596:
	s_mov_b32 s1, -1
	s_branch .LBB63_2600
.LBB63_2597:
	s_and_not1_saveexec_b32 s1, s1
	s_cbranch_execz .LBB63_2578
.LBB63_2598:
	v_cmp_ne_u16_e32 vcc_lo, 0, v5
	s_and_not1_b32 s6, s6, exec_lo
	s_and_b32 s7, vcc_lo, exec_lo
	s_delay_alu instid0(SALU_CYCLE_1)
	s_or_b32 s6, s6, s7
	s_or_b32 exec_lo, exec_lo, s1
	v_mov_b32_e32 v3, 0
	s_and_saveexec_b32 s1, s6
	s_cbranch_execnz .LBB63_2579
	s_branch .LBB63_2580
.LBB63_2599:
	s_mov_b32 s0, -1
.LBB63_2600:
                                        ; implicit-def: $vgpr3
.LBB63_2601:
	s_and_b32 vcc_lo, exec_lo, s1
	s_mov_b32 s1, 0
	s_cbranch_vccz .LBB63_2603
; %bb.2602:
	s_cmp_lg_u32 s12, 11
	s_mov_b32 s1, -1
	s_cselect_b32 s0, -1, 0
.LBB63_2603:
	s_delay_alu instid0(SALU_CYCLE_1)
	s_and_b32 vcc_lo, exec_lo, s0
	s_cbranch_vccnz .LBB63_3143
; %bb.2604:
	s_and_not1_b32 vcc_lo, exec_lo, s1
	s_cbranch_vccnz .LBB63_2606
.LBB63_2605:
	s_wait_loadcnt 0x0
	global_load_u8 v3, v[8:9], off
	s_mov_b32 s6, -1
	s_wait_loadcnt 0x0
	v_cmp_ne_u16_e32 vcc_lo, 0, v3
	v_cndmask_b32_e64 v3, 0, 1, vcc_lo
.LBB63_2606:
	s_mov_b32 s0, 0
.LBB63_2607:
	s_delay_alu instid0(SALU_CYCLE_1)
	s_and_b32 vcc_lo, exec_lo, s0
	s_cbranch_vccz .LBB63_2656
; %bb.2608:
	s_cmp_lt_i32 s12, 5
	s_cbranch_scc1 .LBB63_2613
; %bb.2609:
	s_cmp_lt_i32 s12, 8
	s_cbranch_scc1 .LBB63_2614
	;; [unrolled: 3-line block ×3, first 2 shown]
; %bb.2611:
	s_cmp_gt_i32 s12, 9
	s_cbranch_scc0 .LBB63_2616
; %bb.2612:
	global_load_b64 v[12:13], v[8:9], off
	s_mov_b32 s0, 0
	s_wait_loadcnt 0x0
	v_cvt_i32_f64_e32 v3, v[12:13]
	s_branch .LBB63_2617
.LBB63_2613:
	s_mov_b32 s0, -1
                                        ; implicit-def: $vgpr3
	s_branch .LBB63_2635
.LBB63_2614:
	s_mov_b32 s0, -1
                                        ; implicit-def: $vgpr3
	s_branch .LBB63_2623
.LBB63_2615:
	s_mov_b32 s0, -1
                                        ; implicit-def: $vgpr3
	s_branch .LBB63_2620
.LBB63_2616:
	s_mov_b32 s0, -1
                                        ; implicit-def: $vgpr3
.LBB63_2617:
	s_delay_alu instid0(SALU_CYCLE_1)
	s_and_not1_b32 vcc_lo, exec_lo, s0
	s_cbranch_vccnz .LBB63_2619
; %bb.2618:
	s_wait_loadcnt 0x0
	global_load_b32 v3, v[8:9], off
	s_wait_loadcnt 0x0
	v_cvt_i32_f32_e32 v3, v3
.LBB63_2619:
	s_mov_b32 s0, 0
.LBB63_2620:
	s_delay_alu instid0(SALU_CYCLE_1)
	s_and_not1_b32 vcc_lo, exec_lo, s0
	s_cbranch_vccnz .LBB63_2622
; %bb.2621:
	s_wait_loadcnt 0x0
	global_load_b32 v3, v[8:9], off
	s_wait_loadcnt 0x0
	v_cvt_f32_f16_e32 v3, v3
	s_delay_alu instid0(VALU_DEP_1)
	v_cvt_i32_f32_e32 v3, v3
.LBB63_2622:
	s_mov_b32 s0, 0
.LBB63_2623:
	s_delay_alu instid0(SALU_CYCLE_1)
	s_and_not1_b32 vcc_lo, exec_lo, s0
	s_cbranch_vccnz .LBB63_2634
; %bb.2624:
	s_cmp_lt_i32 s12, 6
	s_cbranch_scc1 .LBB63_2627
; %bb.2625:
	s_cmp_gt_i32 s12, 6
	s_cbranch_scc0 .LBB63_2628
; %bb.2626:
	global_load_b64 v[12:13], v[8:9], off
	s_mov_b32 s0, 0
	s_wait_loadcnt 0x0
	v_cvt_i32_f64_e32 v3, v[12:13]
	s_branch .LBB63_2629
.LBB63_2627:
	s_mov_b32 s0, -1
                                        ; implicit-def: $vgpr3
	s_branch .LBB63_2632
.LBB63_2628:
	s_mov_b32 s0, -1
                                        ; implicit-def: $vgpr3
.LBB63_2629:
	s_delay_alu instid0(SALU_CYCLE_1)
	s_and_not1_b32 vcc_lo, exec_lo, s0
	s_cbranch_vccnz .LBB63_2631
; %bb.2630:
	s_wait_loadcnt 0x0
	global_load_b32 v3, v[8:9], off
	s_wait_loadcnt 0x0
	v_cvt_i32_f32_e32 v3, v3
.LBB63_2631:
	s_mov_b32 s0, 0
.LBB63_2632:
	s_delay_alu instid0(SALU_CYCLE_1)
	s_and_not1_b32 vcc_lo, exec_lo, s0
	s_cbranch_vccnz .LBB63_2634
; %bb.2633:
	s_wait_loadcnt 0x0
	global_load_u16 v3, v[8:9], off
	s_wait_loadcnt 0x0
	v_cvt_f32_f16_e32 v3, v3
	s_delay_alu instid0(VALU_DEP_1)
	v_cvt_i32_f32_e32 v3, v3
.LBB63_2634:
	s_mov_b32 s0, 0
.LBB63_2635:
	s_delay_alu instid0(SALU_CYCLE_1)
	s_and_not1_b32 vcc_lo, exec_lo, s0
	s_cbranch_vccnz .LBB63_2655
; %bb.2636:
	s_cmp_lt_i32 s12, 2
	s_cbranch_scc1 .LBB63_2640
; %bb.2637:
	s_cmp_lt_i32 s12, 3
	s_cbranch_scc1 .LBB63_2641
; %bb.2638:
	s_cmp_gt_i32 s12, 3
	s_cbranch_scc0 .LBB63_2642
; %bb.2639:
	s_wait_loadcnt 0x0
	global_load_b32 v3, v[8:9], off
	s_mov_b32 s0, 0
	s_branch .LBB63_2643
.LBB63_2640:
	s_mov_b32 s0, -1
                                        ; implicit-def: $vgpr3
	s_branch .LBB63_2649
.LBB63_2641:
	s_mov_b32 s0, -1
                                        ; implicit-def: $vgpr3
	s_branch .LBB63_2646
.LBB63_2642:
	s_mov_b32 s0, -1
                                        ; implicit-def: $vgpr3
.LBB63_2643:
	s_delay_alu instid0(SALU_CYCLE_1)
	s_and_not1_b32 vcc_lo, exec_lo, s0
	s_cbranch_vccnz .LBB63_2645
; %bb.2644:
	s_wait_loadcnt 0x0
	global_load_b32 v3, v[8:9], off
.LBB63_2645:
	s_mov_b32 s0, 0
.LBB63_2646:
	s_delay_alu instid0(SALU_CYCLE_1)
	s_and_not1_b32 vcc_lo, exec_lo, s0
	s_cbranch_vccnz .LBB63_2648
; %bb.2647:
	s_wait_loadcnt 0x0
	global_load_i16 v3, v[8:9], off
.LBB63_2648:
	s_mov_b32 s0, 0
.LBB63_2649:
	s_delay_alu instid0(SALU_CYCLE_1)
	s_and_not1_b32 vcc_lo, exec_lo, s0
	s_cbranch_vccnz .LBB63_2655
; %bb.2650:
	s_cmp_gt_i32 s12, 0
	s_mov_b32 s0, 0
	s_cbranch_scc0 .LBB63_2652
; %bb.2651:
	s_wait_loadcnt 0x0
	global_load_i8 v3, v[8:9], off
	s_branch .LBB63_2653
.LBB63_2652:
	s_mov_b32 s0, -1
                                        ; implicit-def: $vgpr3
.LBB63_2653:
	s_delay_alu instid0(SALU_CYCLE_1)
	s_and_not1_b32 vcc_lo, exec_lo, s0
	s_cbranch_vccnz .LBB63_2655
; %bb.2654:
	s_wait_loadcnt 0x0
	global_load_u8 v3, v[8:9], off
.LBB63_2655:
	s_mov_b32 s6, -1
.LBB63_2656:
	s_delay_alu instid0(SALU_CYCLE_1)
	s_and_not1_b32 vcc_lo, exec_lo, s6
	s_cbranch_vccnz .LBB63_2741
; %bb.2657:
	s_wait_loadcnt 0x0
	s_delay_alu instid0(VALU_DEP_1) | instskip(SKIP_2) | instid1(VALU_DEP_1)
	v_sub_nc_u32_e32 v5, 0, v3
	s_mov_b32 s1, 0
	s_mov_b32 s0, exec_lo
	v_max_i32_e32 v7, v3, v5
	v_sub_nc_u32_e32 v5, 0, v1
	s_wait_xcnt 0x0
	v_cmpx_ne_u32_e32 0, v1
	s_cbranch_execz .LBB63_2661
; %bb.2658:
	s_delay_alu instid0(VALU_DEP_2)
	v_max_i32_e32 v9, v1, v5
.LBB63_2659:                            ; =>This Inner Loop Header: Depth=1
	s_delay_alu instid0(VALU_DEP_1) | instskip(NEXT) | instid1(VALU_DEP_1)
	v_mov_b32_e32 v8, v9
	v_cvt_f32_u32_e32 v9, v8
	s_delay_alu instid0(VALU_DEP_1) | instskip(SKIP_1) | instid1(TRANS32_DEP_1)
	v_rcp_iflag_f32_e32 v9, v9
	v_nop
	v_mul_f32_e32 v9, 0x4f7ffffe, v9
	v_sub_nc_u32_e32 v11, 0, v8
	s_delay_alu instid0(VALU_DEP_2) | instskip(NEXT) | instid1(VALU_DEP_1)
	v_cvt_u32_f32_e32 v9, v9
	v_mul_lo_u32 v11, v11, v9
	s_delay_alu instid0(VALU_DEP_1) | instskip(NEXT) | instid1(VALU_DEP_1)
	v_mul_hi_u32 v11, v9, v11
	v_add_nc_u32_e32 v9, v9, v11
	s_delay_alu instid0(VALU_DEP_1) | instskip(NEXT) | instid1(VALU_DEP_1)
	v_mul_hi_u32 v9, v7, v9
	v_mul_lo_u32 v9, v9, v8
	s_delay_alu instid0(VALU_DEP_1) | instskip(NEXT) | instid1(VALU_DEP_1)
	v_sub_nc_u32_e32 v7, v7, v9
	v_sub_nc_u32_e32 v9, v7, v8
	v_cmp_ge_u32_e32 vcc_lo, v7, v8
	s_delay_alu instid0(VALU_DEP_2) | instskip(NEXT) | instid1(VALU_DEP_1)
	v_cndmask_b32_e32 v7, v7, v9, vcc_lo
	v_sub_nc_u32_e32 v9, v7, v8
	v_cmp_ge_u32_e32 vcc_lo, v7, v8
	s_delay_alu instid0(VALU_DEP_2) | instskip(NEXT) | instid1(VALU_DEP_1)
	v_dual_cndmask_b32 v9, v7, v9, vcc_lo :: v_dual_mov_b32 v7, v8
	v_cmp_eq_u32_e32 vcc_lo, 0, v9
	s_or_b32 s1, vcc_lo, s1
	s_delay_alu instid0(SALU_CYCLE_1)
	s_and_not1_b32 exec_lo, exec_lo, s1
	s_cbranch_execnz .LBB63_2659
; %bb.2660:
	s_or_b32 exec_lo, exec_lo, s1
	v_mov_b32_e32 v7, v8
.LBB63_2661:
	s_or_b32 exec_lo, exec_lo, s0
	v_mov_b32_e32 v8, 0
	s_mov_b32 s0, exec_lo
	s_delay_alu instid0(VALU_DEP_2)
	v_cmpx_ne_u32_e32 0, v7
	s_cbranch_execz .LBB63_2663
; %bb.2662:
	v_dual_sub_nc_u32 v8, 0, v7 :: v_dual_max_i32 v5, v1, v5
	v_xor_b32_e32 v1, v1, v7
	s_delay_alu instid0(VALU_DEP_1) | instskip(NEXT) | instid1(VALU_DEP_1)
	v_dual_ashrrev_i32 v1, 31, v1 :: v_dual_max_i32 v8, v7, v8
	v_cvt_f32_u32_e32 v9, v8
	v_sub_nc_u32_e32 v11, 0, v8
	s_delay_alu instid0(VALU_DEP_2) | instskip(SKIP_1) | instid1(TRANS32_DEP_1)
	v_rcp_iflag_f32_e32 v9, v9
	v_nop
	v_mul_f32_e32 v9, 0x4f7ffffe, v9
	s_delay_alu instid0(VALU_DEP_1) | instskip(NEXT) | instid1(VALU_DEP_1)
	v_cvt_u32_f32_e32 v9, v9
	v_mul_lo_u32 v11, v11, v9
	s_delay_alu instid0(VALU_DEP_1) | instskip(NEXT) | instid1(VALU_DEP_1)
	v_mul_hi_u32 v11, v9, v11
	v_add_nc_u32_e32 v9, v9, v11
	s_delay_alu instid0(VALU_DEP_1) | instskip(NEXT) | instid1(VALU_DEP_1)
	v_mul_hi_u32 v9, v5, v9
	v_mul_lo_u32 v11, v9, v8
	s_delay_alu instid0(VALU_DEP_1) | instskip(NEXT) | instid1(VALU_DEP_1)
	v_dual_sub_nc_u32 v5, v5, v11 :: v_dual_add_nc_u32 v11, 1, v9
	v_cmp_ge_u32_e32 vcc_lo, v5, v8
	s_delay_alu instid0(VALU_DEP_2) | instskip(NEXT) | instid1(VALU_DEP_1)
	v_cndmask_b32_e32 v9, v9, v11, vcc_lo
	v_dual_sub_nc_u32 v12, v5, v8 :: v_dual_add_nc_u32 v7, 1, v9
	s_delay_alu instid0(VALU_DEP_1) | instskip(NEXT) | instid1(VALU_DEP_1)
	v_cndmask_b32_e32 v5, v5, v12, vcc_lo
	v_cmp_ge_u32_e32 vcc_lo, v5, v8
	s_delay_alu instid0(VALU_DEP_3) | instskip(NEXT) | instid1(VALU_DEP_1)
	v_cndmask_b32_e32 v5, v9, v7, vcc_lo
	v_xor_b32_e32 v5, v5, v1
	s_delay_alu instid0(VALU_DEP_1) | instskip(NEXT) | instid1(VALU_DEP_1)
	v_sub_nc_u32_e32 v1, v5, v1
	v_mul_lo_u32 v1, v1, v3
	s_delay_alu instid0(VALU_DEP_1) | instskip(NEXT) | instid1(VALU_DEP_1)
	v_sub_nc_u32_e32 v3, 0, v1
	v_max_i32_e32 v8, v1, v3
.LBB63_2663:
	s_or_b32 exec_lo, exec_lo, s0
	v_mov_b32_e32 v7, 0
	global_load_u8 v1, v7, s[2:3] offset:417
	s_wait_xcnt 0x0
	v_add_nc_u64_e32 v[6:7], s[4:5], v[6:7]
	s_wait_loadcnt 0x0
	v_and_b32_e32 v3, 0xffff, v1
	v_readfirstlane_b32 s1, v1
	s_delay_alu instid0(VALU_DEP_2)
	v_cmp_gt_i32_e32 vcc_lo, 11, v3
	s_cbranch_vccnz .LBB63_2786
; %bb.2664:
	s_and_b32 s2, 0xffff, s1
	s_mov_b32 s7, -1
	s_mov_b32 s3, 0
	s_cmp_gt_i32 s2, 25
	s_mov_b32 s6, 0
	s_mov_b32 s0, 0
	s_cbranch_scc0 .LBB63_2697
; %bb.2665:
	s_cmp_gt_i32 s2, 28
	s_cbranch_scc0 .LBB63_2680
; %bb.2666:
	s_cmp_gt_i32 s2, 43
	;; [unrolled: 3-line block ×3, first 2 shown]
	s_cbranch_scc0 .LBB63_2670
; %bb.2668:
	s_mov_b32 s0, -1
	s_mov_b32 s7, 0
	s_cmp_eq_u32 s2, 46
	s_cbranch_scc0 .LBB63_2670
; %bb.2669:
	v_cvt_f32_u32_e32 v1, v10
	s_mov_b32 s0, 0
	s_mov_b32 s6, -1
	s_delay_alu instid0(VALU_DEP_1) | instskip(NEXT) | instid1(VALU_DEP_1)
	v_bfe_u32 v3, v1, 16, 1
	v_add3_u32 v1, v1, v3, 0x7fff
	s_delay_alu instid0(VALU_DEP_1)
	v_lshrrev_b32_e32 v1, 16, v1
	global_store_b32 v[6:7], v1, off
.LBB63_2670:
	s_and_b32 vcc_lo, exec_lo, s7
	s_cbranch_vccz .LBB63_2675
; %bb.2671:
	s_cmp_eq_u32 s2, 44
	s_mov_b32 s0, -1
	s_cbranch_scc0 .LBB63_2675
; %bb.2672:
	v_cvt_f32_u32_e32 v5, v10
	v_mov_b32_e32 v3, 0xff
	s_mov_b32 s6, exec_lo
	s_wait_xcnt 0x0
	s_delay_alu instid0(VALU_DEP_2) | instskip(NEXT) | instid1(VALU_DEP_1)
	v_lshrrev_b32_e32 v1, 23, v5
	v_cmpx_ne_u32_e32 0xff, v1
; %bb.2673:
	v_and_b32_e32 v3, 0x400000, v5
	v_and_or_b32 v5, 0x3fffff, v5, v1
	s_delay_alu instid0(VALU_DEP_2) | instskip(NEXT) | instid1(VALU_DEP_2)
	v_cmp_ne_u32_e32 vcc_lo, 0, v3
	v_cmp_ne_u32_e64 s0, 0, v5
	s_and_b32 s0, vcc_lo, s0
	s_delay_alu instid0(SALU_CYCLE_1) | instskip(NEXT) | instid1(VALU_DEP_1)
	v_cndmask_b32_e64 v3, 0, 1, s0
	v_add_nc_u32_e32 v3, v1, v3
; %bb.2674:
	s_or_b32 exec_lo, exec_lo, s6
	s_mov_b32 s0, 0
	s_mov_b32 s6, -1
	global_store_b8 v[6:7], v3, off
.LBB63_2675:
	s_mov_b32 s7, 0
.LBB63_2676:
	s_delay_alu instid0(SALU_CYCLE_1)
	s_and_b32 vcc_lo, exec_lo, s7
	s_cbranch_vccz .LBB63_2679
; %bb.2677:
	s_cmp_eq_u32 s2, 29
	s_mov_b32 s0, -1
	s_cbranch_scc0 .LBB63_2679
; %bb.2678:
	v_mov_b32_e32 v11, 0
	s_mov_b32 s0, 0
	s_mov_b32 s6, -1
	global_store_b64 v[6:7], v[10:11], off
.LBB63_2679:
	s_mov_b32 s7, 0
.LBB63_2680:
	s_delay_alu instid0(SALU_CYCLE_1)
	s_and_b32 vcc_lo, exec_lo, s7
	s_cbranch_vccz .LBB63_2696
; %bb.2681:
	s_cmp_lt_i32 s2, 27
	s_mov_b32 s6, -1
	s_cbranch_scc1 .LBB63_2687
; %bb.2682:
	s_cmp_gt_i32 s2, 27
	s_cbranch_scc0 .LBB63_2684
; %bb.2683:
	s_mov_b32 s6, 0
	global_store_b32 v[6:7], v10, off
.LBB63_2684:
	s_and_not1_b32 vcc_lo, exec_lo, s6
	s_cbranch_vccnz .LBB63_2686
; %bb.2685:
	global_store_b16 v[6:7], v10, off
.LBB63_2686:
	s_mov_b32 s6, 0
.LBB63_2687:
	s_delay_alu instid0(SALU_CYCLE_1)
	s_and_not1_b32 vcc_lo, exec_lo, s6
	s_cbranch_vccnz .LBB63_2695
; %bb.2688:
	s_wait_xcnt 0x0
	v_cvt_f32_u32_e32 v3, v10
	v_mov_b32_e32 v5, 0x80
	s_mov_b32 s6, exec_lo
	s_delay_alu instid0(VALU_DEP_2)
	v_cmpx_gt_u32_e32 0x43800000, v3
	s_cbranch_execz .LBB63_2694
; %bb.2689:
	s_mov_b32 s7, 0
	s_mov_b32 s11, exec_lo
                                        ; implicit-def: $vgpr1
	v_cmpx_lt_u32_e32 0x3bffffff, v3
	s_xor_b32 s11, exec_lo, s11
	s_cbranch_execz .LBB63_3144
; %bb.2690:
	v_bfe_u32 v1, v3, 20, 1
	s_mov_b32 s7, exec_lo
	s_delay_alu instid0(VALU_DEP_1) | instskip(NEXT) | instid1(VALU_DEP_1)
	v_add3_u32 v1, v3, v1, 0x487ffff
                                        ; implicit-def: $vgpr3
	v_lshrrev_b32_e32 v1, 20, v1
	s_and_not1_saveexec_b32 s11, s11
	s_cbranch_execnz .LBB63_3145
.LBB63_2691:
	s_or_b32 exec_lo, exec_lo, s11
	v_mov_b32_e32 v5, 0
	s_and_saveexec_b32 s11, s7
.LBB63_2692:
	v_mov_b32_e32 v5, v1
.LBB63_2693:
	s_or_b32 exec_lo, exec_lo, s11
.LBB63_2694:
	s_delay_alu instid0(SALU_CYCLE_1)
	s_or_b32 exec_lo, exec_lo, s6
	global_store_b8 v[6:7], v5, off
.LBB63_2695:
	s_mov_b32 s6, -1
.LBB63_2696:
	s_mov_b32 s7, 0
.LBB63_2697:
	s_delay_alu instid0(SALU_CYCLE_1)
	s_and_b32 vcc_lo, exec_lo, s7
	s_cbranch_vccz .LBB63_2737
; %bb.2698:
	s_cmp_gt_i32 s2, 22
	s_mov_b32 s3, -1
	s_cbranch_scc0 .LBB63_2730
; %bb.2699:
	s_cmp_lt_i32 s2, 24
	s_cbranch_scc1 .LBB63_2719
; %bb.2700:
	s_cmp_gt_i32 s2, 24
	s_cbranch_scc0 .LBB63_2708
; %bb.2701:
	s_wait_xcnt 0x0
	v_cvt_f32_u32_e32 v3, v10
	v_mov_b32_e32 v5, 0x80
	s_mov_b32 s3, exec_lo
	s_delay_alu instid0(VALU_DEP_2)
	v_cmpx_gt_u32_e32 0x47800000, v3
	s_cbranch_execz .LBB63_2707
; %bb.2702:
	s_mov_b32 s6, 0
	s_mov_b32 s7, exec_lo
                                        ; implicit-def: $vgpr1
	v_cmpx_lt_u32_e32 0x37ffffff, v3
	s_xor_b32 s7, exec_lo, s7
	s_cbranch_execz .LBB63_3147
; %bb.2703:
	v_bfe_u32 v1, v3, 21, 1
	s_mov_b32 s6, exec_lo
	s_delay_alu instid0(VALU_DEP_1) | instskip(NEXT) | instid1(VALU_DEP_1)
	v_add3_u32 v1, v3, v1, 0x88fffff
                                        ; implicit-def: $vgpr3
	v_lshrrev_b32_e32 v1, 21, v1
	s_and_not1_saveexec_b32 s7, s7
	s_cbranch_execnz .LBB63_3148
.LBB63_2704:
	s_or_b32 exec_lo, exec_lo, s7
	v_mov_b32_e32 v5, 0
	s_and_saveexec_b32 s7, s6
.LBB63_2705:
	v_mov_b32_e32 v5, v1
.LBB63_2706:
	s_or_b32 exec_lo, exec_lo, s7
.LBB63_2707:
	s_delay_alu instid0(SALU_CYCLE_1)
	s_or_b32 exec_lo, exec_lo, s3
	s_mov_b32 s3, 0
	global_store_b8 v[6:7], v5, off
.LBB63_2708:
	s_and_b32 vcc_lo, exec_lo, s3
	s_cbranch_vccz .LBB63_2718
; %bb.2709:
	s_wait_xcnt 0x0
	v_cvt_f32_u32_e32 v3, v10
	s_mov_b32 s3, exec_lo
                                        ; implicit-def: $vgpr1
	s_delay_alu instid0(VALU_DEP_1)
	v_cmpx_gt_u32_e32 0x43f00000, v3
	s_xor_b32 s3, exec_lo, s3
	s_cbranch_execz .LBB63_2715
; %bb.2710:
	s_mov_b32 s6, exec_lo
                                        ; implicit-def: $vgpr1
	v_cmpx_lt_u32_e32 0x3c7fffff, v3
	s_xor_b32 s6, exec_lo, s6
; %bb.2711:
	v_bfe_u32 v1, v3, 20, 1
	s_delay_alu instid0(VALU_DEP_1) | instskip(NEXT) | instid1(VALU_DEP_1)
	v_add3_u32 v1, v3, v1, 0x407ffff
	v_and_b32_e32 v3, 0xff00000, v1
	v_lshrrev_b32_e32 v1, 20, v1
	s_delay_alu instid0(VALU_DEP_2) | instskip(NEXT) | instid1(VALU_DEP_2)
	v_cmp_ne_u32_e32 vcc_lo, 0x7f00000, v3
                                        ; implicit-def: $vgpr3
	v_cndmask_b32_e32 v1, 0x7e, v1, vcc_lo
; %bb.2712:
	s_and_not1_saveexec_b32 s6, s6
; %bb.2713:
	v_add_f32_e32 v1, 0x46800000, v3
; %bb.2714:
	s_or_b32 exec_lo, exec_lo, s6
                                        ; implicit-def: $vgpr3
.LBB63_2715:
	s_and_not1_saveexec_b32 s3, s3
; %bb.2716:
	v_mov_b32_e32 v1, 0x7f
	v_cmp_lt_u32_e32 vcc_lo, 0x7f800000, v3
	s_delay_alu instid0(VALU_DEP_2)
	v_cndmask_b32_e32 v1, 0x7e, v1, vcc_lo
; %bb.2717:
	s_or_b32 exec_lo, exec_lo, s3
	global_store_b8 v[6:7], v1, off
.LBB63_2718:
	s_mov_b32 s3, 0
.LBB63_2719:
	s_delay_alu instid0(SALU_CYCLE_1)
	s_and_not1_b32 vcc_lo, exec_lo, s3
	s_cbranch_vccnz .LBB63_2729
; %bb.2720:
	s_wait_xcnt 0x0
	v_cvt_f32_u32_e32 v3, v10
	s_mov_b32 s3, exec_lo
                                        ; implicit-def: $vgpr1
	s_delay_alu instid0(VALU_DEP_1)
	v_cmpx_gt_u32_e32 0x47800000, v3
	s_xor_b32 s3, exec_lo, s3
	s_cbranch_execz .LBB63_2726
; %bb.2721:
	s_mov_b32 s6, exec_lo
                                        ; implicit-def: $vgpr1
	v_cmpx_lt_u32_e32 0x387fffff, v3
	s_xor_b32 s6, exec_lo, s6
; %bb.2722:
	v_bfe_u32 v1, v3, 21, 1
	s_delay_alu instid0(VALU_DEP_1) | instskip(NEXT) | instid1(VALU_DEP_1)
	v_add3_u32 v1, v3, v1, 0x80fffff
                                        ; implicit-def: $vgpr3
	v_lshrrev_b32_e32 v1, 21, v1
; %bb.2723:
	s_and_not1_saveexec_b32 s6, s6
; %bb.2724:
	v_add_f32_e32 v1, 0x43000000, v3
; %bb.2725:
	s_or_b32 exec_lo, exec_lo, s6
                                        ; implicit-def: $vgpr3
.LBB63_2726:
	s_and_not1_saveexec_b32 s3, s3
; %bb.2727:
	v_mov_b32_e32 v1, 0x7f
	v_cmp_lt_u32_e32 vcc_lo, 0x7f800000, v3
	s_delay_alu instid0(VALU_DEP_2)
	v_cndmask_b32_e32 v1, 0x7c, v1, vcc_lo
; %bb.2728:
	s_or_b32 exec_lo, exec_lo, s3
	global_store_b8 v[6:7], v1, off
.LBB63_2729:
	s_mov_b32 s3, 0
	s_mov_b32 s6, -1
.LBB63_2730:
	s_and_not1_b32 vcc_lo, exec_lo, s3
	s_mov_b32 s3, 0
	s_cbranch_vccnz .LBB63_2737
; %bb.2731:
	s_cmp_gt_i32 s2, 14
	s_mov_b32 s3, -1
	s_cbranch_scc0 .LBB63_2735
; %bb.2732:
	s_cmp_eq_u32 s2, 15
	s_mov_b32 s0, -1
	s_cbranch_scc0 .LBB63_2734
; %bb.2733:
	s_wait_xcnt 0x0
	v_cvt_f32_u32_e32 v1, v10
	s_mov_b32 s0, 0
	s_mov_b32 s6, -1
	s_delay_alu instid0(VALU_DEP_1) | instskip(NEXT) | instid1(VALU_DEP_1)
	v_bfe_u32 v3, v1, 16, 1
	v_add3_u32 v1, v1, v3, 0x7fff
	global_store_d16_hi_b16 v[6:7], v1, off
.LBB63_2734:
	s_mov_b32 s3, 0
.LBB63_2735:
	s_delay_alu instid0(SALU_CYCLE_1)
	s_and_b32 vcc_lo, exec_lo, s3
	s_mov_b32 s3, 0
	s_cbranch_vccz .LBB63_2737
; %bb.2736:
	s_cmp_lg_u32 s2, 11
	s_mov_b32 s3, -1
	s_cselect_b32 s0, -1, 0
.LBB63_2737:
	s_delay_alu instid0(SALU_CYCLE_1)
	s_and_b32 vcc_lo, exec_lo, s0
	s_cbranch_vccnz .LBB63_3146
; %bb.2738:
	s_and_not1_b32 vcc_lo, exec_lo, s3
	s_cbranch_vccnz .LBB63_2740
.LBB63_2739:
	v_cmp_ne_u32_e32 vcc_lo, 0, v10
	s_mov_b32 s6, -1
	s_wait_xcnt 0x0
	v_cndmask_b32_e64 v1, 0, 1, vcc_lo
	global_store_b8 v[6:7], v1, off
.LBB63_2740:
	s_mov_b32 s0, 0
	s_branch .LBB63_2787
.LBB63_2741:
	s_mov_b32 s0, 0
	s_mov_b32 s3, 0
                                        ; implicit-def: $vgpr2_vgpr3
                                        ; implicit-def: $sgpr1
                                        ; implicit-def: $vgpr8
.LBB63_2742:
	s_and_not1_b32 s2, s8, exec_lo
	s_and_b32 s4, s10, exec_lo
	s_and_b32 s0, s0, exec_lo
	;; [unrolled: 1-line block ×3, first 2 shown]
	s_or_b32 s8, s2, s4
.LBB63_2743:
	s_wait_xcnt 0x0
	s_or_b32 exec_lo, exec_lo, s9
	s_and_saveexec_b32 s2, s8
	s_cbranch_execz .LBB63_2746
; %bb.2744:
	; divergent unreachable
	s_or_b32 exec_lo, exec_lo, s2
	s_and_saveexec_b32 s2, s28
	s_delay_alu instid0(SALU_CYCLE_1)
	s_xor_b32 s2, exec_lo, s2
	s_cbranch_execnz .LBB63_2747
.LBB63_2745:
	s_or_b32 exec_lo, exec_lo, s2
	s_and_saveexec_b32 s2, s0
	s_cbranch_execnz .LBB63_2748
	s_branch .LBB63_2785
.LBB63_2746:
	s_or_b32 exec_lo, exec_lo, s2
	s_and_saveexec_b32 s2, s28
	s_delay_alu instid0(SALU_CYCLE_1)
	s_xor_b32 s2, exec_lo, s2
	s_cbranch_execz .LBB63_2745
.LBB63_2747:
	v_cmp_ne_u32_e32 vcc_lo, 0, v8
	v_cndmask_b32_e64 v0, 0, 1, vcc_lo
	s_wait_loadcnt 0x0
	global_store_b8 v[2:3], v0, off
	s_wait_xcnt 0x0
	s_or_b32 exec_lo, exec_lo, s2
	s_and_saveexec_b32 s2, s0
	s_cbranch_execz .LBB63_2785
.LBB63_2748:
	s_sext_i32_i16 s2, s1
	s_mov_b32 s0, -1
	s_cmp_lt_i32 s2, 5
	s_cbranch_scc1 .LBB63_2769
; %bb.2749:
	s_cmp_lt_i32 s2, 8
	s_cbranch_scc1 .LBB63_2759
; %bb.2750:
	;; [unrolled: 3-line block ×3, first 2 shown]
	s_cmp_gt_i32 s2, 9
	s_cbranch_scc0 .LBB63_2753
; %bb.2752:
	v_cvt_f64_u32_e32 v[4:5], v8
	s_wait_loadcnt 0x0
	v_mov_b32_e32 v6, 0
	s_mov_b32 s0, 0
	s_delay_alu instid0(VALU_DEP_1)
	v_mov_b32_e32 v7, v6
	global_store_b128 v[2:3], v[4:7], off
.LBB63_2753:
	s_and_not1_b32 vcc_lo, exec_lo, s0
	s_cbranch_vccnz .LBB63_2755
; %bb.2754:
	v_cvt_f32_u32_e32 v0, v8
	s_wait_loadcnt 0x0
	v_mov_b32_e32 v1, 0
	global_store_b64 v[2:3], v[0:1], off
.LBB63_2755:
	s_mov_b32 s0, 0
.LBB63_2756:
	s_delay_alu instid0(SALU_CYCLE_1)
	s_and_not1_b32 vcc_lo, exec_lo, s0
	s_cbranch_vccnz .LBB63_2758
; %bb.2757:
	s_wait_xcnt 0x0
	v_cvt_f32_u32_e32 v0, v8
	s_delay_alu instid0(VALU_DEP_1) | instskip(NEXT) | instid1(VALU_DEP_1)
	v_cvt_f16_f32_e32 v0, v0
	v_and_b32_e32 v0, 0xffff, v0
	s_wait_loadcnt 0x0
	global_store_b32 v[2:3], v0, off
.LBB63_2758:
	s_mov_b32 s0, 0
.LBB63_2759:
	s_delay_alu instid0(SALU_CYCLE_1)
	s_and_not1_b32 vcc_lo, exec_lo, s0
	s_cbranch_vccnz .LBB63_2768
; %bb.2760:
	s_sext_i32_i16 s2, s1
	s_mov_b32 s0, -1
	s_cmp_lt_i32 s2, 6
	s_cbranch_scc1 .LBB63_2766
; %bb.2761:
	s_cmp_gt_i32 s2, 6
	s_cbranch_scc0 .LBB63_2763
; %bb.2762:
	s_wait_loadcnt 0x0
	v_cvt_f64_u32_e32 v[0:1], v8
	s_mov_b32 s0, 0
	global_store_b64 v[2:3], v[0:1], off
.LBB63_2763:
	s_and_not1_b32 vcc_lo, exec_lo, s0
	s_cbranch_vccnz .LBB63_2765
; %bb.2764:
	s_wait_xcnt 0x0
	v_cvt_f32_u32_e32 v0, v8
	s_wait_loadcnt 0x0
	global_store_b32 v[2:3], v0, off
.LBB63_2765:
	s_mov_b32 s0, 0
.LBB63_2766:
	s_delay_alu instid0(SALU_CYCLE_1)
	s_and_not1_b32 vcc_lo, exec_lo, s0
	s_cbranch_vccnz .LBB63_2768
; %bb.2767:
	s_wait_xcnt 0x0
	v_cvt_f32_u32_e32 v0, v8
	s_delay_alu instid0(VALU_DEP_1)
	v_cvt_f16_f32_e32 v0, v0
	s_wait_loadcnt 0x0
	global_store_b16 v[2:3], v0, off
.LBB63_2768:
	s_mov_b32 s0, 0
.LBB63_2769:
	s_delay_alu instid0(SALU_CYCLE_1)
	s_and_not1_b32 vcc_lo, exec_lo, s0
	s_cbranch_vccnz .LBB63_2785
; %bb.2770:
	s_sext_i32_i16 s2, s1
	s_mov_b32 s0, -1
	s_cmp_lt_i32 s2, 2
	s_cbranch_scc1 .LBB63_2780
; %bb.2771:
	s_cmp_lt_i32 s2, 3
	s_cbranch_scc1 .LBB63_2777
; %bb.2772:
	s_cmp_gt_i32 s2, 3
	s_cbranch_scc0 .LBB63_2774
; %bb.2773:
	v_mov_b32_e32 v9, 0
	s_mov_b32 s0, 0
	s_wait_loadcnt 0x0
	global_store_b64 v[2:3], v[8:9], off
.LBB63_2774:
	s_and_not1_b32 vcc_lo, exec_lo, s0
	s_cbranch_vccnz .LBB63_2776
; %bb.2775:
	s_wait_loadcnt 0x0
	global_store_b32 v[2:3], v8, off
.LBB63_2776:
	s_mov_b32 s0, 0
.LBB63_2777:
	s_delay_alu instid0(SALU_CYCLE_1)
	s_and_not1_b32 vcc_lo, exec_lo, s0
	s_cbranch_vccnz .LBB63_2779
; %bb.2778:
	s_wait_loadcnt 0x0
	global_store_b16 v[2:3], v8, off
.LBB63_2779:
	s_mov_b32 s0, 0
.LBB63_2780:
	s_delay_alu instid0(SALU_CYCLE_1)
	s_and_not1_b32 vcc_lo, exec_lo, s0
	s_cbranch_vccnz .LBB63_2785
; %bb.2781:
	s_sext_i32_i16 s0, s1
	s_delay_alu instid0(SALU_CYCLE_1)
	s_cmp_gt_i32 s0, 0
	s_mov_b32 s0, -1
	s_cbranch_scc0 .LBB63_2783
; %bb.2782:
	s_mov_b32 s0, 0
	s_wait_loadcnt 0x0
	global_store_b8 v[2:3], v8, off
.LBB63_2783:
	s_and_not1_b32 vcc_lo, exec_lo, s0
	s_cbranch_vccnz .LBB63_2785
; %bb.2784:
	s_wait_loadcnt 0x0
	global_store_b8 v[2:3], v8, off
	s_endpgm
.LBB63_2785:
	s_endpgm
.LBB63_2786:
	s_mov_b32 s0, -1
	s_mov_b32 s6, 0
.LBB63_2787:
	s_and_b32 vcc_lo, exec_lo, s0
	s_cbranch_vccz .LBB63_2826
; %bb.2788:
	s_and_b32 s0, 0xffff, s1
	s_mov_b32 s2, -1
	s_cmp_lt_i32 s0, 5
	s_cbranch_scc1 .LBB63_2809
; %bb.2789:
	s_cmp_lt_i32 s0, 8
	s_cbranch_scc1 .LBB63_2799
; %bb.2790:
	;; [unrolled: 3-line block ×3, first 2 shown]
	s_cmp_gt_i32 s0, 9
	s_cbranch_scc0 .LBB63_2793
; %bb.2792:
	v_cvt_f64_u32_e32 v[18:19], v10
	v_mov_b32_e32 v20, 0
	s_mov_b32 s2, 0
	s_delay_alu instid0(VALU_DEP_1)
	v_mov_b32_e32 v21, v20
	global_store_b128 v[6:7], v[18:21], off
.LBB63_2793:
	s_and_not1_b32 vcc_lo, exec_lo, s2
	s_cbranch_vccnz .LBB63_2795
; %bb.2794:
	v_cvt_f32_u32_e32 v12, v10
	v_mov_b32_e32 v13, 0
	global_store_b64 v[6:7], v[12:13], off
.LBB63_2795:
	s_mov_b32 s2, 0
.LBB63_2796:
	s_delay_alu instid0(SALU_CYCLE_1)
	s_and_not1_b32 vcc_lo, exec_lo, s2
	s_cbranch_vccnz .LBB63_2798
; %bb.2797:
	s_wait_xcnt 0x0
	v_cvt_f32_u32_e32 v1, v10
	s_delay_alu instid0(VALU_DEP_1) | instskip(NEXT) | instid1(VALU_DEP_1)
	v_cvt_f16_f32_e32 v1, v1
	v_and_b32_e32 v1, 0xffff, v1
	global_store_b32 v[6:7], v1, off
.LBB63_2798:
	s_mov_b32 s2, 0
.LBB63_2799:
	s_delay_alu instid0(SALU_CYCLE_1)
	s_and_not1_b32 vcc_lo, exec_lo, s2
	s_cbranch_vccnz .LBB63_2808
; %bb.2800:
	s_cmp_lt_i32 s0, 6
	s_mov_b32 s2, -1
	s_cbranch_scc1 .LBB63_2806
; %bb.2801:
	s_cmp_gt_i32 s0, 6
	s_cbranch_scc0 .LBB63_2803
; %bb.2802:
	s_wait_xcnt 0x0
	v_cvt_f64_u32_e32 v[12:13], v10
	s_mov_b32 s2, 0
	global_store_b64 v[6:7], v[12:13], off
.LBB63_2803:
	s_and_not1_b32 vcc_lo, exec_lo, s2
	s_cbranch_vccnz .LBB63_2805
; %bb.2804:
	s_wait_xcnt 0x0
	v_cvt_f32_u32_e32 v1, v10
	global_store_b32 v[6:7], v1, off
.LBB63_2805:
	s_mov_b32 s2, 0
.LBB63_2806:
	s_delay_alu instid0(SALU_CYCLE_1)
	s_and_not1_b32 vcc_lo, exec_lo, s2
	s_cbranch_vccnz .LBB63_2808
; %bb.2807:
	s_wait_xcnt 0x0
	v_cvt_f32_u32_e32 v1, v10
	s_delay_alu instid0(VALU_DEP_1)
	v_cvt_f16_f32_e32 v1, v1
	global_store_b16 v[6:7], v1, off
.LBB63_2808:
	s_mov_b32 s2, 0
.LBB63_2809:
	s_delay_alu instid0(SALU_CYCLE_1)
	s_and_not1_b32 vcc_lo, exec_lo, s2
	s_cbranch_vccnz .LBB63_2825
; %bb.2810:
	s_cmp_lt_i32 s0, 2
	s_mov_b32 s2, -1
	s_cbranch_scc1 .LBB63_2820
; %bb.2811:
	s_cmp_lt_i32 s0, 3
	s_cbranch_scc1 .LBB63_2817
; %bb.2812:
	s_cmp_gt_i32 s0, 3
	s_cbranch_scc0 .LBB63_2814
; %bb.2813:
	s_wait_xcnt 0x0
	v_mov_b32_e32 v11, 0
	s_mov_b32 s2, 0
	global_store_b64 v[6:7], v[10:11], off
.LBB63_2814:
	s_and_not1_b32 vcc_lo, exec_lo, s2
	s_cbranch_vccnz .LBB63_2816
; %bb.2815:
	global_store_b32 v[6:7], v10, off
.LBB63_2816:
	s_mov_b32 s2, 0
.LBB63_2817:
	s_delay_alu instid0(SALU_CYCLE_1)
	s_and_not1_b32 vcc_lo, exec_lo, s2
	s_cbranch_vccnz .LBB63_2819
; %bb.2818:
	global_store_b16 v[6:7], v10, off
.LBB63_2819:
	s_mov_b32 s2, 0
.LBB63_2820:
	s_delay_alu instid0(SALU_CYCLE_1)
	s_and_not1_b32 vcc_lo, exec_lo, s2
	s_cbranch_vccnz .LBB63_2825
; %bb.2821:
	s_cmp_gt_i32 s0, 0
	s_mov_b32 s0, -1
	s_cbranch_scc0 .LBB63_2823
; %bb.2822:
	s_mov_b32 s0, 0
	global_store_b8 v[6:7], v10, off
.LBB63_2823:
	s_and_not1_b32 vcc_lo, exec_lo, s0
	s_cbranch_vccnz .LBB63_2825
; %bb.2824:
	global_store_b8 v[6:7], v10, off
.LBB63_2825:
	s_mov_b32 s6, -1
.LBB63_2826:
	s_delay_alu instid0(SALU_CYCLE_1)
	s_and_not1_b32 vcc_lo, exec_lo, s6
	s_cbranch_vccnz .LBB63_3141
; %bb.2827:
	s_wait_xcnt 0x0
	v_mov_b32_e32 v5, 0
	s_and_b32 s2, 0xffff, s1
	s_delay_alu instid0(SALU_CYCLE_1) | instskip(NEXT) | instid1(VALU_DEP_1)
	s_cmp_lt_i32 s2, 11
	v_add_nc_u64_e32 v[4:5], s[4:5], v[4:5]
	s_cbranch_scc1 .LBB63_2905
; %bb.2828:
	s_mov_b32 s7, -1
	s_mov_b32 s3, 0
	s_cmp_gt_i32 s2, 25
	s_mov_b32 s6, 0
	s_mov_b32 s0, 0
	s_cbranch_scc0 .LBB63_2861
; %bb.2829:
	s_cmp_gt_i32 s2, 28
	s_cbranch_scc0 .LBB63_2844
; %bb.2830:
	s_cmp_gt_i32 s2, 43
	;; [unrolled: 3-line block ×3, first 2 shown]
	s_cbranch_scc0 .LBB63_2834
; %bb.2832:
	s_mov_b32 s0, -1
	s_mov_b32 s7, 0
	s_cmp_eq_u32 s2, 46
	s_cbranch_scc0 .LBB63_2834
; %bb.2833:
	v_cvt_f32_u32_e32 v1, v14
	s_mov_b32 s0, 0
	s_mov_b32 s6, -1
	s_delay_alu instid0(VALU_DEP_1) | instskip(NEXT) | instid1(VALU_DEP_1)
	v_bfe_u32 v3, v1, 16, 1
	v_add3_u32 v1, v1, v3, 0x7fff
	s_delay_alu instid0(VALU_DEP_1)
	v_lshrrev_b32_e32 v1, 16, v1
	global_store_b32 v[4:5], v1, off
.LBB63_2834:
	s_and_b32 vcc_lo, exec_lo, s7
	s_cbranch_vccz .LBB63_2839
; %bb.2835:
	s_cmp_eq_u32 s2, 44
	s_mov_b32 s0, -1
	s_cbranch_scc0 .LBB63_2839
; %bb.2836:
	v_cvt_f32_u32_e32 v6, v14
	v_mov_b32_e32 v3, 0xff
	s_mov_b32 s6, exec_lo
	s_wait_xcnt 0x0
	s_delay_alu instid0(VALU_DEP_2) | instskip(NEXT) | instid1(VALU_DEP_1)
	v_lshrrev_b32_e32 v1, 23, v6
	v_cmpx_ne_u32_e32 0xff, v1
; %bb.2837:
	v_and_b32_e32 v3, 0x400000, v6
	v_and_or_b32 v6, 0x3fffff, v6, v1
	s_delay_alu instid0(VALU_DEP_2) | instskip(NEXT) | instid1(VALU_DEP_2)
	v_cmp_ne_u32_e32 vcc_lo, 0, v3
	v_cmp_ne_u32_e64 s0, 0, v6
	s_and_b32 s0, vcc_lo, s0
	s_delay_alu instid0(SALU_CYCLE_1) | instskip(NEXT) | instid1(VALU_DEP_1)
	v_cndmask_b32_e64 v3, 0, 1, s0
	v_add_nc_u32_e32 v3, v1, v3
; %bb.2838:
	s_or_b32 exec_lo, exec_lo, s6
	s_mov_b32 s0, 0
	s_mov_b32 s6, -1
	global_store_b8 v[4:5], v3, off
.LBB63_2839:
	s_mov_b32 s7, 0
.LBB63_2840:
	s_delay_alu instid0(SALU_CYCLE_1)
	s_and_b32 vcc_lo, exec_lo, s7
	s_cbranch_vccz .LBB63_2843
; %bb.2841:
	s_cmp_eq_u32 s2, 29
	s_mov_b32 s0, -1
	s_cbranch_scc0 .LBB63_2843
; %bb.2842:
	v_mov_b32_e32 v15, 0
	s_mov_b32 s0, 0
	s_mov_b32 s6, -1
	global_store_b64 v[4:5], v[14:15], off
.LBB63_2843:
	s_mov_b32 s7, 0
.LBB63_2844:
	s_delay_alu instid0(SALU_CYCLE_1)
	s_and_b32 vcc_lo, exec_lo, s7
	s_cbranch_vccz .LBB63_2860
; %bb.2845:
	s_cmp_lt_i32 s2, 27
	s_mov_b32 s6, -1
	s_cbranch_scc1 .LBB63_2851
; %bb.2846:
	s_cmp_gt_i32 s2, 27
	s_cbranch_scc0 .LBB63_2848
; %bb.2847:
	s_mov_b32 s6, 0
	global_store_b32 v[4:5], v14, off
.LBB63_2848:
	s_and_not1_b32 vcc_lo, exec_lo, s6
	s_cbranch_vccnz .LBB63_2850
; %bb.2849:
	global_store_b16 v[4:5], v14, off
.LBB63_2850:
	s_mov_b32 s6, 0
.LBB63_2851:
	s_delay_alu instid0(SALU_CYCLE_1)
	s_and_not1_b32 vcc_lo, exec_lo, s6
	s_cbranch_vccnz .LBB63_2859
; %bb.2852:
	s_wait_xcnt 0x0
	v_cvt_f32_u32_e32 v3, v14
	v_mov_b32_e32 v6, 0x80
	s_mov_b32 s6, exec_lo
	s_delay_alu instid0(VALU_DEP_2)
	v_cmpx_gt_u32_e32 0x43800000, v3
	s_cbranch_execz .LBB63_2858
; %bb.2853:
	s_mov_b32 s7, 0
	s_mov_b32 s11, exec_lo
                                        ; implicit-def: $vgpr1
	v_cmpx_lt_u32_e32 0x3bffffff, v3
	s_xor_b32 s11, exec_lo, s11
	s_cbranch_execz .LBB63_3149
; %bb.2854:
	v_bfe_u32 v1, v3, 20, 1
	s_mov_b32 s7, exec_lo
	s_delay_alu instid0(VALU_DEP_1) | instskip(NEXT) | instid1(VALU_DEP_1)
	v_add3_u32 v1, v3, v1, 0x487ffff
                                        ; implicit-def: $vgpr3
	v_lshrrev_b32_e32 v1, 20, v1
	s_and_not1_saveexec_b32 s11, s11
	s_cbranch_execnz .LBB63_3150
.LBB63_2855:
	s_or_b32 exec_lo, exec_lo, s11
	v_mov_b32_e32 v6, 0
	s_and_saveexec_b32 s11, s7
.LBB63_2856:
	v_mov_b32_e32 v6, v1
.LBB63_2857:
	s_or_b32 exec_lo, exec_lo, s11
.LBB63_2858:
	s_delay_alu instid0(SALU_CYCLE_1)
	s_or_b32 exec_lo, exec_lo, s6
	global_store_b8 v[4:5], v6, off
.LBB63_2859:
	s_mov_b32 s6, -1
.LBB63_2860:
	s_mov_b32 s7, 0
.LBB63_2861:
	s_delay_alu instid0(SALU_CYCLE_1)
	s_and_b32 vcc_lo, exec_lo, s7
	s_cbranch_vccz .LBB63_2901
; %bb.2862:
	s_cmp_gt_i32 s2, 22
	s_mov_b32 s3, -1
	s_cbranch_scc0 .LBB63_2894
; %bb.2863:
	s_cmp_lt_i32 s2, 24
	s_cbranch_scc1 .LBB63_2883
; %bb.2864:
	s_cmp_gt_i32 s2, 24
	s_cbranch_scc0 .LBB63_2872
; %bb.2865:
	s_wait_xcnt 0x0
	v_cvt_f32_u32_e32 v3, v14
	v_mov_b32_e32 v6, 0x80
	s_mov_b32 s3, exec_lo
	s_delay_alu instid0(VALU_DEP_2)
	v_cmpx_gt_u32_e32 0x47800000, v3
	s_cbranch_execz .LBB63_2871
; %bb.2866:
	s_mov_b32 s6, 0
	s_mov_b32 s7, exec_lo
                                        ; implicit-def: $vgpr1
	v_cmpx_lt_u32_e32 0x37ffffff, v3
	s_xor_b32 s7, exec_lo, s7
	s_cbranch_execz .LBB63_3152
; %bb.2867:
	v_bfe_u32 v1, v3, 21, 1
	s_mov_b32 s6, exec_lo
	s_delay_alu instid0(VALU_DEP_1) | instskip(NEXT) | instid1(VALU_DEP_1)
	v_add3_u32 v1, v3, v1, 0x88fffff
                                        ; implicit-def: $vgpr3
	v_lshrrev_b32_e32 v1, 21, v1
	s_and_not1_saveexec_b32 s7, s7
	s_cbranch_execnz .LBB63_3153
.LBB63_2868:
	s_or_b32 exec_lo, exec_lo, s7
	v_mov_b32_e32 v6, 0
	s_and_saveexec_b32 s7, s6
.LBB63_2869:
	v_mov_b32_e32 v6, v1
.LBB63_2870:
	s_or_b32 exec_lo, exec_lo, s7
.LBB63_2871:
	s_delay_alu instid0(SALU_CYCLE_1)
	s_or_b32 exec_lo, exec_lo, s3
	s_mov_b32 s3, 0
	global_store_b8 v[4:5], v6, off
.LBB63_2872:
	s_and_b32 vcc_lo, exec_lo, s3
	s_cbranch_vccz .LBB63_2882
; %bb.2873:
	s_wait_xcnt 0x0
	v_cvt_f32_u32_e32 v3, v14
	s_mov_b32 s3, exec_lo
                                        ; implicit-def: $vgpr1
	s_delay_alu instid0(VALU_DEP_1)
	v_cmpx_gt_u32_e32 0x43f00000, v3
	s_xor_b32 s3, exec_lo, s3
	s_cbranch_execz .LBB63_2879
; %bb.2874:
	s_mov_b32 s6, exec_lo
                                        ; implicit-def: $vgpr1
	v_cmpx_lt_u32_e32 0x3c7fffff, v3
	s_xor_b32 s6, exec_lo, s6
; %bb.2875:
	v_bfe_u32 v1, v3, 20, 1
	s_delay_alu instid0(VALU_DEP_1) | instskip(NEXT) | instid1(VALU_DEP_1)
	v_add3_u32 v1, v3, v1, 0x407ffff
	v_and_b32_e32 v3, 0xff00000, v1
	v_lshrrev_b32_e32 v1, 20, v1
	s_delay_alu instid0(VALU_DEP_2) | instskip(NEXT) | instid1(VALU_DEP_2)
	v_cmp_ne_u32_e32 vcc_lo, 0x7f00000, v3
                                        ; implicit-def: $vgpr3
	v_cndmask_b32_e32 v1, 0x7e, v1, vcc_lo
; %bb.2876:
	s_and_not1_saveexec_b32 s6, s6
; %bb.2877:
	v_add_f32_e32 v1, 0x46800000, v3
; %bb.2878:
	s_or_b32 exec_lo, exec_lo, s6
                                        ; implicit-def: $vgpr3
.LBB63_2879:
	s_and_not1_saveexec_b32 s3, s3
; %bb.2880:
	v_mov_b32_e32 v1, 0x7f
	v_cmp_lt_u32_e32 vcc_lo, 0x7f800000, v3
	s_delay_alu instid0(VALU_DEP_2)
	v_cndmask_b32_e32 v1, 0x7e, v1, vcc_lo
; %bb.2881:
	s_or_b32 exec_lo, exec_lo, s3
	global_store_b8 v[4:5], v1, off
.LBB63_2882:
	s_mov_b32 s3, 0
.LBB63_2883:
	s_delay_alu instid0(SALU_CYCLE_1)
	s_and_not1_b32 vcc_lo, exec_lo, s3
	s_cbranch_vccnz .LBB63_2893
; %bb.2884:
	s_wait_xcnt 0x0
	v_cvt_f32_u32_e32 v3, v14
	s_mov_b32 s3, exec_lo
                                        ; implicit-def: $vgpr1
	s_delay_alu instid0(VALU_DEP_1)
	v_cmpx_gt_u32_e32 0x47800000, v3
	s_xor_b32 s3, exec_lo, s3
	s_cbranch_execz .LBB63_2890
; %bb.2885:
	s_mov_b32 s6, exec_lo
                                        ; implicit-def: $vgpr1
	v_cmpx_lt_u32_e32 0x387fffff, v3
	s_xor_b32 s6, exec_lo, s6
; %bb.2886:
	v_bfe_u32 v1, v3, 21, 1
	s_delay_alu instid0(VALU_DEP_1) | instskip(NEXT) | instid1(VALU_DEP_1)
	v_add3_u32 v1, v3, v1, 0x80fffff
                                        ; implicit-def: $vgpr3
	v_lshrrev_b32_e32 v1, 21, v1
; %bb.2887:
	s_and_not1_saveexec_b32 s6, s6
; %bb.2888:
	v_add_f32_e32 v1, 0x43000000, v3
; %bb.2889:
	s_or_b32 exec_lo, exec_lo, s6
                                        ; implicit-def: $vgpr3
.LBB63_2890:
	s_and_not1_saveexec_b32 s3, s3
; %bb.2891:
	v_mov_b32_e32 v1, 0x7f
	v_cmp_lt_u32_e32 vcc_lo, 0x7f800000, v3
	s_delay_alu instid0(VALU_DEP_2)
	v_cndmask_b32_e32 v1, 0x7c, v1, vcc_lo
; %bb.2892:
	s_or_b32 exec_lo, exec_lo, s3
	global_store_b8 v[4:5], v1, off
.LBB63_2893:
	s_mov_b32 s3, 0
	s_mov_b32 s6, -1
.LBB63_2894:
	s_and_not1_b32 vcc_lo, exec_lo, s3
	s_mov_b32 s3, 0
	s_cbranch_vccnz .LBB63_2901
; %bb.2895:
	s_cmp_gt_i32 s2, 14
	s_mov_b32 s3, -1
	s_cbranch_scc0 .LBB63_2899
; %bb.2896:
	s_cmp_eq_u32 s2, 15
	s_mov_b32 s0, -1
	s_cbranch_scc0 .LBB63_2898
; %bb.2897:
	s_wait_xcnt 0x0
	v_cvt_f32_u32_e32 v1, v14
	s_mov_b32 s0, 0
	s_mov_b32 s6, -1
	s_delay_alu instid0(VALU_DEP_1) | instskip(NEXT) | instid1(VALU_DEP_1)
	v_bfe_u32 v3, v1, 16, 1
	v_add3_u32 v1, v1, v3, 0x7fff
	global_store_d16_hi_b16 v[4:5], v1, off
.LBB63_2898:
	s_mov_b32 s3, 0
.LBB63_2899:
	s_delay_alu instid0(SALU_CYCLE_1)
	s_and_b32 vcc_lo, exec_lo, s3
	s_mov_b32 s3, 0
	s_cbranch_vccz .LBB63_2901
; %bb.2900:
	s_cmp_lg_u32 s2, 11
	s_mov_b32 s3, -1
	s_cselect_b32 s0, -1, 0
.LBB63_2901:
	s_delay_alu instid0(SALU_CYCLE_1)
	s_and_b32 vcc_lo, exec_lo, s0
	s_cbranch_vccnz .LBB63_3151
; %bb.2902:
	s_and_not1_b32 vcc_lo, exec_lo, s3
	s_cbranch_vccnz .LBB63_2904
.LBB63_2903:
	v_cmp_ne_u32_e32 vcc_lo, 0, v14
	s_mov_b32 s6, -1
	s_wait_xcnt 0x0
	v_cndmask_b32_e64 v1, 0, 1, vcc_lo
	global_store_b8 v[4:5], v1, off
.LBB63_2904:
	s_mov_b32 s0, 0
	s_branch .LBB63_2906
.LBB63_2905:
	s_mov_b32 s0, -1
	s_mov_b32 s6, 0
.LBB63_2906:
	s_and_b32 vcc_lo, exec_lo, s0
	s_cbranch_vccz .LBB63_2945
; %bb.2907:
	s_cmp_lt_i32 s2, 5
	s_mov_b32 s0, -1
	s_cbranch_scc1 .LBB63_2928
; %bb.2908:
	s_cmp_lt_i32 s2, 8
	s_cbranch_scc1 .LBB63_2918
; %bb.2909:
	s_cmp_lt_i32 s2, 9
	s_cbranch_scc1 .LBB63_2915
; %bb.2910:
	s_cmp_gt_i32 s2, 9
	s_cbranch_scc0 .LBB63_2912
; %bb.2911:
	v_cvt_f64_u32_e32 v[10:11], v14
	v_mov_b32_e32 v12, 0
	s_mov_b32 s0, 0
	s_delay_alu instid0(VALU_DEP_1)
	v_mov_b32_e32 v13, v12
	global_store_b128 v[4:5], v[10:13], off
.LBB63_2912:
	s_and_not1_b32 vcc_lo, exec_lo, s0
	s_cbranch_vccnz .LBB63_2914
; %bb.2913:
	s_wait_xcnt 0x0
	v_cvt_f32_u32_e32 v6, v14
	v_mov_b32_e32 v7, 0
	global_store_b64 v[4:5], v[6:7], off
.LBB63_2914:
	s_mov_b32 s0, 0
.LBB63_2915:
	s_delay_alu instid0(SALU_CYCLE_1)
	s_and_not1_b32 vcc_lo, exec_lo, s0
	s_cbranch_vccnz .LBB63_2917
; %bb.2916:
	s_wait_xcnt 0x0
	v_cvt_f32_u32_e32 v1, v14
	s_delay_alu instid0(VALU_DEP_1) | instskip(NEXT) | instid1(VALU_DEP_1)
	v_cvt_f16_f32_e32 v1, v1
	v_and_b32_e32 v1, 0xffff, v1
	global_store_b32 v[4:5], v1, off
.LBB63_2917:
	s_mov_b32 s0, 0
.LBB63_2918:
	s_delay_alu instid0(SALU_CYCLE_1)
	s_and_not1_b32 vcc_lo, exec_lo, s0
	s_cbranch_vccnz .LBB63_2927
; %bb.2919:
	s_cmp_lt_i32 s2, 6
	s_mov_b32 s0, -1
	s_cbranch_scc1 .LBB63_2925
; %bb.2920:
	s_cmp_gt_i32 s2, 6
	s_cbranch_scc0 .LBB63_2922
; %bb.2921:
	s_wait_xcnt 0x0
	v_cvt_f64_u32_e32 v[6:7], v14
	s_mov_b32 s0, 0
	global_store_b64 v[4:5], v[6:7], off
.LBB63_2922:
	s_and_not1_b32 vcc_lo, exec_lo, s0
	s_cbranch_vccnz .LBB63_2924
; %bb.2923:
	s_wait_xcnt 0x0
	v_cvt_f32_u32_e32 v1, v14
	global_store_b32 v[4:5], v1, off
.LBB63_2924:
	s_mov_b32 s0, 0
.LBB63_2925:
	s_delay_alu instid0(SALU_CYCLE_1)
	s_and_not1_b32 vcc_lo, exec_lo, s0
	s_cbranch_vccnz .LBB63_2927
; %bb.2926:
	s_wait_xcnt 0x0
	v_cvt_f32_u32_e32 v1, v14
	s_delay_alu instid0(VALU_DEP_1)
	v_cvt_f16_f32_e32 v1, v1
	global_store_b16 v[4:5], v1, off
.LBB63_2927:
	s_mov_b32 s0, 0
.LBB63_2928:
	s_delay_alu instid0(SALU_CYCLE_1)
	s_and_not1_b32 vcc_lo, exec_lo, s0
	s_cbranch_vccnz .LBB63_2944
; %bb.2929:
	s_cmp_lt_i32 s2, 2
	s_mov_b32 s0, -1
	s_cbranch_scc1 .LBB63_2939
; %bb.2930:
	s_cmp_lt_i32 s2, 3
	s_cbranch_scc1 .LBB63_2936
; %bb.2931:
	s_cmp_gt_i32 s2, 3
	s_cbranch_scc0 .LBB63_2933
; %bb.2932:
	s_wait_xcnt 0x0
	v_mov_b32_e32 v15, 0
	s_mov_b32 s0, 0
	global_store_b64 v[4:5], v[14:15], off
.LBB63_2933:
	s_and_not1_b32 vcc_lo, exec_lo, s0
	s_cbranch_vccnz .LBB63_2935
; %bb.2934:
	global_store_b32 v[4:5], v14, off
.LBB63_2935:
	s_mov_b32 s0, 0
.LBB63_2936:
	s_delay_alu instid0(SALU_CYCLE_1)
	s_and_not1_b32 vcc_lo, exec_lo, s0
	s_cbranch_vccnz .LBB63_2938
; %bb.2937:
	global_store_b16 v[4:5], v14, off
.LBB63_2938:
	s_mov_b32 s0, 0
.LBB63_2939:
	s_delay_alu instid0(SALU_CYCLE_1)
	s_and_not1_b32 vcc_lo, exec_lo, s0
	s_cbranch_vccnz .LBB63_2944
; %bb.2940:
	s_cmp_gt_i32 s2, 0
	s_mov_b32 s0, -1
	s_cbranch_scc0 .LBB63_2942
; %bb.2941:
	s_mov_b32 s0, 0
	global_store_b8 v[4:5], v14, off
.LBB63_2942:
	s_and_not1_b32 vcc_lo, exec_lo, s0
	s_cbranch_vccnz .LBB63_2944
; %bb.2943:
	global_store_b8 v[4:5], v14, off
.LBB63_2944:
	s_mov_b32 s6, -1
.LBB63_2945:
	s_delay_alu instid0(SALU_CYCLE_1)
	s_and_not1_b32 vcc_lo, exec_lo, s6
	s_cbranch_vccnz .LBB63_3141
; %bb.2946:
	s_wait_xcnt 0x0
	v_mov_b32_e32 v3, 0
	s_cmp_lt_i32 s2, 11
	s_delay_alu instid0(VALU_DEP_1)
	v_add_nc_u64_e32 v[2:3], s[4:5], v[2:3]
	s_cbranch_scc1 .LBB63_3024
; %bb.2947:
	s_mov_b32 s7, -1
	s_mov_b32 s3, 0
	s_cmp_gt_i32 s2, 25
	s_mov_b32 s6, 0
	s_mov_b32 s0, 0
	s_cbranch_scc0 .LBB63_2980
; %bb.2948:
	s_cmp_gt_i32 s2, 28
	s_cbranch_scc0 .LBB63_2963
; %bb.2949:
	s_cmp_gt_i32 s2, 43
	;; [unrolled: 3-line block ×3, first 2 shown]
	s_cbranch_scc0 .LBB63_2953
; %bb.2951:
	s_mov_b32 s0, -1
	s_mov_b32 s7, 0
	s_cmp_eq_u32 s2, 46
	s_cbranch_scc0 .LBB63_2953
; %bb.2952:
	v_cvt_f32_u32_e32 v1, v16
	s_mov_b32 s0, 0
	s_mov_b32 s6, -1
	s_delay_alu instid0(VALU_DEP_1) | instskip(NEXT) | instid1(VALU_DEP_1)
	v_bfe_u32 v4, v1, 16, 1
	v_add3_u32 v1, v1, v4, 0x7fff
	s_delay_alu instid0(VALU_DEP_1)
	v_lshrrev_b32_e32 v1, 16, v1
	global_store_b32 v[2:3], v1, off
.LBB63_2953:
	s_and_b32 vcc_lo, exec_lo, s7
	s_cbranch_vccz .LBB63_2958
; %bb.2954:
	s_cmp_eq_u32 s2, 44
	s_mov_b32 s0, -1
	s_cbranch_scc0 .LBB63_2958
; %bb.2955:
	v_cvt_f32_u32_e32 v5, v16
	s_mov_b32 s6, exec_lo
	s_wait_xcnt 0x0
	s_delay_alu instid0(VALU_DEP_1) | instskip(NEXT) | instid1(VALU_DEP_1)
	v_dual_mov_b32 v4, 0xff :: v_dual_lshrrev_b32 v1, 23, v5
	v_cmpx_ne_u32_e32 0xff, v1
; %bb.2956:
	v_and_b32_e32 v4, 0x400000, v5
	v_and_or_b32 v5, 0x3fffff, v5, v1
	s_delay_alu instid0(VALU_DEP_2) | instskip(NEXT) | instid1(VALU_DEP_2)
	v_cmp_ne_u32_e32 vcc_lo, 0, v4
	v_cmp_ne_u32_e64 s0, 0, v5
	s_and_b32 s0, vcc_lo, s0
	s_delay_alu instid0(SALU_CYCLE_1) | instskip(NEXT) | instid1(VALU_DEP_1)
	v_cndmask_b32_e64 v4, 0, 1, s0
	v_add_nc_u32_e32 v4, v1, v4
; %bb.2957:
	s_or_b32 exec_lo, exec_lo, s6
	s_mov_b32 s0, 0
	s_mov_b32 s6, -1
	global_store_b8 v[2:3], v4, off
.LBB63_2958:
	s_mov_b32 s7, 0
.LBB63_2959:
	s_delay_alu instid0(SALU_CYCLE_1)
	s_and_b32 vcc_lo, exec_lo, s7
	s_cbranch_vccz .LBB63_2962
; %bb.2960:
	s_cmp_eq_u32 s2, 29
	s_mov_b32 s0, -1
	s_cbranch_scc0 .LBB63_2962
; %bb.2961:
	v_mov_b32_e32 v17, 0
	s_mov_b32 s0, 0
	s_mov_b32 s6, -1
	global_store_b64 v[2:3], v[16:17], off
.LBB63_2962:
	s_mov_b32 s7, 0
.LBB63_2963:
	s_delay_alu instid0(SALU_CYCLE_1)
	s_and_b32 vcc_lo, exec_lo, s7
	s_cbranch_vccz .LBB63_2979
; %bb.2964:
	s_cmp_lt_i32 s2, 27
	s_mov_b32 s6, -1
	s_cbranch_scc1 .LBB63_2970
; %bb.2965:
	s_cmp_gt_i32 s2, 27
	s_cbranch_scc0 .LBB63_2967
; %bb.2966:
	s_mov_b32 s6, 0
	global_store_b32 v[2:3], v16, off
.LBB63_2967:
	s_and_not1_b32 vcc_lo, exec_lo, s6
	s_cbranch_vccnz .LBB63_2969
; %bb.2968:
	global_store_b16 v[2:3], v16, off
.LBB63_2969:
	s_mov_b32 s6, 0
.LBB63_2970:
	s_delay_alu instid0(SALU_CYCLE_1)
	s_and_not1_b32 vcc_lo, exec_lo, s6
	s_cbranch_vccnz .LBB63_2978
; %bb.2971:
	s_wait_xcnt 0x0
	v_cvt_f32_u32_e32 v4, v16
	v_mov_b32_e32 v5, 0x80
	s_mov_b32 s6, exec_lo
	s_delay_alu instid0(VALU_DEP_2)
	v_cmpx_gt_u32_e32 0x43800000, v4
	s_cbranch_execz .LBB63_2977
; %bb.2972:
	s_mov_b32 s7, 0
	s_mov_b32 s11, exec_lo
                                        ; implicit-def: $vgpr1
	v_cmpx_lt_u32_e32 0x3bffffff, v4
	s_xor_b32 s11, exec_lo, s11
	s_cbranch_execz .LBB63_3154
; %bb.2973:
	v_bfe_u32 v1, v4, 20, 1
	s_mov_b32 s7, exec_lo
	s_delay_alu instid0(VALU_DEP_1) | instskip(NEXT) | instid1(VALU_DEP_1)
	v_add3_u32 v1, v4, v1, 0x487ffff
                                        ; implicit-def: $vgpr4
	v_lshrrev_b32_e32 v1, 20, v1
	s_and_not1_saveexec_b32 s11, s11
	s_cbranch_execnz .LBB63_3155
.LBB63_2974:
	s_or_b32 exec_lo, exec_lo, s11
	v_mov_b32_e32 v5, 0
	s_and_saveexec_b32 s11, s7
.LBB63_2975:
	v_mov_b32_e32 v5, v1
.LBB63_2976:
	s_or_b32 exec_lo, exec_lo, s11
.LBB63_2977:
	s_delay_alu instid0(SALU_CYCLE_1)
	s_or_b32 exec_lo, exec_lo, s6
	global_store_b8 v[2:3], v5, off
.LBB63_2978:
	s_mov_b32 s6, -1
.LBB63_2979:
	s_mov_b32 s7, 0
.LBB63_2980:
	s_delay_alu instid0(SALU_CYCLE_1)
	s_and_b32 vcc_lo, exec_lo, s7
	s_cbranch_vccz .LBB63_3020
; %bb.2981:
	s_cmp_gt_i32 s2, 22
	s_mov_b32 s3, -1
	s_cbranch_scc0 .LBB63_3013
; %bb.2982:
	s_cmp_lt_i32 s2, 24
	s_cbranch_scc1 .LBB63_3002
; %bb.2983:
	s_cmp_gt_i32 s2, 24
	s_cbranch_scc0 .LBB63_2991
; %bb.2984:
	s_wait_xcnt 0x0
	v_cvt_f32_u32_e32 v4, v16
	v_mov_b32_e32 v5, 0x80
	s_mov_b32 s3, exec_lo
	s_delay_alu instid0(VALU_DEP_2)
	v_cmpx_gt_u32_e32 0x47800000, v4
	s_cbranch_execz .LBB63_2990
; %bb.2985:
	s_mov_b32 s6, 0
	s_mov_b32 s7, exec_lo
                                        ; implicit-def: $vgpr1
	v_cmpx_lt_u32_e32 0x37ffffff, v4
	s_xor_b32 s7, exec_lo, s7
	s_cbranch_execz .LBB63_3157
; %bb.2986:
	v_bfe_u32 v1, v4, 21, 1
	s_mov_b32 s6, exec_lo
	s_delay_alu instid0(VALU_DEP_1) | instskip(NEXT) | instid1(VALU_DEP_1)
	v_add3_u32 v1, v4, v1, 0x88fffff
                                        ; implicit-def: $vgpr4
	v_lshrrev_b32_e32 v1, 21, v1
	s_and_not1_saveexec_b32 s7, s7
	s_cbranch_execnz .LBB63_3158
.LBB63_2987:
	s_or_b32 exec_lo, exec_lo, s7
	v_mov_b32_e32 v5, 0
	s_and_saveexec_b32 s7, s6
.LBB63_2988:
	v_mov_b32_e32 v5, v1
.LBB63_2989:
	s_or_b32 exec_lo, exec_lo, s7
.LBB63_2990:
	s_delay_alu instid0(SALU_CYCLE_1)
	s_or_b32 exec_lo, exec_lo, s3
	s_mov_b32 s3, 0
	global_store_b8 v[2:3], v5, off
.LBB63_2991:
	s_and_b32 vcc_lo, exec_lo, s3
	s_cbranch_vccz .LBB63_3001
; %bb.2992:
	s_wait_xcnt 0x0
	v_cvt_f32_u32_e32 v4, v16
	s_mov_b32 s3, exec_lo
                                        ; implicit-def: $vgpr1
	s_delay_alu instid0(VALU_DEP_1)
	v_cmpx_gt_u32_e32 0x43f00000, v4
	s_xor_b32 s3, exec_lo, s3
	s_cbranch_execz .LBB63_2998
; %bb.2993:
	s_mov_b32 s6, exec_lo
                                        ; implicit-def: $vgpr1
	v_cmpx_lt_u32_e32 0x3c7fffff, v4
	s_xor_b32 s6, exec_lo, s6
; %bb.2994:
	v_bfe_u32 v1, v4, 20, 1
	s_delay_alu instid0(VALU_DEP_1) | instskip(NEXT) | instid1(VALU_DEP_1)
	v_add3_u32 v1, v4, v1, 0x407ffff
	v_and_b32_e32 v4, 0xff00000, v1
	v_lshrrev_b32_e32 v1, 20, v1
	s_delay_alu instid0(VALU_DEP_2) | instskip(NEXT) | instid1(VALU_DEP_2)
	v_cmp_ne_u32_e32 vcc_lo, 0x7f00000, v4
                                        ; implicit-def: $vgpr4
	v_cndmask_b32_e32 v1, 0x7e, v1, vcc_lo
; %bb.2995:
	s_and_not1_saveexec_b32 s6, s6
; %bb.2996:
	v_add_f32_e32 v1, 0x46800000, v4
; %bb.2997:
	s_or_b32 exec_lo, exec_lo, s6
                                        ; implicit-def: $vgpr4
.LBB63_2998:
	s_and_not1_saveexec_b32 s3, s3
; %bb.2999:
	v_mov_b32_e32 v1, 0x7f
	v_cmp_lt_u32_e32 vcc_lo, 0x7f800000, v4
	s_delay_alu instid0(VALU_DEP_2)
	v_cndmask_b32_e32 v1, 0x7e, v1, vcc_lo
; %bb.3000:
	s_or_b32 exec_lo, exec_lo, s3
	global_store_b8 v[2:3], v1, off
.LBB63_3001:
	s_mov_b32 s3, 0
.LBB63_3002:
	s_delay_alu instid0(SALU_CYCLE_1)
	s_and_not1_b32 vcc_lo, exec_lo, s3
	s_cbranch_vccnz .LBB63_3012
; %bb.3003:
	s_wait_xcnt 0x0
	v_cvt_f32_u32_e32 v4, v16
	s_mov_b32 s3, exec_lo
                                        ; implicit-def: $vgpr1
	s_delay_alu instid0(VALU_DEP_1)
	v_cmpx_gt_u32_e32 0x47800000, v4
	s_xor_b32 s3, exec_lo, s3
	s_cbranch_execz .LBB63_3009
; %bb.3004:
	s_mov_b32 s6, exec_lo
                                        ; implicit-def: $vgpr1
	v_cmpx_lt_u32_e32 0x387fffff, v4
	s_xor_b32 s6, exec_lo, s6
; %bb.3005:
	v_bfe_u32 v1, v4, 21, 1
	s_delay_alu instid0(VALU_DEP_1) | instskip(NEXT) | instid1(VALU_DEP_1)
	v_add3_u32 v1, v4, v1, 0x80fffff
                                        ; implicit-def: $vgpr4
	v_lshrrev_b32_e32 v1, 21, v1
; %bb.3006:
	s_and_not1_saveexec_b32 s6, s6
; %bb.3007:
	v_add_f32_e32 v1, 0x43000000, v4
; %bb.3008:
	s_or_b32 exec_lo, exec_lo, s6
                                        ; implicit-def: $vgpr4
.LBB63_3009:
	s_and_not1_saveexec_b32 s3, s3
; %bb.3010:
	v_mov_b32_e32 v1, 0x7f
	v_cmp_lt_u32_e32 vcc_lo, 0x7f800000, v4
	s_delay_alu instid0(VALU_DEP_2)
	v_cndmask_b32_e32 v1, 0x7c, v1, vcc_lo
; %bb.3011:
	s_or_b32 exec_lo, exec_lo, s3
	global_store_b8 v[2:3], v1, off
.LBB63_3012:
	s_mov_b32 s3, 0
	s_mov_b32 s6, -1
.LBB63_3013:
	s_and_not1_b32 vcc_lo, exec_lo, s3
	s_mov_b32 s3, 0
	s_cbranch_vccnz .LBB63_3020
; %bb.3014:
	s_cmp_gt_i32 s2, 14
	s_mov_b32 s3, -1
	s_cbranch_scc0 .LBB63_3018
; %bb.3015:
	s_cmp_eq_u32 s2, 15
	s_mov_b32 s0, -1
	s_cbranch_scc0 .LBB63_3017
; %bb.3016:
	s_wait_xcnt 0x0
	v_cvt_f32_u32_e32 v1, v16
	s_mov_b32 s0, 0
	s_mov_b32 s6, -1
	s_delay_alu instid0(VALU_DEP_1) | instskip(NEXT) | instid1(VALU_DEP_1)
	v_bfe_u32 v4, v1, 16, 1
	v_add3_u32 v1, v1, v4, 0x7fff
	global_store_d16_hi_b16 v[2:3], v1, off
.LBB63_3017:
	s_mov_b32 s3, 0
.LBB63_3018:
	s_delay_alu instid0(SALU_CYCLE_1)
	s_and_b32 vcc_lo, exec_lo, s3
	s_mov_b32 s3, 0
	s_cbranch_vccz .LBB63_3020
; %bb.3019:
	s_cmp_lg_u32 s2, 11
	s_mov_b32 s3, -1
	s_cselect_b32 s0, -1, 0
.LBB63_3020:
	s_delay_alu instid0(SALU_CYCLE_1)
	s_and_b32 vcc_lo, exec_lo, s0
	s_cbranch_vccnz .LBB63_3156
; %bb.3021:
	s_and_not1_b32 vcc_lo, exec_lo, s3
	s_cbranch_vccnz .LBB63_3023
.LBB63_3022:
	v_cmp_ne_u32_e32 vcc_lo, 0, v16
	s_mov_b32 s6, -1
	s_wait_xcnt 0x0
	v_cndmask_b32_e64 v1, 0, 1, vcc_lo
	global_store_b8 v[2:3], v1, off
.LBB63_3023:
	s_mov_b32 s0, 0
	s_branch .LBB63_3025
.LBB63_3024:
	s_mov_b32 s0, -1
	s_mov_b32 s6, 0
.LBB63_3025:
	s_and_b32 vcc_lo, exec_lo, s0
	s_cbranch_vccz .LBB63_3064
; %bb.3026:
	s_cmp_lt_i32 s2, 5
	s_mov_b32 s0, -1
	s_cbranch_scc1 .LBB63_3047
; %bb.3027:
	s_cmp_lt_i32 s2, 8
	s_cbranch_scc1 .LBB63_3037
; %bb.3028:
	s_cmp_lt_i32 s2, 9
	s_cbranch_scc1 .LBB63_3034
; %bb.3029:
	s_cmp_gt_i32 s2, 9
	s_cbranch_scc0 .LBB63_3031
; %bb.3030:
	s_wait_xcnt 0x0
	v_cvt_f64_u32_e32 v[4:5], v16
	v_mov_b32_e32 v6, 0
	s_mov_b32 s0, 0
	s_delay_alu instid0(VALU_DEP_1)
	v_mov_b32_e32 v7, v6
	global_store_b128 v[2:3], v[4:7], off
.LBB63_3031:
	s_and_not1_b32 vcc_lo, exec_lo, s0
	s_cbranch_vccnz .LBB63_3033
; %bb.3032:
	s_wait_xcnt 0x0
	v_cvt_f32_u32_e32 v4, v16
	v_mov_b32_e32 v5, 0
	global_store_b64 v[2:3], v[4:5], off
.LBB63_3033:
	s_mov_b32 s0, 0
.LBB63_3034:
	s_delay_alu instid0(SALU_CYCLE_1)
	s_and_not1_b32 vcc_lo, exec_lo, s0
	s_cbranch_vccnz .LBB63_3036
; %bb.3035:
	s_wait_xcnt 0x0
	v_cvt_f32_u32_e32 v1, v16
	s_delay_alu instid0(VALU_DEP_1) | instskip(NEXT) | instid1(VALU_DEP_1)
	v_cvt_f16_f32_e32 v1, v1
	v_and_b32_e32 v1, 0xffff, v1
	global_store_b32 v[2:3], v1, off
.LBB63_3036:
	s_mov_b32 s0, 0
.LBB63_3037:
	s_delay_alu instid0(SALU_CYCLE_1)
	s_and_not1_b32 vcc_lo, exec_lo, s0
	s_cbranch_vccnz .LBB63_3046
; %bb.3038:
	s_cmp_lt_i32 s2, 6
	s_mov_b32 s0, -1
	s_cbranch_scc1 .LBB63_3044
; %bb.3039:
	s_cmp_gt_i32 s2, 6
	s_cbranch_scc0 .LBB63_3041
; %bb.3040:
	s_wait_xcnt 0x0
	v_cvt_f64_u32_e32 v[4:5], v16
	s_mov_b32 s0, 0
	global_store_b64 v[2:3], v[4:5], off
.LBB63_3041:
	s_and_not1_b32 vcc_lo, exec_lo, s0
	s_cbranch_vccnz .LBB63_3043
; %bb.3042:
	s_wait_xcnt 0x0
	v_cvt_f32_u32_e32 v1, v16
	global_store_b32 v[2:3], v1, off
.LBB63_3043:
	s_mov_b32 s0, 0
.LBB63_3044:
	s_delay_alu instid0(SALU_CYCLE_1)
	s_and_not1_b32 vcc_lo, exec_lo, s0
	s_cbranch_vccnz .LBB63_3046
; %bb.3045:
	s_wait_xcnt 0x0
	v_cvt_f32_u32_e32 v1, v16
	s_delay_alu instid0(VALU_DEP_1)
	v_cvt_f16_f32_e32 v1, v1
	global_store_b16 v[2:3], v1, off
.LBB63_3046:
	s_mov_b32 s0, 0
.LBB63_3047:
	s_delay_alu instid0(SALU_CYCLE_1)
	s_and_not1_b32 vcc_lo, exec_lo, s0
	s_cbranch_vccnz .LBB63_3063
; %bb.3048:
	s_cmp_lt_i32 s2, 2
	s_mov_b32 s0, -1
	s_cbranch_scc1 .LBB63_3058
; %bb.3049:
	s_cmp_lt_i32 s2, 3
	s_cbranch_scc1 .LBB63_3055
; %bb.3050:
	s_cmp_gt_i32 s2, 3
	s_cbranch_scc0 .LBB63_3052
; %bb.3051:
	s_wait_xcnt 0x0
	v_mov_b32_e32 v17, 0
	s_mov_b32 s0, 0
	global_store_b64 v[2:3], v[16:17], off
.LBB63_3052:
	s_and_not1_b32 vcc_lo, exec_lo, s0
	s_cbranch_vccnz .LBB63_3054
; %bb.3053:
	global_store_b32 v[2:3], v16, off
.LBB63_3054:
	s_mov_b32 s0, 0
.LBB63_3055:
	s_delay_alu instid0(SALU_CYCLE_1)
	s_and_not1_b32 vcc_lo, exec_lo, s0
	s_cbranch_vccnz .LBB63_3057
; %bb.3056:
	global_store_b16 v[2:3], v16, off
.LBB63_3057:
	s_mov_b32 s0, 0
.LBB63_3058:
	s_delay_alu instid0(SALU_CYCLE_1)
	s_and_not1_b32 vcc_lo, exec_lo, s0
	s_cbranch_vccnz .LBB63_3063
; %bb.3059:
	s_cmp_gt_i32 s2, 0
	s_mov_b32 s0, -1
	s_cbranch_scc0 .LBB63_3061
; %bb.3060:
	s_mov_b32 s0, 0
	global_store_b8 v[2:3], v16, off
.LBB63_3061:
	s_and_not1_b32 vcc_lo, exec_lo, s0
	s_cbranch_vccnz .LBB63_3063
; %bb.3062:
	global_store_b8 v[2:3], v16, off
.LBB63_3063:
	s_mov_b32 s6, -1
.LBB63_3064:
	s_delay_alu instid0(SALU_CYCLE_1)
	s_and_not1_b32 vcc_lo, exec_lo, s6
	s_cbranch_vccnz .LBB63_3141
; %bb.3065:
	s_wait_xcnt 0x0
	v_mov_b32_e32 v1, 0
	s_cmp_lt_i32 s2, 11
	s_delay_alu instid0(VALU_DEP_1)
	v_add_nc_u64_e32 v[2:3], s[4:5], v[0:1]
	s_cbranch_scc1 .LBB63_3142
; %bb.3066:
	s_mov_b32 s4, -1
	s_mov_b32 s3, 0
	s_cmp_gt_i32 s2, 25
	s_mov_b32 s0, 0
	s_cbranch_scc0 .LBB63_3099
; %bb.3067:
	s_cmp_gt_i32 s2, 28
	s_cbranch_scc0 .LBB63_3083
; %bb.3068:
	s_cmp_gt_i32 s2, 43
	;; [unrolled: 3-line block ×3, first 2 shown]
	s_cbranch_scc0 .LBB63_3073
; %bb.3070:
	s_cmp_eq_u32 s2, 46
	s_mov_b32 s0, -1
	s_cbranch_scc0 .LBB63_3072
; %bb.3071:
	v_cvt_f32_u32_e32 v0, v8
	s_mov_b32 s0, 0
	s_delay_alu instid0(VALU_DEP_1) | instskip(NEXT) | instid1(VALU_DEP_1)
	v_bfe_u32 v1, v0, 16, 1
	v_add3_u32 v0, v0, v1, 0x7fff
	s_delay_alu instid0(VALU_DEP_1)
	v_lshrrev_b32_e32 v0, 16, v0
	global_store_b32 v[2:3], v0, off
.LBB63_3072:
	s_mov_b32 s4, 0
.LBB63_3073:
	s_delay_alu instid0(SALU_CYCLE_1)
	s_and_b32 vcc_lo, exec_lo, s4
	s_cbranch_vccz .LBB63_3078
; %bb.3074:
	s_cmp_eq_u32 s2, 44
	s_mov_b32 s0, -1
	s_cbranch_scc0 .LBB63_3078
; %bb.3075:
	v_cvt_f32_u32_e32 v4, v8
	s_mov_b32 s4, exec_lo
	s_wait_xcnt 0x0
	s_delay_alu instid0(VALU_DEP_1) | instskip(NEXT) | instid1(VALU_DEP_1)
	v_dual_mov_b32 v1, 0xff :: v_dual_lshrrev_b32 v0, 23, v4
	v_cmpx_ne_u32_e32 0xff, v0
; %bb.3076:
	v_and_b32_e32 v1, 0x400000, v4
	v_and_or_b32 v4, 0x3fffff, v4, v0
	s_delay_alu instid0(VALU_DEP_2) | instskip(NEXT) | instid1(VALU_DEP_2)
	v_cmp_ne_u32_e32 vcc_lo, 0, v1
	v_cmp_ne_u32_e64 s0, 0, v4
	s_and_b32 s0, vcc_lo, s0
	s_delay_alu instid0(SALU_CYCLE_1) | instskip(NEXT) | instid1(VALU_DEP_1)
	v_cndmask_b32_e64 v1, 0, 1, s0
	v_add_nc_u32_e32 v1, v0, v1
; %bb.3077:
	s_or_b32 exec_lo, exec_lo, s4
	s_mov_b32 s0, 0
	global_store_b8 v[2:3], v1, off
.LBB63_3078:
	s_mov_b32 s4, 0
.LBB63_3079:
	s_delay_alu instid0(SALU_CYCLE_1)
	s_and_b32 vcc_lo, exec_lo, s4
	s_cbranch_vccz .LBB63_3082
; %bb.3080:
	s_cmp_eq_u32 s2, 29
	s_mov_b32 s0, -1
	s_cbranch_scc0 .LBB63_3082
; %bb.3081:
	v_mov_b32_e32 v9, 0
	s_mov_b32 s0, 0
	global_store_b64 v[2:3], v[8:9], off
.LBB63_3082:
	s_mov_b32 s4, 0
.LBB63_3083:
	s_delay_alu instid0(SALU_CYCLE_1)
	s_and_b32 vcc_lo, exec_lo, s4
	s_cbranch_vccz .LBB63_3098
; %bb.3084:
	s_cmp_lt_i32 s2, 27
	s_mov_b32 s4, -1
	s_cbranch_scc1 .LBB63_3090
; %bb.3085:
	s_cmp_gt_i32 s2, 27
	s_cbranch_scc0 .LBB63_3087
; %bb.3086:
	s_mov_b32 s4, 0
	global_store_b32 v[2:3], v8, off
.LBB63_3087:
	s_and_not1_b32 vcc_lo, exec_lo, s4
	s_cbranch_vccnz .LBB63_3089
; %bb.3088:
	global_store_b16 v[2:3], v8, off
.LBB63_3089:
	s_mov_b32 s4, 0
.LBB63_3090:
	s_delay_alu instid0(SALU_CYCLE_1)
	s_and_not1_b32 vcc_lo, exec_lo, s4
	s_cbranch_vccnz .LBB63_3098
; %bb.3091:
	s_wait_xcnt 0x0
	v_cvt_f32_u32_e32 v1, v8
	v_mov_b32_e32 v4, 0x80
	s_mov_b32 s4, exec_lo
	s_delay_alu instid0(VALU_DEP_2)
	v_cmpx_gt_u32_e32 0x43800000, v1
	s_cbranch_execz .LBB63_3097
; %bb.3092:
	s_mov_b32 s5, 0
	s_mov_b32 s6, exec_lo
                                        ; implicit-def: $vgpr0
	v_cmpx_lt_u32_e32 0x3bffffff, v1
	s_xor_b32 s6, exec_lo, s6
	s_cbranch_execz .LBB63_3159
; %bb.3093:
	v_bfe_u32 v0, v1, 20, 1
	s_mov_b32 s5, exec_lo
	s_delay_alu instid0(VALU_DEP_1) | instskip(NEXT) | instid1(VALU_DEP_1)
	v_add3_u32 v0, v1, v0, 0x487ffff
                                        ; implicit-def: $vgpr1
	v_lshrrev_b32_e32 v0, 20, v0
	s_and_not1_saveexec_b32 s6, s6
	s_cbranch_execnz .LBB63_3160
.LBB63_3094:
	s_or_b32 exec_lo, exec_lo, s6
	v_mov_b32_e32 v4, 0
	s_and_saveexec_b32 s6, s5
.LBB63_3095:
	v_mov_b32_e32 v4, v0
.LBB63_3096:
	s_or_b32 exec_lo, exec_lo, s6
.LBB63_3097:
	s_delay_alu instid0(SALU_CYCLE_1)
	s_or_b32 exec_lo, exec_lo, s4
	global_store_b8 v[2:3], v4, off
.LBB63_3098:
	s_mov_b32 s4, 0
.LBB63_3099:
	s_delay_alu instid0(SALU_CYCLE_1)
	s_and_b32 vcc_lo, exec_lo, s4
	s_cbranch_vccz .LBB63_3139
; %bb.3100:
	s_cmp_gt_i32 s2, 22
	s_mov_b32 s3, -1
	s_cbranch_scc0 .LBB63_3132
; %bb.3101:
	s_cmp_lt_i32 s2, 24
	s_cbranch_scc1 .LBB63_3121
; %bb.3102:
	s_cmp_gt_i32 s2, 24
	s_cbranch_scc0 .LBB63_3110
; %bb.3103:
	s_wait_xcnt 0x0
	v_cvt_f32_u32_e32 v1, v8
	v_mov_b32_e32 v4, 0x80
	s_mov_b32 s3, exec_lo
	s_delay_alu instid0(VALU_DEP_2)
	v_cmpx_gt_u32_e32 0x47800000, v1
	s_cbranch_execz .LBB63_3109
; %bb.3104:
	s_mov_b32 s4, 0
	s_mov_b32 s5, exec_lo
                                        ; implicit-def: $vgpr0
	v_cmpx_lt_u32_e32 0x37ffffff, v1
	s_xor_b32 s5, exec_lo, s5
	s_cbranch_execz .LBB63_3162
; %bb.3105:
	v_bfe_u32 v0, v1, 21, 1
	s_mov_b32 s4, exec_lo
	s_delay_alu instid0(VALU_DEP_1) | instskip(NEXT) | instid1(VALU_DEP_1)
	v_add3_u32 v0, v1, v0, 0x88fffff
                                        ; implicit-def: $vgpr1
	v_lshrrev_b32_e32 v0, 21, v0
	s_and_not1_saveexec_b32 s5, s5
	s_cbranch_execnz .LBB63_3163
.LBB63_3106:
	s_or_b32 exec_lo, exec_lo, s5
	v_mov_b32_e32 v4, 0
	s_and_saveexec_b32 s5, s4
.LBB63_3107:
	v_mov_b32_e32 v4, v0
.LBB63_3108:
	s_or_b32 exec_lo, exec_lo, s5
.LBB63_3109:
	s_delay_alu instid0(SALU_CYCLE_1)
	s_or_b32 exec_lo, exec_lo, s3
	s_mov_b32 s3, 0
	global_store_b8 v[2:3], v4, off
.LBB63_3110:
	s_and_b32 vcc_lo, exec_lo, s3
	s_cbranch_vccz .LBB63_3120
; %bb.3111:
	s_wait_xcnt 0x0
	v_cvt_f32_u32_e32 v1, v8
	s_mov_b32 s3, exec_lo
                                        ; implicit-def: $vgpr0
	s_delay_alu instid0(VALU_DEP_1)
	v_cmpx_gt_u32_e32 0x43f00000, v1
	s_xor_b32 s3, exec_lo, s3
	s_cbranch_execz .LBB63_3117
; %bb.3112:
	s_mov_b32 s4, exec_lo
                                        ; implicit-def: $vgpr0
	v_cmpx_lt_u32_e32 0x3c7fffff, v1
	s_xor_b32 s4, exec_lo, s4
; %bb.3113:
	v_bfe_u32 v0, v1, 20, 1
	s_delay_alu instid0(VALU_DEP_1) | instskip(NEXT) | instid1(VALU_DEP_1)
	v_add3_u32 v0, v1, v0, 0x407ffff
	v_and_b32_e32 v1, 0xff00000, v0
	v_lshrrev_b32_e32 v0, 20, v0
	s_delay_alu instid0(VALU_DEP_2) | instskip(NEXT) | instid1(VALU_DEP_2)
	v_cmp_ne_u32_e32 vcc_lo, 0x7f00000, v1
                                        ; implicit-def: $vgpr1
	v_cndmask_b32_e32 v0, 0x7e, v0, vcc_lo
; %bb.3114:
	s_and_not1_saveexec_b32 s4, s4
; %bb.3115:
	v_add_f32_e32 v0, 0x46800000, v1
; %bb.3116:
	s_or_b32 exec_lo, exec_lo, s4
                                        ; implicit-def: $vgpr1
.LBB63_3117:
	s_and_not1_saveexec_b32 s3, s3
; %bb.3118:
	v_mov_b32_e32 v0, 0x7f
	v_cmp_lt_u32_e32 vcc_lo, 0x7f800000, v1
	s_delay_alu instid0(VALU_DEP_2)
	v_cndmask_b32_e32 v0, 0x7e, v0, vcc_lo
; %bb.3119:
	s_or_b32 exec_lo, exec_lo, s3
	global_store_b8 v[2:3], v0, off
.LBB63_3120:
	s_mov_b32 s3, 0
.LBB63_3121:
	s_delay_alu instid0(SALU_CYCLE_1)
	s_and_not1_b32 vcc_lo, exec_lo, s3
	s_cbranch_vccnz .LBB63_3131
; %bb.3122:
	s_wait_xcnt 0x0
	v_cvt_f32_u32_e32 v1, v8
	s_mov_b32 s3, exec_lo
                                        ; implicit-def: $vgpr0
	s_delay_alu instid0(VALU_DEP_1)
	v_cmpx_gt_u32_e32 0x47800000, v1
	s_xor_b32 s3, exec_lo, s3
	s_cbranch_execz .LBB63_3128
; %bb.3123:
	s_mov_b32 s4, exec_lo
                                        ; implicit-def: $vgpr0
	v_cmpx_lt_u32_e32 0x387fffff, v1
	s_xor_b32 s4, exec_lo, s4
; %bb.3124:
	v_bfe_u32 v0, v1, 21, 1
	s_delay_alu instid0(VALU_DEP_1) | instskip(NEXT) | instid1(VALU_DEP_1)
	v_add3_u32 v0, v1, v0, 0x80fffff
                                        ; implicit-def: $vgpr1
	v_lshrrev_b32_e32 v0, 21, v0
; %bb.3125:
	s_and_not1_saveexec_b32 s4, s4
; %bb.3126:
	v_add_f32_e32 v0, 0x43000000, v1
; %bb.3127:
	s_or_b32 exec_lo, exec_lo, s4
                                        ; implicit-def: $vgpr1
.LBB63_3128:
	s_and_not1_saveexec_b32 s3, s3
; %bb.3129:
	v_mov_b32_e32 v0, 0x7f
	v_cmp_lt_u32_e32 vcc_lo, 0x7f800000, v1
	s_delay_alu instid0(VALU_DEP_2)
	v_cndmask_b32_e32 v0, 0x7c, v0, vcc_lo
; %bb.3130:
	s_or_b32 exec_lo, exec_lo, s3
	global_store_b8 v[2:3], v0, off
.LBB63_3131:
	s_mov_b32 s3, 0
.LBB63_3132:
	s_delay_alu instid0(SALU_CYCLE_1)
	s_and_not1_b32 vcc_lo, exec_lo, s3
	s_mov_b32 s3, 0
	s_cbranch_vccnz .LBB63_3139
; %bb.3133:
	s_cmp_gt_i32 s2, 14
	s_mov_b32 s3, -1
	s_cbranch_scc0 .LBB63_3137
; %bb.3134:
	s_cmp_eq_u32 s2, 15
	s_mov_b32 s0, -1
	s_cbranch_scc0 .LBB63_3136
; %bb.3135:
	s_wait_xcnt 0x0
	v_cvt_f32_u32_e32 v0, v8
	s_mov_b32 s0, 0
	s_delay_alu instid0(VALU_DEP_1) | instskip(NEXT) | instid1(VALU_DEP_1)
	v_bfe_u32 v1, v0, 16, 1
	v_add3_u32 v0, v0, v1, 0x7fff
	global_store_d16_hi_b16 v[2:3], v0, off
.LBB63_3136:
	s_mov_b32 s3, 0
.LBB63_3137:
	s_delay_alu instid0(SALU_CYCLE_1)
	s_and_b32 vcc_lo, exec_lo, s3
	s_mov_b32 s3, 0
	s_cbranch_vccz .LBB63_3139
; %bb.3138:
	s_cmp_lg_u32 s2, 11
	s_mov_b32 s3, -1
	s_cselect_b32 s0, -1, 0
.LBB63_3139:
	s_delay_alu instid0(SALU_CYCLE_1)
	s_and_b32 vcc_lo, exec_lo, s0
	s_cbranch_vccnz .LBB63_3161
.LBB63_3140:
	s_mov_b32 s0, 0
	s_branch .LBB63_2742
.LBB63_3141:
	s_mov_b32 s0, 0
	s_mov_b32 s3, 0
                                        ; implicit-def: $vgpr2_vgpr3
                                        ; implicit-def: $sgpr1
	s_branch .LBB63_2742
.LBB63_3142:
	s_mov_b32 s3, 0
	s_mov_b32 s0, -1
	s_branch .LBB63_2742
.LBB63_3143:
	s_or_b32 s10, s10, exec_lo
	s_trap 2
	s_cbranch_execz .LBB63_2605
	s_branch .LBB63_2606
.LBB63_3144:
	s_and_not1_saveexec_b32 s11, s11
	s_cbranch_execz .LBB63_2691
.LBB63_3145:
	v_add_f32_e32 v1, 0x46000000, v3
	s_and_not1_b32 s7, s7, exec_lo
	s_delay_alu instid0(VALU_DEP_1) | instskip(NEXT) | instid1(VALU_DEP_1)
	v_and_b32_e32 v1, 0xff, v1
	v_cmp_ne_u32_e32 vcc_lo, 0, v1
	s_and_b32 s12, vcc_lo, exec_lo
	s_delay_alu instid0(SALU_CYCLE_1)
	s_or_b32 s7, s7, s12
	s_or_b32 exec_lo, exec_lo, s11
	v_mov_b32_e32 v5, 0
	s_and_saveexec_b32 s11, s7
	s_cbranch_execnz .LBB63_2692
	s_branch .LBB63_2693
.LBB63_3146:
	s_or_b32 s10, s10, exec_lo
	s_trap 2
	s_cbranch_execz .LBB63_2739
	s_branch .LBB63_2740
.LBB63_3147:
	s_and_not1_saveexec_b32 s7, s7
	s_cbranch_execz .LBB63_2704
.LBB63_3148:
	v_add_f32_e32 v1, 0x42800000, v3
	s_and_not1_b32 s6, s6, exec_lo
	s_delay_alu instid0(VALU_DEP_1) | instskip(NEXT) | instid1(VALU_DEP_1)
	v_and_b32_e32 v1, 0xff, v1
	v_cmp_ne_u32_e32 vcc_lo, 0, v1
	s_and_b32 s11, vcc_lo, exec_lo
	s_delay_alu instid0(SALU_CYCLE_1)
	s_or_b32 s6, s6, s11
	s_or_b32 exec_lo, exec_lo, s7
	v_mov_b32_e32 v5, 0
	s_and_saveexec_b32 s7, s6
	s_cbranch_execnz .LBB63_2705
	s_branch .LBB63_2706
.LBB63_3149:
	s_and_not1_saveexec_b32 s11, s11
	s_cbranch_execz .LBB63_2855
.LBB63_3150:
	v_add_f32_e32 v1, 0x46000000, v3
	s_and_not1_b32 s7, s7, exec_lo
	s_delay_alu instid0(VALU_DEP_1) | instskip(NEXT) | instid1(VALU_DEP_1)
	v_and_b32_e32 v1, 0xff, v1
	v_cmp_ne_u32_e32 vcc_lo, 0, v1
	s_and_b32 s12, vcc_lo, exec_lo
	s_delay_alu instid0(SALU_CYCLE_1)
	s_or_b32 s7, s7, s12
	s_or_b32 exec_lo, exec_lo, s11
	v_mov_b32_e32 v6, 0
	s_and_saveexec_b32 s11, s7
	s_cbranch_execnz .LBB63_2856
	s_branch .LBB63_2857
.LBB63_3151:
	s_or_b32 s10, s10, exec_lo
	s_trap 2
	s_cbranch_execz .LBB63_2903
	s_branch .LBB63_2904
.LBB63_3152:
	s_and_not1_saveexec_b32 s7, s7
	s_cbranch_execz .LBB63_2868
.LBB63_3153:
	v_add_f32_e32 v1, 0x42800000, v3
	s_and_not1_b32 s6, s6, exec_lo
	s_delay_alu instid0(VALU_DEP_1) | instskip(NEXT) | instid1(VALU_DEP_1)
	v_and_b32_e32 v1, 0xff, v1
	v_cmp_ne_u32_e32 vcc_lo, 0, v1
	s_and_b32 s11, vcc_lo, exec_lo
	s_delay_alu instid0(SALU_CYCLE_1)
	s_or_b32 s6, s6, s11
	s_or_b32 exec_lo, exec_lo, s7
	v_mov_b32_e32 v6, 0
	s_and_saveexec_b32 s7, s6
	s_cbranch_execnz .LBB63_2869
	s_branch .LBB63_2870
.LBB63_3154:
	s_and_not1_saveexec_b32 s11, s11
	s_cbranch_execz .LBB63_2974
.LBB63_3155:
	v_add_f32_e32 v1, 0x46000000, v4
	s_and_not1_b32 s7, s7, exec_lo
	s_delay_alu instid0(VALU_DEP_1) | instskip(NEXT) | instid1(VALU_DEP_1)
	v_and_b32_e32 v1, 0xff, v1
	v_cmp_ne_u32_e32 vcc_lo, 0, v1
	s_and_b32 s12, vcc_lo, exec_lo
	s_delay_alu instid0(SALU_CYCLE_1)
	s_or_b32 s7, s7, s12
	s_or_b32 exec_lo, exec_lo, s11
	v_mov_b32_e32 v5, 0
	s_and_saveexec_b32 s11, s7
	s_cbranch_execnz .LBB63_2975
	s_branch .LBB63_2976
.LBB63_3156:
	s_or_b32 s10, s10, exec_lo
	s_trap 2
	s_cbranch_execz .LBB63_3022
	s_branch .LBB63_3023
.LBB63_3157:
	s_and_not1_saveexec_b32 s7, s7
	s_cbranch_execz .LBB63_2987
.LBB63_3158:
	v_add_f32_e32 v1, 0x42800000, v4
	s_and_not1_b32 s6, s6, exec_lo
	s_delay_alu instid0(VALU_DEP_1) | instskip(NEXT) | instid1(VALU_DEP_1)
	v_and_b32_e32 v1, 0xff, v1
	v_cmp_ne_u32_e32 vcc_lo, 0, v1
	s_and_b32 s11, vcc_lo, exec_lo
	s_delay_alu instid0(SALU_CYCLE_1)
	s_or_b32 s6, s6, s11
	s_or_b32 exec_lo, exec_lo, s7
	v_mov_b32_e32 v5, 0
	s_and_saveexec_b32 s7, s6
	s_cbranch_execnz .LBB63_2988
	s_branch .LBB63_2989
.LBB63_3159:
	s_and_not1_saveexec_b32 s6, s6
	s_cbranch_execz .LBB63_3094
.LBB63_3160:
	v_add_f32_e32 v0, 0x46000000, v1
	s_and_not1_b32 s5, s5, exec_lo
	s_delay_alu instid0(VALU_DEP_1) | instskip(NEXT) | instid1(VALU_DEP_1)
	v_and_b32_e32 v0, 0xff, v0
	v_cmp_ne_u32_e32 vcc_lo, 0, v0
	s_and_b32 s7, vcc_lo, exec_lo
	s_delay_alu instid0(SALU_CYCLE_1)
	s_or_b32 s5, s5, s7
	s_or_b32 exec_lo, exec_lo, s6
	v_mov_b32_e32 v4, 0
	s_and_saveexec_b32 s6, s5
	s_cbranch_execnz .LBB63_3095
	s_branch .LBB63_3096
.LBB63_3161:
	s_mov_b32 s3, 0
	s_or_b32 s10, s10, exec_lo
	s_trap 2
	s_branch .LBB63_3140
.LBB63_3162:
	s_and_not1_saveexec_b32 s5, s5
	s_cbranch_execz .LBB63_3106
.LBB63_3163:
	v_add_f32_e32 v0, 0x42800000, v1
	s_and_not1_b32 s4, s4, exec_lo
	s_delay_alu instid0(VALU_DEP_1) | instskip(NEXT) | instid1(VALU_DEP_1)
	v_and_b32_e32 v0, 0xff, v0
	v_cmp_ne_u32_e32 vcc_lo, 0, v0
	s_and_b32 s6, vcc_lo, exec_lo
	s_delay_alu instid0(SALU_CYCLE_1)
	s_or_b32 s4, s4, s6
	s_or_b32 exec_lo, exec_lo, s5
	v_mov_b32_e32 v4, 0
	s_and_saveexec_b32 s5, s4
	s_cbranch_execnz .LBB63_3107
	s_branch .LBB63_3108
	.section	.rodata,"a",@progbits
	.p2align	6, 0x0
	.amdhsa_kernel _ZN2at6native32elementwise_kernel_manual_unrollILi128ELi4EZNS0_15gpu_kernel_implIZZZNS0_15lcm_kernel_cudaERNS_18TensorIteratorBaseEENKUlvE_clEvENKUlvE1_clEvEUliiE_EEvS4_RKT_EUlibE0_EEviT1_
		.amdhsa_group_segment_fixed_size 0
		.amdhsa_private_segment_fixed_size 0
		.amdhsa_kernarg_size 432
		.amdhsa_user_sgpr_count 2
		.amdhsa_user_sgpr_dispatch_ptr 0
		.amdhsa_user_sgpr_queue_ptr 0
		.amdhsa_user_sgpr_kernarg_segment_ptr 1
		.amdhsa_user_sgpr_dispatch_id 0
		.amdhsa_user_sgpr_kernarg_preload_length 0
		.amdhsa_user_sgpr_kernarg_preload_offset 0
		.amdhsa_user_sgpr_private_segment_size 0
		.amdhsa_wavefront_size32 1
		.amdhsa_uses_dynamic_stack 0
		.amdhsa_enable_private_segment 0
		.amdhsa_system_sgpr_workgroup_id_x 1
		.amdhsa_system_sgpr_workgroup_id_y 0
		.amdhsa_system_sgpr_workgroup_id_z 0
		.amdhsa_system_sgpr_workgroup_info 0
		.amdhsa_system_vgpr_workitem_id 0
		.amdhsa_next_free_vgpr 26
		.amdhsa_next_free_sgpr 60
		.amdhsa_named_barrier_count 0
		.amdhsa_reserve_vcc 1
		.amdhsa_float_round_mode_32 0
		.amdhsa_float_round_mode_16_64 0
		.amdhsa_float_denorm_mode_32 3
		.amdhsa_float_denorm_mode_16_64 3
		.amdhsa_fp16_overflow 0
		.amdhsa_memory_ordered 1
		.amdhsa_forward_progress 1
		.amdhsa_inst_pref_size 255
		.amdhsa_round_robin_scheduling 0
		.amdhsa_exception_fp_ieee_invalid_op 0
		.amdhsa_exception_fp_denorm_src 0
		.amdhsa_exception_fp_ieee_div_zero 0
		.amdhsa_exception_fp_ieee_overflow 0
		.amdhsa_exception_fp_ieee_underflow 0
		.amdhsa_exception_fp_ieee_inexact 0
		.amdhsa_exception_int_div_zero 0
	.end_amdhsa_kernel
	.section	.text._ZN2at6native32elementwise_kernel_manual_unrollILi128ELi4EZNS0_15gpu_kernel_implIZZZNS0_15lcm_kernel_cudaERNS_18TensorIteratorBaseEENKUlvE_clEvENKUlvE1_clEvEUliiE_EEvS4_RKT_EUlibE0_EEviT1_,"axG",@progbits,_ZN2at6native32elementwise_kernel_manual_unrollILi128ELi4EZNS0_15gpu_kernel_implIZZZNS0_15lcm_kernel_cudaERNS_18TensorIteratorBaseEENKUlvE_clEvENKUlvE1_clEvEUliiE_EEvS4_RKT_EUlibE0_EEviT1_,comdat
.Lfunc_end63:
	.size	_ZN2at6native32elementwise_kernel_manual_unrollILi128ELi4EZNS0_15gpu_kernel_implIZZZNS0_15lcm_kernel_cudaERNS_18TensorIteratorBaseEENKUlvE_clEvENKUlvE1_clEvEUliiE_EEvS4_RKT_EUlibE0_EEviT1_, .Lfunc_end63-_ZN2at6native32elementwise_kernel_manual_unrollILi128ELi4EZNS0_15gpu_kernel_implIZZZNS0_15lcm_kernel_cudaERNS_18TensorIteratorBaseEENKUlvE_clEvENKUlvE1_clEvEUliiE_EEvS4_RKT_EUlibE0_EEviT1_
                                        ; -- End function
	.set _ZN2at6native32elementwise_kernel_manual_unrollILi128ELi4EZNS0_15gpu_kernel_implIZZZNS0_15lcm_kernel_cudaERNS_18TensorIteratorBaseEENKUlvE_clEvENKUlvE1_clEvEUliiE_EEvS4_RKT_EUlibE0_EEviT1_.num_vgpr, 26
	.set _ZN2at6native32elementwise_kernel_manual_unrollILi128ELi4EZNS0_15gpu_kernel_implIZZZNS0_15lcm_kernel_cudaERNS_18TensorIteratorBaseEENKUlvE_clEvENKUlvE1_clEvEUliiE_EEvS4_RKT_EUlibE0_EEviT1_.num_agpr, 0
	.set _ZN2at6native32elementwise_kernel_manual_unrollILi128ELi4EZNS0_15gpu_kernel_implIZZZNS0_15lcm_kernel_cudaERNS_18TensorIteratorBaseEENKUlvE_clEvENKUlvE1_clEvEUliiE_EEvS4_RKT_EUlibE0_EEviT1_.numbered_sgpr, 60
	.set _ZN2at6native32elementwise_kernel_manual_unrollILi128ELi4EZNS0_15gpu_kernel_implIZZZNS0_15lcm_kernel_cudaERNS_18TensorIteratorBaseEENKUlvE_clEvENKUlvE1_clEvEUliiE_EEvS4_RKT_EUlibE0_EEviT1_.num_named_barrier, 0
	.set _ZN2at6native32elementwise_kernel_manual_unrollILi128ELi4EZNS0_15gpu_kernel_implIZZZNS0_15lcm_kernel_cudaERNS_18TensorIteratorBaseEENKUlvE_clEvENKUlvE1_clEvEUliiE_EEvS4_RKT_EUlibE0_EEviT1_.private_seg_size, 0
	.set _ZN2at6native32elementwise_kernel_manual_unrollILi128ELi4EZNS0_15gpu_kernel_implIZZZNS0_15lcm_kernel_cudaERNS_18TensorIteratorBaseEENKUlvE_clEvENKUlvE1_clEvEUliiE_EEvS4_RKT_EUlibE0_EEviT1_.uses_vcc, 1
	.set _ZN2at6native32elementwise_kernel_manual_unrollILi128ELi4EZNS0_15gpu_kernel_implIZZZNS0_15lcm_kernel_cudaERNS_18TensorIteratorBaseEENKUlvE_clEvENKUlvE1_clEvEUliiE_EEvS4_RKT_EUlibE0_EEviT1_.uses_flat_scratch, 0
	.set _ZN2at6native32elementwise_kernel_manual_unrollILi128ELi4EZNS0_15gpu_kernel_implIZZZNS0_15lcm_kernel_cudaERNS_18TensorIteratorBaseEENKUlvE_clEvENKUlvE1_clEvEUliiE_EEvS4_RKT_EUlibE0_EEviT1_.has_dyn_sized_stack, 0
	.set _ZN2at6native32elementwise_kernel_manual_unrollILi128ELi4EZNS0_15gpu_kernel_implIZZZNS0_15lcm_kernel_cudaERNS_18TensorIteratorBaseEENKUlvE_clEvENKUlvE1_clEvEUliiE_EEvS4_RKT_EUlibE0_EEviT1_.has_recursion, 0
	.set _ZN2at6native32elementwise_kernel_manual_unrollILi128ELi4EZNS0_15gpu_kernel_implIZZZNS0_15lcm_kernel_cudaERNS_18TensorIteratorBaseEENKUlvE_clEvENKUlvE1_clEvEUliiE_EEvS4_RKT_EUlibE0_EEviT1_.has_indirect_call, 0
	.section	.AMDGPU.csdata,"",@progbits
; Kernel info:
; codeLenInByte = 58524
; TotalNumSgprs: 62
; NumVgprs: 26
; ScratchSize: 0
; MemoryBound: 1
; FloatMode: 240
; IeeeMode: 1
; LDSByteSize: 0 bytes/workgroup (compile time only)
; SGPRBlocks: 0
; VGPRBlocks: 1
; NumSGPRsForWavesPerEU: 62
; NumVGPRsForWavesPerEU: 26
; NamedBarCnt: 0
; Occupancy: 16
; WaveLimiterHint : 1
; COMPUTE_PGM_RSRC2:SCRATCH_EN: 0
; COMPUTE_PGM_RSRC2:USER_SGPR: 2
; COMPUTE_PGM_RSRC2:TRAP_HANDLER: 0
; COMPUTE_PGM_RSRC2:TGID_X_EN: 1
; COMPUTE_PGM_RSRC2:TGID_Y_EN: 0
; COMPUTE_PGM_RSRC2:TGID_Z_EN: 0
; COMPUTE_PGM_RSRC2:TIDIG_COMP_CNT: 0
	.section	.text._ZN2at6native29vectorized_elementwise_kernelILi16EZZZNS0_15lcm_kernel_cudaERNS_18TensorIteratorBaseEENKUlvE_clEvENKUlvE2_clEvEUlllE_St5arrayIPcLm3EEEEviT0_T1_,"axG",@progbits,_ZN2at6native29vectorized_elementwise_kernelILi16EZZZNS0_15lcm_kernel_cudaERNS_18TensorIteratorBaseEENKUlvE_clEvENKUlvE2_clEvEUlllE_St5arrayIPcLm3EEEEviT0_T1_,comdat
	.globl	_ZN2at6native29vectorized_elementwise_kernelILi16EZZZNS0_15lcm_kernel_cudaERNS_18TensorIteratorBaseEENKUlvE_clEvENKUlvE2_clEvEUlllE_St5arrayIPcLm3EEEEviT0_T1_ ; -- Begin function _ZN2at6native29vectorized_elementwise_kernelILi16EZZZNS0_15lcm_kernel_cudaERNS_18TensorIteratorBaseEENKUlvE_clEvENKUlvE2_clEvEUlllE_St5arrayIPcLm3EEEEviT0_T1_
	.p2align	8
	.type	_ZN2at6native29vectorized_elementwise_kernelILi16EZZZNS0_15lcm_kernel_cudaERNS_18TensorIteratorBaseEENKUlvE_clEvENKUlvE2_clEvEUlllE_St5arrayIPcLm3EEEEviT0_T1_,@function
_ZN2at6native29vectorized_elementwise_kernelILi16EZZZNS0_15lcm_kernel_cudaERNS_18TensorIteratorBaseEENKUlvE_clEvENKUlvE2_clEvEUlllE_St5arrayIPcLm3EEEEviT0_T1_: ; @_ZN2at6native29vectorized_elementwise_kernelILi16EZZZNS0_15lcm_kernel_cudaERNS_18TensorIteratorBaseEENKUlvE_clEvENKUlvE2_clEvEUlllE_St5arrayIPcLm3EEEEviT0_T1_
; %bb.0:
	s_clause 0x2
	s_load_b32 s3, s[0:1], 0x0
	s_load_b128 s[4:7], s[0:1], 0x8
	s_load_b64 s[8:9], s[0:1], 0x18
	s_wait_xcnt 0x0
	s_bfe_u32 s0, ttmp6, 0x4000c
	s_and_b32 s1, ttmp6, 15
	s_add_co_i32 s0, s0, 1
	s_getreg_b32 s2, hwreg(HW_REG_IB_STS2, 6, 4)
	s_mul_i32 s0, ttmp9, s0
	s_delay_alu instid0(SALU_CYCLE_1) | instskip(SKIP_2) | instid1(SALU_CYCLE_1)
	s_add_co_i32 s1, s1, s0
	s_cmp_eq_u32 s2, 0
	s_cselect_b32 s0, ttmp9, s1
	s_lshl_b32 s2, s0, 10
	s_mov_b32 s0, -1
	s_wait_kmcnt 0x0
	s_sub_co_i32 s12, s3, s2
	s_delay_alu instid0(SALU_CYCLE_1)
	s_cmp_gt_i32 s12, 0x3ff
	s_cbranch_scc0 .LBB64_58
; %bb.1:
	s_ashr_i32 s3, s2, 31
	v_lshlrev_b32_e32 v1, 5, v0
	s_lshl_b64 s[10:11], s[2:3], 3
	s_delay_alu instid0(SALU_CYCLE_1) | instskip(SKIP_4) | instid1(VALU_DEP_1)
	s_add_nc_u64 s[0:1], s[8:9], s[10:11]
	s_add_nc_u64 s[14:15], s[6:7], s[10:11]
	global_load_b128 v[12:15], v1, s[0:1]
	s_wait_loadcnt 0x0
	v_sub_nc_u64_e32 v[10:11], 0, v[12:13]
	v_max_i64 v[20:21], v[12:13], v[10:11]
	v_mov_b32_e32 v10, 0
	s_clause 0x2
	global_load_b128 v[16:19], v1, s[14:15]
	global_load_b128 v[6:9], v1, s[14:15] offset:16
	global_load_b128 v[2:5], v1, s[0:1] offset:16
	s_wait_xcnt 0x0
	s_mov_b32 s1, exec_lo
	s_wait_loadcnt 0x2
	v_cmpx_ne_u64_e32 0, v[16:17]
	s_cbranch_execz .LBB64_9
; %bb.2:
	v_sub_nc_u64_e32 v[22:23], 0, v[16:17]
	s_mov_b32 s3, 0
	s_delay_alu instid0(VALU_DEP_1)
	v_max_i64 v[24:25], v[16:17], v[22:23]
	s_branch .LBB64_4
.LBB64_3:                               ;   in Loop: Header=BB64_4 Depth=1
	s_or_b32 exec_lo, exec_lo, s0
	s_delay_alu instid0(VALU_DEP_1) | instskip(SKIP_2) | instid1(SALU_CYCLE_1)
	v_cmp_eq_u64_e32 vcc_lo, 0, v[24:25]
	v_mov_b64_e32 v[20:21], v[22:23]
	s_or_b32 s3, vcc_lo, s3
	s_and_not1_b32 exec_lo, exec_lo, s3
	s_cbranch_execz .LBB64_8
.LBB64_4:                               ; =>This Inner Loop Header: Depth=1
	s_delay_alu instid0(VALU_DEP_1) | instskip(SKIP_1) | instid1(VALU_DEP_1)
	v_mov_b64_e32 v[22:23], v[24:25]
                                        ; implicit-def: $vgpr24_vgpr25
	s_mov_b32 s0, exec_lo
	v_or_b32_e32 v11, v21, v23
	s_delay_alu instid0(VALU_DEP_1)
	v_cmpx_ne_u64_e32 0, v[10:11]
	s_xor_b32 s13, exec_lo, s0
	s_cbranch_execz .LBB64_6
; %bb.5:                                ;   in Loop: Header=BB64_4 Depth=1
	s_delay_alu instid0(VALU_DEP_3) | instskip(SKIP_3) | instid1(VALU_DEP_3)
	v_cvt_f32_u32_e32 v11, v22
	v_cvt_f32_u32_e32 v24, v23
	v_sub_nc_u64_e32 v[26:27], 0, v[22:23]
	v_dual_mov_b32 v33, v10 :: v_dual_mov_b32 v35, v10
	v_fmac_f32_e32 v11, 0x4f800000, v24
	s_delay_alu instid0(VALU_DEP_1) | instskip(SKIP_1) | instid1(TRANS32_DEP_1)
	v_rcp_f32_e32 v11, v11
	v_nop
	v_mul_f32_e32 v11, 0x5f7ffffc, v11
	s_delay_alu instid0(VALU_DEP_1) | instskip(NEXT) | instid1(VALU_DEP_1)
	v_mul_f32_e32 v24, 0x2f800000, v11
	v_trunc_f32_e32 v25, v24
	s_delay_alu instid0(VALU_DEP_1) | instskip(SKIP_1) | instid1(VALU_DEP_2)
	v_cvt_u32_f32_e32 v29, v25
	v_fmac_f32_e32 v11, 0xcf800000, v25
	v_dual_mov_b32 v25, v10 :: v_dual_mov_b32 v34, v29
	s_delay_alu instid0(VALU_DEP_2) | instskip(NEXT) | instid1(VALU_DEP_1)
	v_cvt_u32_f32_e32 v24, v11
	v_mov_b32_e32 v28, v24
	s_delay_alu instid0(VALU_DEP_1) | instskip(NEXT) | instid1(VALU_DEP_1)
	v_mul_u64_e32 v[30:31], v[26:27], v[28:29]
	v_dual_mov_b32 v32, v31 :: v_dual_mov_b32 v31, v10
	s_delay_alu instid0(VALU_DEP_1) | instskip(NEXT) | instid1(VALU_DEP_2)
	v_mul_u64_e32 v[36:37], v[24:25], v[32:33]
	v_mul_u64_e32 v[38:39], v[34:35], v[30:31]
	;; [unrolled: 1-line block ×3, first 2 shown]
	v_mul_hi_u32 v30, v24, v30
	s_delay_alu instid0(VALU_DEP_1) | instskip(NEXT) | instid1(VALU_DEP_1)
	v_add_nc_u64_e32 v[30:31], v[30:31], v[36:37]
	v_add_co_u32 v11, vcc_lo, v30, v38
	s_delay_alu instid0(VALU_DEP_2) | instskip(SKIP_1) | instid1(VALU_DEP_1)
	v_add_co_ci_u32_e32 v34, vcc_lo, v31, v39, vcc_lo
	v_add_co_ci_u32_e32 v33, vcc_lo, 0, v33, vcc_lo
	v_add_nc_u64_e32 v[30:31], v[34:35], v[32:33]
	s_delay_alu instid0(VALU_DEP_1) | instskip(NEXT) | instid1(VALU_DEP_1)
	v_add_co_u32 v24, vcc_lo, v24, v30
	v_add_co_ci_u32_e64 v28, null, v29, v31, vcc_lo
	v_dual_mov_b32 v31, v10 :: v_dual_mov_b32 v29, v10
	s_delay_alu instid0(VALU_DEP_2) | instskip(NEXT) | instid1(VALU_DEP_1)
	v_mov_b32_e32 v25, v28
	v_mul_u64_e32 v[26:27], v[26:27], v[24:25]
	s_delay_alu instid0(VALU_DEP_1) | instskip(NEXT) | instid1(VALU_DEP_2)
	v_dual_mov_b32 v25, v10 :: v_dual_mov_b32 v30, v27
	v_dual_mov_b32 v34, v26 :: v_dual_mov_b32 v27, v10
	v_mul_hi_u32 v26, v24, v26
	s_delay_alu instid0(VALU_DEP_3) | instskip(NEXT) | instid1(VALU_DEP_3)
	v_mul_u64_e32 v[32:33], v[24:25], v[30:31]
	v_mul_u64_e32 v[34:35], v[28:29], v[34:35]
	;; [unrolled: 1-line block ×3, first 2 shown]
	s_delay_alu instid0(VALU_DEP_3) | instskip(SKIP_1) | instid1(VALU_DEP_2)
	v_add_nc_u64_e32 v[26:27], v[26:27], v[32:33]
	v_mov_b32_e32 v33, v10
	v_add_co_u32 v11, vcc_lo, v26, v34
	s_delay_alu instid0(VALU_DEP_3) | instskip(SKIP_1) | instid1(VALU_DEP_1)
	v_add_co_ci_u32_e32 v32, vcc_lo, v27, v35, vcc_lo
	v_add_co_ci_u32_e32 v31, vcc_lo, 0, v31, vcc_lo
	v_add_nc_u64_e32 v[26:27], v[32:33], v[30:31]
	v_dual_mov_b32 v30, v20 :: v_dual_mov_b32 v31, v10
	s_delay_alu instid0(VALU_DEP_2) | instskip(NEXT) | instid1(VALU_DEP_1)
	v_add_co_u32 v26, vcc_lo, v24, v26
	v_add_co_ci_u32_e64 v24, null, v28, v27, vcc_lo
	v_dual_mov_b32 v28, v21 :: v_dual_mov_b32 v27, v10
	s_delay_alu instid0(VALU_DEP_2) | instskip(NEXT) | instid1(VALU_DEP_2)
	v_mul_u64_e32 v[30:31], v[30:31], v[24:25]
	v_mul_u64_e32 v[24:25], v[28:29], v[24:25]
	s_delay_alu instid0(VALU_DEP_3) | instskip(SKIP_1) | instid1(VALU_DEP_1)
	v_mul_u64_e32 v[32:33], v[28:29], v[26:27]
	v_mul_hi_u32 v26, v20, v26
	v_add_nc_u64_e32 v[26:27], v[26:27], v[30:31]
	s_delay_alu instid0(VALU_DEP_1) | instskip(NEXT) | instid1(VALU_DEP_2)
	v_add_co_u32 v11, vcc_lo, v26, v32
	v_add_co_ci_u32_e32 v28, vcc_lo, v27, v33, vcc_lo
	v_add_co_ci_u32_e32 v25, vcc_lo, 0, v25, vcc_lo
	s_delay_alu instid0(VALU_DEP_1) | instskip(NEXT) | instid1(VALU_DEP_1)
	v_add_nc_u64_e32 v[24:25], v[28:29], v[24:25]
	v_mul_u64_e32 v[24:25], v[22:23], v[24:25]
	s_delay_alu instid0(VALU_DEP_1) | instskip(NEXT) | instid1(VALU_DEP_2)
	v_sub_nc_u32_e32 v11, v21, v25
	v_sub_co_u32 v20, vcc_lo, v20, v24
	s_delay_alu instid0(VALU_DEP_1) | instskip(NEXT) | instid1(VALU_DEP_3)
	v_sub_co_ci_u32_e64 v21, null, v21, v25, vcc_lo
	v_sub_co_ci_u32_e64 v11, null, v11, v23, vcc_lo
	s_delay_alu instid0(VALU_DEP_3) | instskip(SKIP_1) | instid1(VALU_DEP_3)
	v_sub_co_u32 v24, vcc_lo, v20, v22
	v_cmp_ge_u32_e64 s0, v20, v22
	v_subrev_co_ci_u32_e64 v25, null, 0, v11, vcc_lo
	v_sub_co_ci_u32_e64 v11, null, v11, v23, vcc_lo
	s_delay_alu instid0(VALU_DEP_3) | instskip(SKIP_2) | instid1(VALU_DEP_2)
	v_cndmask_b32_e64 v26, 0, -1, s0
	v_cmp_ge_u32_e64 s0, v24, v22
	v_cmp_ge_u32_e32 vcc_lo, v21, v23
	v_cndmask_b32_e64 v27, 0, -1, s0
	v_cmp_ge_u32_e64 s0, v25, v23
	v_cndmask_b32_e64 v29, 0, -1, vcc_lo
	v_cmp_eq_u32_e32 vcc_lo, v25, v23
	s_delay_alu instid0(VALU_DEP_3) | instskip(SKIP_1) | instid1(VALU_DEP_1)
	v_cndmask_b32_e64 v28, 0, -1, s0
	v_cmp_eq_u32_e64 s0, v21, v23
	v_dual_cndmask_b32 v27, v28, v27, vcc_lo :: v_dual_cndmask_b32 v26, v29, v26, s0
	v_sub_co_u32 v28, vcc_lo, v24, v22
	s_delay_alu instid0(VALU_DEP_1) | instskip(NEXT) | instid1(VALU_DEP_3)
	v_subrev_co_ci_u32_e64 v11, null, 0, v11, vcc_lo
	v_cmp_ne_u32_e32 vcc_lo, 0, v27
	s_delay_alu instid0(VALU_DEP_2) | instskip(SKIP_1) | instid1(VALU_DEP_2)
	v_dual_cndmask_b32 v11, v25, v11 :: v_dual_cndmask_b32 v24, v24, v28
	v_cmp_ne_u32_e32 vcc_lo, 0, v26
	v_dual_cndmask_b32 v25, v21, v11 :: v_dual_cndmask_b32 v24, v20, v24
                                        ; implicit-def: $vgpr20_vgpr21
.LBB64_6:                               ;   in Loop: Header=BB64_4 Depth=1
	s_and_not1_saveexec_b32 s0, s13
	s_cbranch_execz .LBB64_3
; %bb.7:                                ;   in Loop: Header=BB64_4 Depth=1
	v_cvt_f32_u32_e32 v11, v22
	v_dual_sub_nc_u32 v21, 0, v22 :: v_dual_mov_b32 v25, v10
	s_delay_alu instid0(VALU_DEP_2) | instskip(SKIP_1) | instid1(TRANS32_DEP_1)
	v_rcp_iflag_f32_e32 v11, v11
	v_nop
	v_mul_f32_e32 v11, 0x4f7ffffe, v11
	s_delay_alu instid0(VALU_DEP_1) | instskip(NEXT) | instid1(VALU_DEP_1)
	v_cvt_u32_f32_e32 v11, v11
	v_mul_lo_u32 v21, v21, v11
	s_delay_alu instid0(VALU_DEP_1) | instskip(NEXT) | instid1(VALU_DEP_1)
	v_mul_hi_u32 v21, v11, v21
	v_add_nc_u32_e32 v11, v11, v21
	s_delay_alu instid0(VALU_DEP_1) | instskip(NEXT) | instid1(VALU_DEP_1)
	v_mul_hi_u32 v11, v20, v11
	v_mul_lo_u32 v11, v11, v22
	s_delay_alu instid0(VALU_DEP_1) | instskip(NEXT) | instid1(VALU_DEP_1)
	v_sub_nc_u32_e32 v11, v20, v11
	v_sub_nc_u32_e32 v20, v11, v22
	v_cmp_ge_u32_e32 vcc_lo, v11, v22
	s_delay_alu instid0(VALU_DEP_2) | instskip(NEXT) | instid1(VALU_DEP_1)
	v_cndmask_b32_e32 v11, v11, v20, vcc_lo
	v_sub_nc_u32_e32 v20, v11, v22
	v_cmp_ge_u32_e32 vcc_lo, v11, v22
	s_delay_alu instid0(VALU_DEP_2)
	v_cndmask_b32_e32 v24, v11, v20, vcc_lo
	s_branch .LBB64_3
.LBB64_8:
	s_or_b32 exec_lo, exec_lo, s3
	v_mov_b64_e32 v[20:21], v[22:23]
.LBB64_9:
	s_or_b32 exec_lo, exec_lo, s1
	v_mov_b64_e32 v[10:11], 0
	s_mov_b32 s1, exec_lo
	s_delay_alu instid0(VALU_DEP_2)
	v_cmpx_ne_u64_e32 0, v[20:21]
	s_cbranch_execz .LBB64_15
; %bb.10:
	v_dual_mov_b32 v10, 0 :: v_dual_bitop2_b32 v11, v17, v21 bitop3:0x54
                                        ; implicit-def: $vgpr22_vgpr23
	s_mov_b32 s0, exec_lo
	s_delay_alu instid0(VALU_DEP_1)
	v_cmpx_ne_u64_e32 0, v[10:11]
	s_xor_b32 s3, exec_lo, s0
	s_cbranch_execz .LBB64_12
; %bb.11:
	v_dual_mov_b32 v25, v10 :: v_dual_ashrrev_i32 v22, 31, v21
	v_dual_mov_b32 v33, v10 :: v_dual_mov_b32 v35, v10
	s_delay_alu instid0(VALU_DEP_2) | instskip(NEXT) | instid1(VALU_DEP_1)
	v_mov_b32_e32 v23, v22
	v_add_nc_u64_e32 v[20:21], v[20:21], v[22:23]
	s_delay_alu instid0(VALU_DEP_1) | instskip(NEXT) | instid1(VALU_DEP_2)
	v_xor_b32_e32 v20, v20, v22
	v_xor_b32_e32 v21, v21, v22
	s_delay_alu instid0(VALU_DEP_2) | instskip(NEXT) | instid1(VALU_DEP_2)
	v_cvt_f32_u32_e32 v11, v20
	v_cvt_f32_u32_e32 v23, v21
	s_delay_alu instid0(VALU_DEP_1) | instskip(NEXT) | instid1(VALU_DEP_1)
	v_fmamk_f32 v11, v23, 0x4f800000, v11
	v_rcp_f32_e32 v11, v11
	v_nop
	s_delay_alu instid0(TRANS32_DEP_1) | instskip(NEXT) | instid1(VALU_DEP_1)
	v_mul_f32_e32 v11, 0x5f7ffffc, v11
	v_mul_f32_e32 v23, 0x2f800000, v11
	s_delay_alu instid0(VALU_DEP_1) | instskip(NEXT) | instid1(VALU_DEP_1)
	v_trunc_f32_e32 v23, v23
	v_fmamk_f32 v11, v23, 0xcf800000, v11
	v_cvt_u32_f32_e32 v29, v23
	s_delay_alu instid0(VALU_DEP_2) | instskip(NEXT) | instid1(VALU_DEP_1)
	v_cvt_u32_f32_e32 v24, v11
	v_dual_mov_b32 v34, v29 :: v_dual_mov_b32 v28, v24
	v_sub_nc_u64_e32 v[26:27], 0, v[20:21]
	s_delay_alu instid0(VALU_DEP_1) | instskip(NEXT) | instid1(VALU_DEP_1)
	v_mul_u64_e32 v[30:31], v[26:27], v[28:29]
	v_dual_mov_b32 v32, v31 :: v_dual_mov_b32 v31, v10
	s_delay_alu instid0(VALU_DEP_1) | instskip(NEXT) | instid1(VALU_DEP_2)
	v_mul_u64_e32 v[36:37], v[24:25], v[32:33]
	v_mul_u64_e32 v[38:39], v[34:35], v[30:31]
	;; [unrolled: 1-line block ×3, first 2 shown]
	v_mul_hi_u32 v30, v24, v30
	s_delay_alu instid0(VALU_DEP_1) | instskip(SKIP_1) | instid1(VALU_DEP_2)
	v_add_nc_u64_e32 v[30:31], v[30:31], v[36:37]
	v_ashrrev_i32_e32 v36, 31, v17
	v_add_co_u32 v11, vcc_lo, v30, v38
	s_delay_alu instid0(VALU_DEP_3) | instskip(SKIP_1) | instid1(VALU_DEP_1)
	v_add_co_ci_u32_e32 v34, vcc_lo, v31, v39, vcc_lo
	v_add_co_ci_u32_e32 v33, vcc_lo, 0, v33, vcc_lo
	v_add_nc_u64_e32 v[30:31], v[34:35], v[32:33]
	s_delay_alu instid0(VALU_DEP_1) | instskip(NEXT) | instid1(VALU_DEP_1)
	v_add_co_u32 v24, vcc_lo, v24, v30
	v_add_co_ci_u32_e64 v28, null, v29, v31, vcc_lo
	v_dual_mov_b32 v29, v10 :: v_dual_mov_b32 v31, v10
	s_delay_alu instid0(VALU_DEP_2) | instskip(NEXT) | instid1(VALU_DEP_1)
	v_mov_b32_e32 v25, v28
	v_mul_u64_e32 v[26:27], v[26:27], v[24:25]
	s_delay_alu instid0(VALU_DEP_1) | instskip(NEXT) | instid1(VALU_DEP_2)
	v_dual_mov_b32 v25, v10 :: v_dual_mov_b32 v30, v27
	v_dual_mov_b32 v34, v26 :: v_dual_mov_b32 v27, v10
	v_mul_hi_u32 v26, v24, v26
	s_delay_alu instid0(VALU_DEP_3) | instskip(NEXT) | instid1(VALU_DEP_3)
	v_mul_u64_e32 v[32:33], v[24:25], v[30:31]
	v_mul_u64_e32 v[34:35], v[28:29], v[34:35]
	;; [unrolled: 1-line block ×3, first 2 shown]
	s_delay_alu instid0(VALU_DEP_3) | instskip(SKIP_1) | instid1(VALU_DEP_2)
	v_add_nc_u64_e32 v[26:27], v[26:27], v[32:33]
	v_dual_mov_b32 v33, v10 :: v_dual_mov_b32 v37, v36
	v_add_co_u32 v11, vcc_lo, v26, v34
	s_delay_alu instid0(VALU_DEP_3) | instskip(SKIP_1) | instid1(VALU_DEP_4)
	v_add_co_ci_u32_e32 v32, vcc_lo, v27, v35, vcc_lo
	v_add_co_ci_u32_e32 v31, vcc_lo, 0, v31, vcc_lo
	v_add_nc_u64_e32 v[26:27], v[16:17], v[36:37]
	s_delay_alu instid0(VALU_DEP_2) | instskip(NEXT) | instid1(VALU_DEP_2)
	v_add_nc_u64_e32 v[30:31], v[32:33], v[30:31]
	v_xor_b32_e32 v32, v26, v36
	s_delay_alu instid0(VALU_DEP_2) | instskip(NEXT) | instid1(VALU_DEP_1)
	v_add_co_u32 v30, vcc_lo, v24, v30
	v_add_co_ci_u32_e64 v24, null, v28, v31, vcc_lo
	v_dual_mov_b32 v31, v10 :: v_dual_bitop2_b32 v28, v27, v36 bitop3:0x14
	v_mov_b32_e32 v11, v10
	s_delay_alu instid0(VALU_DEP_3) | instskip(NEXT) | instid1(VALU_DEP_3)
	v_mul_u64_e32 v[34:35], v[32:33], v[24:25]
	v_mul_u64_e32 v[26:27], v[28:29], v[30:31]
	;; [unrolled: 1-line block ×3, first 2 shown]
	v_mul_hi_u32 v30, v32, v30
	s_delay_alu instid0(VALU_DEP_1) | instskip(NEXT) | instid1(VALU_DEP_1)
	v_add_nc_u64_e32 v[30:31], v[30:31], v[34:35]
	v_add_co_u32 v10, vcc_lo, v30, v26
	s_delay_alu instid0(VALU_DEP_2) | instskip(SKIP_1) | instid1(VALU_DEP_1)
	v_add_co_ci_u32_e32 v10, vcc_lo, v31, v27, vcc_lo
	v_add_co_ci_u32_e32 v25, vcc_lo, 0, v25, vcc_lo
	v_add_nc_u64_e32 v[10:11], v[10:11], v[24:25]
	s_delay_alu instid0(VALU_DEP_1) | instskip(SKIP_1) | instid1(VALU_DEP_2)
	v_mul_u64_e32 v[24:25], v[20:21], v[10:11]
	v_add_nc_u64_e32 v[26:27], 1, v[10:11]
	v_sub_nc_u32_e32 v17, v28, v25
	s_delay_alu instid0(VALU_DEP_3) | instskip(NEXT) | instid1(VALU_DEP_1)
	v_sub_co_u32 v23, vcc_lo, v32, v24
	v_sub_co_ci_u32_e64 v28, null, v28, v25, vcc_lo
	s_delay_alu instid0(VALU_DEP_3) | instskip(NEXT) | instid1(VALU_DEP_3)
	v_sub_co_ci_u32_e64 v17, null, v17, v21, vcc_lo
	v_sub_co_u32 v24, s0, v23, v20
	s_delay_alu instid0(VALU_DEP_1) | instskip(NEXT) | instid1(VALU_DEP_2)
	v_subrev_co_ci_u32_e64 v17, null, 0, v17, s0
	v_cmp_ge_u32_e32 vcc_lo, v24, v20
	v_cndmask_b32_e64 v24, 0, -1, vcc_lo
	s_delay_alu instid0(VALU_DEP_3)
	v_cmp_ge_u32_e32 vcc_lo, v17, v21
	v_cndmask_b32_e64 v25, 0, -1, vcc_lo
	v_cmp_ge_u32_e32 vcc_lo, v23, v20
	v_cndmask_b32_e64 v20, 0, -1, vcc_lo
	;; [unrolled: 2-line block ×3, first 2 shown]
	v_cmp_eq_u32_e32 vcc_lo, v17, v21
	v_cndmask_b32_e32 v17, v25, v24, vcc_lo
	v_cmp_eq_u32_e32 vcc_lo, v28, v21
	v_add_nc_u64_e32 v[24:25], 2, v[10:11]
	v_cndmask_b32_e32 v20, v23, v20, vcc_lo
	s_delay_alu instid0(VALU_DEP_4) | instskip(NEXT) | instid1(VALU_DEP_2)
	v_cmp_ne_u32_e32 vcc_lo, 0, v17
	v_cmp_ne_u32_e64 s0, 0, v20
	s_delay_alu instid0(VALU_DEP_4) | instskip(NEXT) | instid1(VALU_DEP_1)
	v_dual_cndmask_b32 v17, v27, v25, vcc_lo :: v_dual_bitop2_b32 v20, v36, v22 bitop3:0x14
	v_dual_cndmask_b32 v21, v26, v24, vcc_lo :: v_dual_cndmask_b32 v11, v11, v17, s0
	s_delay_alu instid0(VALU_DEP_1) | instskip(NEXT) | instid1(VALU_DEP_2)
	v_dual_cndmask_b32 v10, v10, v21, s0 :: v_dual_mov_b32 v21, v20
	v_xor_b32_e32 v11, v11, v20
	s_delay_alu instid0(VALU_DEP_2) | instskip(NEXT) | instid1(VALU_DEP_1)
	v_xor_b32_e32 v10, v10, v20
	v_sub_nc_u64_e32 v[22:23], v[10:11], v[20:21]
                                        ; implicit-def: $vgpr20_vgpr21
.LBB64_12:
	s_and_not1_saveexec_b32 s0, s3
	s_cbranch_execz .LBB64_14
; %bb.13:
	v_cvt_f32_u32_e32 v10, v20
	v_dual_sub_nc_u32 v11, 0, v20 :: v_dual_mov_b32 v23, 0
	s_delay_alu instid0(VALU_DEP_2) | instskip(SKIP_1) | instid1(TRANS32_DEP_1)
	v_rcp_iflag_f32_e32 v10, v10
	v_nop
	v_mul_f32_e32 v10, 0x4f7ffffe, v10
	s_delay_alu instid0(VALU_DEP_1) | instskip(NEXT) | instid1(VALU_DEP_1)
	v_cvt_u32_f32_e32 v10, v10
	v_mul_lo_u32 v11, v11, v10
	s_delay_alu instid0(VALU_DEP_1) | instskip(NEXT) | instid1(VALU_DEP_1)
	v_mul_hi_u32 v11, v10, v11
	v_add_nc_u32_e32 v10, v10, v11
	s_delay_alu instid0(VALU_DEP_1) | instskip(NEXT) | instid1(VALU_DEP_1)
	v_mul_hi_u32 v10, v16, v10
	v_mul_lo_u32 v11, v10, v20
	s_delay_alu instid0(VALU_DEP_1) | instskip(NEXT) | instid1(VALU_DEP_1)
	v_dual_sub_nc_u32 v11, v16, v11 :: v_dual_add_nc_u32 v16, 1, v10
	v_sub_nc_u32_e32 v17, v11, v20
	v_cmp_ge_u32_e32 vcc_lo, v11, v20
	s_delay_alu instid0(VALU_DEP_2) | instskip(NEXT) | instid1(VALU_DEP_1)
	v_dual_cndmask_b32 v11, v11, v17 :: v_dual_cndmask_b32 v10, v10, v16
	v_cmp_ge_u32_e32 vcc_lo, v11, v20
	s_delay_alu instid0(VALU_DEP_2) | instskip(NEXT) | instid1(VALU_DEP_1)
	v_add_nc_u32_e32 v16, 1, v10
	v_cndmask_b32_e32 v22, v10, v16, vcc_lo
.LBB64_14:
	s_or_b32 exec_lo, exec_lo, s0
	s_delay_alu instid0(VALU_DEP_1) | instskip(NEXT) | instid1(VALU_DEP_1)
	v_mul_u64_e32 v[10:11], v[22:23], v[12:13]
	v_sub_nc_u64_e32 v[12:13], 0, v[10:11]
	s_delay_alu instid0(VALU_DEP_1)
	v_max_i64 v[10:11], v[10:11], v[12:13]
.LBB64_15:
	s_or_b32 exec_lo, exec_lo, s1
	v_sub_nc_u64_e32 v[12:13], 0, v[14:15]
	s_mov_b32 s1, exec_lo
	s_delay_alu instid0(VALU_DEP_1)
	v_max_i64 v[16:17], v[14:15], v[12:13]
	v_cmpx_ne_u64_e32 0, v[18:19]
	s_cbranch_execz .LBB64_23
; %bb.16:
	v_sub_nc_u64_e32 v[12:13], 0, v[18:19]
	s_mov_b32 s3, 0
	s_delay_alu instid0(VALU_DEP_1)
	v_max_i64 v[22:23], v[18:19], v[12:13]
	v_mov_b32_e32 v12, 0
	s_branch .LBB64_18
.LBB64_17:                              ;   in Loop: Header=BB64_18 Depth=1
	s_or_b32 exec_lo, exec_lo, s0
	s_delay_alu instid0(VALU_DEP_1) | instskip(SKIP_2) | instid1(SALU_CYCLE_1)
	v_cmp_eq_u64_e32 vcc_lo, 0, v[22:23]
	v_mov_b64_e32 v[16:17], v[20:21]
	s_or_b32 s3, vcc_lo, s3
	s_and_not1_b32 exec_lo, exec_lo, s3
	s_cbranch_execz .LBB64_22
.LBB64_18:                              ; =>This Inner Loop Header: Depth=1
	s_delay_alu instid0(VALU_DEP_2) | instskip(SKIP_1) | instid1(VALU_DEP_1)
	v_mov_b64_e32 v[20:21], v[22:23]
                                        ; implicit-def: $vgpr22_vgpr23
	s_mov_b32 s0, exec_lo
	v_or_b32_e32 v13, v17, v21
	s_delay_alu instid0(VALU_DEP_1)
	v_cmpx_ne_u64_e32 0, v[12:13]
	s_xor_b32 s13, exec_lo, s0
	s_cbranch_execz .LBB64_20
; %bb.19:                               ;   in Loop: Header=BB64_18 Depth=1
	s_delay_alu instid0(VALU_DEP_3) | instskip(SKIP_3) | instid1(VALU_DEP_3)
	v_cvt_f32_u32_e32 v13, v20
	v_cvt_f32_u32_e32 v22, v21
	v_sub_nc_u64_e32 v[24:25], 0, v[20:21]
	v_dual_mov_b32 v31, v12 :: v_dual_mov_b32 v33, v12
	v_fmac_f32_e32 v13, 0x4f800000, v22
	s_delay_alu instid0(VALU_DEP_1) | instskip(SKIP_1) | instid1(TRANS32_DEP_1)
	v_rcp_f32_e32 v13, v13
	v_nop
	v_mul_f32_e32 v13, 0x5f7ffffc, v13
	s_delay_alu instid0(VALU_DEP_1) | instskip(NEXT) | instid1(VALU_DEP_1)
	v_mul_f32_e32 v22, 0x2f800000, v13
	v_trunc_f32_e32 v23, v22
	s_delay_alu instid0(VALU_DEP_1) | instskip(SKIP_1) | instid1(VALU_DEP_2)
	v_cvt_u32_f32_e32 v27, v23
	v_fmac_f32_e32 v13, 0xcf800000, v23
	v_dual_mov_b32 v23, v12 :: v_dual_mov_b32 v32, v27
	s_delay_alu instid0(VALU_DEP_2) | instskip(NEXT) | instid1(VALU_DEP_1)
	v_cvt_u32_f32_e32 v22, v13
	v_mov_b32_e32 v26, v22
	s_delay_alu instid0(VALU_DEP_1) | instskip(NEXT) | instid1(VALU_DEP_1)
	v_mul_u64_e32 v[28:29], v[24:25], v[26:27]
	v_dual_mov_b32 v30, v29 :: v_dual_mov_b32 v29, v12
	s_delay_alu instid0(VALU_DEP_1) | instskip(NEXT) | instid1(VALU_DEP_2)
	v_mul_u64_e32 v[34:35], v[22:23], v[30:31]
	v_mul_u64_e32 v[36:37], v[32:33], v[28:29]
	;; [unrolled: 1-line block ×3, first 2 shown]
	v_mul_hi_u32 v28, v22, v28
	s_delay_alu instid0(VALU_DEP_1) | instskip(NEXT) | instid1(VALU_DEP_1)
	v_add_nc_u64_e32 v[28:29], v[28:29], v[34:35]
	v_add_co_u32 v13, vcc_lo, v28, v36
	s_delay_alu instid0(VALU_DEP_2) | instskip(SKIP_1) | instid1(VALU_DEP_1)
	v_add_co_ci_u32_e32 v32, vcc_lo, v29, v37, vcc_lo
	v_add_co_ci_u32_e32 v31, vcc_lo, 0, v31, vcc_lo
	v_add_nc_u64_e32 v[28:29], v[32:33], v[30:31]
	s_delay_alu instid0(VALU_DEP_1) | instskip(NEXT) | instid1(VALU_DEP_1)
	v_add_co_u32 v22, vcc_lo, v22, v28
	v_add_co_ci_u32_e64 v26, null, v27, v29, vcc_lo
	v_dual_mov_b32 v29, v12 :: v_dual_mov_b32 v27, v12
	s_delay_alu instid0(VALU_DEP_2) | instskip(NEXT) | instid1(VALU_DEP_1)
	v_mov_b32_e32 v23, v26
	v_mul_u64_e32 v[24:25], v[24:25], v[22:23]
	s_delay_alu instid0(VALU_DEP_1) | instskip(NEXT) | instid1(VALU_DEP_2)
	v_dual_mov_b32 v23, v12 :: v_dual_mov_b32 v28, v25
	v_dual_mov_b32 v32, v24 :: v_dual_mov_b32 v25, v12
	v_mul_hi_u32 v24, v22, v24
	s_delay_alu instid0(VALU_DEP_3) | instskip(NEXT) | instid1(VALU_DEP_3)
	v_mul_u64_e32 v[30:31], v[22:23], v[28:29]
	v_mul_u64_e32 v[32:33], v[26:27], v[32:33]
	;; [unrolled: 1-line block ×3, first 2 shown]
	s_delay_alu instid0(VALU_DEP_3) | instskip(SKIP_1) | instid1(VALU_DEP_2)
	v_add_nc_u64_e32 v[24:25], v[24:25], v[30:31]
	v_mov_b32_e32 v31, v12
	v_add_co_u32 v13, vcc_lo, v24, v32
	s_delay_alu instid0(VALU_DEP_3) | instskip(SKIP_1) | instid1(VALU_DEP_1)
	v_add_co_ci_u32_e32 v30, vcc_lo, v25, v33, vcc_lo
	v_add_co_ci_u32_e32 v29, vcc_lo, 0, v29, vcc_lo
	v_add_nc_u64_e32 v[24:25], v[30:31], v[28:29]
	v_dual_mov_b32 v28, v16 :: v_dual_mov_b32 v29, v12
	s_delay_alu instid0(VALU_DEP_2) | instskip(NEXT) | instid1(VALU_DEP_1)
	v_add_co_u32 v24, vcc_lo, v22, v24
	v_add_co_ci_u32_e64 v22, null, v26, v25, vcc_lo
	v_dual_mov_b32 v26, v17 :: v_dual_mov_b32 v25, v12
	s_delay_alu instid0(VALU_DEP_2) | instskip(NEXT) | instid1(VALU_DEP_2)
	v_mul_u64_e32 v[28:29], v[28:29], v[22:23]
	v_mul_u64_e32 v[22:23], v[26:27], v[22:23]
	s_delay_alu instid0(VALU_DEP_3) | instskip(SKIP_1) | instid1(VALU_DEP_1)
	v_mul_u64_e32 v[30:31], v[26:27], v[24:25]
	v_mul_hi_u32 v24, v16, v24
	v_add_nc_u64_e32 v[24:25], v[24:25], v[28:29]
	s_delay_alu instid0(VALU_DEP_1) | instskip(NEXT) | instid1(VALU_DEP_2)
	v_add_co_u32 v13, vcc_lo, v24, v30
	v_add_co_ci_u32_e32 v26, vcc_lo, v25, v31, vcc_lo
	v_add_co_ci_u32_e32 v23, vcc_lo, 0, v23, vcc_lo
	s_delay_alu instid0(VALU_DEP_1) | instskip(NEXT) | instid1(VALU_DEP_1)
	v_add_nc_u64_e32 v[22:23], v[26:27], v[22:23]
	v_mul_u64_e32 v[22:23], v[20:21], v[22:23]
	s_delay_alu instid0(VALU_DEP_1) | instskip(NEXT) | instid1(VALU_DEP_2)
	v_sub_nc_u32_e32 v13, v17, v23
	v_sub_co_u32 v16, vcc_lo, v16, v22
	s_delay_alu instid0(VALU_DEP_1) | instskip(NEXT) | instid1(VALU_DEP_3)
	v_sub_co_ci_u32_e64 v17, null, v17, v23, vcc_lo
	v_sub_co_ci_u32_e64 v13, null, v13, v21, vcc_lo
	s_delay_alu instid0(VALU_DEP_3) | instskip(SKIP_1) | instid1(VALU_DEP_3)
	v_sub_co_u32 v22, vcc_lo, v16, v20
	v_cmp_ge_u32_e64 s0, v16, v20
	v_subrev_co_ci_u32_e64 v23, null, 0, v13, vcc_lo
	v_sub_co_ci_u32_e64 v13, null, v13, v21, vcc_lo
	s_delay_alu instid0(VALU_DEP_3) | instskip(SKIP_2) | instid1(VALU_DEP_2)
	v_cndmask_b32_e64 v24, 0, -1, s0
	v_cmp_ge_u32_e64 s0, v22, v20
	v_cmp_ge_u32_e32 vcc_lo, v17, v21
	v_cndmask_b32_e64 v25, 0, -1, s0
	v_cmp_ge_u32_e64 s0, v23, v21
	v_cndmask_b32_e64 v27, 0, -1, vcc_lo
	v_cmp_eq_u32_e32 vcc_lo, v23, v21
	s_delay_alu instid0(VALU_DEP_3) | instskip(SKIP_1) | instid1(VALU_DEP_1)
	v_cndmask_b32_e64 v26, 0, -1, s0
	v_cmp_eq_u32_e64 s0, v17, v21
	v_dual_cndmask_b32 v25, v26, v25, vcc_lo :: v_dual_cndmask_b32 v24, v27, v24, s0
	v_sub_co_u32 v26, vcc_lo, v22, v20
	s_delay_alu instid0(VALU_DEP_1) | instskip(NEXT) | instid1(VALU_DEP_3)
	v_subrev_co_ci_u32_e64 v13, null, 0, v13, vcc_lo
	v_cmp_ne_u32_e32 vcc_lo, 0, v25
	s_delay_alu instid0(VALU_DEP_2) | instskip(SKIP_1) | instid1(VALU_DEP_2)
	v_dual_cndmask_b32 v13, v23, v13 :: v_dual_cndmask_b32 v22, v22, v26
	v_cmp_ne_u32_e32 vcc_lo, 0, v24
	v_dual_cndmask_b32 v23, v17, v13 :: v_dual_cndmask_b32 v22, v16, v22
                                        ; implicit-def: $vgpr16_vgpr17
.LBB64_20:                              ;   in Loop: Header=BB64_18 Depth=1
	s_and_not1_saveexec_b32 s0, s13
	s_cbranch_execz .LBB64_17
; %bb.21:                               ;   in Loop: Header=BB64_18 Depth=1
	v_cvt_f32_u32_e32 v13, v20
	v_dual_sub_nc_u32 v17, 0, v20 :: v_dual_mov_b32 v23, v12
	s_delay_alu instid0(VALU_DEP_2) | instskip(SKIP_1) | instid1(TRANS32_DEP_1)
	v_rcp_iflag_f32_e32 v13, v13
	v_nop
	v_mul_f32_e32 v13, 0x4f7ffffe, v13
	s_delay_alu instid0(VALU_DEP_1) | instskip(NEXT) | instid1(VALU_DEP_1)
	v_cvt_u32_f32_e32 v13, v13
	v_mul_lo_u32 v17, v17, v13
	s_delay_alu instid0(VALU_DEP_1) | instskip(NEXT) | instid1(VALU_DEP_1)
	v_mul_hi_u32 v17, v13, v17
	v_add_nc_u32_e32 v13, v13, v17
	s_delay_alu instid0(VALU_DEP_1) | instskip(NEXT) | instid1(VALU_DEP_1)
	v_mul_hi_u32 v13, v16, v13
	v_mul_lo_u32 v13, v13, v20
	s_delay_alu instid0(VALU_DEP_1) | instskip(NEXT) | instid1(VALU_DEP_1)
	v_sub_nc_u32_e32 v13, v16, v13
	v_sub_nc_u32_e32 v16, v13, v20
	v_cmp_ge_u32_e32 vcc_lo, v13, v20
	s_delay_alu instid0(VALU_DEP_2) | instskip(NEXT) | instid1(VALU_DEP_1)
	v_cndmask_b32_e32 v13, v13, v16, vcc_lo
	v_sub_nc_u32_e32 v16, v13, v20
	v_cmp_ge_u32_e32 vcc_lo, v13, v20
	s_delay_alu instid0(VALU_DEP_2)
	v_cndmask_b32_e32 v22, v13, v16, vcc_lo
	s_branch .LBB64_17
.LBB64_22:
	s_or_b32 exec_lo, exec_lo, s3
	v_mov_b64_e32 v[16:17], v[20:21]
.LBB64_23:
	s_or_b32 exec_lo, exec_lo, s1
	v_mov_b64_e32 v[12:13], 0
	s_mov_b32 s1, exec_lo
	s_delay_alu instid0(VALU_DEP_2)
	v_cmpx_ne_u64_e32 0, v[16:17]
	s_cbranch_execz .LBB64_29
; %bb.24:
	v_dual_mov_b32 v12, 0 :: v_dual_bitop2_b32 v13, v19, v17 bitop3:0x54
                                        ; implicit-def: $vgpr20_vgpr21
	s_mov_b32 s0, exec_lo
	s_delay_alu instid0(VALU_DEP_1)
	v_cmpx_ne_u64_e32 0, v[12:13]
	s_xor_b32 s3, exec_lo, s0
	s_cbranch_execz .LBB64_26
; %bb.25:
	v_dual_mov_b32 v23, v12 :: v_dual_ashrrev_i32 v20, 31, v17
	v_dual_mov_b32 v31, v12 :: v_dual_mov_b32 v33, v12
	s_delay_alu instid0(VALU_DEP_2) | instskip(NEXT) | instid1(VALU_DEP_1)
	v_mov_b32_e32 v21, v20
	v_add_nc_u64_e32 v[16:17], v[16:17], v[20:21]
	s_delay_alu instid0(VALU_DEP_1) | instskip(NEXT) | instid1(VALU_DEP_2)
	v_xor_b32_e32 v16, v16, v20
	v_xor_b32_e32 v17, v17, v20
	s_delay_alu instid0(VALU_DEP_2) | instskip(NEXT) | instid1(VALU_DEP_2)
	v_cvt_f32_u32_e32 v13, v16
	v_cvt_f32_u32_e32 v21, v17
	s_delay_alu instid0(VALU_DEP_1) | instskip(NEXT) | instid1(VALU_DEP_1)
	v_fmamk_f32 v13, v21, 0x4f800000, v13
	v_rcp_f32_e32 v13, v13
	v_nop
	s_delay_alu instid0(TRANS32_DEP_1) | instskip(NEXT) | instid1(VALU_DEP_1)
	v_mul_f32_e32 v13, 0x5f7ffffc, v13
	v_mul_f32_e32 v21, 0x2f800000, v13
	s_delay_alu instid0(VALU_DEP_1) | instskip(NEXT) | instid1(VALU_DEP_1)
	v_trunc_f32_e32 v21, v21
	v_fmamk_f32 v13, v21, 0xcf800000, v13
	v_cvt_u32_f32_e32 v27, v21
	s_delay_alu instid0(VALU_DEP_2) | instskip(NEXT) | instid1(VALU_DEP_1)
	v_cvt_u32_f32_e32 v22, v13
	v_dual_mov_b32 v32, v27 :: v_dual_mov_b32 v26, v22
	v_sub_nc_u64_e32 v[24:25], 0, v[16:17]
	s_delay_alu instid0(VALU_DEP_1) | instskip(NEXT) | instid1(VALU_DEP_1)
	v_mul_u64_e32 v[28:29], v[24:25], v[26:27]
	v_dual_mov_b32 v30, v29 :: v_dual_mov_b32 v29, v12
	s_delay_alu instid0(VALU_DEP_1) | instskip(NEXT) | instid1(VALU_DEP_2)
	v_mul_u64_e32 v[34:35], v[22:23], v[30:31]
	v_mul_u64_e32 v[36:37], v[32:33], v[28:29]
	;; [unrolled: 1-line block ×3, first 2 shown]
	v_mul_hi_u32 v28, v22, v28
	s_delay_alu instid0(VALU_DEP_1) | instskip(SKIP_1) | instid1(VALU_DEP_2)
	v_add_nc_u64_e32 v[28:29], v[28:29], v[34:35]
	v_ashrrev_i32_e32 v34, 31, v19
	v_add_co_u32 v13, vcc_lo, v28, v36
	s_delay_alu instid0(VALU_DEP_3) | instskip(SKIP_1) | instid1(VALU_DEP_1)
	v_add_co_ci_u32_e32 v32, vcc_lo, v29, v37, vcc_lo
	v_add_co_ci_u32_e32 v31, vcc_lo, 0, v31, vcc_lo
	v_add_nc_u64_e32 v[28:29], v[32:33], v[30:31]
	s_delay_alu instid0(VALU_DEP_1) | instskip(NEXT) | instid1(VALU_DEP_1)
	v_add_co_u32 v22, vcc_lo, v22, v28
	v_add_co_ci_u32_e64 v26, null, v27, v29, vcc_lo
	v_dual_mov_b32 v27, v12 :: v_dual_mov_b32 v29, v12
	s_delay_alu instid0(VALU_DEP_2) | instskip(NEXT) | instid1(VALU_DEP_1)
	v_mov_b32_e32 v23, v26
	v_mul_u64_e32 v[24:25], v[24:25], v[22:23]
	s_delay_alu instid0(VALU_DEP_1) | instskip(NEXT) | instid1(VALU_DEP_2)
	v_dual_mov_b32 v23, v12 :: v_dual_mov_b32 v28, v25
	v_dual_mov_b32 v32, v24 :: v_dual_mov_b32 v25, v12
	v_mul_hi_u32 v24, v22, v24
	s_delay_alu instid0(VALU_DEP_3) | instskip(NEXT) | instid1(VALU_DEP_3)
	v_mul_u64_e32 v[30:31], v[22:23], v[28:29]
	v_mul_u64_e32 v[32:33], v[26:27], v[32:33]
	v_mul_u64_e32 v[28:29], v[26:27], v[28:29]
	s_delay_alu instid0(VALU_DEP_3) | instskip(SKIP_1) | instid1(VALU_DEP_2)
	v_add_nc_u64_e32 v[24:25], v[24:25], v[30:31]
	v_dual_mov_b32 v31, v12 :: v_dual_mov_b32 v35, v34
	v_add_co_u32 v13, vcc_lo, v24, v32
	s_delay_alu instid0(VALU_DEP_3) | instskip(SKIP_2) | instid1(VALU_DEP_2)
	v_add_co_ci_u32_e32 v30, vcc_lo, v25, v33, vcc_lo
	v_add_co_ci_u32_e32 v29, vcc_lo, 0, v29, vcc_lo
	v_mov_b32_e32 v13, v12
	v_add_nc_u64_e32 v[24:25], v[30:31], v[28:29]
	v_mov_b32_e32 v29, v12
	v_add_nc_u64_e32 v[18:19], v[18:19], v[34:35]
	s_delay_alu instid0(VALU_DEP_3) | instskip(NEXT) | instid1(VALU_DEP_2)
	v_add_co_u32 v24, vcc_lo, v22, v24
	v_xor_b32_e32 v28, v18, v34
	v_add_co_ci_u32_e64 v22, null, v26, v25, vcc_lo
	s_delay_alu instid0(VALU_DEP_4) | instskip(NEXT) | instid1(VALU_DEP_2)
	v_dual_mov_b32 v25, v12 :: v_dual_bitop2_b32 v26, v19, v34 bitop3:0x14
	v_mul_u64_e32 v[30:31], v[28:29], v[22:23]
	s_delay_alu instid0(VALU_DEP_2) | instskip(SKIP_2) | instid1(VALU_DEP_1)
	v_mul_u64_e32 v[18:19], v[26:27], v[24:25]
	v_mul_u64_e32 v[22:23], v[26:27], v[22:23]
	v_mul_hi_u32 v24, v28, v24
	v_add_nc_u64_e32 v[24:25], v[24:25], v[30:31]
	s_delay_alu instid0(VALU_DEP_1) | instskip(NEXT) | instid1(VALU_DEP_2)
	v_add_co_u32 v12, vcc_lo, v24, v18
	v_add_co_ci_u32_e32 v12, vcc_lo, v25, v19, vcc_lo
	v_add_co_ci_u32_e32 v23, vcc_lo, 0, v23, vcc_lo
	s_delay_alu instid0(VALU_DEP_1) | instskip(NEXT) | instid1(VALU_DEP_1)
	v_add_nc_u64_e32 v[12:13], v[12:13], v[22:23]
	v_mul_u64_e32 v[18:19], v[16:17], v[12:13]
	s_delay_alu instid0(VALU_DEP_1) | instskip(NEXT) | instid1(VALU_DEP_2)
	v_sub_nc_u32_e32 v21, v26, v19
	v_sub_co_u32 v18, vcc_lo, v28, v18
	s_delay_alu instid0(VALU_DEP_1) | instskip(NEXT) | instid1(VALU_DEP_3)
	v_sub_co_ci_u32_e64 v24, null, v26, v19, vcc_lo
	v_sub_co_ci_u32_e64 v21, null, v21, v17, vcc_lo
	s_delay_alu instid0(VALU_DEP_3) | instskip(NEXT) | instid1(VALU_DEP_1)
	v_sub_co_u32 v22, s0, v18, v16
	v_subrev_co_ci_u32_e64 v21, null, 0, v21, s0
	s_delay_alu instid0(VALU_DEP_2) | instskip(SKIP_1) | instid1(VALU_DEP_3)
	v_cmp_ge_u32_e32 vcc_lo, v22, v16
	v_cndmask_b32_e64 v19, 0, -1, vcc_lo
	v_cmp_ge_u32_e32 vcc_lo, v21, v17
	v_cndmask_b32_e64 v22, 0, -1, vcc_lo
	;; [unrolled: 2-line block ×4, first 2 shown]
	v_cmp_eq_u32_e32 vcc_lo, v21, v17
	v_cndmask_b32_e32 v21, v22, v19, vcc_lo
	v_cmp_eq_u32_e32 vcc_lo, v24, v17
	v_add_nc_u64_e32 v[18:19], 2, v[12:13]
	v_add_nc_u64_e32 v[22:23], 1, v[12:13]
	v_cndmask_b32_e32 v16, v25, v16, vcc_lo
	v_cmp_ne_u32_e32 vcc_lo, 0, v21
	s_delay_alu instid0(VALU_DEP_2) | instskip(NEXT) | instid1(VALU_DEP_4)
	v_cmp_ne_u32_e64 s0, 0, v16
	v_dual_cndmask_b32 v17, v23, v19 :: v_dual_cndmask_b32 v18, v22, v18
	s_delay_alu instid0(VALU_DEP_1) | instskip(NEXT) | instid1(VALU_DEP_2)
	v_dual_cndmask_b32 v13, v13, v17, s0 :: v_dual_bitop2_b32 v16, v34, v20 bitop3:0x14
	v_cndmask_b32_e64 v12, v12, v18, s0
                                        ; implicit-def: $vgpr18_vgpr19
	s_delay_alu instid0(VALU_DEP_2) | instskip(NEXT) | instid1(VALU_DEP_2)
	v_dual_mov_b32 v17, v16 :: v_dual_bitop2_b32 v13, v13, v16 bitop3:0x14
	v_xor_b32_e32 v12, v12, v16
	s_delay_alu instid0(VALU_DEP_1)
	v_sub_nc_u64_e32 v[20:21], v[12:13], v[16:17]
                                        ; implicit-def: $vgpr16_vgpr17
.LBB64_26:
	s_and_not1_saveexec_b32 s0, s3
	s_cbranch_execz .LBB64_28
; %bb.27:
	v_cvt_f32_u32_e32 v12, v16
	v_dual_sub_nc_u32 v13, 0, v16 :: v_dual_mov_b32 v21, 0
	s_delay_alu instid0(VALU_DEP_2) | instskip(SKIP_1) | instid1(TRANS32_DEP_1)
	v_rcp_iflag_f32_e32 v12, v12
	v_nop
	v_mul_f32_e32 v12, 0x4f7ffffe, v12
	s_delay_alu instid0(VALU_DEP_1) | instskip(NEXT) | instid1(VALU_DEP_1)
	v_cvt_u32_f32_e32 v12, v12
	v_mul_lo_u32 v13, v13, v12
	s_delay_alu instid0(VALU_DEP_1) | instskip(NEXT) | instid1(VALU_DEP_1)
	v_mul_hi_u32 v13, v12, v13
	v_add_nc_u32_e32 v12, v12, v13
	s_delay_alu instid0(VALU_DEP_1) | instskip(NEXT) | instid1(VALU_DEP_1)
	v_mul_hi_u32 v12, v18, v12
	v_mul_lo_u32 v13, v12, v16
	s_delay_alu instid0(VALU_DEP_1) | instskip(NEXT) | instid1(VALU_DEP_1)
	v_sub_nc_u32_e32 v13, v18, v13
	v_sub_nc_u32_e32 v18, v13, v16
	v_cmp_ge_u32_e32 vcc_lo, v13, v16
	s_delay_alu instid0(VALU_DEP_2) | instskip(NEXT) | instid1(VALU_DEP_1)
	v_dual_add_nc_u32 v17, 1, v12 :: v_dual_cndmask_b32 v13, v13, v18, vcc_lo
	v_cndmask_b32_e32 v12, v12, v17, vcc_lo
	s_delay_alu instid0(VALU_DEP_2) | instskip(NEXT) | instid1(VALU_DEP_2)
	v_cmp_ge_u32_e32 vcc_lo, v13, v16
	v_add_nc_u32_e32 v17, 1, v12
	s_delay_alu instid0(VALU_DEP_1)
	v_cndmask_b32_e32 v20, v12, v17, vcc_lo
.LBB64_28:
	s_or_b32 exec_lo, exec_lo, s0
	s_delay_alu instid0(VALU_DEP_1) | instskip(NEXT) | instid1(VALU_DEP_1)
	v_mul_u64_e32 v[12:13], v[20:21], v[14:15]
	v_sub_nc_u64_e32 v[14:15], 0, v[12:13]
	s_delay_alu instid0(VALU_DEP_1)
	v_max_i64 v[12:13], v[12:13], v[14:15]
.LBB64_29:
	s_or_b32 exec_lo, exec_lo, s1
	s_wait_loadcnt 0x0
	v_sub_nc_u64_e32 v[14:15], 0, v[2:3]
	s_mov_b32 s1, exec_lo
	s_delay_alu instid0(VALU_DEP_1)
	v_max_i64 v[16:17], v[2:3], v[14:15]
	v_cmpx_ne_u64_e32 0, v[6:7]
	s_cbranch_execz .LBB64_37
; %bb.30:
	v_sub_nc_u64_e32 v[14:15], 0, v[6:7]
	s_mov_b32 s3, 0
	s_delay_alu instid0(VALU_DEP_1)
	v_max_i64 v[20:21], v[6:7], v[14:15]
	v_mov_b32_e32 v14, 0
	s_branch .LBB64_32
.LBB64_31:                              ;   in Loop: Header=BB64_32 Depth=1
	s_or_b32 exec_lo, exec_lo, s0
	s_delay_alu instid0(VALU_DEP_1) | instskip(SKIP_2) | instid1(SALU_CYCLE_1)
	v_cmp_eq_u64_e32 vcc_lo, 0, v[20:21]
	v_mov_b64_e32 v[16:17], v[18:19]
	s_or_b32 s3, vcc_lo, s3
	s_and_not1_b32 exec_lo, exec_lo, s3
	s_cbranch_execz .LBB64_36
.LBB64_32:                              ; =>This Inner Loop Header: Depth=1
	s_delay_alu instid0(VALU_DEP_2) | instskip(SKIP_1) | instid1(VALU_DEP_1)
	v_mov_b64_e32 v[18:19], v[20:21]
                                        ; implicit-def: $vgpr20_vgpr21
	s_mov_b32 s0, exec_lo
	v_or_b32_e32 v15, v17, v19
	s_delay_alu instid0(VALU_DEP_1)
	v_cmpx_ne_u64_e32 0, v[14:15]
	s_xor_b32 s13, exec_lo, s0
	s_cbranch_execz .LBB64_34
; %bb.33:                               ;   in Loop: Header=BB64_32 Depth=1
	s_delay_alu instid0(VALU_DEP_3) | instskip(SKIP_3) | instid1(VALU_DEP_3)
	v_cvt_f32_u32_e32 v15, v18
	v_cvt_f32_u32_e32 v20, v19
	v_sub_nc_u64_e32 v[22:23], 0, v[18:19]
	v_dual_mov_b32 v29, v14 :: v_dual_mov_b32 v31, v14
	v_fmac_f32_e32 v15, 0x4f800000, v20
	s_delay_alu instid0(VALU_DEP_1) | instskip(SKIP_1) | instid1(TRANS32_DEP_1)
	v_rcp_f32_e32 v15, v15
	v_nop
	v_mul_f32_e32 v15, 0x5f7ffffc, v15
	s_delay_alu instid0(VALU_DEP_1) | instskip(NEXT) | instid1(VALU_DEP_1)
	v_mul_f32_e32 v20, 0x2f800000, v15
	v_trunc_f32_e32 v21, v20
	s_delay_alu instid0(VALU_DEP_1) | instskip(SKIP_1) | instid1(VALU_DEP_2)
	v_cvt_u32_f32_e32 v25, v21
	v_fmac_f32_e32 v15, 0xcf800000, v21
	v_dual_mov_b32 v21, v14 :: v_dual_mov_b32 v30, v25
	s_delay_alu instid0(VALU_DEP_2) | instskip(NEXT) | instid1(VALU_DEP_1)
	v_cvt_u32_f32_e32 v20, v15
	v_mov_b32_e32 v24, v20
	s_delay_alu instid0(VALU_DEP_1) | instskip(NEXT) | instid1(VALU_DEP_1)
	v_mul_u64_e32 v[26:27], v[22:23], v[24:25]
	v_dual_mov_b32 v28, v27 :: v_dual_mov_b32 v27, v14
	s_delay_alu instid0(VALU_DEP_1) | instskip(NEXT) | instid1(VALU_DEP_2)
	v_mul_u64_e32 v[32:33], v[20:21], v[28:29]
	v_mul_u64_e32 v[34:35], v[30:31], v[26:27]
	;; [unrolled: 1-line block ×3, first 2 shown]
	v_mul_hi_u32 v26, v20, v26
	s_delay_alu instid0(VALU_DEP_1) | instskip(NEXT) | instid1(VALU_DEP_1)
	v_add_nc_u64_e32 v[26:27], v[26:27], v[32:33]
	v_add_co_u32 v15, vcc_lo, v26, v34
	s_delay_alu instid0(VALU_DEP_2) | instskip(SKIP_1) | instid1(VALU_DEP_1)
	v_add_co_ci_u32_e32 v30, vcc_lo, v27, v35, vcc_lo
	v_add_co_ci_u32_e32 v29, vcc_lo, 0, v29, vcc_lo
	v_add_nc_u64_e32 v[26:27], v[30:31], v[28:29]
	s_delay_alu instid0(VALU_DEP_1) | instskip(NEXT) | instid1(VALU_DEP_1)
	v_add_co_u32 v20, vcc_lo, v20, v26
	v_add_co_ci_u32_e64 v24, null, v25, v27, vcc_lo
	v_dual_mov_b32 v27, v14 :: v_dual_mov_b32 v25, v14
	s_delay_alu instid0(VALU_DEP_2) | instskip(NEXT) | instid1(VALU_DEP_1)
	v_mov_b32_e32 v21, v24
	v_mul_u64_e32 v[22:23], v[22:23], v[20:21]
	s_delay_alu instid0(VALU_DEP_1) | instskip(NEXT) | instid1(VALU_DEP_2)
	v_dual_mov_b32 v21, v14 :: v_dual_mov_b32 v26, v23
	v_dual_mov_b32 v30, v22 :: v_dual_mov_b32 v23, v14
	v_mul_hi_u32 v22, v20, v22
	s_delay_alu instid0(VALU_DEP_3) | instskip(NEXT) | instid1(VALU_DEP_3)
	v_mul_u64_e32 v[28:29], v[20:21], v[26:27]
	v_mul_u64_e32 v[30:31], v[24:25], v[30:31]
	;; [unrolled: 1-line block ×3, first 2 shown]
	s_delay_alu instid0(VALU_DEP_3) | instskip(SKIP_1) | instid1(VALU_DEP_2)
	v_add_nc_u64_e32 v[22:23], v[22:23], v[28:29]
	v_mov_b32_e32 v29, v14
	v_add_co_u32 v15, vcc_lo, v22, v30
	s_delay_alu instid0(VALU_DEP_3) | instskip(SKIP_1) | instid1(VALU_DEP_1)
	v_add_co_ci_u32_e32 v28, vcc_lo, v23, v31, vcc_lo
	v_add_co_ci_u32_e32 v27, vcc_lo, 0, v27, vcc_lo
	v_add_nc_u64_e32 v[22:23], v[28:29], v[26:27]
	v_dual_mov_b32 v26, v16 :: v_dual_mov_b32 v27, v14
	s_delay_alu instid0(VALU_DEP_2) | instskip(NEXT) | instid1(VALU_DEP_1)
	v_add_co_u32 v22, vcc_lo, v20, v22
	v_add_co_ci_u32_e64 v20, null, v24, v23, vcc_lo
	v_dual_mov_b32 v24, v17 :: v_dual_mov_b32 v23, v14
	s_delay_alu instid0(VALU_DEP_2) | instskip(NEXT) | instid1(VALU_DEP_2)
	v_mul_u64_e32 v[26:27], v[26:27], v[20:21]
	v_mul_u64_e32 v[20:21], v[24:25], v[20:21]
	s_delay_alu instid0(VALU_DEP_3) | instskip(SKIP_1) | instid1(VALU_DEP_1)
	v_mul_u64_e32 v[28:29], v[24:25], v[22:23]
	v_mul_hi_u32 v22, v16, v22
	v_add_nc_u64_e32 v[22:23], v[22:23], v[26:27]
	s_delay_alu instid0(VALU_DEP_1) | instskip(NEXT) | instid1(VALU_DEP_2)
	v_add_co_u32 v15, vcc_lo, v22, v28
	v_add_co_ci_u32_e32 v24, vcc_lo, v23, v29, vcc_lo
	v_add_co_ci_u32_e32 v21, vcc_lo, 0, v21, vcc_lo
	s_delay_alu instid0(VALU_DEP_1) | instskip(NEXT) | instid1(VALU_DEP_1)
	v_add_nc_u64_e32 v[20:21], v[24:25], v[20:21]
	v_mul_u64_e32 v[20:21], v[18:19], v[20:21]
	s_delay_alu instid0(VALU_DEP_1) | instskip(NEXT) | instid1(VALU_DEP_2)
	v_sub_nc_u32_e32 v15, v17, v21
	v_sub_co_u32 v16, vcc_lo, v16, v20
	s_delay_alu instid0(VALU_DEP_1) | instskip(NEXT) | instid1(VALU_DEP_3)
	v_sub_co_ci_u32_e64 v17, null, v17, v21, vcc_lo
	v_sub_co_ci_u32_e64 v15, null, v15, v19, vcc_lo
	s_delay_alu instid0(VALU_DEP_3) | instskip(SKIP_1) | instid1(VALU_DEP_3)
	v_sub_co_u32 v20, vcc_lo, v16, v18
	v_cmp_ge_u32_e64 s0, v16, v18
	v_subrev_co_ci_u32_e64 v21, null, 0, v15, vcc_lo
	v_sub_co_ci_u32_e64 v15, null, v15, v19, vcc_lo
	s_delay_alu instid0(VALU_DEP_3) | instskip(SKIP_2) | instid1(VALU_DEP_2)
	v_cndmask_b32_e64 v22, 0, -1, s0
	v_cmp_ge_u32_e64 s0, v20, v18
	v_cmp_ge_u32_e32 vcc_lo, v17, v19
	v_cndmask_b32_e64 v23, 0, -1, s0
	v_cmp_ge_u32_e64 s0, v21, v19
	v_cndmask_b32_e64 v25, 0, -1, vcc_lo
	v_cmp_eq_u32_e32 vcc_lo, v21, v19
	s_delay_alu instid0(VALU_DEP_3) | instskip(SKIP_1) | instid1(VALU_DEP_1)
	v_cndmask_b32_e64 v24, 0, -1, s0
	v_cmp_eq_u32_e64 s0, v17, v19
	v_dual_cndmask_b32 v23, v24, v23, vcc_lo :: v_dual_cndmask_b32 v22, v25, v22, s0
	v_sub_co_u32 v24, vcc_lo, v20, v18
	s_delay_alu instid0(VALU_DEP_1) | instskip(NEXT) | instid1(VALU_DEP_3)
	v_subrev_co_ci_u32_e64 v15, null, 0, v15, vcc_lo
	v_cmp_ne_u32_e32 vcc_lo, 0, v23
	s_delay_alu instid0(VALU_DEP_2) | instskip(SKIP_1) | instid1(VALU_DEP_2)
	v_dual_cndmask_b32 v15, v21, v15 :: v_dual_cndmask_b32 v20, v20, v24
	v_cmp_ne_u32_e32 vcc_lo, 0, v22
	v_dual_cndmask_b32 v21, v17, v15 :: v_dual_cndmask_b32 v20, v16, v20
                                        ; implicit-def: $vgpr16_vgpr17
.LBB64_34:                              ;   in Loop: Header=BB64_32 Depth=1
	s_and_not1_saveexec_b32 s0, s13
	s_cbranch_execz .LBB64_31
; %bb.35:                               ;   in Loop: Header=BB64_32 Depth=1
	v_cvt_f32_u32_e32 v15, v18
	v_dual_sub_nc_u32 v17, 0, v18 :: v_dual_mov_b32 v21, v14
	s_delay_alu instid0(VALU_DEP_2) | instskip(SKIP_1) | instid1(TRANS32_DEP_1)
	v_rcp_iflag_f32_e32 v15, v15
	v_nop
	v_mul_f32_e32 v15, 0x4f7ffffe, v15
	s_delay_alu instid0(VALU_DEP_1) | instskip(NEXT) | instid1(VALU_DEP_1)
	v_cvt_u32_f32_e32 v15, v15
	v_mul_lo_u32 v17, v17, v15
	s_delay_alu instid0(VALU_DEP_1) | instskip(NEXT) | instid1(VALU_DEP_1)
	v_mul_hi_u32 v17, v15, v17
	v_add_nc_u32_e32 v15, v15, v17
	s_delay_alu instid0(VALU_DEP_1) | instskip(NEXT) | instid1(VALU_DEP_1)
	v_mul_hi_u32 v15, v16, v15
	v_mul_lo_u32 v15, v15, v18
	s_delay_alu instid0(VALU_DEP_1) | instskip(NEXT) | instid1(VALU_DEP_1)
	v_sub_nc_u32_e32 v15, v16, v15
	v_sub_nc_u32_e32 v16, v15, v18
	v_cmp_ge_u32_e32 vcc_lo, v15, v18
	s_delay_alu instid0(VALU_DEP_2) | instskip(NEXT) | instid1(VALU_DEP_1)
	v_cndmask_b32_e32 v15, v15, v16, vcc_lo
	v_sub_nc_u32_e32 v16, v15, v18
	v_cmp_ge_u32_e32 vcc_lo, v15, v18
	s_delay_alu instid0(VALU_DEP_2)
	v_cndmask_b32_e32 v20, v15, v16, vcc_lo
	s_branch .LBB64_31
.LBB64_36:
	s_or_b32 exec_lo, exec_lo, s3
	v_mov_b64_e32 v[16:17], v[18:19]
.LBB64_37:
	s_or_b32 exec_lo, exec_lo, s1
	v_mov_b64_e32 v[14:15], 0
	s_mov_b32 s1, exec_lo
	s_delay_alu instid0(VALU_DEP_2)
	v_cmpx_ne_u64_e32 0, v[16:17]
	s_cbranch_execz .LBB64_43
; %bb.38:
	v_dual_mov_b32 v14, 0 :: v_dual_bitop2_b32 v15, v7, v17 bitop3:0x54
                                        ; implicit-def: $vgpr18_vgpr19
	s_mov_b32 s0, exec_lo
	s_delay_alu instid0(VALU_DEP_1)
	v_cmpx_ne_u64_e32 0, v[14:15]
	s_xor_b32 s3, exec_lo, s0
	s_cbranch_execz .LBB64_40
; %bb.39:
	v_dual_mov_b32 v21, v14 :: v_dual_ashrrev_i32 v18, 31, v17
	v_dual_mov_b32 v29, v14 :: v_dual_mov_b32 v31, v14
	s_delay_alu instid0(VALU_DEP_2) | instskip(NEXT) | instid1(VALU_DEP_1)
	v_mov_b32_e32 v19, v18
	v_add_nc_u64_e32 v[16:17], v[16:17], v[18:19]
	s_delay_alu instid0(VALU_DEP_1) | instskip(NEXT) | instid1(VALU_DEP_2)
	v_xor_b32_e32 v16, v16, v18
	v_xor_b32_e32 v17, v17, v18
	s_delay_alu instid0(VALU_DEP_2) | instskip(NEXT) | instid1(VALU_DEP_2)
	v_cvt_f32_u32_e32 v15, v16
	v_cvt_f32_u32_e32 v19, v17
	s_delay_alu instid0(VALU_DEP_1) | instskip(NEXT) | instid1(VALU_DEP_1)
	v_fmamk_f32 v15, v19, 0x4f800000, v15
	v_rcp_f32_e32 v15, v15
	v_nop
	s_delay_alu instid0(TRANS32_DEP_1) | instskip(NEXT) | instid1(VALU_DEP_1)
	v_mul_f32_e32 v15, 0x5f7ffffc, v15
	v_mul_f32_e32 v19, 0x2f800000, v15
	s_delay_alu instid0(VALU_DEP_1) | instskip(NEXT) | instid1(VALU_DEP_1)
	v_trunc_f32_e32 v19, v19
	v_fmamk_f32 v15, v19, 0xcf800000, v15
	v_cvt_u32_f32_e32 v25, v19
	s_delay_alu instid0(VALU_DEP_2) | instskip(NEXT) | instid1(VALU_DEP_1)
	v_cvt_u32_f32_e32 v20, v15
	v_dual_mov_b32 v30, v25 :: v_dual_mov_b32 v24, v20
	v_sub_nc_u64_e32 v[22:23], 0, v[16:17]
	s_delay_alu instid0(VALU_DEP_1) | instskip(NEXT) | instid1(VALU_DEP_1)
	v_mul_u64_e32 v[26:27], v[22:23], v[24:25]
	v_dual_mov_b32 v28, v27 :: v_dual_mov_b32 v27, v14
	s_delay_alu instid0(VALU_DEP_1) | instskip(NEXT) | instid1(VALU_DEP_2)
	v_mul_u64_e32 v[32:33], v[20:21], v[28:29]
	v_mul_u64_e32 v[34:35], v[30:31], v[26:27]
	;; [unrolled: 1-line block ×3, first 2 shown]
	v_mul_hi_u32 v26, v20, v26
	s_delay_alu instid0(VALU_DEP_1) | instskip(SKIP_1) | instid1(VALU_DEP_2)
	v_add_nc_u64_e32 v[26:27], v[26:27], v[32:33]
	v_ashrrev_i32_e32 v32, 31, v7
	v_add_co_u32 v15, vcc_lo, v26, v34
	s_delay_alu instid0(VALU_DEP_3) | instskip(SKIP_1) | instid1(VALU_DEP_1)
	v_add_co_ci_u32_e32 v30, vcc_lo, v27, v35, vcc_lo
	v_add_co_ci_u32_e32 v29, vcc_lo, 0, v29, vcc_lo
	v_add_nc_u64_e32 v[26:27], v[30:31], v[28:29]
	s_delay_alu instid0(VALU_DEP_1) | instskip(NEXT) | instid1(VALU_DEP_1)
	v_add_co_u32 v20, vcc_lo, v20, v26
	v_add_co_ci_u32_e64 v24, null, v25, v27, vcc_lo
	v_dual_mov_b32 v25, v14 :: v_dual_mov_b32 v27, v14
	s_delay_alu instid0(VALU_DEP_2) | instskip(NEXT) | instid1(VALU_DEP_1)
	v_mov_b32_e32 v21, v24
	v_mul_u64_e32 v[22:23], v[22:23], v[20:21]
	s_delay_alu instid0(VALU_DEP_1) | instskip(NEXT) | instid1(VALU_DEP_2)
	v_dual_mov_b32 v21, v14 :: v_dual_mov_b32 v26, v23
	v_dual_mov_b32 v30, v22 :: v_dual_mov_b32 v23, v14
	v_mul_hi_u32 v22, v20, v22
	s_delay_alu instid0(VALU_DEP_3) | instskip(NEXT) | instid1(VALU_DEP_3)
	v_mul_u64_e32 v[28:29], v[20:21], v[26:27]
	v_mul_u64_e32 v[30:31], v[24:25], v[30:31]
	;; [unrolled: 1-line block ×3, first 2 shown]
	s_delay_alu instid0(VALU_DEP_3) | instskip(SKIP_1) | instid1(VALU_DEP_2)
	v_add_nc_u64_e32 v[22:23], v[22:23], v[28:29]
	v_dual_mov_b32 v29, v14 :: v_dual_mov_b32 v33, v32
	v_add_co_u32 v15, vcc_lo, v22, v30
	s_delay_alu instid0(VALU_DEP_3) | instskip(SKIP_1) | instid1(VALU_DEP_4)
	v_add_co_ci_u32_e32 v28, vcc_lo, v23, v31, vcc_lo
	v_add_co_ci_u32_e32 v27, vcc_lo, 0, v27, vcc_lo
	v_add_nc_u64_e32 v[22:23], v[6:7], v[32:33]
	s_delay_alu instid0(VALU_DEP_2) | instskip(NEXT) | instid1(VALU_DEP_2)
	v_add_nc_u64_e32 v[26:27], v[28:29], v[26:27]
	v_xor_b32_e32 v28, v22, v32
	s_delay_alu instid0(VALU_DEP_2) | instskip(NEXT) | instid1(VALU_DEP_1)
	v_add_co_u32 v26, vcc_lo, v20, v26
	v_add_co_ci_u32_e64 v20, null, v24, v27, vcc_lo
	v_dual_mov_b32 v27, v14 :: v_dual_bitop2_b32 v24, v23, v32 bitop3:0x14
	v_mov_b32_e32 v15, v14
	s_delay_alu instid0(VALU_DEP_3) | instskip(NEXT) | instid1(VALU_DEP_3)
	v_mul_u64_e32 v[30:31], v[28:29], v[20:21]
	v_mul_u64_e32 v[22:23], v[24:25], v[26:27]
	;; [unrolled: 1-line block ×3, first 2 shown]
	v_mul_hi_u32 v26, v28, v26
	s_delay_alu instid0(VALU_DEP_1) | instskip(NEXT) | instid1(VALU_DEP_1)
	v_add_nc_u64_e32 v[26:27], v[26:27], v[30:31]
	v_add_co_u32 v7, vcc_lo, v26, v22
	s_delay_alu instid0(VALU_DEP_2) | instskip(SKIP_1) | instid1(VALU_DEP_1)
	v_add_co_ci_u32_e32 v14, vcc_lo, v27, v23, vcc_lo
	v_add_co_ci_u32_e32 v21, vcc_lo, 0, v21, vcc_lo
	v_add_nc_u64_e32 v[14:15], v[14:15], v[20:21]
	s_delay_alu instid0(VALU_DEP_1) | instskip(SKIP_1) | instid1(VALU_DEP_2)
	v_mul_u64_e32 v[20:21], v[16:17], v[14:15]
	v_add_nc_u64_e32 v[22:23], 1, v[14:15]
	v_sub_nc_u32_e32 v7, v24, v21
	s_delay_alu instid0(VALU_DEP_3) | instskip(NEXT) | instid1(VALU_DEP_1)
	v_sub_co_u32 v19, vcc_lo, v28, v20
	v_sub_co_ci_u32_e64 v24, null, v24, v21, vcc_lo
	s_delay_alu instid0(VALU_DEP_3) | instskip(NEXT) | instid1(VALU_DEP_3)
	v_sub_co_ci_u32_e64 v7, null, v7, v17, vcc_lo
	v_sub_co_u32 v20, s0, v19, v16
	s_delay_alu instid0(VALU_DEP_1) | instskip(NEXT) | instid1(VALU_DEP_2)
	v_subrev_co_ci_u32_e64 v7, null, 0, v7, s0
	v_cmp_ge_u32_e32 vcc_lo, v20, v16
	v_cndmask_b32_e64 v20, 0, -1, vcc_lo
	s_delay_alu instid0(VALU_DEP_3)
	v_cmp_ge_u32_e32 vcc_lo, v7, v17
	v_cndmask_b32_e64 v21, 0, -1, vcc_lo
	v_cmp_ge_u32_e32 vcc_lo, v19, v16
	v_cndmask_b32_e64 v16, 0, -1, vcc_lo
	;; [unrolled: 2-line block ×3, first 2 shown]
	v_cmp_eq_u32_e32 vcc_lo, v7, v17
	v_cndmask_b32_e32 v7, v21, v20, vcc_lo
	v_cmp_eq_u32_e32 vcc_lo, v24, v17
	v_add_nc_u64_e32 v[20:21], 2, v[14:15]
	v_cndmask_b32_e32 v16, v19, v16, vcc_lo
	s_delay_alu instid0(VALU_DEP_4) | instskip(NEXT) | instid1(VALU_DEP_2)
	v_cmp_ne_u32_e32 vcc_lo, 0, v7
	v_cmp_ne_u32_e64 s0, 0, v16
	s_delay_alu instid0(VALU_DEP_4) | instskip(NEXT) | instid1(VALU_DEP_1)
	v_dual_cndmask_b32 v7, v23, v21, vcc_lo :: v_dual_bitop2_b32 v16, v32, v18 bitop3:0x14
	v_dual_cndmask_b32 v17, v22, v20, vcc_lo :: v_dual_cndmask_b32 v7, v15, v7, s0
	s_delay_alu instid0(VALU_DEP_1) | instskip(NEXT) | instid1(VALU_DEP_2)
	v_dual_cndmask_b32 v14, v14, v17, s0 :: v_dual_mov_b32 v17, v16
	v_xor_b32_e32 v15, v7, v16
	s_delay_alu instid0(VALU_DEP_2) | instskip(NEXT) | instid1(VALU_DEP_1)
	v_xor_b32_e32 v14, v14, v16
	v_sub_nc_u64_e32 v[18:19], v[14:15], v[16:17]
                                        ; implicit-def: $vgpr16_vgpr17
.LBB64_40:
	s_and_not1_saveexec_b32 s0, s3
	s_cbranch_execz .LBB64_42
; %bb.41:
	v_cvt_f32_u32_e32 v7, v16
	v_dual_mov_b32 v19, 0 :: v_dual_sub_nc_u32 v14, 0, v16
	s_delay_alu instid0(VALU_DEP_2) | instskip(SKIP_1) | instid1(TRANS32_DEP_1)
	v_rcp_iflag_f32_e32 v7, v7
	v_nop
	v_mul_f32_e32 v7, 0x4f7ffffe, v7
	s_delay_alu instid0(VALU_DEP_1) | instskip(NEXT) | instid1(VALU_DEP_1)
	v_cvt_u32_f32_e32 v7, v7
	v_mul_lo_u32 v14, v14, v7
	s_delay_alu instid0(VALU_DEP_1) | instskip(NEXT) | instid1(VALU_DEP_1)
	v_mul_hi_u32 v14, v7, v14
	v_add_nc_u32_e32 v7, v7, v14
	s_delay_alu instid0(VALU_DEP_1) | instskip(NEXT) | instid1(VALU_DEP_1)
	v_mul_hi_u32 v7, v6, v7
	v_mul_lo_u32 v14, v7, v16
	s_delay_alu instid0(VALU_DEP_1) | instskip(NEXT) | instid1(VALU_DEP_1)
	v_dual_sub_nc_u32 v6, v6, v14 :: v_dual_add_nc_u32 v14, 1, v7
	v_sub_nc_u32_e32 v15, v6, v16
	v_cmp_ge_u32_e32 vcc_lo, v6, v16
	s_delay_alu instid0(VALU_DEP_2) | instskip(NEXT) | instid1(VALU_DEP_1)
	v_dual_cndmask_b32 v6, v6, v15 :: v_dual_cndmask_b32 v7, v7, v14
	v_cmp_ge_u32_e32 vcc_lo, v6, v16
	s_delay_alu instid0(VALU_DEP_2) | instskip(NEXT) | instid1(VALU_DEP_1)
	v_add_nc_u32_e32 v14, 1, v7
	v_cndmask_b32_e32 v18, v7, v14, vcc_lo
.LBB64_42:
	s_or_b32 exec_lo, exec_lo, s0
	s_delay_alu instid0(VALU_DEP_1) | instskip(NEXT) | instid1(VALU_DEP_1)
	v_mul_u64_e32 v[2:3], v[18:19], v[2:3]
	v_sub_nc_u64_e32 v[6:7], 0, v[2:3]
	s_delay_alu instid0(VALU_DEP_1)
	v_max_i64 v[14:15], v[2:3], v[6:7]
.LBB64_43:
	s_or_b32 exec_lo, exec_lo, s1
	v_sub_nc_u64_e32 v[2:3], 0, v[4:5]
	s_mov_b32 s1, exec_lo
	s_delay_alu instid0(VALU_DEP_1)
	v_max_i64 v[2:3], v[4:5], v[2:3]
	v_cmpx_ne_u64_e32 0, v[8:9]
	s_cbranch_execz .LBB64_51
; %bb.44:
	v_sub_nc_u64_e32 v[6:7], 0, v[8:9]
	s_mov_b32 s3, 0
	s_delay_alu instid0(VALU_DEP_1)
	v_max_i64 v[18:19], v[8:9], v[6:7]
	v_mov_b32_e32 v6, 0
	s_branch .LBB64_46
.LBB64_45:                              ;   in Loop: Header=BB64_46 Depth=1
	s_or_b32 exec_lo, exec_lo, s0
	s_delay_alu instid0(VALU_DEP_1) | instskip(SKIP_2) | instid1(SALU_CYCLE_1)
	v_cmp_eq_u64_e32 vcc_lo, 0, v[18:19]
	v_mov_b64_e32 v[2:3], v[16:17]
	s_or_b32 s3, vcc_lo, s3
	s_and_not1_b32 exec_lo, exec_lo, s3
	s_cbranch_execz .LBB64_50
.LBB64_46:                              ; =>This Inner Loop Header: Depth=1
	s_delay_alu instid0(VALU_DEP_2) | instskip(SKIP_1) | instid1(VALU_DEP_1)
	v_mov_b64_e32 v[16:17], v[18:19]
                                        ; implicit-def: $vgpr18_vgpr19
	s_mov_b32 s0, exec_lo
	v_or_b32_e32 v7, v3, v17
	s_delay_alu instid0(VALU_DEP_1)
	v_cmpx_ne_u64_e32 0, v[6:7]
	s_xor_b32 s13, exec_lo, s0
	s_cbranch_execz .LBB64_48
; %bb.47:                               ;   in Loop: Header=BB64_46 Depth=1
	s_delay_alu instid0(VALU_DEP_3) | instskip(SKIP_3) | instid1(VALU_DEP_3)
	v_cvt_f32_u32_e32 v7, v16
	v_cvt_f32_u32_e32 v18, v17
	v_sub_nc_u64_e32 v[20:21], 0, v[16:17]
	v_dual_mov_b32 v27, v6 :: v_dual_mov_b32 v29, v6
	v_fmac_f32_e32 v7, 0x4f800000, v18
	s_delay_alu instid0(VALU_DEP_1) | instskip(SKIP_1) | instid1(TRANS32_DEP_1)
	v_rcp_f32_e32 v7, v7
	v_nop
	v_mul_f32_e32 v7, 0x5f7ffffc, v7
	s_delay_alu instid0(VALU_DEP_1) | instskip(NEXT) | instid1(VALU_DEP_1)
	v_mul_f32_e32 v18, 0x2f800000, v7
	v_trunc_f32_e32 v19, v18
	s_delay_alu instid0(VALU_DEP_1) | instskip(SKIP_1) | instid1(VALU_DEP_2)
	v_cvt_u32_f32_e32 v23, v19
	v_fmac_f32_e32 v7, 0xcf800000, v19
	v_dual_mov_b32 v19, v6 :: v_dual_mov_b32 v28, v23
	s_delay_alu instid0(VALU_DEP_2) | instskip(NEXT) | instid1(VALU_DEP_1)
	v_cvt_u32_f32_e32 v18, v7
	v_mov_b32_e32 v22, v18
	s_delay_alu instid0(VALU_DEP_1) | instskip(NEXT) | instid1(VALU_DEP_1)
	v_mul_u64_e32 v[24:25], v[20:21], v[22:23]
	v_dual_mov_b32 v26, v25 :: v_dual_mov_b32 v25, v6
	s_delay_alu instid0(VALU_DEP_1) | instskip(NEXT) | instid1(VALU_DEP_2)
	v_mul_u64_e32 v[30:31], v[18:19], v[26:27]
	v_mul_u64_e32 v[32:33], v[28:29], v[24:25]
	;; [unrolled: 1-line block ×3, first 2 shown]
	v_mul_hi_u32 v24, v18, v24
	s_delay_alu instid0(VALU_DEP_1) | instskip(NEXT) | instid1(VALU_DEP_1)
	v_add_nc_u64_e32 v[24:25], v[24:25], v[30:31]
	v_add_co_u32 v7, vcc_lo, v24, v32
	s_delay_alu instid0(VALU_DEP_2) | instskip(SKIP_1) | instid1(VALU_DEP_1)
	v_add_co_ci_u32_e32 v28, vcc_lo, v25, v33, vcc_lo
	v_add_co_ci_u32_e32 v27, vcc_lo, 0, v27, vcc_lo
	v_add_nc_u64_e32 v[24:25], v[28:29], v[26:27]
	s_delay_alu instid0(VALU_DEP_1) | instskip(NEXT) | instid1(VALU_DEP_1)
	v_add_co_u32 v18, vcc_lo, v18, v24
	v_add_co_ci_u32_e64 v22, null, v23, v25, vcc_lo
	v_dual_mov_b32 v25, v6 :: v_dual_mov_b32 v23, v6
	s_delay_alu instid0(VALU_DEP_2) | instskip(NEXT) | instid1(VALU_DEP_1)
	v_mov_b32_e32 v19, v22
	v_mul_u64_e32 v[20:21], v[20:21], v[18:19]
	s_delay_alu instid0(VALU_DEP_1) | instskip(NEXT) | instid1(VALU_DEP_2)
	v_dual_mov_b32 v19, v6 :: v_dual_mov_b32 v24, v21
	v_dual_mov_b32 v28, v20 :: v_dual_mov_b32 v21, v6
	v_mul_hi_u32 v20, v18, v20
	s_delay_alu instid0(VALU_DEP_3) | instskip(NEXT) | instid1(VALU_DEP_3)
	v_mul_u64_e32 v[26:27], v[18:19], v[24:25]
	v_mul_u64_e32 v[28:29], v[22:23], v[28:29]
	;; [unrolled: 1-line block ×3, first 2 shown]
	s_delay_alu instid0(VALU_DEP_3) | instskip(SKIP_1) | instid1(VALU_DEP_2)
	v_add_nc_u64_e32 v[20:21], v[20:21], v[26:27]
	v_mov_b32_e32 v27, v6
	v_add_co_u32 v7, vcc_lo, v20, v28
	s_delay_alu instid0(VALU_DEP_3) | instskip(SKIP_1) | instid1(VALU_DEP_1)
	v_add_co_ci_u32_e32 v26, vcc_lo, v21, v29, vcc_lo
	v_add_co_ci_u32_e32 v25, vcc_lo, 0, v25, vcc_lo
	v_add_nc_u64_e32 v[20:21], v[26:27], v[24:25]
	v_dual_mov_b32 v24, v2 :: v_dual_mov_b32 v25, v6
	s_delay_alu instid0(VALU_DEP_2) | instskip(NEXT) | instid1(VALU_DEP_1)
	v_add_co_u32 v20, vcc_lo, v18, v20
	v_add_co_ci_u32_e64 v18, null, v22, v21, vcc_lo
	v_dual_mov_b32 v22, v3 :: v_dual_mov_b32 v21, v6
	s_delay_alu instid0(VALU_DEP_2) | instskip(NEXT) | instid1(VALU_DEP_2)
	v_mul_u64_e32 v[24:25], v[24:25], v[18:19]
	v_mul_u64_e32 v[18:19], v[22:23], v[18:19]
	s_delay_alu instid0(VALU_DEP_3) | instskip(SKIP_1) | instid1(VALU_DEP_1)
	v_mul_u64_e32 v[26:27], v[22:23], v[20:21]
	v_mul_hi_u32 v20, v2, v20
	v_add_nc_u64_e32 v[20:21], v[20:21], v[24:25]
	s_delay_alu instid0(VALU_DEP_1) | instskip(NEXT) | instid1(VALU_DEP_2)
	v_add_co_u32 v7, vcc_lo, v20, v26
	v_add_co_ci_u32_e32 v22, vcc_lo, v21, v27, vcc_lo
	v_add_co_ci_u32_e32 v19, vcc_lo, 0, v19, vcc_lo
	s_delay_alu instid0(VALU_DEP_1) | instskip(NEXT) | instid1(VALU_DEP_1)
	v_add_nc_u64_e32 v[18:19], v[22:23], v[18:19]
	v_mul_u64_e32 v[18:19], v[16:17], v[18:19]
	s_delay_alu instid0(VALU_DEP_1) | instskip(NEXT) | instid1(VALU_DEP_2)
	v_sub_nc_u32_e32 v7, v3, v19
	v_sub_co_u32 v2, vcc_lo, v2, v18
	s_delay_alu instid0(VALU_DEP_1) | instskip(NEXT) | instid1(VALU_DEP_3)
	v_sub_co_ci_u32_e64 v3, null, v3, v19, vcc_lo
	v_sub_co_ci_u32_e64 v7, null, v7, v17, vcc_lo
	s_delay_alu instid0(VALU_DEP_3) | instskip(SKIP_1) | instid1(VALU_DEP_3)
	v_sub_co_u32 v18, vcc_lo, v2, v16
	v_cmp_ge_u32_e64 s0, v2, v16
	v_subrev_co_ci_u32_e64 v19, null, 0, v7, vcc_lo
	v_sub_co_ci_u32_e64 v7, null, v7, v17, vcc_lo
	s_delay_alu instid0(VALU_DEP_3) | instskip(SKIP_2) | instid1(VALU_DEP_2)
	v_cndmask_b32_e64 v20, 0, -1, s0
	v_cmp_ge_u32_e64 s0, v18, v16
	v_cmp_ge_u32_e32 vcc_lo, v3, v17
	v_cndmask_b32_e64 v21, 0, -1, s0
	v_cmp_ge_u32_e64 s0, v19, v17
	v_cndmask_b32_e64 v23, 0, -1, vcc_lo
	v_cmp_eq_u32_e32 vcc_lo, v19, v17
	s_delay_alu instid0(VALU_DEP_3) | instskip(SKIP_1) | instid1(VALU_DEP_1)
	v_cndmask_b32_e64 v22, 0, -1, s0
	v_cmp_eq_u32_e64 s0, v3, v17
	v_dual_cndmask_b32 v21, v22, v21, vcc_lo :: v_dual_cndmask_b32 v20, v23, v20, s0
	v_sub_co_u32 v22, vcc_lo, v18, v16
	s_delay_alu instid0(VALU_DEP_1) | instskip(NEXT) | instid1(VALU_DEP_3)
	v_subrev_co_ci_u32_e64 v7, null, 0, v7, vcc_lo
	v_cmp_ne_u32_e32 vcc_lo, 0, v21
	s_delay_alu instid0(VALU_DEP_2) | instskip(SKIP_1) | instid1(VALU_DEP_2)
	v_dual_cndmask_b32 v7, v19, v7 :: v_dual_cndmask_b32 v18, v18, v22
	v_cmp_ne_u32_e32 vcc_lo, 0, v20
	v_dual_cndmask_b32 v19, v3, v7 :: v_dual_cndmask_b32 v18, v2, v18
                                        ; implicit-def: $vgpr2_vgpr3
.LBB64_48:                              ;   in Loop: Header=BB64_46 Depth=1
	s_and_not1_saveexec_b32 s0, s13
	s_cbranch_execz .LBB64_45
; %bb.49:                               ;   in Loop: Header=BB64_46 Depth=1
	v_cvt_f32_u32_e32 v3, v16
	v_dual_sub_nc_u32 v7, 0, v16 :: v_dual_mov_b32 v19, v6
	s_delay_alu instid0(VALU_DEP_2) | instskip(SKIP_1) | instid1(TRANS32_DEP_1)
	v_rcp_iflag_f32_e32 v3, v3
	v_nop
	v_mul_f32_e32 v3, 0x4f7ffffe, v3
	s_delay_alu instid0(VALU_DEP_1) | instskip(NEXT) | instid1(VALU_DEP_1)
	v_cvt_u32_f32_e32 v3, v3
	v_mul_lo_u32 v7, v7, v3
	s_delay_alu instid0(VALU_DEP_1) | instskip(NEXT) | instid1(VALU_DEP_1)
	v_mul_hi_u32 v7, v3, v7
	v_add_nc_u32_e32 v3, v3, v7
	s_delay_alu instid0(VALU_DEP_1) | instskip(NEXT) | instid1(VALU_DEP_1)
	v_mul_hi_u32 v3, v2, v3
	v_mul_lo_u32 v3, v3, v16
	s_delay_alu instid0(VALU_DEP_1) | instskip(NEXT) | instid1(VALU_DEP_1)
	v_sub_nc_u32_e32 v2, v2, v3
	v_sub_nc_u32_e32 v3, v2, v16
	v_cmp_ge_u32_e32 vcc_lo, v2, v16
	s_delay_alu instid0(VALU_DEP_2) | instskip(NEXT) | instid1(VALU_DEP_1)
	v_cndmask_b32_e32 v2, v2, v3, vcc_lo
	v_sub_nc_u32_e32 v3, v2, v16
	v_cmp_ge_u32_e32 vcc_lo, v2, v16
	s_delay_alu instid0(VALU_DEP_2)
	v_cndmask_b32_e32 v18, v2, v3, vcc_lo
	s_branch .LBB64_45
.LBB64_50:
	s_or_b32 exec_lo, exec_lo, s3
	v_mov_b64_e32 v[2:3], v[16:17]
.LBB64_51:
	s_or_b32 exec_lo, exec_lo, s1
	v_mov_b64_e32 v[16:17], 0
	s_mov_b32 s1, exec_lo
	s_delay_alu instid0(VALU_DEP_2)
	v_cmpx_ne_u64_e32 0, v[2:3]
	s_cbranch_execz .LBB64_57
; %bb.52:
	v_dual_mov_b32 v6, 0 :: v_dual_bitop2_b32 v7, v9, v3 bitop3:0x54
                                        ; implicit-def: $vgpr16_vgpr17
	s_mov_b32 s0, exec_lo
	s_delay_alu instid0(VALU_DEP_1)
	v_cmpx_ne_u64_e32 0, v[6:7]
	s_xor_b32 s3, exec_lo, s0
	s_cbranch_execz .LBB64_54
; %bb.53:
	v_dual_mov_b32 v19, v6 :: v_dual_ashrrev_i32 v16, 31, v3
	v_dual_mov_b32 v27, v6 :: v_dual_mov_b32 v29, v6
	s_delay_alu instid0(VALU_DEP_2) | instskip(NEXT) | instid1(VALU_DEP_1)
	v_mov_b32_e32 v17, v16
	v_add_nc_u64_e32 v[2:3], v[2:3], v[16:17]
	s_delay_alu instid0(VALU_DEP_1) | instskip(NEXT) | instid1(VALU_DEP_2)
	v_xor_b32_e32 v2, v2, v16
	v_xor_b32_e32 v3, v3, v16
	s_delay_alu instid0(VALU_DEP_2) | instskip(NEXT) | instid1(VALU_DEP_2)
	v_cvt_f32_u32_e32 v7, v2
	v_cvt_f32_u32_e32 v17, v3
	s_delay_alu instid0(VALU_DEP_1) | instskip(NEXT) | instid1(VALU_DEP_1)
	v_fmamk_f32 v7, v17, 0x4f800000, v7
	v_rcp_f32_e32 v7, v7
	v_nop
	s_delay_alu instid0(TRANS32_DEP_1) | instskip(NEXT) | instid1(VALU_DEP_1)
	v_mul_f32_e32 v7, 0x5f7ffffc, v7
	v_mul_f32_e32 v17, 0x2f800000, v7
	s_delay_alu instid0(VALU_DEP_1) | instskip(NEXT) | instid1(VALU_DEP_1)
	v_trunc_f32_e32 v17, v17
	v_fmamk_f32 v7, v17, 0xcf800000, v7
	v_cvt_u32_f32_e32 v23, v17
	s_delay_alu instid0(VALU_DEP_2) | instskip(NEXT) | instid1(VALU_DEP_1)
	v_cvt_u32_f32_e32 v18, v7
	v_dual_mov_b32 v28, v23 :: v_dual_mov_b32 v22, v18
	v_sub_nc_u64_e32 v[20:21], 0, v[2:3]
	s_delay_alu instid0(VALU_DEP_1) | instskip(NEXT) | instid1(VALU_DEP_1)
	v_mul_u64_e32 v[24:25], v[20:21], v[22:23]
	v_dual_mov_b32 v26, v25 :: v_dual_mov_b32 v25, v6
	s_delay_alu instid0(VALU_DEP_1) | instskip(NEXT) | instid1(VALU_DEP_2)
	v_mul_u64_e32 v[30:31], v[18:19], v[26:27]
	v_mul_u64_e32 v[32:33], v[28:29], v[24:25]
	;; [unrolled: 1-line block ×3, first 2 shown]
	v_mul_hi_u32 v24, v18, v24
	s_delay_alu instid0(VALU_DEP_1) | instskip(SKIP_1) | instid1(VALU_DEP_2)
	v_add_nc_u64_e32 v[24:25], v[24:25], v[30:31]
	v_ashrrev_i32_e32 v30, 31, v9
	v_add_co_u32 v7, vcc_lo, v24, v32
	s_delay_alu instid0(VALU_DEP_3) | instskip(SKIP_1) | instid1(VALU_DEP_1)
	v_add_co_ci_u32_e32 v28, vcc_lo, v25, v33, vcc_lo
	v_add_co_ci_u32_e32 v27, vcc_lo, 0, v27, vcc_lo
	v_add_nc_u64_e32 v[24:25], v[28:29], v[26:27]
	s_delay_alu instid0(VALU_DEP_1) | instskip(NEXT) | instid1(VALU_DEP_1)
	v_add_co_u32 v18, vcc_lo, v18, v24
	v_add_co_ci_u32_e64 v22, null, v23, v25, vcc_lo
	v_dual_mov_b32 v23, v6 :: v_dual_mov_b32 v25, v6
	s_delay_alu instid0(VALU_DEP_2) | instskip(NEXT) | instid1(VALU_DEP_1)
	v_mov_b32_e32 v19, v22
	v_mul_u64_e32 v[20:21], v[20:21], v[18:19]
	s_delay_alu instid0(VALU_DEP_1) | instskip(NEXT) | instid1(VALU_DEP_2)
	v_dual_mov_b32 v19, v6 :: v_dual_mov_b32 v24, v21
	v_dual_mov_b32 v28, v20 :: v_dual_mov_b32 v21, v6
	v_mul_hi_u32 v20, v18, v20
	s_delay_alu instid0(VALU_DEP_3) | instskip(NEXT) | instid1(VALU_DEP_3)
	v_mul_u64_e32 v[26:27], v[18:19], v[24:25]
	v_mul_u64_e32 v[28:29], v[22:23], v[28:29]
	;; [unrolled: 1-line block ×3, first 2 shown]
	s_delay_alu instid0(VALU_DEP_3) | instskip(SKIP_1) | instid1(VALU_DEP_2)
	v_add_nc_u64_e32 v[20:21], v[20:21], v[26:27]
	v_dual_mov_b32 v27, v6 :: v_dual_mov_b32 v31, v30
	v_add_co_u32 v7, vcc_lo, v20, v28
	s_delay_alu instid0(VALU_DEP_3) | instskip(SKIP_2) | instid1(VALU_DEP_2)
	v_add_co_ci_u32_e32 v26, vcc_lo, v21, v29, vcc_lo
	v_add_co_ci_u32_e32 v25, vcc_lo, 0, v25, vcc_lo
	v_mov_b32_e32 v7, v6
	v_add_nc_u64_e32 v[20:21], v[26:27], v[24:25]
	v_mov_b32_e32 v25, v6
	v_add_nc_u64_e32 v[8:9], v[8:9], v[30:31]
	s_delay_alu instid0(VALU_DEP_3) | instskip(NEXT) | instid1(VALU_DEP_2)
	v_add_co_u32 v20, vcc_lo, v18, v20
	v_xor_b32_e32 v24, v8, v30
	v_add_co_ci_u32_e64 v18, null, v22, v21, vcc_lo
	s_delay_alu instid0(VALU_DEP_4) | instskip(NEXT) | instid1(VALU_DEP_2)
	v_dual_mov_b32 v21, v6 :: v_dual_bitop2_b32 v22, v9, v30 bitop3:0x14
	v_mul_u64_e32 v[26:27], v[24:25], v[18:19]
	s_delay_alu instid0(VALU_DEP_2) | instskip(SKIP_2) | instid1(VALU_DEP_1)
	v_mul_u64_e32 v[8:9], v[22:23], v[20:21]
	v_mul_u64_e32 v[18:19], v[22:23], v[18:19]
	v_mul_hi_u32 v20, v24, v20
	v_add_nc_u64_e32 v[20:21], v[20:21], v[26:27]
	s_delay_alu instid0(VALU_DEP_1) | instskip(NEXT) | instid1(VALU_DEP_2)
	v_add_co_u32 v6, vcc_lo, v20, v8
	v_add_co_ci_u32_e32 v6, vcc_lo, v21, v9, vcc_lo
	v_add_co_ci_u32_e32 v19, vcc_lo, 0, v19, vcc_lo
	s_delay_alu instid0(VALU_DEP_1) | instskip(NEXT) | instid1(VALU_DEP_1)
	v_add_nc_u64_e32 v[6:7], v[6:7], v[18:19]
	v_mul_u64_e32 v[8:9], v[2:3], v[6:7]
	s_delay_alu instid0(VALU_DEP_1) | instskip(NEXT) | instid1(VALU_DEP_2)
	v_sub_nc_u32_e32 v17, v22, v9
	v_sub_co_u32 v8, vcc_lo, v24, v8
	s_delay_alu instid0(VALU_DEP_1) | instskip(NEXT) | instid1(VALU_DEP_3)
	v_sub_co_ci_u32_e64 v20, null, v22, v9, vcc_lo
	v_sub_co_ci_u32_e64 v17, null, v17, v3, vcc_lo
	s_delay_alu instid0(VALU_DEP_3) | instskip(NEXT) | instid1(VALU_DEP_1)
	v_sub_co_u32 v18, s0, v8, v2
	v_subrev_co_ci_u32_e64 v17, null, 0, v17, s0
	s_delay_alu instid0(VALU_DEP_2) | instskip(SKIP_1) | instid1(VALU_DEP_3)
	v_cmp_ge_u32_e32 vcc_lo, v18, v2
	v_cndmask_b32_e64 v9, 0, -1, vcc_lo
	v_cmp_ge_u32_e32 vcc_lo, v17, v3
	v_cndmask_b32_e64 v18, 0, -1, vcc_lo
	;; [unrolled: 2-line block ×4, first 2 shown]
	v_cmp_eq_u32_e32 vcc_lo, v17, v3
	v_cndmask_b32_e32 v17, v18, v9, vcc_lo
	v_cmp_eq_u32_e32 vcc_lo, v20, v3
	v_add_nc_u64_e32 v[8:9], 2, v[6:7]
	v_add_nc_u64_e32 v[18:19], 1, v[6:7]
	v_cndmask_b32_e32 v2, v21, v2, vcc_lo
	v_cmp_ne_u32_e32 vcc_lo, 0, v17
	s_delay_alu instid0(VALU_DEP_2) | instskip(NEXT) | instid1(VALU_DEP_4)
	v_cmp_ne_u32_e64 s0, 0, v2
	v_dual_cndmask_b32 v3, v19, v9 :: v_dual_cndmask_b32 v8, v18, v8
	s_delay_alu instid0(VALU_DEP_1) | instskip(NEXT) | instid1(VALU_DEP_2)
	v_dual_cndmask_b32 v7, v7, v3, s0 :: v_dual_bitop2_b32 v2, v30, v16 bitop3:0x14
	v_cndmask_b32_e64 v6, v6, v8, s0
	s_delay_alu instid0(VALU_DEP_2) | instskip(NEXT) | instid1(VALU_DEP_3)
	v_mov_b32_e32 v3, v2
                                        ; implicit-def: $vgpr8_vgpr9
	v_xor_b32_e32 v7, v7, v2
	s_delay_alu instid0(VALU_DEP_3) | instskip(NEXT) | instid1(VALU_DEP_1)
	v_xor_b32_e32 v6, v6, v2
	v_sub_nc_u64_e32 v[16:17], v[6:7], v[2:3]
                                        ; implicit-def: $vgpr2_vgpr3
.LBB64_54:
	s_and_not1_saveexec_b32 s0, s3
	s_cbranch_execz .LBB64_56
; %bb.55:
	v_cvt_f32_u32_e32 v3, v2
	v_dual_mov_b32 v17, 0 :: v_dual_sub_nc_u32 v6, 0, v2
	s_delay_alu instid0(VALU_DEP_2) | instskip(SKIP_1) | instid1(TRANS32_DEP_1)
	v_rcp_iflag_f32_e32 v3, v3
	v_nop
	v_mul_f32_e32 v3, 0x4f7ffffe, v3
	s_delay_alu instid0(VALU_DEP_1) | instskip(NEXT) | instid1(VALU_DEP_1)
	v_cvt_u32_f32_e32 v3, v3
	v_mul_lo_u32 v6, v6, v3
	s_delay_alu instid0(VALU_DEP_1) | instskip(NEXT) | instid1(VALU_DEP_1)
	v_mul_hi_u32 v6, v3, v6
	v_add_nc_u32_e32 v3, v3, v6
	s_delay_alu instid0(VALU_DEP_1) | instskip(NEXT) | instid1(VALU_DEP_1)
	v_mul_hi_u32 v3, v8, v3
	v_mul_lo_u32 v6, v3, v2
	s_delay_alu instid0(VALU_DEP_1) | instskip(NEXT) | instid1(VALU_DEP_1)
	v_dual_sub_nc_u32 v6, v8, v6 :: v_dual_add_nc_u32 v7, 1, v3
	v_sub_nc_u32_e32 v8, v6, v2
	v_cmp_ge_u32_e32 vcc_lo, v6, v2
	s_delay_alu instid0(VALU_DEP_2) | instskip(NEXT) | instid1(VALU_DEP_1)
	v_dual_cndmask_b32 v6, v6, v8 :: v_dual_cndmask_b32 v3, v3, v7
	v_cmp_ge_u32_e32 vcc_lo, v6, v2
	s_delay_alu instid0(VALU_DEP_2) | instskip(NEXT) | instid1(VALU_DEP_1)
	v_add_nc_u32_e32 v7, 1, v3
	v_cndmask_b32_e32 v16, v3, v7, vcc_lo
.LBB64_56:
	s_or_b32 exec_lo, exec_lo, s0
	s_delay_alu instid0(VALU_DEP_1) | instskip(NEXT) | instid1(VALU_DEP_1)
	v_mul_u64_e32 v[2:3], v[16:17], v[4:5]
	v_sub_nc_u64_e32 v[4:5], 0, v[2:3]
	s_delay_alu instid0(VALU_DEP_1)
	v_max_i64 v[16:17], v[2:3], v[4:5]
.LBB64_57:
	s_or_b32 exec_lo, exec_lo, s1
	s_add_nc_u64 s[10:11], s[4:5], s[10:11]
	s_mov_b32 s0, 0
	s_clause 0x1
	global_store_b128 v1, v[10:13], s[10:11]
	global_store_b128 v1, v[14:17], s[10:11] offset:16
.LBB64_58:
	s_and_b32 vcc_lo, exec_lo, s0
	s_cbranch_vccz .LBB64_139
; %bb.59:
	s_wait_xcnt 0x0
	v_mov_b64_e32 v[16:17], 0
	v_mov_b64_e32 v[18:19], 0
	;; [unrolled: 1-line block ×3, first 2 shown]
	v_cmp_gt_i32_e64 s0, s12, v0
	v_dual_mov_b32 v6, v0 :: v_dual_bitop2_b32 v1, s2, v0 bitop3:0x54
	v_or_b32_e32 v26, 0x100, v0
	s_and_saveexec_b32 s1, s0
	s_cbranch_execz .LBB64_61
; %bb.60:
	s_clause 0x1
	global_load_b64 v[18:19], v1, s[6:7] scale_offset
	global_load_b64 v[12:13], v1, s[8:9] scale_offset
	v_or_b32_e32 v6, 0x100, v0
.LBB64_61:
	s_wait_xcnt 0x0
	s_or_b32 exec_lo, exec_lo, s1
	v_mov_b64_e32 v[14:15], 0
	s_mov_b32 s1, exec_lo
	v_cmpx_gt_i32_e64 s12, v6
	s_cbranch_execz .LBB64_63
; %bb.62:
	v_add_nc_u32_e32 v2, s2, v6
	v_add_nc_u32_e32 v6, 0x100, v6
	s_clause 0x1
	global_load_b64 v[16:17], v2, s[6:7] scale_offset
	global_load_b64 v[14:15], v2, s[8:9] scale_offset
.LBB64_63:
	s_wait_xcnt 0x0
	s_or_b32 exec_lo, exec_lo, s1
	v_mov_b64_e32 v[4:5], 0
	v_mov_b64_e32 v[10:11], 0
	;; [unrolled: 1-line block ×3, first 2 shown]
	s_mov_b32 s1, exec_lo
	v_cmpx_gt_i32_e64 s12, v6
	s_cbranch_execz .LBB64_65
; %bb.64:
	v_add_nc_u32_e32 v2, s2, v6
	v_add_nc_u32_e32 v6, 0x100, v6
	s_clause 0x1
	global_load_b64 v[10:11], v2, s[6:7] scale_offset
	global_load_b64 v[8:9], v2, s[8:9] scale_offset
.LBB64_65:
	s_wait_xcnt 0x0
	s_or_b32 exec_lo, exec_lo, s1
	v_mov_b64_e32 v[2:3], 0
	s_mov_b32 s1, exec_lo
	v_cmpx_gt_i32_e64 s12, v6
	s_cbranch_execz .LBB64_67
; %bb.66:
	v_add_nc_u32_e32 v6, s2, v6
	s_clause 0x1
	global_load_b64 v[4:5], v6, s[6:7] scale_offset
	global_load_b64 v[2:3], v6, s[8:9] scale_offset
	s_wait_xcnt 0x0
	s_or_b32 exec_lo, exec_lo, s1
                                        ; implicit-def: $vgpr6_vgpr7
	s_and_saveexec_b32 s3, s0
	s_cbranch_execz .LBB64_83
	s_branch .LBB64_68
.LBB64_67:
	s_or_b32 exec_lo, exec_lo, s1
                                        ; implicit-def: $vgpr6_vgpr7
	s_and_saveexec_b32 s3, s0
	s_cbranch_execz .LBB64_83
.LBB64_68:
	s_wait_loadcnt 0x0
	v_sub_nc_u64_e32 v[6:7], 0, v[12:13]
	s_mov_b32 s6, exec_lo
	s_delay_alu instid0(VALU_DEP_1)
	v_max_i64 v[20:21], v[12:13], v[6:7]
	v_cmpx_ne_u64_e32 0, v[18:19]
	s_cbranch_execz .LBB64_76
; %bb.69:
	v_sub_nc_u64_e32 v[6:7], 0, v[18:19]
	s_mov_b32 s7, 0
	s_delay_alu instid0(VALU_DEP_1)
	v_max_i64 v[24:25], v[18:19], v[6:7]
	v_mov_b32_e32 v6, 0
	s_branch .LBB64_71
.LBB64_70:                              ;   in Loop: Header=BB64_71 Depth=1
	s_or_b32 exec_lo, exec_lo, s1
	s_delay_alu instid0(VALU_DEP_1) | instskip(SKIP_2) | instid1(SALU_CYCLE_1)
	v_cmp_eq_u64_e32 vcc_lo, 0, v[24:25]
	v_mov_b64_e32 v[20:21], v[22:23]
	s_or_b32 s7, vcc_lo, s7
	s_and_not1_b32 exec_lo, exec_lo, s7
	s_cbranch_execz .LBB64_75
.LBB64_71:                              ; =>This Inner Loop Header: Depth=1
	s_delay_alu instid0(VALU_DEP_2) | instskip(SKIP_1) | instid1(VALU_DEP_1)
	v_mov_b64_e32 v[22:23], v[24:25]
                                        ; implicit-def: $vgpr24_vgpr25
	s_mov_b32 s1, exec_lo
	v_or_b32_e32 v7, v21, v23
	s_delay_alu instid0(VALU_DEP_1)
	v_cmpx_ne_u64_e32 0, v[6:7]
	s_xor_b32 s8, exec_lo, s1
	s_cbranch_execz .LBB64_73
; %bb.72:                               ;   in Loop: Header=BB64_71 Depth=1
	s_delay_alu instid0(VALU_DEP_3) | instskip(SKIP_3) | instid1(VALU_DEP_3)
	v_cvt_f32_u32_e32 v7, v22
	v_cvt_f32_u32_e32 v24, v23
	v_sub_nc_u64_e32 v[28:29], 0, v[22:23]
	v_dual_mov_b32 v35, v6 :: v_dual_mov_b32 v37, v6
	v_fmac_f32_e32 v7, 0x4f800000, v24
	s_delay_alu instid0(VALU_DEP_1) | instskip(SKIP_1) | instid1(TRANS32_DEP_1)
	v_rcp_f32_e32 v7, v7
	v_nop
	v_mul_f32_e32 v7, 0x5f7ffffc, v7
	s_delay_alu instid0(VALU_DEP_1) | instskip(NEXT) | instid1(VALU_DEP_1)
	v_mul_f32_e32 v24, 0x2f800000, v7
	v_trunc_f32_e32 v25, v24
	s_delay_alu instid0(VALU_DEP_1) | instskip(SKIP_1) | instid1(VALU_DEP_2)
	v_cvt_u32_f32_e32 v31, v25
	v_fmac_f32_e32 v7, 0xcf800000, v25
	v_dual_mov_b32 v25, v6 :: v_dual_mov_b32 v36, v31
	s_delay_alu instid0(VALU_DEP_2) | instskip(NEXT) | instid1(VALU_DEP_1)
	v_cvt_u32_f32_e32 v24, v7
	v_mov_b32_e32 v30, v24
	s_delay_alu instid0(VALU_DEP_1) | instskip(NEXT) | instid1(VALU_DEP_1)
	v_mul_u64_e32 v[32:33], v[28:29], v[30:31]
	v_dual_mov_b32 v34, v33 :: v_dual_mov_b32 v33, v6
	s_delay_alu instid0(VALU_DEP_1) | instskip(NEXT) | instid1(VALU_DEP_2)
	v_mul_u64_e32 v[38:39], v[24:25], v[34:35]
	v_mul_u64_e32 v[40:41], v[36:37], v[32:33]
	;; [unrolled: 1-line block ×3, first 2 shown]
	v_mul_hi_u32 v32, v24, v32
	s_delay_alu instid0(VALU_DEP_1) | instskip(NEXT) | instid1(VALU_DEP_1)
	v_add_nc_u64_e32 v[32:33], v[32:33], v[38:39]
	v_add_co_u32 v7, vcc_lo, v32, v40
	s_delay_alu instid0(VALU_DEP_2) | instskip(SKIP_1) | instid1(VALU_DEP_1)
	v_add_co_ci_u32_e32 v36, vcc_lo, v33, v41, vcc_lo
	v_add_co_ci_u32_e32 v35, vcc_lo, 0, v35, vcc_lo
	v_add_nc_u64_e32 v[32:33], v[36:37], v[34:35]
	s_delay_alu instid0(VALU_DEP_1) | instskip(NEXT) | instid1(VALU_DEP_1)
	v_add_co_u32 v24, vcc_lo, v24, v32
	v_add_co_ci_u32_e64 v30, null, v31, v33, vcc_lo
	v_dual_mov_b32 v33, v6 :: v_dual_mov_b32 v31, v6
	s_delay_alu instid0(VALU_DEP_2) | instskip(NEXT) | instid1(VALU_DEP_1)
	v_mov_b32_e32 v25, v30
	v_mul_u64_e32 v[28:29], v[28:29], v[24:25]
	s_delay_alu instid0(VALU_DEP_1) | instskip(NEXT) | instid1(VALU_DEP_2)
	v_dual_mov_b32 v25, v6 :: v_dual_mov_b32 v32, v29
	v_dual_mov_b32 v36, v28 :: v_dual_mov_b32 v29, v6
	v_mul_hi_u32 v28, v24, v28
	s_delay_alu instid0(VALU_DEP_3) | instskip(NEXT) | instid1(VALU_DEP_3)
	v_mul_u64_e32 v[34:35], v[24:25], v[32:33]
	v_mul_u64_e32 v[36:37], v[30:31], v[36:37]
	;; [unrolled: 1-line block ×3, first 2 shown]
	s_delay_alu instid0(VALU_DEP_3) | instskip(SKIP_1) | instid1(VALU_DEP_2)
	v_add_nc_u64_e32 v[28:29], v[28:29], v[34:35]
	v_mov_b32_e32 v35, v6
	v_add_co_u32 v7, vcc_lo, v28, v36
	s_delay_alu instid0(VALU_DEP_3) | instskip(SKIP_1) | instid1(VALU_DEP_1)
	v_add_co_ci_u32_e32 v34, vcc_lo, v29, v37, vcc_lo
	v_add_co_ci_u32_e32 v33, vcc_lo, 0, v33, vcc_lo
	v_add_nc_u64_e32 v[28:29], v[34:35], v[32:33]
	v_dual_mov_b32 v32, v20 :: v_dual_mov_b32 v33, v6
	s_delay_alu instid0(VALU_DEP_2) | instskip(NEXT) | instid1(VALU_DEP_1)
	v_add_co_u32 v28, vcc_lo, v24, v28
	v_add_co_ci_u32_e64 v24, null, v30, v29, vcc_lo
	v_dual_mov_b32 v30, v21 :: v_dual_mov_b32 v29, v6
	s_delay_alu instid0(VALU_DEP_2) | instskip(NEXT) | instid1(VALU_DEP_2)
	v_mul_u64_e32 v[32:33], v[32:33], v[24:25]
	v_mul_u64_e32 v[24:25], v[30:31], v[24:25]
	s_delay_alu instid0(VALU_DEP_3) | instskip(SKIP_1) | instid1(VALU_DEP_1)
	v_mul_u64_e32 v[34:35], v[30:31], v[28:29]
	v_mul_hi_u32 v28, v20, v28
	v_add_nc_u64_e32 v[28:29], v[28:29], v[32:33]
	s_delay_alu instid0(VALU_DEP_1) | instskip(NEXT) | instid1(VALU_DEP_2)
	v_add_co_u32 v7, vcc_lo, v28, v34
	v_add_co_ci_u32_e32 v30, vcc_lo, v29, v35, vcc_lo
	v_add_co_ci_u32_e32 v25, vcc_lo, 0, v25, vcc_lo
	s_delay_alu instid0(VALU_DEP_1) | instskip(NEXT) | instid1(VALU_DEP_1)
	v_add_nc_u64_e32 v[24:25], v[30:31], v[24:25]
	v_mul_u64_e32 v[24:25], v[22:23], v[24:25]
	s_delay_alu instid0(VALU_DEP_1) | instskip(NEXT) | instid1(VALU_DEP_2)
	v_sub_nc_u32_e32 v7, v21, v25
	v_sub_co_u32 v20, vcc_lo, v20, v24
	s_delay_alu instid0(VALU_DEP_1) | instskip(NEXT) | instid1(VALU_DEP_3)
	v_sub_co_ci_u32_e64 v21, null, v21, v25, vcc_lo
	v_sub_co_ci_u32_e64 v7, null, v7, v23, vcc_lo
	s_delay_alu instid0(VALU_DEP_3) | instskip(SKIP_1) | instid1(VALU_DEP_3)
	v_sub_co_u32 v24, vcc_lo, v20, v22
	v_cmp_ge_u32_e64 s1, v20, v22
	v_subrev_co_ci_u32_e64 v25, null, 0, v7, vcc_lo
	v_sub_co_ci_u32_e64 v7, null, v7, v23, vcc_lo
	s_delay_alu instid0(VALU_DEP_3) | instskip(SKIP_2) | instid1(VALU_DEP_2)
	v_cndmask_b32_e64 v27, 0, -1, s1
	v_cmp_ge_u32_e64 s1, v24, v22
	v_cmp_ge_u32_e32 vcc_lo, v21, v23
	v_cndmask_b32_e64 v28, 0, -1, s1
	v_cmp_ge_u32_e64 s1, v25, v23
	v_cndmask_b32_e64 v30, 0, -1, vcc_lo
	v_cmp_eq_u32_e32 vcc_lo, v25, v23
	s_delay_alu instid0(VALU_DEP_3) | instskip(SKIP_1) | instid1(VALU_DEP_1)
	v_cndmask_b32_e64 v29, 0, -1, s1
	v_cmp_eq_u32_e64 s1, v21, v23
	v_dual_cndmask_b32 v28, v29, v28, vcc_lo :: v_dual_cndmask_b32 v27, v30, v27, s1
	v_sub_co_u32 v29, vcc_lo, v24, v22
	s_delay_alu instid0(VALU_DEP_1) | instskip(NEXT) | instid1(VALU_DEP_3)
	v_subrev_co_ci_u32_e64 v7, null, 0, v7, vcc_lo
	v_cmp_ne_u32_e32 vcc_lo, 0, v28
	s_delay_alu instid0(VALU_DEP_2) | instskip(SKIP_1) | instid1(VALU_DEP_2)
	v_dual_cndmask_b32 v7, v25, v7 :: v_dual_cndmask_b32 v24, v24, v29
	v_cmp_ne_u32_e32 vcc_lo, 0, v27
	v_dual_cndmask_b32 v25, v21, v7 :: v_dual_cndmask_b32 v24, v20, v24
                                        ; implicit-def: $vgpr20_vgpr21
.LBB64_73:                              ;   in Loop: Header=BB64_71 Depth=1
	s_and_not1_saveexec_b32 s1, s8
	s_cbranch_execz .LBB64_70
; %bb.74:                               ;   in Loop: Header=BB64_71 Depth=1
	v_cvt_f32_u32_e32 v7, v22
	v_dual_sub_nc_u32 v21, 0, v22 :: v_dual_mov_b32 v25, v6
	s_delay_alu instid0(VALU_DEP_2) | instskip(SKIP_1) | instid1(TRANS32_DEP_1)
	v_rcp_iflag_f32_e32 v7, v7
	v_nop
	v_mul_f32_e32 v7, 0x4f7ffffe, v7
	s_delay_alu instid0(VALU_DEP_1) | instskip(NEXT) | instid1(VALU_DEP_1)
	v_cvt_u32_f32_e32 v7, v7
	v_mul_lo_u32 v21, v21, v7
	s_delay_alu instid0(VALU_DEP_1) | instskip(NEXT) | instid1(VALU_DEP_1)
	v_mul_hi_u32 v21, v7, v21
	v_add_nc_u32_e32 v7, v7, v21
	s_delay_alu instid0(VALU_DEP_1) | instskip(NEXT) | instid1(VALU_DEP_1)
	v_mul_hi_u32 v7, v20, v7
	v_mul_lo_u32 v7, v7, v22
	s_delay_alu instid0(VALU_DEP_1) | instskip(NEXT) | instid1(VALU_DEP_1)
	v_sub_nc_u32_e32 v7, v20, v7
	v_sub_nc_u32_e32 v20, v7, v22
	v_cmp_ge_u32_e32 vcc_lo, v7, v22
	s_delay_alu instid0(VALU_DEP_2) | instskip(NEXT) | instid1(VALU_DEP_1)
	v_cndmask_b32_e32 v7, v7, v20, vcc_lo
	v_sub_nc_u32_e32 v20, v7, v22
	v_cmp_ge_u32_e32 vcc_lo, v7, v22
	s_delay_alu instid0(VALU_DEP_2)
	v_cndmask_b32_e32 v24, v7, v20, vcc_lo
	s_branch .LBB64_70
.LBB64_75:
	s_or_b32 exec_lo, exec_lo, s7
	v_mov_b64_e32 v[20:21], v[22:23]
.LBB64_76:
	s_or_b32 exec_lo, exec_lo, s6
	v_mov_b64_e32 v[6:7], 0
	s_mov_b32 s6, exec_lo
	s_delay_alu instid0(VALU_DEP_2)
	v_cmpx_ne_u64_e32 0, v[20:21]
	s_cbranch_execz .LBB64_82
; %bb.77:
	v_dual_mov_b32 v6, 0 :: v_dual_bitop2_b32 v7, v19, v21 bitop3:0x54
                                        ; implicit-def: $vgpr22_vgpr23
	s_mov_b32 s1, exec_lo
	s_delay_alu instid0(VALU_DEP_1)
	v_cmpx_ne_u64_e32 0, v[6:7]
	s_xor_b32 s7, exec_lo, s1
	s_cbranch_execz .LBB64_79
; %bb.78:
	v_dual_mov_b32 v25, v6 :: v_dual_ashrrev_i32 v22, 31, v21
	v_dual_mov_b32 v35, v6 :: v_dual_mov_b32 v37, v6
	s_delay_alu instid0(VALU_DEP_2) | instskip(NEXT) | instid1(VALU_DEP_1)
	v_mov_b32_e32 v23, v22
	v_add_nc_u64_e32 v[20:21], v[20:21], v[22:23]
	s_delay_alu instid0(VALU_DEP_1) | instskip(NEXT) | instid1(VALU_DEP_2)
	v_xor_b32_e32 v20, v20, v22
	v_xor_b32_e32 v21, v21, v22
	s_delay_alu instid0(VALU_DEP_2) | instskip(NEXT) | instid1(VALU_DEP_2)
	v_cvt_f32_u32_e32 v7, v20
	v_cvt_f32_u32_e32 v23, v21
	s_delay_alu instid0(VALU_DEP_1) | instskip(NEXT) | instid1(VALU_DEP_1)
	v_fmamk_f32 v7, v23, 0x4f800000, v7
	v_rcp_f32_e32 v7, v7
	v_nop
	s_delay_alu instid0(TRANS32_DEP_1) | instskip(NEXT) | instid1(VALU_DEP_1)
	v_mul_f32_e32 v7, 0x5f7ffffc, v7
	v_mul_f32_e32 v23, 0x2f800000, v7
	s_delay_alu instid0(VALU_DEP_1) | instskip(NEXT) | instid1(VALU_DEP_1)
	v_trunc_f32_e32 v23, v23
	v_fmamk_f32 v7, v23, 0xcf800000, v7
	v_cvt_u32_f32_e32 v31, v23
	s_delay_alu instid0(VALU_DEP_2) | instskip(NEXT) | instid1(VALU_DEP_1)
	v_cvt_u32_f32_e32 v24, v7
	v_dual_mov_b32 v36, v31 :: v_dual_mov_b32 v30, v24
	v_sub_nc_u64_e32 v[28:29], 0, v[20:21]
	s_delay_alu instid0(VALU_DEP_1) | instskip(NEXT) | instid1(VALU_DEP_1)
	v_mul_u64_e32 v[32:33], v[28:29], v[30:31]
	v_dual_mov_b32 v34, v33 :: v_dual_mov_b32 v33, v6
	s_delay_alu instid0(VALU_DEP_1) | instskip(NEXT) | instid1(VALU_DEP_2)
	v_mul_u64_e32 v[38:39], v[24:25], v[34:35]
	v_mul_u64_e32 v[40:41], v[36:37], v[32:33]
	;; [unrolled: 1-line block ×3, first 2 shown]
	v_mul_hi_u32 v32, v24, v32
	s_delay_alu instid0(VALU_DEP_1) | instskip(SKIP_1) | instid1(VALU_DEP_2)
	v_add_nc_u64_e32 v[32:33], v[32:33], v[38:39]
	v_ashrrev_i32_e32 v38, 31, v19
	v_add_co_u32 v7, vcc_lo, v32, v40
	s_delay_alu instid0(VALU_DEP_3) | instskip(SKIP_1) | instid1(VALU_DEP_1)
	v_add_co_ci_u32_e32 v36, vcc_lo, v33, v41, vcc_lo
	v_add_co_ci_u32_e32 v35, vcc_lo, 0, v35, vcc_lo
	v_add_nc_u64_e32 v[32:33], v[36:37], v[34:35]
	s_delay_alu instid0(VALU_DEP_1) | instskip(NEXT) | instid1(VALU_DEP_1)
	v_add_co_u32 v24, vcc_lo, v24, v32
	v_add_co_ci_u32_e64 v30, null, v31, v33, vcc_lo
	v_dual_mov_b32 v33, v6 :: v_dual_mov_b32 v31, v6
	s_delay_alu instid0(VALU_DEP_2) | instskip(NEXT) | instid1(VALU_DEP_1)
	v_mov_b32_e32 v25, v30
	v_mul_u64_e32 v[28:29], v[28:29], v[24:25]
	s_delay_alu instid0(VALU_DEP_1) | instskip(NEXT) | instid1(VALU_DEP_2)
	v_dual_mov_b32 v25, v6 :: v_dual_mov_b32 v32, v29
	v_dual_mov_b32 v36, v28 :: v_dual_mov_b32 v29, v6
	v_mul_hi_u32 v28, v24, v28
	s_delay_alu instid0(VALU_DEP_3) | instskip(NEXT) | instid1(VALU_DEP_3)
	v_mul_u64_e32 v[34:35], v[24:25], v[32:33]
	v_mul_u64_e32 v[36:37], v[30:31], v[36:37]
	;; [unrolled: 1-line block ×3, first 2 shown]
	s_delay_alu instid0(VALU_DEP_3) | instskip(SKIP_1) | instid1(VALU_DEP_2)
	v_add_nc_u64_e32 v[28:29], v[28:29], v[34:35]
	v_dual_mov_b32 v35, v6 :: v_dual_mov_b32 v39, v38
	v_add_co_u32 v7, vcc_lo, v28, v36
	s_delay_alu instid0(VALU_DEP_3) | instskip(SKIP_2) | instid1(VALU_DEP_2)
	v_add_co_ci_u32_e32 v34, vcc_lo, v29, v37, vcc_lo
	v_add_co_ci_u32_e32 v33, vcc_lo, 0, v33, vcc_lo
	v_mov_b32_e32 v7, v6
	v_add_nc_u64_e32 v[28:29], v[34:35], v[32:33]
	v_mov_b32_e32 v33, v6
	v_add_nc_u64_e32 v[18:19], v[18:19], v[38:39]
	s_delay_alu instid0(VALU_DEP_3) | instskip(NEXT) | instid1(VALU_DEP_2)
	v_add_co_u32 v28, vcc_lo, v24, v28
	v_xor_b32_e32 v32, v18, v38
	v_add_co_ci_u32_e64 v24, null, v30, v29, vcc_lo
	s_delay_alu instid0(VALU_DEP_4) | instskip(NEXT) | instid1(VALU_DEP_2)
	v_dual_mov_b32 v29, v6 :: v_dual_bitop2_b32 v30, v19, v38 bitop3:0x14
	v_mul_u64_e32 v[34:35], v[32:33], v[24:25]
	s_delay_alu instid0(VALU_DEP_2) | instskip(SKIP_2) | instid1(VALU_DEP_1)
	v_mul_u64_e32 v[18:19], v[30:31], v[28:29]
	v_mul_u64_e32 v[24:25], v[30:31], v[24:25]
	v_mul_hi_u32 v28, v32, v28
	v_add_nc_u64_e32 v[28:29], v[28:29], v[34:35]
	s_delay_alu instid0(VALU_DEP_1) | instskip(NEXT) | instid1(VALU_DEP_2)
	v_add_co_u32 v6, vcc_lo, v28, v18
	v_add_co_ci_u32_e32 v6, vcc_lo, v29, v19, vcc_lo
	v_add_co_ci_u32_e32 v25, vcc_lo, 0, v25, vcc_lo
	s_delay_alu instid0(VALU_DEP_1) | instskip(NEXT) | instid1(VALU_DEP_1)
	v_add_nc_u64_e32 v[6:7], v[6:7], v[24:25]
	v_mul_u64_e32 v[18:19], v[20:21], v[6:7]
	s_delay_alu instid0(VALU_DEP_1) | instskip(NEXT) | instid1(VALU_DEP_2)
	v_sub_nc_u32_e32 v23, v30, v19
	v_sub_co_u32 v18, vcc_lo, v32, v18
	s_delay_alu instid0(VALU_DEP_1) | instskip(NEXT) | instid1(VALU_DEP_3)
	v_sub_co_ci_u32_e64 v27, null, v30, v19, vcc_lo
	v_sub_co_ci_u32_e64 v23, null, v23, v21, vcc_lo
	s_delay_alu instid0(VALU_DEP_3) | instskip(NEXT) | instid1(VALU_DEP_1)
	v_sub_co_u32 v24, s1, v18, v20
	v_subrev_co_ci_u32_e64 v23, null, 0, v23, s1
	s_delay_alu instid0(VALU_DEP_2) | instskip(SKIP_1) | instid1(VALU_DEP_3)
	v_cmp_ge_u32_e32 vcc_lo, v24, v20
	v_cndmask_b32_e64 v19, 0, -1, vcc_lo
	v_cmp_ge_u32_e32 vcc_lo, v23, v21
	v_cndmask_b32_e64 v24, 0, -1, vcc_lo
	;; [unrolled: 2-line block ×4, first 2 shown]
	v_cmp_eq_u32_e32 vcc_lo, v23, v21
	v_cndmask_b32_e32 v23, v24, v19, vcc_lo
	v_cmp_eq_u32_e32 vcc_lo, v27, v21
	v_add_nc_u64_e32 v[18:19], 2, v[6:7]
	v_add_nc_u64_e32 v[24:25], 1, v[6:7]
	v_cndmask_b32_e32 v20, v28, v20, vcc_lo
	v_cmp_ne_u32_e32 vcc_lo, 0, v23
	s_delay_alu instid0(VALU_DEP_2) | instskip(NEXT) | instid1(VALU_DEP_4)
	v_cmp_ne_u32_e64 s1, 0, v20
	v_dual_cndmask_b32 v19, v25, v19 :: v_dual_cndmask_b32 v20, v24, v18
	s_delay_alu instid0(VALU_DEP_1) | instskip(NEXT) | instid1(VALU_DEP_2)
	v_dual_cndmask_b32 v7, v7, v19, s1 :: v_dual_bitop2_b32 v18, v38, v22 bitop3:0x14
	v_cndmask_b32_e64 v6, v6, v20, s1
	s_delay_alu instid0(VALU_DEP_2) | instskip(NEXT) | instid1(VALU_DEP_3)
	v_mov_b32_e32 v19, v18
                                        ; implicit-def: $vgpr20_vgpr21
	v_xor_b32_e32 v7, v7, v18
	s_delay_alu instid0(VALU_DEP_3) | instskip(NEXT) | instid1(VALU_DEP_1)
	v_xor_b32_e32 v6, v6, v18
	v_sub_nc_u64_e32 v[22:23], v[6:7], v[18:19]
                                        ; implicit-def: $vgpr18_vgpr19
.LBB64_79:
	s_and_not1_saveexec_b32 s1, s7
	s_cbranch_execz .LBB64_81
; %bb.80:
	v_cvt_f32_u32_e32 v6, v20
	v_dual_sub_nc_u32 v7, 0, v20 :: v_dual_mov_b32 v23, 0
	s_delay_alu instid0(VALU_DEP_2) | instskip(SKIP_1) | instid1(TRANS32_DEP_1)
	v_rcp_iflag_f32_e32 v6, v6
	v_nop
	v_mul_f32_e32 v6, 0x4f7ffffe, v6
	s_delay_alu instid0(VALU_DEP_1) | instskip(NEXT) | instid1(VALU_DEP_1)
	v_cvt_u32_f32_e32 v6, v6
	v_mul_lo_u32 v7, v7, v6
	s_delay_alu instid0(VALU_DEP_1) | instskip(NEXT) | instid1(VALU_DEP_1)
	v_mul_hi_u32 v7, v6, v7
	v_add_nc_u32_e32 v6, v6, v7
	s_delay_alu instid0(VALU_DEP_1) | instskip(NEXT) | instid1(VALU_DEP_1)
	v_mul_hi_u32 v6, v18, v6
	v_mul_lo_u32 v7, v6, v20
	s_delay_alu instid0(VALU_DEP_1) | instskip(NEXT) | instid1(VALU_DEP_1)
	v_dual_sub_nc_u32 v7, v18, v7 :: v_dual_add_nc_u32 v18, 1, v6
	v_sub_nc_u32_e32 v19, v7, v20
	v_cmp_ge_u32_e32 vcc_lo, v7, v20
	s_delay_alu instid0(VALU_DEP_2) | instskip(NEXT) | instid1(VALU_DEP_1)
	v_dual_cndmask_b32 v7, v7, v19 :: v_dual_cndmask_b32 v6, v6, v18
	v_cmp_ge_u32_e32 vcc_lo, v7, v20
	s_delay_alu instid0(VALU_DEP_2) | instskip(NEXT) | instid1(VALU_DEP_1)
	v_add_nc_u32_e32 v18, 1, v6
	v_cndmask_b32_e32 v22, v6, v18, vcc_lo
.LBB64_81:
	s_or_b32 exec_lo, exec_lo, s1
	s_delay_alu instid0(VALU_DEP_1) | instskip(NEXT) | instid1(VALU_DEP_1)
	v_mul_u64_e32 v[6:7], v[22:23], v[12:13]
	v_sub_nc_u64_e32 v[12:13], 0, v[6:7]
	s_delay_alu instid0(VALU_DEP_1)
	v_max_i64 v[6:7], v[6:7], v[12:13]
.LBB64_82:
	s_or_b32 exec_lo, exec_lo, s6
.LBB64_83:
	s_delay_alu instid0(SALU_CYCLE_1) | instskip(NEXT) | instid1(SALU_CYCLE_1)
	s_or_b32 exec_lo, exec_lo, s3
	s_mov_b32 s3, exec_lo
                                        ; implicit-def: $vgpr12_vgpr13
	v_cmpx_gt_i32_e64 s12, v26
	s_cbranch_execz .LBB64_99
; %bb.84:
	s_wait_loadcnt 0x0
	v_sub_nc_u64_e32 v[12:13], 0, v[14:15]
	s_mov_b32 s6, exec_lo
	s_delay_alu instid0(VALU_DEP_1)
	v_max_i64 v[18:19], v[14:15], v[12:13]
	v_cmpx_ne_u64_e32 0, v[16:17]
	s_cbranch_execz .LBB64_92
; %bb.85:
	v_sub_nc_u64_e32 v[12:13], 0, v[16:17]
	s_mov_b32 s7, 0
	s_delay_alu instid0(VALU_DEP_1)
	v_max_i64 v[22:23], v[16:17], v[12:13]
	v_mov_b32_e32 v12, 0
	s_branch .LBB64_87
.LBB64_86:                              ;   in Loop: Header=BB64_87 Depth=1
	s_or_b32 exec_lo, exec_lo, s1
	s_delay_alu instid0(VALU_DEP_1) | instskip(SKIP_2) | instid1(SALU_CYCLE_1)
	v_cmp_eq_u64_e32 vcc_lo, 0, v[22:23]
	v_mov_b64_e32 v[18:19], v[20:21]
	s_or_b32 s7, vcc_lo, s7
	s_and_not1_b32 exec_lo, exec_lo, s7
	s_cbranch_execz .LBB64_91
.LBB64_87:                              ; =>This Inner Loop Header: Depth=1
	s_delay_alu instid0(VALU_DEP_2) | instskip(SKIP_1) | instid1(VALU_DEP_1)
	v_mov_b64_e32 v[20:21], v[22:23]
                                        ; implicit-def: $vgpr22_vgpr23
	s_mov_b32 s1, exec_lo
	v_or_b32_e32 v13, v19, v21
	s_delay_alu instid0(VALU_DEP_1)
	v_cmpx_ne_u64_e32 0, v[12:13]
	s_xor_b32 s8, exec_lo, s1
	s_cbranch_execz .LBB64_89
; %bb.88:                               ;   in Loop: Header=BB64_87 Depth=1
	s_delay_alu instid0(VALU_DEP_3) | instskip(SKIP_3) | instid1(VALU_DEP_3)
	v_cvt_f32_u32_e32 v13, v20
	v_cvt_f32_u32_e32 v22, v21
	v_sub_nc_u64_e32 v[24:25], 0, v[20:21]
	v_dual_mov_b32 v33, v12 :: v_dual_mov_b32 v35, v12
	v_fmac_f32_e32 v13, 0x4f800000, v22
	s_delay_alu instid0(VALU_DEP_1) | instskip(SKIP_1) | instid1(TRANS32_DEP_1)
	v_rcp_f32_e32 v13, v13
	v_nop
	v_mul_f32_e32 v13, 0x5f7ffffc, v13
	s_delay_alu instid0(VALU_DEP_1) | instskip(NEXT) | instid1(VALU_DEP_1)
	v_mul_f32_e32 v22, 0x2f800000, v13
	v_trunc_f32_e32 v23, v22
	s_delay_alu instid0(VALU_DEP_1) | instskip(SKIP_1) | instid1(VALU_DEP_2)
	v_cvt_u32_f32_e32 v29, v23
	v_fmac_f32_e32 v13, 0xcf800000, v23
	v_dual_mov_b32 v23, v12 :: v_dual_mov_b32 v34, v29
	s_delay_alu instid0(VALU_DEP_2) | instskip(NEXT) | instid1(VALU_DEP_1)
	v_cvt_u32_f32_e32 v22, v13
	v_mov_b32_e32 v28, v22
	s_delay_alu instid0(VALU_DEP_1) | instskip(NEXT) | instid1(VALU_DEP_1)
	v_mul_u64_e32 v[30:31], v[24:25], v[28:29]
	v_dual_mov_b32 v32, v31 :: v_dual_mov_b32 v31, v12
	s_delay_alu instid0(VALU_DEP_1) | instskip(NEXT) | instid1(VALU_DEP_2)
	v_mul_u64_e32 v[36:37], v[22:23], v[32:33]
	v_mul_u64_e32 v[38:39], v[34:35], v[30:31]
	;; [unrolled: 1-line block ×3, first 2 shown]
	v_mul_hi_u32 v30, v22, v30
	s_delay_alu instid0(VALU_DEP_1) | instskip(NEXT) | instid1(VALU_DEP_1)
	v_add_nc_u64_e32 v[30:31], v[30:31], v[36:37]
	v_add_co_u32 v13, vcc_lo, v30, v38
	s_delay_alu instid0(VALU_DEP_2) | instskip(SKIP_1) | instid1(VALU_DEP_1)
	v_add_co_ci_u32_e32 v34, vcc_lo, v31, v39, vcc_lo
	v_add_co_ci_u32_e32 v33, vcc_lo, 0, v33, vcc_lo
	v_add_nc_u64_e32 v[30:31], v[34:35], v[32:33]
	s_delay_alu instid0(VALU_DEP_1) | instskip(NEXT) | instid1(VALU_DEP_1)
	v_add_co_u32 v22, vcc_lo, v22, v30
	v_add_co_ci_u32_e64 v28, null, v29, v31, vcc_lo
	v_dual_mov_b32 v31, v12 :: v_dual_mov_b32 v29, v12
	s_delay_alu instid0(VALU_DEP_2) | instskip(NEXT) | instid1(VALU_DEP_1)
	v_mov_b32_e32 v23, v28
	v_mul_u64_e32 v[24:25], v[24:25], v[22:23]
	s_delay_alu instid0(VALU_DEP_1) | instskip(NEXT) | instid1(VALU_DEP_2)
	v_dual_mov_b32 v23, v12 :: v_dual_mov_b32 v30, v25
	v_dual_mov_b32 v34, v24 :: v_dual_mov_b32 v25, v12
	v_mul_hi_u32 v24, v22, v24
	s_delay_alu instid0(VALU_DEP_3) | instskip(NEXT) | instid1(VALU_DEP_3)
	v_mul_u64_e32 v[32:33], v[22:23], v[30:31]
	v_mul_u64_e32 v[34:35], v[28:29], v[34:35]
	;; [unrolled: 1-line block ×3, first 2 shown]
	s_delay_alu instid0(VALU_DEP_3) | instskip(SKIP_1) | instid1(VALU_DEP_2)
	v_add_nc_u64_e32 v[24:25], v[24:25], v[32:33]
	v_mov_b32_e32 v33, v12
	v_add_co_u32 v13, vcc_lo, v24, v34
	s_delay_alu instid0(VALU_DEP_3) | instskip(SKIP_1) | instid1(VALU_DEP_1)
	v_add_co_ci_u32_e32 v32, vcc_lo, v25, v35, vcc_lo
	v_add_co_ci_u32_e32 v31, vcc_lo, 0, v31, vcc_lo
	v_add_nc_u64_e32 v[24:25], v[32:33], v[30:31]
	v_dual_mov_b32 v30, v18 :: v_dual_mov_b32 v31, v12
	s_delay_alu instid0(VALU_DEP_2) | instskip(NEXT) | instid1(VALU_DEP_1)
	v_add_co_u32 v24, vcc_lo, v22, v24
	v_add_co_ci_u32_e64 v22, null, v28, v25, vcc_lo
	v_dual_mov_b32 v28, v19 :: v_dual_mov_b32 v25, v12
	s_delay_alu instid0(VALU_DEP_2) | instskip(NEXT) | instid1(VALU_DEP_2)
	v_mul_u64_e32 v[30:31], v[30:31], v[22:23]
	v_mul_u64_e32 v[22:23], v[28:29], v[22:23]
	s_delay_alu instid0(VALU_DEP_3) | instskip(SKIP_1) | instid1(VALU_DEP_1)
	v_mul_u64_e32 v[32:33], v[28:29], v[24:25]
	v_mul_hi_u32 v24, v18, v24
	v_add_nc_u64_e32 v[24:25], v[24:25], v[30:31]
	s_delay_alu instid0(VALU_DEP_1) | instskip(NEXT) | instid1(VALU_DEP_2)
	v_add_co_u32 v13, vcc_lo, v24, v32
	v_add_co_ci_u32_e32 v28, vcc_lo, v25, v33, vcc_lo
	v_add_co_ci_u32_e32 v23, vcc_lo, 0, v23, vcc_lo
	s_delay_alu instid0(VALU_DEP_1) | instskip(NEXT) | instid1(VALU_DEP_1)
	v_add_nc_u64_e32 v[22:23], v[28:29], v[22:23]
	v_mul_u64_e32 v[22:23], v[20:21], v[22:23]
	s_delay_alu instid0(VALU_DEP_1) | instskip(NEXT) | instid1(VALU_DEP_2)
	v_sub_nc_u32_e32 v13, v19, v23
	v_sub_co_u32 v18, vcc_lo, v18, v22
	s_delay_alu instid0(VALU_DEP_1) | instskip(NEXT) | instid1(VALU_DEP_3)
	v_sub_co_ci_u32_e64 v19, null, v19, v23, vcc_lo
	v_sub_co_ci_u32_e64 v13, null, v13, v21, vcc_lo
	s_delay_alu instid0(VALU_DEP_3) | instskip(SKIP_1) | instid1(VALU_DEP_3)
	v_sub_co_u32 v22, vcc_lo, v18, v20
	v_cmp_ge_u32_e64 s1, v18, v20
	v_subrev_co_ci_u32_e64 v23, null, 0, v13, vcc_lo
	v_sub_co_ci_u32_e64 v13, null, v13, v21, vcc_lo
	s_delay_alu instid0(VALU_DEP_3) | instskip(SKIP_2) | instid1(VALU_DEP_2)
	v_cndmask_b32_e64 v24, 0, -1, s1
	v_cmp_ge_u32_e64 s1, v22, v20
	v_cmp_ge_u32_e32 vcc_lo, v19, v21
	v_cndmask_b32_e64 v25, 0, -1, s1
	v_cmp_ge_u32_e64 s1, v23, v21
	v_cndmask_b32_e64 v28, 0, -1, vcc_lo
	v_cmp_eq_u32_e32 vcc_lo, v23, v21
	s_delay_alu instid0(VALU_DEP_3) | instskip(SKIP_1) | instid1(VALU_DEP_1)
	v_cndmask_b32_e64 v27, 0, -1, s1
	v_cmp_eq_u32_e64 s1, v19, v21
	v_dual_cndmask_b32 v25, v27, v25, vcc_lo :: v_dual_cndmask_b32 v24, v28, v24, s1
	v_sub_co_u32 v27, vcc_lo, v22, v20
	s_delay_alu instid0(VALU_DEP_1) | instskip(NEXT) | instid1(VALU_DEP_3)
	v_subrev_co_ci_u32_e64 v13, null, 0, v13, vcc_lo
	v_cmp_ne_u32_e32 vcc_lo, 0, v25
	s_delay_alu instid0(VALU_DEP_2) | instskip(SKIP_1) | instid1(VALU_DEP_2)
	v_dual_cndmask_b32 v13, v23, v13 :: v_dual_cndmask_b32 v22, v22, v27
	v_cmp_ne_u32_e32 vcc_lo, 0, v24
	v_dual_cndmask_b32 v23, v19, v13 :: v_dual_cndmask_b32 v22, v18, v22
                                        ; implicit-def: $vgpr18_vgpr19
.LBB64_89:                              ;   in Loop: Header=BB64_87 Depth=1
	s_and_not1_saveexec_b32 s1, s8
	s_cbranch_execz .LBB64_86
; %bb.90:                               ;   in Loop: Header=BB64_87 Depth=1
	v_cvt_f32_u32_e32 v13, v20
	v_dual_sub_nc_u32 v19, 0, v20 :: v_dual_mov_b32 v23, v12
	s_delay_alu instid0(VALU_DEP_2) | instskip(SKIP_1) | instid1(TRANS32_DEP_1)
	v_rcp_iflag_f32_e32 v13, v13
	v_nop
	v_mul_f32_e32 v13, 0x4f7ffffe, v13
	s_delay_alu instid0(VALU_DEP_1) | instskip(NEXT) | instid1(VALU_DEP_1)
	v_cvt_u32_f32_e32 v13, v13
	v_mul_lo_u32 v19, v19, v13
	s_delay_alu instid0(VALU_DEP_1) | instskip(NEXT) | instid1(VALU_DEP_1)
	v_mul_hi_u32 v19, v13, v19
	v_add_nc_u32_e32 v13, v13, v19
	s_delay_alu instid0(VALU_DEP_1) | instskip(NEXT) | instid1(VALU_DEP_1)
	v_mul_hi_u32 v13, v18, v13
	v_mul_lo_u32 v13, v13, v20
	s_delay_alu instid0(VALU_DEP_1) | instskip(NEXT) | instid1(VALU_DEP_1)
	v_sub_nc_u32_e32 v13, v18, v13
	v_sub_nc_u32_e32 v18, v13, v20
	v_cmp_ge_u32_e32 vcc_lo, v13, v20
	s_delay_alu instid0(VALU_DEP_2) | instskip(NEXT) | instid1(VALU_DEP_1)
	v_cndmask_b32_e32 v13, v13, v18, vcc_lo
	v_sub_nc_u32_e32 v18, v13, v20
	v_cmp_ge_u32_e32 vcc_lo, v13, v20
	s_delay_alu instid0(VALU_DEP_2)
	v_cndmask_b32_e32 v22, v13, v18, vcc_lo
	s_branch .LBB64_86
.LBB64_91:
	s_or_b32 exec_lo, exec_lo, s7
	v_mov_b64_e32 v[18:19], v[20:21]
.LBB64_92:
	s_or_b32 exec_lo, exec_lo, s6
	v_mov_b64_e32 v[12:13], 0
	s_mov_b32 s6, exec_lo
	s_delay_alu instid0(VALU_DEP_2)
	v_cmpx_ne_u64_e32 0, v[18:19]
	s_cbranch_execz .LBB64_98
; %bb.93:
	v_dual_mov_b32 v12, 0 :: v_dual_bitop2_b32 v13, v17, v19 bitop3:0x54
                                        ; implicit-def: $vgpr20_vgpr21
	s_mov_b32 s1, exec_lo
	s_delay_alu instid0(VALU_DEP_1)
	v_cmpx_ne_u64_e32 0, v[12:13]
	s_xor_b32 s7, exec_lo, s1
	s_cbranch_execz .LBB64_95
; %bb.94:
	v_dual_mov_b32 v23, v12 :: v_dual_ashrrev_i32 v20, 31, v19
	v_dual_mov_b32 v33, v12 :: v_dual_mov_b32 v35, v12
	s_delay_alu instid0(VALU_DEP_2) | instskip(NEXT) | instid1(VALU_DEP_1)
	v_mov_b32_e32 v21, v20
	v_add_nc_u64_e32 v[18:19], v[18:19], v[20:21]
	s_delay_alu instid0(VALU_DEP_1) | instskip(NEXT) | instid1(VALU_DEP_2)
	v_xor_b32_e32 v18, v18, v20
	v_xor_b32_e32 v19, v19, v20
	s_delay_alu instid0(VALU_DEP_2) | instskip(NEXT) | instid1(VALU_DEP_2)
	v_cvt_f32_u32_e32 v13, v18
	v_cvt_f32_u32_e32 v21, v19
	s_delay_alu instid0(VALU_DEP_1) | instskip(NEXT) | instid1(VALU_DEP_1)
	v_fmamk_f32 v13, v21, 0x4f800000, v13
	v_rcp_f32_e32 v13, v13
	v_nop
	s_delay_alu instid0(TRANS32_DEP_1) | instskip(NEXT) | instid1(VALU_DEP_1)
	v_mul_f32_e32 v13, 0x5f7ffffc, v13
	v_mul_f32_e32 v21, 0x2f800000, v13
	s_delay_alu instid0(VALU_DEP_1) | instskip(NEXT) | instid1(VALU_DEP_1)
	v_trunc_f32_e32 v21, v21
	v_fmamk_f32 v13, v21, 0xcf800000, v13
	v_cvt_u32_f32_e32 v29, v21
	s_delay_alu instid0(VALU_DEP_2) | instskip(NEXT) | instid1(VALU_DEP_1)
	v_cvt_u32_f32_e32 v22, v13
	v_dual_mov_b32 v34, v29 :: v_dual_mov_b32 v28, v22
	v_sub_nc_u64_e32 v[24:25], 0, v[18:19]
	s_delay_alu instid0(VALU_DEP_1) | instskip(NEXT) | instid1(VALU_DEP_1)
	v_mul_u64_e32 v[30:31], v[24:25], v[28:29]
	v_dual_mov_b32 v32, v31 :: v_dual_mov_b32 v31, v12
	s_delay_alu instid0(VALU_DEP_1) | instskip(NEXT) | instid1(VALU_DEP_2)
	v_mul_u64_e32 v[36:37], v[22:23], v[32:33]
	v_mul_u64_e32 v[38:39], v[34:35], v[30:31]
	;; [unrolled: 1-line block ×3, first 2 shown]
	v_mul_hi_u32 v30, v22, v30
	s_delay_alu instid0(VALU_DEP_1) | instskip(SKIP_1) | instid1(VALU_DEP_2)
	v_add_nc_u64_e32 v[30:31], v[30:31], v[36:37]
	v_ashrrev_i32_e32 v36, 31, v17
	v_add_co_u32 v13, vcc_lo, v30, v38
	s_delay_alu instid0(VALU_DEP_3) | instskip(SKIP_1) | instid1(VALU_DEP_1)
	v_add_co_ci_u32_e32 v34, vcc_lo, v31, v39, vcc_lo
	v_add_co_ci_u32_e32 v33, vcc_lo, 0, v33, vcc_lo
	v_add_nc_u64_e32 v[30:31], v[34:35], v[32:33]
	s_delay_alu instid0(VALU_DEP_1) | instskip(NEXT) | instid1(VALU_DEP_1)
	v_add_co_u32 v22, vcc_lo, v22, v30
	v_add_co_ci_u32_e64 v28, null, v29, v31, vcc_lo
	v_dual_mov_b32 v29, v12 :: v_dual_mov_b32 v31, v12
	s_delay_alu instid0(VALU_DEP_2) | instskip(NEXT) | instid1(VALU_DEP_1)
	v_mov_b32_e32 v23, v28
	v_mul_u64_e32 v[24:25], v[24:25], v[22:23]
	s_delay_alu instid0(VALU_DEP_1) | instskip(NEXT) | instid1(VALU_DEP_2)
	v_dual_mov_b32 v23, v12 :: v_dual_mov_b32 v30, v25
	v_dual_mov_b32 v34, v24 :: v_dual_mov_b32 v25, v12
	v_mul_hi_u32 v24, v22, v24
	s_delay_alu instid0(VALU_DEP_3) | instskip(NEXT) | instid1(VALU_DEP_3)
	v_mul_u64_e32 v[32:33], v[22:23], v[30:31]
	v_mul_u64_e32 v[34:35], v[28:29], v[34:35]
	;; [unrolled: 1-line block ×3, first 2 shown]
	s_delay_alu instid0(VALU_DEP_3) | instskip(SKIP_1) | instid1(VALU_DEP_2)
	v_add_nc_u64_e32 v[24:25], v[24:25], v[32:33]
	v_dual_mov_b32 v33, v12 :: v_dual_mov_b32 v37, v36
	v_add_co_u32 v13, vcc_lo, v24, v34
	s_delay_alu instid0(VALU_DEP_3) | instskip(SKIP_2) | instid1(VALU_DEP_2)
	v_add_co_ci_u32_e32 v32, vcc_lo, v25, v35, vcc_lo
	v_add_co_ci_u32_e32 v31, vcc_lo, 0, v31, vcc_lo
	v_mov_b32_e32 v13, v12
	v_add_nc_u64_e32 v[24:25], v[32:33], v[30:31]
	v_mov_b32_e32 v31, v12
	v_add_nc_u64_e32 v[16:17], v[16:17], v[36:37]
	s_delay_alu instid0(VALU_DEP_3) | instskip(NEXT) | instid1(VALU_DEP_2)
	v_add_co_u32 v24, vcc_lo, v22, v24
	v_xor_b32_e32 v30, v16, v36
	v_add_co_ci_u32_e64 v22, null, v28, v25, vcc_lo
	s_delay_alu instid0(VALU_DEP_4) | instskip(NEXT) | instid1(VALU_DEP_2)
	v_dual_mov_b32 v25, v12 :: v_dual_bitop2_b32 v28, v17, v36 bitop3:0x14
	v_mul_u64_e32 v[32:33], v[30:31], v[22:23]
	s_delay_alu instid0(VALU_DEP_2) | instskip(SKIP_2) | instid1(VALU_DEP_1)
	v_mul_u64_e32 v[16:17], v[28:29], v[24:25]
	v_mul_u64_e32 v[22:23], v[28:29], v[22:23]
	v_mul_hi_u32 v24, v30, v24
	v_add_nc_u64_e32 v[24:25], v[24:25], v[32:33]
	s_delay_alu instid0(VALU_DEP_1) | instskip(NEXT) | instid1(VALU_DEP_2)
	v_add_co_u32 v12, vcc_lo, v24, v16
	v_add_co_ci_u32_e32 v12, vcc_lo, v25, v17, vcc_lo
	v_add_co_ci_u32_e32 v23, vcc_lo, 0, v23, vcc_lo
	s_delay_alu instid0(VALU_DEP_1) | instskip(NEXT) | instid1(VALU_DEP_1)
	v_add_nc_u64_e32 v[12:13], v[12:13], v[22:23]
	v_mul_u64_e32 v[16:17], v[18:19], v[12:13]
	s_delay_alu instid0(VALU_DEP_1) | instskip(NEXT) | instid1(VALU_DEP_2)
	v_sub_nc_u32_e32 v21, v28, v17
	v_sub_co_u32 v16, vcc_lo, v30, v16
	s_delay_alu instid0(VALU_DEP_1) | instskip(NEXT) | instid1(VALU_DEP_3)
	v_sub_co_ci_u32_e64 v24, null, v28, v17, vcc_lo
	v_sub_co_ci_u32_e64 v21, null, v21, v19, vcc_lo
	s_delay_alu instid0(VALU_DEP_3) | instskip(NEXT) | instid1(VALU_DEP_1)
	v_sub_co_u32 v22, s1, v16, v18
	v_subrev_co_ci_u32_e64 v21, null, 0, v21, s1
	s_delay_alu instid0(VALU_DEP_2) | instskip(SKIP_1) | instid1(VALU_DEP_3)
	v_cmp_ge_u32_e32 vcc_lo, v22, v18
	v_cndmask_b32_e64 v17, 0, -1, vcc_lo
	v_cmp_ge_u32_e32 vcc_lo, v21, v19
	v_cndmask_b32_e64 v22, 0, -1, vcc_lo
	;; [unrolled: 2-line block ×4, first 2 shown]
	v_cmp_eq_u32_e32 vcc_lo, v21, v19
	v_cndmask_b32_e32 v21, v22, v17, vcc_lo
	v_cmp_eq_u32_e32 vcc_lo, v24, v19
	v_add_nc_u64_e32 v[16:17], 2, v[12:13]
	v_add_nc_u64_e32 v[22:23], 1, v[12:13]
	v_cndmask_b32_e32 v18, v25, v18, vcc_lo
	v_cmp_ne_u32_e32 vcc_lo, 0, v21
	s_delay_alu instid0(VALU_DEP_2) | instskip(NEXT) | instid1(VALU_DEP_4)
	v_cmp_ne_u32_e64 s1, 0, v18
	v_dual_cndmask_b32 v17, v23, v17 :: v_dual_cndmask_b32 v18, v22, v16
	s_delay_alu instid0(VALU_DEP_1) | instskip(NEXT) | instid1(VALU_DEP_2)
	v_dual_cndmask_b32 v13, v13, v17, s1 :: v_dual_bitop2_b32 v16, v36, v20 bitop3:0x14
	v_cndmask_b32_e64 v12, v12, v18, s1
	s_delay_alu instid0(VALU_DEP_2) | instskip(NEXT) | instid1(VALU_DEP_3)
	v_mov_b32_e32 v17, v16
                                        ; implicit-def: $vgpr18_vgpr19
	v_xor_b32_e32 v13, v13, v16
	s_delay_alu instid0(VALU_DEP_3) | instskip(NEXT) | instid1(VALU_DEP_1)
	v_xor_b32_e32 v12, v12, v16
	v_sub_nc_u64_e32 v[20:21], v[12:13], v[16:17]
                                        ; implicit-def: $vgpr16_vgpr17
.LBB64_95:
	s_and_not1_saveexec_b32 s1, s7
	s_cbranch_execz .LBB64_97
; %bb.96:
	v_cvt_f32_u32_e32 v12, v18
	v_dual_sub_nc_u32 v13, 0, v18 :: v_dual_mov_b32 v21, 0
	s_delay_alu instid0(VALU_DEP_2) | instskip(SKIP_1) | instid1(TRANS32_DEP_1)
	v_rcp_iflag_f32_e32 v12, v12
	v_nop
	v_mul_f32_e32 v12, 0x4f7ffffe, v12
	s_delay_alu instid0(VALU_DEP_1) | instskip(NEXT) | instid1(VALU_DEP_1)
	v_cvt_u32_f32_e32 v12, v12
	v_mul_lo_u32 v13, v13, v12
	s_delay_alu instid0(VALU_DEP_1) | instskip(NEXT) | instid1(VALU_DEP_1)
	v_mul_hi_u32 v13, v12, v13
	v_add_nc_u32_e32 v12, v12, v13
	s_delay_alu instid0(VALU_DEP_1) | instskip(NEXT) | instid1(VALU_DEP_1)
	v_mul_hi_u32 v12, v16, v12
	v_mul_lo_u32 v13, v12, v18
	s_delay_alu instid0(VALU_DEP_1) | instskip(NEXT) | instid1(VALU_DEP_1)
	v_dual_sub_nc_u32 v13, v16, v13 :: v_dual_add_nc_u32 v16, 1, v12
	v_sub_nc_u32_e32 v17, v13, v18
	v_cmp_ge_u32_e32 vcc_lo, v13, v18
	s_delay_alu instid0(VALU_DEP_2) | instskip(NEXT) | instid1(VALU_DEP_1)
	v_dual_cndmask_b32 v13, v13, v17 :: v_dual_cndmask_b32 v12, v12, v16
	v_cmp_ge_u32_e32 vcc_lo, v13, v18
	s_delay_alu instid0(VALU_DEP_2) | instskip(NEXT) | instid1(VALU_DEP_1)
	v_add_nc_u32_e32 v16, 1, v12
	v_cndmask_b32_e32 v20, v12, v16, vcc_lo
.LBB64_97:
	s_or_b32 exec_lo, exec_lo, s1
	s_delay_alu instid0(VALU_DEP_1) | instskip(NEXT) | instid1(VALU_DEP_1)
	v_mul_u64_e32 v[12:13], v[20:21], v[14:15]
	v_sub_nc_u64_e32 v[14:15], 0, v[12:13]
	s_delay_alu instid0(VALU_DEP_1)
	v_max_i64 v[12:13], v[12:13], v[14:15]
.LBB64_98:
	s_or_b32 exec_lo, exec_lo, s6
.LBB64_99:
	s_delay_alu instid0(SALU_CYCLE_1) | instskip(SKIP_2) | instid1(VALU_DEP_1)
	s_or_b32 exec_lo, exec_lo, s3
	s_wait_loadcnt 0x0
	v_or_b32_e32 v14, 0x200, v0
	v_cmp_gt_i32_e32 vcc_lo, s12, v14
                                        ; implicit-def: $vgpr14_vgpr15
	s_and_saveexec_b32 s3, vcc_lo
	s_cbranch_execz .LBB64_115
; %bb.100:
	v_sub_nc_u64_e32 v[14:15], 0, v[8:9]
	s_mov_b32 s6, exec_lo
	s_delay_alu instid0(VALU_DEP_1)
	v_max_i64 v[16:17], v[8:9], v[14:15]
	v_cmpx_ne_u64_e32 0, v[10:11]
	s_cbranch_execz .LBB64_108
; %bb.101:
	v_sub_nc_u64_e32 v[14:15], 0, v[10:11]
	s_mov_b32 s7, 0
	s_delay_alu instid0(VALU_DEP_1)
	v_max_i64 v[20:21], v[10:11], v[14:15]
	v_mov_b32_e32 v14, 0
	s_branch .LBB64_103
.LBB64_102:                             ;   in Loop: Header=BB64_103 Depth=1
	s_or_b32 exec_lo, exec_lo, s1
	s_delay_alu instid0(VALU_DEP_1) | instskip(SKIP_2) | instid1(SALU_CYCLE_1)
	v_cmp_eq_u64_e32 vcc_lo, 0, v[20:21]
	v_mov_b64_e32 v[16:17], v[18:19]
	s_or_b32 s7, vcc_lo, s7
	s_and_not1_b32 exec_lo, exec_lo, s7
	s_cbranch_execz .LBB64_107
.LBB64_103:                             ; =>This Inner Loop Header: Depth=1
	s_delay_alu instid0(VALU_DEP_2) | instskip(SKIP_1) | instid1(VALU_DEP_1)
	v_mov_b64_e32 v[18:19], v[20:21]
                                        ; implicit-def: $vgpr20_vgpr21
	s_mov_b32 s1, exec_lo
	v_or_b32_e32 v15, v17, v19
	s_delay_alu instid0(VALU_DEP_1)
	v_cmpx_ne_u64_e32 0, v[14:15]
	s_xor_b32 s8, exec_lo, s1
	s_cbranch_execz .LBB64_105
; %bb.104:                              ;   in Loop: Header=BB64_103 Depth=1
	s_delay_alu instid0(VALU_DEP_3) | instskip(SKIP_3) | instid1(VALU_DEP_3)
	v_cvt_f32_u32_e32 v15, v18
	v_cvt_f32_u32_e32 v20, v19
	v_sub_nc_u64_e32 v[22:23], 0, v[18:19]
	v_dual_mov_b32 v31, v14 :: v_dual_mov_b32 v33, v14
	v_fmac_f32_e32 v15, 0x4f800000, v20
	s_delay_alu instid0(VALU_DEP_1) | instskip(SKIP_1) | instid1(TRANS32_DEP_1)
	v_rcp_f32_e32 v15, v15
	v_nop
	v_mul_f32_e32 v15, 0x5f7ffffc, v15
	s_delay_alu instid0(VALU_DEP_1) | instskip(NEXT) | instid1(VALU_DEP_1)
	v_mul_f32_e32 v20, 0x2f800000, v15
	v_trunc_f32_e32 v21, v20
	s_delay_alu instid0(VALU_DEP_1) | instskip(SKIP_1) | instid1(VALU_DEP_2)
	v_cvt_u32_f32_e32 v25, v21
	v_fmac_f32_e32 v15, 0xcf800000, v21
	v_dual_mov_b32 v21, v14 :: v_dual_mov_b32 v32, v25
	s_delay_alu instid0(VALU_DEP_2) | instskip(NEXT) | instid1(VALU_DEP_1)
	v_cvt_u32_f32_e32 v20, v15
	v_mov_b32_e32 v24, v20
	s_delay_alu instid0(VALU_DEP_1) | instskip(NEXT) | instid1(VALU_DEP_1)
	v_mul_u64_e32 v[28:29], v[22:23], v[24:25]
	v_dual_mov_b32 v30, v29 :: v_dual_mov_b32 v29, v14
	s_delay_alu instid0(VALU_DEP_1) | instskip(NEXT) | instid1(VALU_DEP_2)
	v_mul_u64_e32 v[34:35], v[20:21], v[30:31]
	v_mul_u64_e32 v[36:37], v[32:33], v[28:29]
	;; [unrolled: 1-line block ×3, first 2 shown]
	v_mul_hi_u32 v28, v20, v28
	s_delay_alu instid0(VALU_DEP_1) | instskip(NEXT) | instid1(VALU_DEP_1)
	v_add_nc_u64_e32 v[28:29], v[28:29], v[34:35]
	v_add_co_u32 v15, vcc_lo, v28, v36
	s_delay_alu instid0(VALU_DEP_2) | instskip(SKIP_1) | instid1(VALU_DEP_1)
	v_add_co_ci_u32_e32 v32, vcc_lo, v29, v37, vcc_lo
	v_add_co_ci_u32_e32 v31, vcc_lo, 0, v31, vcc_lo
	v_add_nc_u64_e32 v[28:29], v[32:33], v[30:31]
	s_delay_alu instid0(VALU_DEP_1) | instskip(NEXT) | instid1(VALU_DEP_1)
	v_add_co_u32 v20, vcc_lo, v20, v28
	v_add_co_ci_u32_e64 v24, null, v25, v29, vcc_lo
	v_dual_mov_b32 v29, v14 :: v_dual_mov_b32 v25, v14
	s_delay_alu instid0(VALU_DEP_2) | instskip(NEXT) | instid1(VALU_DEP_1)
	v_mov_b32_e32 v21, v24
	v_mul_u64_e32 v[22:23], v[22:23], v[20:21]
	s_delay_alu instid0(VALU_DEP_1) | instskip(NEXT) | instid1(VALU_DEP_2)
	v_dual_mov_b32 v21, v14 :: v_dual_mov_b32 v28, v23
	v_dual_mov_b32 v32, v22 :: v_dual_mov_b32 v23, v14
	v_mul_hi_u32 v22, v20, v22
	s_delay_alu instid0(VALU_DEP_3) | instskip(NEXT) | instid1(VALU_DEP_3)
	v_mul_u64_e32 v[30:31], v[20:21], v[28:29]
	v_mul_u64_e32 v[32:33], v[24:25], v[32:33]
	;; [unrolled: 1-line block ×3, first 2 shown]
	s_delay_alu instid0(VALU_DEP_3) | instskip(SKIP_1) | instid1(VALU_DEP_2)
	v_add_nc_u64_e32 v[22:23], v[22:23], v[30:31]
	v_mov_b32_e32 v31, v14
	v_add_co_u32 v15, vcc_lo, v22, v32
	s_delay_alu instid0(VALU_DEP_3) | instskip(SKIP_1) | instid1(VALU_DEP_1)
	v_add_co_ci_u32_e32 v30, vcc_lo, v23, v33, vcc_lo
	v_add_co_ci_u32_e32 v29, vcc_lo, 0, v29, vcc_lo
	v_add_nc_u64_e32 v[22:23], v[30:31], v[28:29]
	v_dual_mov_b32 v28, v16 :: v_dual_mov_b32 v29, v14
	s_delay_alu instid0(VALU_DEP_2) | instskip(NEXT) | instid1(VALU_DEP_1)
	v_add_co_u32 v22, vcc_lo, v20, v22
	v_add_co_ci_u32_e64 v20, null, v24, v23, vcc_lo
	v_dual_mov_b32 v24, v17 :: v_dual_mov_b32 v23, v14
	s_delay_alu instid0(VALU_DEP_2) | instskip(NEXT) | instid1(VALU_DEP_2)
	v_mul_u64_e32 v[28:29], v[28:29], v[20:21]
	v_mul_u64_e32 v[20:21], v[24:25], v[20:21]
	s_delay_alu instid0(VALU_DEP_3) | instskip(SKIP_1) | instid1(VALU_DEP_1)
	v_mul_u64_e32 v[30:31], v[24:25], v[22:23]
	v_mul_hi_u32 v22, v16, v22
	v_add_nc_u64_e32 v[22:23], v[22:23], v[28:29]
	s_delay_alu instid0(VALU_DEP_1) | instskip(NEXT) | instid1(VALU_DEP_2)
	v_add_co_u32 v15, vcc_lo, v22, v30
	v_add_co_ci_u32_e32 v24, vcc_lo, v23, v31, vcc_lo
	v_add_co_ci_u32_e32 v21, vcc_lo, 0, v21, vcc_lo
	s_delay_alu instid0(VALU_DEP_1) | instskip(NEXT) | instid1(VALU_DEP_1)
	v_add_nc_u64_e32 v[20:21], v[24:25], v[20:21]
	v_mul_u64_e32 v[20:21], v[18:19], v[20:21]
	s_delay_alu instid0(VALU_DEP_1) | instskip(NEXT) | instid1(VALU_DEP_2)
	v_sub_nc_u32_e32 v15, v17, v21
	v_sub_co_u32 v16, vcc_lo, v16, v20
	s_delay_alu instid0(VALU_DEP_1) | instskip(NEXT) | instid1(VALU_DEP_3)
	v_sub_co_ci_u32_e64 v17, null, v17, v21, vcc_lo
	v_sub_co_ci_u32_e64 v15, null, v15, v19, vcc_lo
	s_delay_alu instid0(VALU_DEP_3) | instskip(SKIP_1) | instid1(VALU_DEP_3)
	v_sub_co_u32 v20, vcc_lo, v16, v18
	v_cmp_ge_u32_e64 s1, v16, v18
	v_subrev_co_ci_u32_e64 v21, null, 0, v15, vcc_lo
	v_sub_co_ci_u32_e64 v15, null, v15, v19, vcc_lo
	s_delay_alu instid0(VALU_DEP_3) | instskip(SKIP_2) | instid1(VALU_DEP_2)
	v_cndmask_b32_e64 v22, 0, -1, s1
	v_cmp_ge_u32_e64 s1, v20, v18
	v_cmp_ge_u32_e32 vcc_lo, v17, v19
	v_cndmask_b32_e64 v23, 0, -1, s1
	v_cmp_ge_u32_e64 s1, v21, v19
	v_cndmask_b32_e64 v25, 0, -1, vcc_lo
	v_cmp_eq_u32_e32 vcc_lo, v21, v19
	s_delay_alu instid0(VALU_DEP_3) | instskip(SKIP_1) | instid1(VALU_DEP_1)
	v_cndmask_b32_e64 v24, 0, -1, s1
	v_cmp_eq_u32_e64 s1, v17, v19
	v_dual_cndmask_b32 v23, v24, v23, vcc_lo :: v_dual_cndmask_b32 v22, v25, v22, s1
	v_sub_co_u32 v24, vcc_lo, v20, v18
	s_delay_alu instid0(VALU_DEP_1) | instskip(NEXT) | instid1(VALU_DEP_3)
	v_subrev_co_ci_u32_e64 v15, null, 0, v15, vcc_lo
	v_cmp_ne_u32_e32 vcc_lo, 0, v23
	s_delay_alu instid0(VALU_DEP_2) | instskip(SKIP_1) | instid1(VALU_DEP_2)
	v_dual_cndmask_b32 v15, v21, v15 :: v_dual_cndmask_b32 v20, v20, v24
	v_cmp_ne_u32_e32 vcc_lo, 0, v22
	v_dual_cndmask_b32 v21, v17, v15 :: v_dual_cndmask_b32 v20, v16, v20
                                        ; implicit-def: $vgpr16_vgpr17
.LBB64_105:                             ;   in Loop: Header=BB64_103 Depth=1
	s_and_not1_saveexec_b32 s1, s8
	s_cbranch_execz .LBB64_102
; %bb.106:                              ;   in Loop: Header=BB64_103 Depth=1
	v_cvt_f32_u32_e32 v15, v18
	v_dual_sub_nc_u32 v17, 0, v18 :: v_dual_mov_b32 v21, v14
	s_delay_alu instid0(VALU_DEP_2) | instskip(SKIP_1) | instid1(TRANS32_DEP_1)
	v_rcp_iflag_f32_e32 v15, v15
	v_nop
	v_mul_f32_e32 v15, 0x4f7ffffe, v15
	s_delay_alu instid0(VALU_DEP_1) | instskip(NEXT) | instid1(VALU_DEP_1)
	v_cvt_u32_f32_e32 v15, v15
	v_mul_lo_u32 v17, v17, v15
	s_delay_alu instid0(VALU_DEP_1) | instskip(NEXT) | instid1(VALU_DEP_1)
	v_mul_hi_u32 v17, v15, v17
	v_add_nc_u32_e32 v15, v15, v17
	s_delay_alu instid0(VALU_DEP_1) | instskip(NEXT) | instid1(VALU_DEP_1)
	v_mul_hi_u32 v15, v16, v15
	v_mul_lo_u32 v15, v15, v18
	s_delay_alu instid0(VALU_DEP_1) | instskip(NEXT) | instid1(VALU_DEP_1)
	v_sub_nc_u32_e32 v15, v16, v15
	v_sub_nc_u32_e32 v16, v15, v18
	v_cmp_ge_u32_e32 vcc_lo, v15, v18
	s_delay_alu instid0(VALU_DEP_2) | instskip(NEXT) | instid1(VALU_DEP_1)
	v_cndmask_b32_e32 v15, v15, v16, vcc_lo
	v_sub_nc_u32_e32 v16, v15, v18
	v_cmp_ge_u32_e32 vcc_lo, v15, v18
	s_delay_alu instid0(VALU_DEP_2)
	v_cndmask_b32_e32 v20, v15, v16, vcc_lo
	s_branch .LBB64_102
.LBB64_107:
	s_or_b32 exec_lo, exec_lo, s7
	v_mov_b64_e32 v[16:17], v[18:19]
.LBB64_108:
	s_or_b32 exec_lo, exec_lo, s6
	v_mov_b64_e32 v[14:15], 0
	s_mov_b32 s6, exec_lo
	s_delay_alu instid0(VALU_DEP_2)
	v_cmpx_ne_u64_e32 0, v[16:17]
	s_cbranch_execz .LBB64_114
; %bb.109:
	v_dual_mov_b32 v14, 0 :: v_dual_bitop2_b32 v15, v11, v17 bitop3:0x54
                                        ; implicit-def: $vgpr18_vgpr19
	s_mov_b32 s1, exec_lo
	s_delay_alu instid0(VALU_DEP_1)
	v_cmpx_ne_u64_e32 0, v[14:15]
	s_xor_b32 s7, exec_lo, s1
	s_cbranch_execz .LBB64_111
; %bb.110:
	v_dual_mov_b32 v21, v14 :: v_dual_ashrrev_i32 v18, 31, v17
	v_dual_mov_b32 v31, v14 :: v_dual_mov_b32 v33, v14
	s_delay_alu instid0(VALU_DEP_2) | instskip(NEXT) | instid1(VALU_DEP_1)
	v_mov_b32_e32 v19, v18
	v_add_nc_u64_e32 v[16:17], v[16:17], v[18:19]
	s_delay_alu instid0(VALU_DEP_1) | instskip(NEXT) | instid1(VALU_DEP_2)
	v_xor_b32_e32 v16, v16, v18
	v_xor_b32_e32 v17, v17, v18
	s_delay_alu instid0(VALU_DEP_2) | instskip(NEXT) | instid1(VALU_DEP_2)
	v_cvt_f32_u32_e32 v15, v16
	v_cvt_f32_u32_e32 v19, v17
	s_delay_alu instid0(VALU_DEP_1) | instskip(NEXT) | instid1(VALU_DEP_1)
	v_fmamk_f32 v15, v19, 0x4f800000, v15
	v_rcp_f32_e32 v15, v15
	v_nop
	s_delay_alu instid0(TRANS32_DEP_1) | instskip(NEXT) | instid1(VALU_DEP_1)
	v_mul_f32_e32 v15, 0x5f7ffffc, v15
	v_mul_f32_e32 v19, 0x2f800000, v15
	s_delay_alu instid0(VALU_DEP_1) | instskip(NEXT) | instid1(VALU_DEP_1)
	v_trunc_f32_e32 v19, v19
	v_fmamk_f32 v15, v19, 0xcf800000, v15
	v_cvt_u32_f32_e32 v25, v19
	s_delay_alu instid0(VALU_DEP_2) | instskip(NEXT) | instid1(VALU_DEP_1)
	v_cvt_u32_f32_e32 v20, v15
	v_dual_mov_b32 v32, v25 :: v_dual_mov_b32 v24, v20
	v_sub_nc_u64_e32 v[22:23], 0, v[16:17]
	s_delay_alu instid0(VALU_DEP_1) | instskip(NEXT) | instid1(VALU_DEP_1)
	v_mul_u64_e32 v[28:29], v[22:23], v[24:25]
	v_dual_mov_b32 v30, v29 :: v_dual_mov_b32 v29, v14
	s_delay_alu instid0(VALU_DEP_1) | instskip(NEXT) | instid1(VALU_DEP_2)
	v_mul_u64_e32 v[34:35], v[20:21], v[30:31]
	v_mul_u64_e32 v[36:37], v[32:33], v[28:29]
	;; [unrolled: 1-line block ×3, first 2 shown]
	v_mul_hi_u32 v28, v20, v28
	s_delay_alu instid0(VALU_DEP_1) | instskip(SKIP_1) | instid1(VALU_DEP_2)
	v_add_nc_u64_e32 v[28:29], v[28:29], v[34:35]
	v_ashrrev_i32_e32 v34, 31, v11
	v_add_co_u32 v15, vcc_lo, v28, v36
	s_delay_alu instid0(VALU_DEP_3) | instskip(SKIP_1) | instid1(VALU_DEP_1)
	v_add_co_ci_u32_e32 v32, vcc_lo, v29, v37, vcc_lo
	v_add_co_ci_u32_e32 v31, vcc_lo, 0, v31, vcc_lo
	v_add_nc_u64_e32 v[28:29], v[32:33], v[30:31]
	s_delay_alu instid0(VALU_DEP_1) | instskip(NEXT) | instid1(VALU_DEP_1)
	v_add_co_u32 v20, vcc_lo, v20, v28
	v_add_co_ci_u32_e64 v24, null, v25, v29, vcc_lo
	v_dual_mov_b32 v25, v14 :: v_dual_mov_b32 v29, v14
	s_delay_alu instid0(VALU_DEP_2) | instskip(NEXT) | instid1(VALU_DEP_1)
	v_mov_b32_e32 v21, v24
	v_mul_u64_e32 v[22:23], v[22:23], v[20:21]
	s_delay_alu instid0(VALU_DEP_1) | instskip(NEXT) | instid1(VALU_DEP_2)
	v_dual_mov_b32 v21, v14 :: v_dual_mov_b32 v28, v23
	v_dual_mov_b32 v32, v22 :: v_dual_mov_b32 v23, v14
	v_mul_hi_u32 v22, v20, v22
	s_delay_alu instid0(VALU_DEP_3) | instskip(NEXT) | instid1(VALU_DEP_3)
	v_mul_u64_e32 v[30:31], v[20:21], v[28:29]
	v_mul_u64_e32 v[32:33], v[24:25], v[32:33]
	;; [unrolled: 1-line block ×3, first 2 shown]
	s_delay_alu instid0(VALU_DEP_3) | instskip(SKIP_1) | instid1(VALU_DEP_2)
	v_add_nc_u64_e32 v[22:23], v[22:23], v[30:31]
	v_dual_mov_b32 v31, v14 :: v_dual_mov_b32 v35, v34
	v_add_co_u32 v15, vcc_lo, v22, v32
	s_delay_alu instid0(VALU_DEP_3) | instskip(SKIP_2) | instid1(VALU_DEP_2)
	v_add_co_ci_u32_e32 v30, vcc_lo, v23, v33, vcc_lo
	v_add_co_ci_u32_e32 v29, vcc_lo, 0, v29, vcc_lo
	v_mov_b32_e32 v15, v14
	v_add_nc_u64_e32 v[22:23], v[30:31], v[28:29]
	v_mov_b32_e32 v29, v14
	v_add_nc_u64_e32 v[10:11], v[10:11], v[34:35]
	s_delay_alu instid0(VALU_DEP_3) | instskip(NEXT) | instid1(VALU_DEP_1)
	v_add_co_u32 v22, vcc_lo, v20, v22
	v_add_co_ci_u32_e64 v20, null, v24, v23, vcc_lo
	s_delay_alu instid0(VALU_DEP_3) | instskip(NEXT) | instid1(VALU_DEP_4)
	v_dual_mov_b32 v23, v14 :: v_dual_bitop2_b32 v24, v11, v34 bitop3:0x14
	v_xor_b32_e32 v28, v10, v34
	s_delay_alu instid0(VALU_DEP_2) | instskip(NEXT) | instid1(VALU_DEP_2)
	v_mul_u64_e32 v[10:11], v[24:25], v[22:23]
	v_mul_u64_e32 v[30:31], v[28:29], v[20:21]
	v_mul_u64_e32 v[20:21], v[24:25], v[20:21]
	v_mul_hi_u32 v22, v28, v22
	s_delay_alu instid0(VALU_DEP_1) | instskip(NEXT) | instid1(VALU_DEP_1)
	v_add_nc_u64_e32 v[22:23], v[22:23], v[30:31]
	v_add_co_u32 v10, vcc_lo, v22, v10
	s_delay_alu instid0(VALU_DEP_2) | instskip(SKIP_1) | instid1(VALU_DEP_1)
	v_add_co_ci_u32_e32 v14, vcc_lo, v23, v11, vcc_lo
	v_add_co_ci_u32_e32 v21, vcc_lo, 0, v21, vcc_lo
	v_add_nc_u64_e32 v[10:11], v[14:15], v[20:21]
	s_delay_alu instid0(VALU_DEP_1) | instskip(NEXT) | instid1(VALU_DEP_1)
	v_mul_u64_e32 v[14:15], v[16:17], v[10:11]
	v_sub_nc_u32_e32 v19, v24, v15
	s_delay_alu instid0(VALU_DEP_2) | instskip(NEXT) | instid1(VALU_DEP_1)
	v_sub_co_u32 v14, vcc_lo, v28, v14
	v_sub_co_ci_u32_e64 v22, null, v24, v15, vcc_lo
	s_delay_alu instid0(VALU_DEP_3) | instskip(NEXT) | instid1(VALU_DEP_3)
	v_sub_co_ci_u32_e64 v19, null, v19, v17, vcc_lo
	v_sub_co_u32 v20, s1, v14, v16
	s_delay_alu instid0(VALU_DEP_1) | instskip(NEXT) | instid1(VALU_DEP_2)
	v_subrev_co_ci_u32_e64 v19, null, 0, v19, s1
	v_cmp_ge_u32_e32 vcc_lo, v20, v16
	v_cndmask_b32_e64 v15, 0, -1, vcc_lo
	s_delay_alu instid0(VALU_DEP_3)
	v_cmp_ge_u32_e32 vcc_lo, v19, v17
	v_cndmask_b32_e64 v20, 0, -1, vcc_lo
	v_cmp_ge_u32_e32 vcc_lo, v14, v16
	v_cndmask_b32_e64 v16, 0, -1, vcc_lo
	;; [unrolled: 2-line block ×3, first 2 shown]
	v_cmp_eq_u32_e32 vcc_lo, v19, v17
	v_cndmask_b32_e32 v19, v20, v15, vcc_lo
	v_cmp_eq_u32_e32 vcc_lo, v22, v17
	v_add_nc_u64_e32 v[14:15], 2, v[10:11]
	v_add_nc_u64_e32 v[20:21], 1, v[10:11]
	v_cndmask_b32_e32 v16, v23, v16, vcc_lo
	v_cmp_ne_u32_e32 vcc_lo, 0, v19
	s_delay_alu instid0(VALU_DEP_2) | instskip(NEXT) | instid1(VALU_DEP_4)
	v_cmp_ne_u32_e64 s1, 0, v16
	v_dual_cndmask_b32 v15, v21, v15 :: v_dual_cndmask_b32 v16, v20, v14
	s_delay_alu instid0(VALU_DEP_1) | instskip(NEXT) | instid1(VALU_DEP_2)
	v_dual_cndmask_b32 v11, v11, v15, s1 :: v_dual_bitop2_b32 v14, v34, v18 bitop3:0x14
	v_cndmask_b32_e64 v10, v10, v16, s1
	s_delay_alu instid0(VALU_DEP_2) | instskip(NEXT) | instid1(VALU_DEP_3)
	v_mov_b32_e32 v15, v14
                                        ; implicit-def: $vgpr16_vgpr17
	v_xor_b32_e32 v11, v11, v14
	s_delay_alu instid0(VALU_DEP_3) | instskip(NEXT) | instid1(VALU_DEP_1)
	v_xor_b32_e32 v10, v10, v14
	v_sub_nc_u64_e32 v[18:19], v[10:11], v[14:15]
                                        ; implicit-def: $vgpr10_vgpr11
.LBB64_111:
	s_and_not1_saveexec_b32 s1, s7
	s_cbranch_execz .LBB64_113
; %bb.112:
	v_cvt_f32_u32_e32 v11, v16
	v_dual_mov_b32 v19, 0 :: v_dual_sub_nc_u32 v14, 0, v16
	s_delay_alu instid0(VALU_DEP_2) | instskip(SKIP_1) | instid1(TRANS32_DEP_1)
	v_rcp_iflag_f32_e32 v11, v11
	v_nop
	v_mul_f32_e32 v11, 0x4f7ffffe, v11
	s_delay_alu instid0(VALU_DEP_1) | instskip(NEXT) | instid1(VALU_DEP_1)
	v_cvt_u32_f32_e32 v11, v11
	v_mul_lo_u32 v14, v14, v11
	s_delay_alu instid0(VALU_DEP_1) | instskip(NEXT) | instid1(VALU_DEP_1)
	v_mul_hi_u32 v14, v11, v14
	v_add_nc_u32_e32 v11, v11, v14
	s_delay_alu instid0(VALU_DEP_1) | instskip(NEXT) | instid1(VALU_DEP_1)
	v_mul_hi_u32 v11, v10, v11
	v_mul_lo_u32 v14, v11, v16
	s_delay_alu instid0(VALU_DEP_1) | instskip(NEXT) | instid1(VALU_DEP_1)
	v_dual_sub_nc_u32 v10, v10, v14 :: v_dual_add_nc_u32 v14, 1, v11
	v_sub_nc_u32_e32 v15, v10, v16
	v_cmp_ge_u32_e32 vcc_lo, v10, v16
	s_delay_alu instid0(VALU_DEP_2) | instskip(NEXT) | instid1(VALU_DEP_1)
	v_dual_cndmask_b32 v10, v10, v15 :: v_dual_cndmask_b32 v11, v11, v14
	v_cmp_ge_u32_e32 vcc_lo, v10, v16
	s_delay_alu instid0(VALU_DEP_2) | instskip(NEXT) | instid1(VALU_DEP_1)
	v_add_nc_u32_e32 v14, 1, v11
	v_cndmask_b32_e32 v18, v11, v14, vcc_lo
.LBB64_113:
	s_or_b32 exec_lo, exec_lo, s1
	s_delay_alu instid0(VALU_DEP_1) | instskip(NEXT) | instid1(VALU_DEP_1)
	v_mul_u64_e32 v[8:9], v[18:19], v[8:9]
	v_sub_nc_u64_e32 v[10:11], 0, v[8:9]
	s_delay_alu instid0(VALU_DEP_1)
	v_max_i64 v[14:15], v[8:9], v[10:11]
.LBB64_114:
	s_or_b32 exec_lo, exec_lo, s6
.LBB64_115:
	s_delay_alu instid0(SALU_CYCLE_1) | instskip(SKIP_2) | instid1(VALU_DEP_1)
	s_or_b32 exec_lo, exec_lo, s3
	v_or_b32_e32 v8, 0x300, v0
	s_mov_b32 s3, exec_lo
                                        ; implicit-def: $vgpr10_vgpr11
	v_cmpx_gt_i32_e64 s12, v8
	s_cbranch_execz .LBB64_123
; %bb.116:
	v_sub_nc_u64_e32 v[8:9], 0, v[2:3]
	s_mov_b32 s6, exec_lo
	s_delay_alu instid0(VALU_DEP_1)
	v_max_i64 v[8:9], v[2:3], v[8:9]
	v_cmpx_ne_u64_e32 0, v[4:5]
	s_cbranch_execz .LBB64_128
; %bb.117:
	v_sub_nc_u64_e32 v[10:11], 0, v[4:5]
	s_mov_b32 s7, 0
	s_delay_alu instid0(VALU_DEP_1)
	v_max_i64 v[18:19], v[4:5], v[10:11]
	v_mov_b32_e32 v10, 0
	s_branch .LBB64_119
.LBB64_118:                             ;   in Loop: Header=BB64_119 Depth=1
	s_or_b32 exec_lo, exec_lo, s1
	s_delay_alu instid0(VALU_DEP_1) | instskip(SKIP_2) | instid1(SALU_CYCLE_1)
	v_cmp_eq_u64_e32 vcc_lo, 0, v[18:19]
	v_mov_b64_e32 v[8:9], v[16:17]
	s_or_b32 s7, vcc_lo, s7
	s_and_not1_b32 exec_lo, exec_lo, s7
	s_cbranch_execz .LBB64_127
.LBB64_119:                             ; =>This Inner Loop Header: Depth=1
	s_delay_alu instid0(VALU_DEP_2) | instskip(SKIP_1) | instid1(VALU_DEP_1)
	v_mov_b64_e32 v[16:17], v[18:19]
                                        ; implicit-def: $vgpr18_vgpr19
	s_mov_b32 s1, exec_lo
	v_or_b32_e32 v11, v9, v17
	s_delay_alu instid0(VALU_DEP_1)
	v_cmpx_ne_u64_e32 0, v[10:11]
	s_xor_b32 s8, exec_lo, s1
	s_cbranch_execz .LBB64_121
; %bb.120:                              ;   in Loop: Header=BB64_119 Depth=1
	s_delay_alu instid0(VALU_DEP_3) | instskip(SKIP_3) | instid1(VALU_DEP_3)
	v_cvt_f32_u32_e32 v11, v16
	v_cvt_f32_u32_e32 v18, v17
	v_sub_nc_u64_e32 v[20:21], 0, v[16:17]
	v_dual_mov_b32 v29, v10 :: v_dual_mov_b32 v31, v10
	v_fmac_f32_e32 v11, 0x4f800000, v18
	s_delay_alu instid0(VALU_DEP_1) | instskip(SKIP_1) | instid1(TRANS32_DEP_1)
	v_rcp_f32_e32 v11, v11
	v_nop
	v_mul_f32_e32 v11, 0x5f7ffffc, v11
	s_delay_alu instid0(VALU_DEP_1) | instskip(NEXT) | instid1(VALU_DEP_1)
	v_mul_f32_e32 v18, 0x2f800000, v11
	v_trunc_f32_e32 v19, v18
	s_delay_alu instid0(VALU_DEP_1) | instskip(SKIP_1) | instid1(VALU_DEP_2)
	v_cvt_u32_f32_e32 v23, v19
	v_fmac_f32_e32 v11, 0xcf800000, v19
	v_dual_mov_b32 v19, v10 :: v_dual_mov_b32 v30, v23
	s_delay_alu instid0(VALU_DEP_2) | instskip(NEXT) | instid1(VALU_DEP_1)
	v_cvt_u32_f32_e32 v18, v11
	v_mov_b32_e32 v22, v18
	s_delay_alu instid0(VALU_DEP_1) | instskip(NEXT) | instid1(VALU_DEP_1)
	v_mul_u64_e32 v[24:25], v[20:21], v[22:23]
	v_dual_mov_b32 v28, v25 :: v_dual_mov_b32 v25, v10
	s_delay_alu instid0(VALU_DEP_1) | instskip(NEXT) | instid1(VALU_DEP_2)
	v_mul_u64_e32 v[32:33], v[18:19], v[28:29]
	v_mul_u64_e32 v[34:35], v[30:31], v[24:25]
	;; [unrolled: 1-line block ×3, first 2 shown]
	v_mul_hi_u32 v24, v18, v24
	s_delay_alu instid0(VALU_DEP_1) | instskip(NEXT) | instid1(VALU_DEP_1)
	v_add_nc_u64_e32 v[24:25], v[24:25], v[32:33]
	v_add_co_u32 v11, vcc_lo, v24, v34
	s_delay_alu instid0(VALU_DEP_2) | instskip(SKIP_1) | instid1(VALU_DEP_1)
	v_add_co_ci_u32_e32 v30, vcc_lo, v25, v35, vcc_lo
	v_add_co_ci_u32_e32 v29, vcc_lo, 0, v29, vcc_lo
	v_add_nc_u64_e32 v[24:25], v[30:31], v[28:29]
	s_delay_alu instid0(VALU_DEP_1) | instskip(NEXT) | instid1(VALU_DEP_1)
	v_add_co_u32 v18, vcc_lo, v18, v24
	v_add_co_ci_u32_e64 v22, null, v23, v25, vcc_lo
	v_dual_mov_b32 v25, v10 :: v_dual_mov_b32 v23, v10
	s_delay_alu instid0(VALU_DEP_2) | instskip(NEXT) | instid1(VALU_DEP_1)
	v_mov_b32_e32 v19, v22
	v_mul_u64_e32 v[20:21], v[20:21], v[18:19]
	s_delay_alu instid0(VALU_DEP_1) | instskip(NEXT) | instid1(VALU_DEP_2)
	v_dual_mov_b32 v19, v10 :: v_dual_mov_b32 v24, v21
	v_dual_mov_b32 v30, v20 :: v_dual_mov_b32 v21, v10
	v_mul_hi_u32 v20, v18, v20
	s_delay_alu instid0(VALU_DEP_3) | instskip(NEXT) | instid1(VALU_DEP_3)
	v_mul_u64_e32 v[28:29], v[18:19], v[24:25]
	v_mul_u64_e32 v[30:31], v[22:23], v[30:31]
	;; [unrolled: 1-line block ×3, first 2 shown]
	s_delay_alu instid0(VALU_DEP_3) | instskip(SKIP_1) | instid1(VALU_DEP_2)
	v_add_nc_u64_e32 v[20:21], v[20:21], v[28:29]
	v_mov_b32_e32 v29, v10
	v_add_co_u32 v11, vcc_lo, v20, v30
	s_delay_alu instid0(VALU_DEP_3) | instskip(SKIP_1) | instid1(VALU_DEP_1)
	v_add_co_ci_u32_e32 v28, vcc_lo, v21, v31, vcc_lo
	v_add_co_ci_u32_e32 v25, vcc_lo, 0, v25, vcc_lo
	v_add_nc_u64_e32 v[20:21], v[28:29], v[24:25]
	v_dual_mov_b32 v24, v8 :: v_dual_mov_b32 v25, v10
	s_delay_alu instid0(VALU_DEP_2) | instskip(NEXT) | instid1(VALU_DEP_1)
	v_add_co_u32 v20, vcc_lo, v18, v20
	v_add_co_ci_u32_e64 v18, null, v22, v21, vcc_lo
	v_dual_mov_b32 v22, v9 :: v_dual_mov_b32 v21, v10
	s_delay_alu instid0(VALU_DEP_2) | instskip(NEXT) | instid1(VALU_DEP_2)
	v_mul_u64_e32 v[24:25], v[24:25], v[18:19]
	v_mul_u64_e32 v[18:19], v[22:23], v[18:19]
	s_delay_alu instid0(VALU_DEP_3) | instskip(SKIP_1) | instid1(VALU_DEP_1)
	v_mul_u64_e32 v[28:29], v[22:23], v[20:21]
	v_mul_hi_u32 v20, v8, v20
	v_add_nc_u64_e32 v[20:21], v[20:21], v[24:25]
	s_delay_alu instid0(VALU_DEP_1) | instskip(NEXT) | instid1(VALU_DEP_2)
	v_add_co_u32 v11, vcc_lo, v20, v28
	v_add_co_ci_u32_e32 v22, vcc_lo, v21, v29, vcc_lo
	v_add_co_ci_u32_e32 v19, vcc_lo, 0, v19, vcc_lo
	s_delay_alu instid0(VALU_DEP_1) | instskip(NEXT) | instid1(VALU_DEP_1)
	v_add_nc_u64_e32 v[18:19], v[22:23], v[18:19]
	v_mul_u64_e32 v[18:19], v[16:17], v[18:19]
	s_delay_alu instid0(VALU_DEP_1) | instskip(NEXT) | instid1(VALU_DEP_2)
	v_sub_nc_u32_e32 v11, v9, v19
	v_sub_co_u32 v8, vcc_lo, v8, v18
	s_delay_alu instid0(VALU_DEP_1) | instskip(NEXT) | instid1(VALU_DEP_3)
	v_sub_co_ci_u32_e64 v9, null, v9, v19, vcc_lo
	v_sub_co_ci_u32_e64 v11, null, v11, v17, vcc_lo
	s_delay_alu instid0(VALU_DEP_3) | instskip(SKIP_1) | instid1(VALU_DEP_3)
	v_sub_co_u32 v18, vcc_lo, v8, v16
	v_cmp_ge_u32_e64 s1, v8, v16
	v_subrev_co_ci_u32_e64 v19, null, 0, v11, vcc_lo
	v_sub_co_ci_u32_e64 v11, null, v11, v17, vcc_lo
	s_delay_alu instid0(VALU_DEP_3) | instskip(SKIP_2) | instid1(VALU_DEP_2)
	v_cndmask_b32_e64 v20, 0, -1, s1
	v_cmp_ge_u32_e64 s1, v18, v16
	v_cmp_ge_u32_e32 vcc_lo, v9, v17
	v_cndmask_b32_e64 v21, 0, -1, s1
	v_cmp_ge_u32_e64 s1, v19, v17
	v_cndmask_b32_e64 v23, 0, -1, vcc_lo
	v_cmp_eq_u32_e32 vcc_lo, v19, v17
	s_delay_alu instid0(VALU_DEP_3) | instskip(SKIP_1) | instid1(VALU_DEP_1)
	v_cndmask_b32_e64 v22, 0, -1, s1
	v_cmp_eq_u32_e64 s1, v9, v17
	v_dual_cndmask_b32 v21, v22, v21, vcc_lo :: v_dual_cndmask_b32 v20, v23, v20, s1
	v_sub_co_u32 v22, vcc_lo, v18, v16
	s_delay_alu instid0(VALU_DEP_1) | instskip(NEXT) | instid1(VALU_DEP_3)
	v_subrev_co_ci_u32_e64 v11, null, 0, v11, vcc_lo
	v_cmp_ne_u32_e32 vcc_lo, 0, v21
	s_delay_alu instid0(VALU_DEP_2) | instskip(SKIP_1) | instid1(VALU_DEP_2)
	v_dual_cndmask_b32 v11, v19, v11 :: v_dual_cndmask_b32 v18, v18, v22
	v_cmp_ne_u32_e32 vcc_lo, 0, v20
	v_dual_cndmask_b32 v19, v9, v11 :: v_dual_cndmask_b32 v18, v8, v18
                                        ; implicit-def: $vgpr8_vgpr9
.LBB64_121:                             ;   in Loop: Header=BB64_119 Depth=1
	s_and_not1_saveexec_b32 s1, s8
	s_cbranch_execz .LBB64_118
; %bb.122:                              ;   in Loop: Header=BB64_119 Depth=1
	v_cvt_f32_u32_e32 v9, v16
	v_dual_sub_nc_u32 v11, 0, v16 :: v_dual_mov_b32 v19, v10
	s_delay_alu instid0(VALU_DEP_2) | instskip(SKIP_1) | instid1(TRANS32_DEP_1)
	v_rcp_iflag_f32_e32 v9, v9
	v_nop
	v_mul_f32_e32 v9, 0x4f7ffffe, v9
	s_delay_alu instid0(VALU_DEP_1) | instskip(NEXT) | instid1(VALU_DEP_1)
	v_cvt_u32_f32_e32 v9, v9
	v_mul_lo_u32 v11, v11, v9
	s_delay_alu instid0(VALU_DEP_1) | instskip(NEXT) | instid1(VALU_DEP_1)
	v_mul_hi_u32 v11, v9, v11
	v_add_nc_u32_e32 v9, v9, v11
	s_delay_alu instid0(VALU_DEP_1) | instskip(NEXT) | instid1(VALU_DEP_1)
	v_mul_hi_u32 v9, v8, v9
	v_mul_lo_u32 v9, v9, v16
	s_delay_alu instid0(VALU_DEP_1) | instskip(NEXT) | instid1(VALU_DEP_1)
	v_sub_nc_u32_e32 v8, v8, v9
	v_sub_nc_u32_e32 v9, v8, v16
	v_cmp_ge_u32_e32 vcc_lo, v8, v16
	s_delay_alu instid0(VALU_DEP_2) | instskip(NEXT) | instid1(VALU_DEP_1)
	v_cndmask_b32_e32 v8, v8, v9, vcc_lo
	v_sub_nc_u32_e32 v9, v8, v16
	v_cmp_ge_u32_e32 vcc_lo, v8, v16
	s_delay_alu instid0(VALU_DEP_2)
	v_cndmask_b32_e32 v18, v8, v9, vcc_lo
	s_branch .LBB64_118
.LBB64_123:
	s_or_b32 exec_lo, exec_lo, s3
	s_and_saveexec_b32 s1, s0
	s_delay_alu instid0(SALU_CYCLE_1)
	s_xor_b32 s0, exec_lo, s1
	s_cbranch_execz .LBB64_135
.LBB64_124:
	v_mov_b32_e32 v0, v26
	global_store_b64 v1, v[6:7], s[4:5] scale_offset
	s_wait_xcnt 0x0
	s_or_b32 exec_lo, exec_lo, s0
	s_delay_alu instid0(SALU_CYCLE_1)
	s_mov_b32 s0, exec_lo
	v_cmpx_gt_i32_e64 s12, v0
	s_cbranch_execnz .LBB64_136
.LBB64_125:
	s_or_b32 exec_lo, exec_lo, s0
	s_delay_alu instid0(SALU_CYCLE_1)
	s_mov_b32 s0, exec_lo
	v_cmpx_gt_i32_e64 s12, v0
	s_cbranch_execz .LBB64_137
.LBB64_126:
	v_add_nc_u32_e32 v1, s2, v0
	v_add_nc_u32_e32 v0, 0x100, v0
	global_store_b64 v1, v[14:15], s[4:5] scale_offset
	s_wait_xcnt 0x0
	s_or_b32 exec_lo, exec_lo, s0
	s_delay_alu instid0(SALU_CYCLE_1)
	s_mov_b32 s0, exec_lo
	v_cmpx_gt_i32_e64 s12, v0
	s_cbranch_execnz .LBB64_138
	s_branch .LBB64_139
.LBB64_127:
	s_or_b32 exec_lo, exec_lo, s7
	v_mov_b64_e32 v[8:9], v[16:17]
.LBB64_128:
	s_or_b32 exec_lo, exec_lo, s6
	v_mov_b64_e32 v[10:11], 0
	s_mov_b32 s6, exec_lo
	s_delay_alu instid0(VALU_DEP_2)
	v_cmpx_ne_u64_e32 0, v[8:9]
	s_cbranch_execz .LBB64_134
; %bb.129:
	v_dual_mov_b32 v10, 0 :: v_dual_bitop2_b32 v11, v5, v9 bitop3:0x54
                                        ; implicit-def: $vgpr16_vgpr17
	s_mov_b32 s1, exec_lo
	s_delay_alu instid0(VALU_DEP_1)
	v_cmpx_ne_u64_e32 0, v[10:11]
	s_xor_b32 s7, exec_lo, s1
	s_cbranch_execz .LBB64_131
; %bb.130:
	v_dual_mov_b32 v19, v10 :: v_dual_ashrrev_i32 v16, 31, v9
	v_dual_mov_b32 v29, v10 :: v_dual_mov_b32 v31, v10
	s_delay_alu instid0(VALU_DEP_2) | instskip(NEXT) | instid1(VALU_DEP_1)
	v_mov_b32_e32 v17, v16
	v_add_nc_u64_e32 v[8:9], v[8:9], v[16:17]
	s_delay_alu instid0(VALU_DEP_1) | instskip(NEXT) | instid1(VALU_DEP_2)
	v_xor_b32_e32 v8, v8, v16
	v_xor_b32_e32 v9, v9, v16
	s_delay_alu instid0(VALU_DEP_2) | instskip(NEXT) | instid1(VALU_DEP_2)
	v_cvt_f32_u32_e32 v11, v8
	v_cvt_f32_u32_e32 v17, v9
	s_delay_alu instid0(VALU_DEP_1) | instskip(NEXT) | instid1(VALU_DEP_1)
	v_fmamk_f32 v11, v17, 0x4f800000, v11
	v_rcp_f32_e32 v11, v11
	v_nop
	s_delay_alu instid0(TRANS32_DEP_1) | instskip(NEXT) | instid1(VALU_DEP_1)
	v_mul_f32_e32 v11, 0x5f7ffffc, v11
	v_mul_f32_e32 v17, 0x2f800000, v11
	s_delay_alu instid0(VALU_DEP_1) | instskip(NEXT) | instid1(VALU_DEP_1)
	v_trunc_f32_e32 v17, v17
	v_fmamk_f32 v11, v17, 0xcf800000, v11
	v_cvt_u32_f32_e32 v23, v17
	s_delay_alu instid0(VALU_DEP_2) | instskip(NEXT) | instid1(VALU_DEP_1)
	v_cvt_u32_f32_e32 v18, v11
	v_dual_mov_b32 v30, v23 :: v_dual_mov_b32 v22, v18
	v_sub_nc_u64_e32 v[20:21], 0, v[8:9]
	s_delay_alu instid0(VALU_DEP_1) | instskip(NEXT) | instid1(VALU_DEP_1)
	v_mul_u64_e32 v[24:25], v[20:21], v[22:23]
	v_dual_mov_b32 v28, v25 :: v_dual_mov_b32 v25, v10
	s_delay_alu instid0(VALU_DEP_1) | instskip(NEXT) | instid1(VALU_DEP_2)
	v_mul_u64_e32 v[32:33], v[18:19], v[28:29]
	v_mul_u64_e32 v[34:35], v[30:31], v[24:25]
	;; [unrolled: 1-line block ×3, first 2 shown]
	v_mul_hi_u32 v24, v18, v24
	s_delay_alu instid0(VALU_DEP_1) | instskip(SKIP_1) | instid1(VALU_DEP_2)
	v_add_nc_u64_e32 v[24:25], v[24:25], v[32:33]
	v_ashrrev_i32_e32 v32, 31, v5
	v_add_co_u32 v11, vcc_lo, v24, v34
	s_delay_alu instid0(VALU_DEP_3) | instskip(SKIP_1) | instid1(VALU_DEP_1)
	v_add_co_ci_u32_e32 v30, vcc_lo, v25, v35, vcc_lo
	v_add_co_ci_u32_e32 v29, vcc_lo, 0, v29, vcc_lo
	v_add_nc_u64_e32 v[24:25], v[30:31], v[28:29]
	s_delay_alu instid0(VALU_DEP_1) | instskip(NEXT) | instid1(VALU_DEP_1)
	v_add_co_u32 v18, vcc_lo, v18, v24
	v_add_co_ci_u32_e64 v22, null, v23, v25, vcc_lo
	v_dual_mov_b32 v23, v10 :: v_dual_mov_b32 v25, v10
	s_delay_alu instid0(VALU_DEP_2) | instskip(NEXT) | instid1(VALU_DEP_1)
	v_mov_b32_e32 v19, v22
	v_mul_u64_e32 v[20:21], v[20:21], v[18:19]
	s_delay_alu instid0(VALU_DEP_1) | instskip(NEXT) | instid1(VALU_DEP_2)
	v_dual_mov_b32 v19, v10 :: v_dual_mov_b32 v24, v21
	v_dual_mov_b32 v30, v20 :: v_dual_mov_b32 v21, v10
	v_mul_hi_u32 v20, v18, v20
	s_delay_alu instid0(VALU_DEP_3) | instskip(NEXT) | instid1(VALU_DEP_3)
	v_mul_u64_e32 v[28:29], v[18:19], v[24:25]
	v_mul_u64_e32 v[30:31], v[22:23], v[30:31]
	;; [unrolled: 1-line block ×3, first 2 shown]
	s_delay_alu instid0(VALU_DEP_3) | instskip(SKIP_1) | instid1(VALU_DEP_2)
	v_add_nc_u64_e32 v[20:21], v[20:21], v[28:29]
	v_dual_mov_b32 v29, v10 :: v_dual_mov_b32 v33, v32
	v_add_co_u32 v11, vcc_lo, v20, v30
	s_delay_alu instid0(VALU_DEP_3) | instskip(SKIP_2) | instid1(VALU_DEP_2)
	v_add_co_ci_u32_e32 v28, vcc_lo, v21, v31, vcc_lo
	v_add_co_ci_u32_e32 v25, vcc_lo, 0, v25, vcc_lo
	v_mov_b32_e32 v11, v10
	v_add_nc_u64_e32 v[20:21], v[28:29], v[24:25]
	v_mov_b32_e32 v25, v10
	v_add_nc_u64_e32 v[4:5], v[4:5], v[32:33]
	s_delay_alu instid0(VALU_DEP_3) | instskip(NEXT) | instid1(VALU_DEP_2)
	v_add_co_u32 v20, vcc_lo, v18, v20
	v_xor_b32_e32 v24, v4, v32
	v_add_co_ci_u32_e64 v18, null, v22, v21, vcc_lo
	s_delay_alu instid0(VALU_DEP_4) | instskip(NEXT) | instid1(VALU_DEP_2)
	v_dual_mov_b32 v21, v10 :: v_dual_bitop2_b32 v22, v5, v32 bitop3:0x14
	v_mul_u64_e32 v[28:29], v[24:25], v[18:19]
	s_delay_alu instid0(VALU_DEP_2) | instskip(SKIP_2) | instid1(VALU_DEP_1)
	v_mul_u64_e32 v[4:5], v[22:23], v[20:21]
	v_mul_u64_e32 v[18:19], v[22:23], v[18:19]
	v_mul_hi_u32 v20, v24, v20
	v_add_nc_u64_e32 v[20:21], v[20:21], v[28:29]
	s_delay_alu instid0(VALU_DEP_1) | instskip(NEXT) | instid1(VALU_DEP_2)
	v_add_co_u32 v4, vcc_lo, v20, v4
	v_add_co_ci_u32_e32 v10, vcc_lo, v21, v5, vcc_lo
	v_add_co_ci_u32_e32 v19, vcc_lo, 0, v19, vcc_lo
	s_delay_alu instid0(VALU_DEP_1) | instskip(NEXT) | instid1(VALU_DEP_1)
	v_add_nc_u64_e32 v[4:5], v[10:11], v[18:19]
	v_mul_u64_e32 v[10:11], v[8:9], v[4:5]
	s_delay_alu instid0(VALU_DEP_1) | instskip(NEXT) | instid1(VALU_DEP_2)
	v_sub_nc_u32_e32 v17, v22, v11
	v_sub_co_u32 v10, vcc_lo, v24, v10
	s_delay_alu instid0(VALU_DEP_1) | instskip(NEXT) | instid1(VALU_DEP_3)
	v_sub_co_ci_u32_e64 v20, null, v22, v11, vcc_lo
	v_sub_co_ci_u32_e64 v17, null, v17, v9, vcc_lo
	s_delay_alu instid0(VALU_DEP_3) | instskip(NEXT) | instid1(VALU_DEP_1)
	v_sub_co_u32 v18, s1, v10, v8
	v_subrev_co_ci_u32_e64 v17, null, 0, v17, s1
	s_delay_alu instid0(VALU_DEP_2) | instskip(SKIP_1) | instid1(VALU_DEP_3)
	v_cmp_ge_u32_e32 vcc_lo, v18, v8
	v_cndmask_b32_e64 v11, 0, -1, vcc_lo
	v_cmp_ge_u32_e32 vcc_lo, v17, v9
	v_cndmask_b32_e64 v18, 0, -1, vcc_lo
	;; [unrolled: 2-line block ×4, first 2 shown]
	v_cmp_eq_u32_e32 vcc_lo, v17, v9
	v_cndmask_b32_e32 v17, v18, v11, vcc_lo
	v_cmp_eq_u32_e32 vcc_lo, v20, v9
	v_add_nc_u64_e32 v[10:11], 2, v[4:5]
	v_add_nc_u64_e32 v[18:19], 1, v[4:5]
	v_cndmask_b32_e32 v8, v21, v8, vcc_lo
	v_cmp_ne_u32_e32 vcc_lo, 0, v17
	s_delay_alu instid0(VALU_DEP_2) | instskip(NEXT) | instid1(VALU_DEP_4)
	v_cmp_ne_u32_e64 s1, 0, v8
	v_dual_cndmask_b32 v9, v19, v11 :: v_dual_cndmask_b32 v10, v18, v10
	s_delay_alu instid0(VALU_DEP_1) | instskip(NEXT) | instid1(VALU_DEP_2)
	v_dual_cndmask_b32 v5, v5, v9, s1 :: v_dual_bitop2_b32 v8, v32, v16 bitop3:0x14
	v_cndmask_b32_e64 v4, v4, v10, s1
	s_delay_alu instid0(VALU_DEP_2) | instskip(NEXT) | instid1(VALU_DEP_2)
	v_dual_mov_b32 v9, v8 :: v_dual_bitop2_b32 v5, v5, v8 bitop3:0x14
	v_xor_b32_e32 v4, v4, v8
	s_delay_alu instid0(VALU_DEP_1)
	v_sub_nc_u64_e32 v[16:17], v[4:5], v[8:9]
                                        ; implicit-def: $vgpr8_vgpr9
                                        ; implicit-def: $vgpr4_vgpr5
.LBB64_131:
	s_and_not1_saveexec_b32 s1, s7
	s_cbranch_execz .LBB64_133
; %bb.132:
	v_cvt_f32_u32_e32 v5, v8
	v_dual_sub_nc_u32 v9, 0, v8 :: v_dual_mov_b32 v17, 0
	s_delay_alu instid0(VALU_DEP_2) | instskip(SKIP_1) | instid1(TRANS32_DEP_1)
	v_rcp_iflag_f32_e32 v5, v5
	v_nop
	v_mul_f32_e32 v5, 0x4f7ffffe, v5
	s_delay_alu instid0(VALU_DEP_1) | instskip(NEXT) | instid1(VALU_DEP_1)
	v_cvt_u32_f32_e32 v5, v5
	v_mul_lo_u32 v9, v9, v5
	s_delay_alu instid0(VALU_DEP_1) | instskip(NEXT) | instid1(VALU_DEP_1)
	v_mul_hi_u32 v9, v5, v9
	v_add_nc_u32_e32 v5, v5, v9
	s_delay_alu instid0(VALU_DEP_1) | instskip(NEXT) | instid1(VALU_DEP_1)
	v_mul_hi_u32 v5, v4, v5
	v_mul_lo_u32 v9, v5, v8
	s_delay_alu instid0(VALU_DEP_1) | instskip(NEXT) | instid1(VALU_DEP_1)
	v_sub_nc_u32_e32 v4, v4, v9
	v_dual_add_nc_u32 v9, 1, v5 :: v_dual_sub_nc_u32 v10, v4, v8
	v_cmp_ge_u32_e32 vcc_lo, v4, v8
	s_delay_alu instid0(VALU_DEP_2) | instskip(NEXT) | instid1(VALU_DEP_1)
	v_dual_cndmask_b32 v4, v4, v10 :: v_dual_cndmask_b32 v5, v5, v9
	v_cmp_ge_u32_e32 vcc_lo, v4, v8
	s_delay_alu instid0(VALU_DEP_2) | instskip(NEXT) | instid1(VALU_DEP_1)
	v_add_nc_u32_e32 v9, 1, v5
	v_cndmask_b32_e32 v16, v5, v9, vcc_lo
.LBB64_133:
	s_or_b32 exec_lo, exec_lo, s1
	s_delay_alu instid0(VALU_DEP_1) | instskip(NEXT) | instid1(VALU_DEP_1)
	v_mul_u64_e32 v[2:3], v[16:17], v[2:3]
	v_sub_nc_u64_e32 v[4:5], 0, v[2:3]
	s_delay_alu instid0(VALU_DEP_1)
	v_max_i64 v[10:11], v[2:3], v[4:5]
.LBB64_134:
	s_or_b32 exec_lo, exec_lo, s6
	s_delay_alu instid0(SALU_CYCLE_1) | instskip(SKIP_1) | instid1(SALU_CYCLE_1)
	s_or_b32 exec_lo, exec_lo, s3
	s_and_saveexec_b32 s1, s0
	s_xor_b32 s0, exec_lo, s1
	s_cbranch_execnz .LBB64_124
.LBB64_135:
	s_or_b32 exec_lo, exec_lo, s0
	s_delay_alu instid0(SALU_CYCLE_1)
	s_mov_b32 s0, exec_lo
	v_cmpx_gt_i32_e64 s12, v0
	s_cbranch_execz .LBB64_125
.LBB64_136:
	v_add_nc_u32_e32 v1, s2, v0
	v_add_nc_u32_e32 v0, 0x100, v0
	global_store_b64 v1, v[12:13], s[4:5] scale_offset
	s_wait_xcnt 0x0
	s_or_b32 exec_lo, exec_lo, s0
	s_delay_alu instid0(SALU_CYCLE_1)
	s_mov_b32 s0, exec_lo
	v_cmpx_gt_i32_e64 s12, v0
	s_cbranch_execnz .LBB64_126
.LBB64_137:
	s_or_b32 exec_lo, exec_lo, s0
	s_delay_alu instid0(SALU_CYCLE_1)
	s_mov_b32 s0, exec_lo
	v_cmpx_gt_i32_e64 s12, v0
	s_cbranch_execz .LBB64_139
.LBB64_138:
	v_add_nc_u32_e32 v0, s2, v0
	global_store_b64 v0, v[10:11], s[4:5] scale_offset
.LBB64_139:
	s_endpgm
	.section	.rodata,"a",@progbits
	.p2align	6, 0x0
	.amdhsa_kernel _ZN2at6native29vectorized_elementwise_kernelILi16EZZZNS0_15lcm_kernel_cudaERNS_18TensorIteratorBaseEENKUlvE_clEvENKUlvE2_clEvEUlllE_St5arrayIPcLm3EEEEviT0_T1_
		.amdhsa_group_segment_fixed_size 0
		.amdhsa_private_segment_fixed_size 0
		.amdhsa_kernarg_size 32
		.amdhsa_user_sgpr_count 2
		.amdhsa_user_sgpr_dispatch_ptr 0
		.amdhsa_user_sgpr_queue_ptr 0
		.amdhsa_user_sgpr_kernarg_segment_ptr 1
		.amdhsa_user_sgpr_dispatch_id 0
		.amdhsa_user_sgpr_kernarg_preload_length 0
		.amdhsa_user_sgpr_kernarg_preload_offset 0
		.amdhsa_user_sgpr_private_segment_size 0
		.amdhsa_wavefront_size32 1
		.amdhsa_uses_dynamic_stack 0
		.amdhsa_enable_private_segment 0
		.amdhsa_system_sgpr_workgroup_id_x 1
		.amdhsa_system_sgpr_workgroup_id_y 0
		.amdhsa_system_sgpr_workgroup_id_z 0
		.amdhsa_system_sgpr_workgroup_info 0
		.amdhsa_system_vgpr_workitem_id 0
		.amdhsa_next_free_vgpr 42
		.amdhsa_next_free_sgpr 16
		.amdhsa_named_barrier_count 0
		.amdhsa_reserve_vcc 1
		.amdhsa_float_round_mode_32 0
		.amdhsa_float_round_mode_16_64 0
		.amdhsa_float_denorm_mode_32 3
		.amdhsa_float_denorm_mode_16_64 3
		.amdhsa_fp16_overflow 0
		.amdhsa_memory_ordered 1
		.amdhsa_forward_progress 1
		.amdhsa_inst_pref_size 119
		.amdhsa_round_robin_scheduling 0
		.amdhsa_exception_fp_ieee_invalid_op 0
		.amdhsa_exception_fp_denorm_src 0
		.amdhsa_exception_fp_ieee_div_zero 0
		.amdhsa_exception_fp_ieee_overflow 0
		.amdhsa_exception_fp_ieee_underflow 0
		.amdhsa_exception_fp_ieee_inexact 0
		.amdhsa_exception_int_div_zero 0
	.end_amdhsa_kernel
	.section	.text._ZN2at6native29vectorized_elementwise_kernelILi16EZZZNS0_15lcm_kernel_cudaERNS_18TensorIteratorBaseEENKUlvE_clEvENKUlvE2_clEvEUlllE_St5arrayIPcLm3EEEEviT0_T1_,"axG",@progbits,_ZN2at6native29vectorized_elementwise_kernelILi16EZZZNS0_15lcm_kernel_cudaERNS_18TensorIteratorBaseEENKUlvE_clEvENKUlvE2_clEvEUlllE_St5arrayIPcLm3EEEEviT0_T1_,comdat
.Lfunc_end64:
	.size	_ZN2at6native29vectorized_elementwise_kernelILi16EZZZNS0_15lcm_kernel_cudaERNS_18TensorIteratorBaseEENKUlvE_clEvENKUlvE2_clEvEUlllE_St5arrayIPcLm3EEEEviT0_T1_, .Lfunc_end64-_ZN2at6native29vectorized_elementwise_kernelILi16EZZZNS0_15lcm_kernel_cudaERNS_18TensorIteratorBaseEENKUlvE_clEvENKUlvE2_clEvEUlllE_St5arrayIPcLm3EEEEviT0_T1_
                                        ; -- End function
	.set _ZN2at6native29vectorized_elementwise_kernelILi16EZZZNS0_15lcm_kernel_cudaERNS_18TensorIteratorBaseEENKUlvE_clEvENKUlvE2_clEvEUlllE_St5arrayIPcLm3EEEEviT0_T1_.num_vgpr, 42
	.set _ZN2at6native29vectorized_elementwise_kernelILi16EZZZNS0_15lcm_kernel_cudaERNS_18TensorIteratorBaseEENKUlvE_clEvENKUlvE2_clEvEUlllE_St5arrayIPcLm3EEEEviT0_T1_.num_agpr, 0
	.set _ZN2at6native29vectorized_elementwise_kernelILi16EZZZNS0_15lcm_kernel_cudaERNS_18TensorIteratorBaseEENKUlvE_clEvENKUlvE2_clEvEUlllE_St5arrayIPcLm3EEEEviT0_T1_.numbered_sgpr, 16
	.set _ZN2at6native29vectorized_elementwise_kernelILi16EZZZNS0_15lcm_kernel_cudaERNS_18TensorIteratorBaseEENKUlvE_clEvENKUlvE2_clEvEUlllE_St5arrayIPcLm3EEEEviT0_T1_.num_named_barrier, 0
	.set _ZN2at6native29vectorized_elementwise_kernelILi16EZZZNS0_15lcm_kernel_cudaERNS_18TensorIteratorBaseEENKUlvE_clEvENKUlvE2_clEvEUlllE_St5arrayIPcLm3EEEEviT0_T1_.private_seg_size, 0
	.set _ZN2at6native29vectorized_elementwise_kernelILi16EZZZNS0_15lcm_kernel_cudaERNS_18TensorIteratorBaseEENKUlvE_clEvENKUlvE2_clEvEUlllE_St5arrayIPcLm3EEEEviT0_T1_.uses_vcc, 1
	.set _ZN2at6native29vectorized_elementwise_kernelILi16EZZZNS0_15lcm_kernel_cudaERNS_18TensorIteratorBaseEENKUlvE_clEvENKUlvE2_clEvEUlllE_St5arrayIPcLm3EEEEviT0_T1_.uses_flat_scratch, 0
	.set _ZN2at6native29vectorized_elementwise_kernelILi16EZZZNS0_15lcm_kernel_cudaERNS_18TensorIteratorBaseEENKUlvE_clEvENKUlvE2_clEvEUlllE_St5arrayIPcLm3EEEEviT0_T1_.has_dyn_sized_stack, 0
	.set _ZN2at6native29vectorized_elementwise_kernelILi16EZZZNS0_15lcm_kernel_cudaERNS_18TensorIteratorBaseEENKUlvE_clEvENKUlvE2_clEvEUlllE_St5arrayIPcLm3EEEEviT0_T1_.has_recursion, 0
	.set _ZN2at6native29vectorized_elementwise_kernelILi16EZZZNS0_15lcm_kernel_cudaERNS_18TensorIteratorBaseEENKUlvE_clEvENKUlvE2_clEvEUlllE_St5arrayIPcLm3EEEEviT0_T1_.has_indirect_call, 0
	.section	.AMDGPU.csdata,"",@progbits
; Kernel info:
; codeLenInByte = 15128
; TotalNumSgprs: 18
; NumVgprs: 42
; ScratchSize: 0
; MemoryBound: 1
; FloatMode: 240
; IeeeMode: 1
; LDSByteSize: 0 bytes/workgroup (compile time only)
; SGPRBlocks: 0
; VGPRBlocks: 2
; NumSGPRsForWavesPerEU: 18
; NumVGPRsForWavesPerEU: 42
; NamedBarCnt: 0
; Occupancy: 16
; WaveLimiterHint : 0
; COMPUTE_PGM_RSRC2:SCRATCH_EN: 0
; COMPUTE_PGM_RSRC2:USER_SGPR: 2
; COMPUTE_PGM_RSRC2:TRAP_HANDLER: 0
; COMPUTE_PGM_RSRC2:TGID_X_EN: 1
; COMPUTE_PGM_RSRC2:TGID_Y_EN: 0
; COMPUTE_PGM_RSRC2:TGID_Z_EN: 0
; COMPUTE_PGM_RSRC2:TIDIG_COMP_CNT: 0
	.section	.text._ZN2at6native29vectorized_elementwise_kernelILi8EZZZNS0_15lcm_kernel_cudaERNS_18TensorIteratorBaseEENKUlvE_clEvENKUlvE2_clEvEUlllE_St5arrayIPcLm3EEEEviT0_T1_,"axG",@progbits,_ZN2at6native29vectorized_elementwise_kernelILi8EZZZNS0_15lcm_kernel_cudaERNS_18TensorIteratorBaseEENKUlvE_clEvENKUlvE2_clEvEUlllE_St5arrayIPcLm3EEEEviT0_T1_,comdat
	.globl	_ZN2at6native29vectorized_elementwise_kernelILi8EZZZNS0_15lcm_kernel_cudaERNS_18TensorIteratorBaseEENKUlvE_clEvENKUlvE2_clEvEUlllE_St5arrayIPcLm3EEEEviT0_T1_ ; -- Begin function _ZN2at6native29vectorized_elementwise_kernelILi8EZZZNS0_15lcm_kernel_cudaERNS_18TensorIteratorBaseEENKUlvE_clEvENKUlvE2_clEvEUlllE_St5arrayIPcLm3EEEEviT0_T1_
	.p2align	8
	.type	_ZN2at6native29vectorized_elementwise_kernelILi8EZZZNS0_15lcm_kernel_cudaERNS_18TensorIteratorBaseEENKUlvE_clEvENKUlvE2_clEvEUlllE_St5arrayIPcLm3EEEEviT0_T1_,@function
_ZN2at6native29vectorized_elementwise_kernelILi8EZZZNS0_15lcm_kernel_cudaERNS_18TensorIteratorBaseEENKUlvE_clEvENKUlvE2_clEvEUlllE_St5arrayIPcLm3EEEEviT0_T1_: ; @_ZN2at6native29vectorized_elementwise_kernelILi8EZZZNS0_15lcm_kernel_cudaERNS_18TensorIteratorBaseEENKUlvE_clEvENKUlvE2_clEvEUlllE_St5arrayIPcLm3EEEEviT0_T1_
; %bb.0:
	s_clause 0x2
	s_load_b32 s3, s[0:1], 0x0
	s_load_b128 s[4:7], s[0:1], 0x8
	s_load_b64 s[8:9], s[0:1], 0x18
	s_wait_xcnt 0x0
	s_bfe_u32 s0, ttmp6, 0x4000c
	s_and_b32 s1, ttmp6, 15
	s_add_co_i32 s0, s0, 1
	s_getreg_b32 s2, hwreg(HW_REG_IB_STS2, 6, 4)
	s_mul_i32 s0, ttmp9, s0
	s_delay_alu instid0(SALU_CYCLE_1) | instskip(SKIP_2) | instid1(SALU_CYCLE_1)
	s_add_co_i32 s1, s1, s0
	s_cmp_eq_u32 s2, 0
	s_cselect_b32 s0, ttmp9, s1
	s_lshl_b32 s2, s0, 10
	s_mov_b32 s0, -1
	s_wait_kmcnt 0x0
	s_sub_co_i32 s12, s3, s2
	s_delay_alu instid0(SALU_CYCLE_1)
	s_cmp_gt_i32 s12, 0x3ff
	s_cbranch_scc0 .LBB65_58
; %bb.1:
	s_ashr_i32 s3, s2, 31
	v_lshlrev_b32_e32 v1, 5, v0
	s_lshl_b64 s[10:11], s[2:3], 3
	s_delay_alu instid0(SALU_CYCLE_1) | instskip(SKIP_4) | instid1(VALU_DEP_1)
	s_add_nc_u64 s[0:1], s[8:9], s[10:11]
	s_add_nc_u64 s[14:15], s[6:7], s[10:11]
	global_load_b128 v[12:15], v1, s[0:1]
	s_wait_loadcnt 0x0
	v_sub_nc_u64_e32 v[10:11], 0, v[12:13]
	v_max_i64 v[20:21], v[12:13], v[10:11]
	v_mov_b32_e32 v10, 0
	s_clause 0x2
	global_load_b128 v[16:19], v1, s[14:15]
	global_load_b128 v[6:9], v1, s[14:15] offset:16
	global_load_b128 v[2:5], v1, s[0:1] offset:16
	s_wait_xcnt 0x0
	s_mov_b32 s1, exec_lo
	s_wait_loadcnt 0x2
	v_cmpx_ne_u64_e32 0, v[16:17]
	s_cbranch_execz .LBB65_9
; %bb.2:
	v_sub_nc_u64_e32 v[22:23], 0, v[16:17]
	s_mov_b32 s3, 0
	s_delay_alu instid0(VALU_DEP_1)
	v_max_i64 v[24:25], v[16:17], v[22:23]
	s_branch .LBB65_4
.LBB65_3:                               ;   in Loop: Header=BB65_4 Depth=1
	s_or_b32 exec_lo, exec_lo, s0
	s_delay_alu instid0(VALU_DEP_1) | instskip(SKIP_2) | instid1(SALU_CYCLE_1)
	v_cmp_eq_u64_e32 vcc_lo, 0, v[24:25]
	v_mov_b64_e32 v[20:21], v[22:23]
	s_or_b32 s3, vcc_lo, s3
	s_and_not1_b32 exec_lo, exec_lo, s3
	s_cbranch_execz .LBB65_8
.LBB65_4:                               ; =>This Inner Loop Header: Depth=1
	s_delay_alu instid0(VALU_DEP_1) | instskip(SKIP_1) | instid1(VALU_DEP_1)
	v_mov_b64_e32 v[22:23], v[24:25]
                                        ; implicit-def: $vgpr24_vgpr25
	s_mov_b32 s0, exec_lo
	v_or_b32_e32 v11, v21, v23
	s_delay_alu instid0(VALU_DEP_1)
	v_cmpx_ne_u64_e32 0, v[10:11]
	s_xor_b32 s13, exec_lo, s0
	s_cbranch_execz .LBB65_6
; %bb.5:                                ;   in Loop: Header=BB65_4 Depth=1
	s_delay_alu instid0(VALU_DEP_3) | instskip(SKIP_3) | instid1(VALU_DEP_3)
	v_cvt_f32_u32_e32 v11, v22
	v_cvt_f32_u32_e32 v24, v23
	v_sub_nc_u64_e32 v[26:27], 0, v[22:23]
	v_dual_mov_b32 v33, v10 :: v_dual_mov_b32 v35, v10
	v_fmac_f32_e32 v11, 0x4f800000, v24
	s_delay_alu instid0(VALU_DEP_1) | instskip(SKIP_1) | instid1(TRANS32_DEP_1)
	v_rcp_f32_e32 v11, v11
	v_nop
	v_mul_f32_e32 v11, 0x5f7ffffc, v11
	s_delay_alu instid0(VALU_DEP_1) | instskip(NEXT) | instid1(VALU_DEP_1)
	v_mul_f32_e32 v24, 0x2f800000, v11
	v_trunc_f32_e32 v25, v24
	s_delay_alu instid0(VALU_DEP_1) | instskip(SKIP_1) | instid1(VALU_DEP_2)
	v_cvt_u32_f32_e32 v29, v25
	v_fmac_f32_e32 v11, 0xcf800000, v25
	v_dual_mov_b32 v25, v10 :: v_dual_mov_b32 v34, v29
	s_delay_alu instid0(VALU_DEP_2) | instskip(NEXT) | instid1(VALU_DEP_1)
	v_cvt_u32_f32_e32 v24, v11
	v_mov_b32_e32 v28, v24
	s_delay_alu instid0(VALU_DEP_1) | instskip(NEXT) | instid1(VALU_DEP_1)
	v_mul_u64_e32 v[30:31], v[26:27], v[28:29]
	v_dual_mov_b32 v32, v31 :: v_dual_mov_b32 v31, v10
	s_delay_alu instid0(VALU_DEP_1) | instskip(NEXT) | instid1(VALU_DEP_2)
	v_mul_u64_e32 v[36:37], v[24:25], v[32:33]
	v_mul_u64_e32 v[38:39], v[34:35], v[30:31]
	;; [unrolled: 1-line block ×3, first 2 shown]
	v_mul_hi_u32 v30, v24, v30
	s_delay_alu instid0(VALU_DEP_1) | instskip(NEXT) | instid1(VALU_DEP_1)
	v_add_nc_u64_e32 v[30:31], v[30:31], v[36:37]
	v_add_co_u32 v11, vcc_lo, v30, v38
	s_delay_alu instid0(VALU_DEP_2) | instskip(SKIP_1) | instid1(VALU_DEP_1)
	v_add_co_ci_u32_e32 v34, vcc_lo, v31, v39, vcc_lo
	v_add_co_ci_u32_e32 v33, vcc_lo, 0, v33, vcc_lo
	v_add_nc_u64_e32 v[30:31], v[34:35], v[32:33]
	s_delay_alu instid0(VALU_DEP_1) | instskip(NEXT) | instid1(VALU_DEP_1)
	v_add_co_u32 v24, vcc_lo, v24, v30
	v_add_co_ci_u32_e64 v28, null, v29, v31, vcc_lo
	v_dual_mov_b32 v31, v10 :: v_dual_mov_b32 v29, v10
	s_delay_alu instid0(VALU_DEP_2) | instskip(NEXT) | instid1(VALU_DEP_1)
	v_mov_b32_e32 v25, v28
	v_mul_u64_e32 v[26:27], v[26:27], v[24:25]
	s_delay_alu instid0(VALU_DEP_1) | instskip(NEXT) | instid1(VALU_DEP_2)
	v_dual_mov_b32 v25, v10 :: v_dual_mov_b32 v30, v27
	v_dual_mov_b32 v34, v26 :: v_dual_mov_b32 v27, v10
	v_mul_hi_u32 v26, v24, v26
	s_delay_alu instid0(VALU_DEP_3) | instskip(NEXT) | instid1(VALU_DEP_3)
	v_mul_u64_e32 v[32:33], v[24:25], v[30:31]
	v_mul_u64_e32 v[34:35], v[28:29], v[34:35]
	;; [unrolled: 1-line block ×3, first 2 shown]
	s_delay_alu instid0(VALU_DEP_3) | instskip(SKIP_1) | instid1(VALU_DEP_2)
	v_add_nc_u64_e32 v[26:27], v[26:27], v[32:33]
	v_mov_b32_e32 v33, v10
	v_add_co_u32 v11, vcc_lo, v26, v34
	s_delay_alu instid0(VALU_DEP_3) | instskip(SKIP_1) | instid1(VALU_DEP_1)
	v_add_co_ci_u32_e32 v32, vcc_lo, v27, v35, vcc_lo
	v_add_co_ci_u32_e32 v31, vcc_lo, 0, v31, vcc_lo
	v_add_nc_u64_e32 v[26:27], v[32:33], v[30:31]
	v_dual_mov_b32 v30, v20 :: v_dual_mov_b32 v31, v10
	s_delay_alu instid0(VALU_DEP_2) | instskip(NEXT) | instid1(VALU_DEP_1)
	v_add_co_u32 v26, vcc_lo, v24, v26
	v_add_co_ci_u32_e64 v24, null, v28, v27, vcc_lo
	v_dual_mov_b32 v28, v21 :: v_dual_mov_b32 v27, v10
	s_delay_alu instid0(VALU_DEP_2) | instskip(NEXT) | instid1(VALU_DEP_2)
	v_mul_u64_e32 v[30:31], v[30:31], v[24:25]
	v_mul_u64_e32 v[24:25], v[28:29], v[24:25]
	s_delay_alu instid0(VALU_DEP_3) | instskip(SKIP_1) | instid1(VALU_DEP_1)
	v_mul_u64_e32 v[32:33], v[28:29], v[26:27]
	v_mul_hi_u32 v26, v20, v26
	v_add_nc_u64_e32 v[26:27], v[26:27], v[30:31]
	s_delay_alu instid0(VALU_DEP_1) | instskip(NEXT) | instid1(VALU_DEP_2)
	v_add_co_u32 v11, vcc_lo, v26, v32
	v_add_co_ci_u32_e32 v28, vcc_lo, v27, v33, vcc_lo
	v_add_co_ci_u32_e32 v25, vcc_lo, 0, v25, vcc_lo
	s_delay_alu instid0(VALU_DEP_1) | instskip(NEXT) | instid1(VALU_DEP_1)
	v_add_nc_u64_e32 v[24:25], v[28:29], v[24:25]
	v_mul_u64_e32 v[24:25], v[22:23], v[24:25]
	s_delay_alu instid0(VALU_DEP_1) | instskip(NEXT) | instid1(VALU_DEP_2)
	v_sub_nc_u32_e32 v11, v21, v25
	v_sub_co_u32 v20, vcc_lo, v20, v24
	s_delay_alu instid0(VALU_DEP_1) | instskip(NEXT) | instid1(VALU_DEP_3)
	v_sub_co_ci_u32_e64 v21, null, v21, v25, vcc_lo
	v_sub_co_ci_u32_e64 v11, null, v11, v23, vcc_lo
	s_delay_alu instid0(VALU_DEP_3) | instskip(SKIP_1) | instid1(VALU_DEP_3)
	v_sub_co_u32 v24, vcc_lo, v20, v22
	v_cmp_ge_u32_e64 s0, v20, v22
	v_subrev_co_ci_u32_e64 v25, null, 0, v11, vcc_lo
	v_sub_co_ci_u32_e64 v11, null, v11, v23, vcc_lo
	s_delay_alu instid0(VALU_DEP_3) | instskip(SKIP_2) | instid1(VALU_DEP_2)
	v_cndmask_b32_e64 v26, 0, -1, s0
	v_cmp_ge_u32_e64 s0, v24, v22
	v_cmp_ge_u32_e32 vcc_lo, v21, v23
	v_cndmask_b32_e64 v27, 0, -1, s0
	v_cmp_ge_u32_e64 s0, v25, v23
	v_cndmask_b32_e64 v29, 0, -1, vcc_lo
	v_cmp_eq_u32_e32 vcc_lo, v25, v23
	s_delay_alu instid0(VALU_DEP_3) | instskip(SKIP_1) | instid1(VALU_DEP_1)
	v_cndmask_b32_e64 v28, 0, -1, s0
	v_cmp_eq_u32_e64 s0, v21, v23
	v_dual_cndmask_b32 v27, v28, v27, vcc_lo :: v_dual_cndmask_b32 v26, v29, v26, s0
	v_sub_co_u32 v28, vcc_lo, v24, v22
	s_delay_alu instid0(VALU_DEP_1) | instskip(NEXT) | instid1(VALU_DEP_3)
	v_subrev_co_ci_u32_e64 v11, null, 0, v11, vcc_lo
	v_cmp_ne_u32_e32 vcc_lo, 0, v27
	s_delay_alu instid0(VALU_DEP_2) | instskip(SKIP_1) | instid1(VALU_DEP_2)
	v_dual_cndmask_b32 v11, v25, v11 :: v_dual_cndmask_b32 v24, v24, v28
	v_cmp_ne_u32_e32 vcc_lo, 0, v26
	v_dual_cndmask_b32 v25, v21, v11 :: v_dual_cndmask_b32 v24, v20, v24
                                        ; implicit-def: $vgpr20_vgpr21
.LBB65_6:                               ;   in Loop: Header=BB65_4 Depth=1
	s_and_not1_saveexec_b32 s0, s13
	s_cbranch_execz .LBB65_3
; %bb.7:                                ;   in Loop: Header=BB65_4 Depth=1
	v_cvt_f32_u32_e32 v11, v22
	v_dual_sub_nc_u32 v21, 0, v22 :: v_dual_mov_b32 v25, v10
	s_delay_alu instid0(VALU_DEP_2) | instskip(SKIP_1) | instid1(TRANS32_DEP_1)
	v_rcp_iflag_f32_e32 v11, v11
	v_nop
	v_mul_f32_e32 v11, 0x4f7ffffe, v11
	s_delay_alu instid0(VALU_DEP_1) | instskip(NEXT) | instid1(VALU_DEP_1)
	v_cvt_u32_f32_e32 v11, v11
	v_mul_lo_u32 v21, v21, v11
	s_delay_alu instid0(VALU_DEP_1) | instskip(NEXT) | instid1(VALU_DEP_1)
	v_mul_hi_u32 v21, v11, v21
	v_add_nc_u32_e32 v11, v11, v21
	s_delay_alu instid0(VALU_DEP_1) | instskip(NEXT) | instid1(VALU_DEP_1)
	v_mul_hi_u32 v11, v20, v11
	v_mul_lo_u32 v11, v11, v22
	s_delay_alu instid0(VALU_DEP_1) | instskip(NEXT) | instid1(VALU_DEP_1)
	v_sub_nc_u32_e32 v11, v20, v11
	v_sub_nc_u32_e32 v20, v11, v22
	v_cmp_ge_u32_e32 vcc_lo, v11, v22
	s_delay_alu instid0(VALU_DEP_2) | instskip(NEXT) | instid1(VALU_DEP_1)
	v_cndmask_b32_e32 v11, v11, v20, vcc_lo
	v_sub_nc_u32_e32 v20, v11, v22
	v_cmp_ge_u32_e32 vcc_lo, v11, v22
	s_delay_alu instid0(VALU_DEP_2)
	v_cndmask_b32_e32 v24, v11, v20, vcc_lo
	s_branch .LBB65_3
.LBB65_8:
	s_or_b32 exec_lo, exec_lo, s3
	v_mov_b64_e32 v[20:21], v[22:23]
.LBB65_9:
	s_or_b32 exec_lo, exec_lo, s1
	v_mov_b64_e32 v[10:11], 0
	s_mov_b32 s1, exec_lo
	s_delay_alu instid0(VALU_DEP_2)
	v_cmpx_ne_u64_e32 0, v[20:21]
	s_cbranch_execz .LBB65_15
; %bb.10:
	v_dual_mov_b32 v10, 0 :: v_dual_bitop2_b32 v11, v17, v21 bitop3:0x54
                                        ; implicit-def: $vgpr22_vgpr23
	s_mov_b32 s0, exec_lo
	s_delay_alu instid0(VALU_DEP_1)
	v_cmpx_ne_u64_e32 0, v[10:11]
	s_xor_b32 s3, exec_lo, s0
	s_cbranch_execz .LBB65_12
; %bb.11:
	v_dual_mov_b32 v25, v10 :: v_dual_ashrrev_i32 v22, 31, v21
	v_dual_mov_b32 v33, v10 :: v_dual_mov_b32 v35, v10
	s_delay_alu instid0(VALU_DEP_2) | instskip(NEXT) | instid1(VALU_DEP_1)
	v_mov_b32_e32 v23, v22
	v_add_nc_u64_e32 v[20:21], v[20:21], v[22:23]
	s_delay_alu instid0(VALU_DEP_1) | instskip(NEXT) | instid1(VALU_DEP_2)
	v_xor_b32_e32 v20, v20, v22
	v_xor_b32_e32 v21, v21, v22
	s_delay_alu instid0(VALU_DEP_2) | instskip(NEXT) | instid1(VALU_DEP_2)
	v_cvt_f32_u32_e32 v11, v20
	v_cvt_f32_u32_e32 v23, v21
	s_delay_alu instid0(VALU_DEP_1) | instskip(NEXT) | instid1(VALU_DEP_1)
	v_fmamk_f32 v11, v23, 0x4f800000, v11
	v_rcp_f32_e32 v11, v11
	v_nop
	s_delay_alu instid0(TRANS32_DEP_1) | instskip(NEXT) | instid1(VALU_DEP_1)
	v_mul_f32_e32 v11, 0x5f7ffffc, v11
	v_mul_f32_e32 v23, 0x2f800000, v11
	s_delay_alu instid0(VALU_DEP_1) | instskip(NEXT) | instid1(VALU_DEP_1)
	v_trunc_f32_e32 v23, v23
	v_fmamk_f32 v11, v23, 0xcf800000, v11
	v_cvt_u32_f32_e32 v29, v23
	s_delay_alu instid0(VALU_DEP_2) | instskip(NEXT) | instid1(VALU_DEP_1)
	v_cvt_u32_f32_e32 v24, v11
	v_dual_mov_b32 v34, v29 :: v_dual_mov_b32 v28, v24
	v_sub_nc_u64_e32 v[26:27], 0, v[20:21]
	s_delay_alu instid0(VALU_DEP_1) | instskip(NEXT) | instid1(VALU_DEP_1)
	v_mul_u64_e32 v[30:31], v[26:27], v[28:29]
	v_dual_mov_b32 v32, v31 :: v_dual_mov_b32 v31, v10
	s_delay_alu instid0(VALU_DEP_1) | instskip(NEXT) | instid1(VALU_DEP_2)
	v_mul_u64_e32 v[36:37], v[24:25], v[32:33]
	v_mul_u64_e32 v[38:39], v[34:35], v[30:31]
	;; [unrolled: 1-line block ×3, first 2 shown]
	v_mul_hi_u32 v30, v24, v30
	s_delay_alu instid0(VALU_DEP_1) | instskip(SKIP_1) | instid1(VALU_DEP_2)
	v_add_nc_u64_e32 v[30:31], v[30:31], v[36:37]
	v_ashrrev_i32_e32 v36, 31, v17
	v_add_co_u32 v11, vcc_lo, v30, v38
	s_delay_alu instid0(VALU_DEP_3) | instskip(SKIP_1) | instid1(VALU_DEP_1)
	v_add_co_ci_u32_e32 v34, vcc_lo, v31, v39, vcc_lo
	v_add_co_ci_u32_e32 v33, vcc_lo, 0, v33, vcc_lo
	v_add_nc_u64_e32 v[30:31], v[34:35], v[32:33]
	s_delay_alu instid0(VALU_DEP_1) | instskip(NEXT) | instid1(VALU_DEP_1)
	v_add_co_u32 v24, vcc_lo, v24, v30
	v_add_co_ci_u32_e64 v28, null, v29, v31, vcc_lo
	v_dual_mov_b32 v29, v10 :: v_dual_mov_b32 v31, v10
	s_delay_alu instid0(VALU_DEP_2) | instskip(NEXT) | instid1(VALU_DEP_1)
	v_mov_b32_e32 v25, v28
	v_mul_u64_e32 v[26:27], v[26:27], v[24:25]
	s_delay_alu instid0(VALU_DEP_1) | instskip(NEXT) | instid1(VALU_DEP_2)
	v_dual_mov_b32 v25, v10 :: v_dual_mov_b32 v30, v27
	v_dual_mov_b32 v34, v26 :: v_dual_mov_b32 v27, v10
	v_mul_hi_u32 v26, v24, v26
	s_delay_alu instid0(VALU_DEP_3) | instskip(NEXT) | instid1(VALU_DEP_3)
	v_mul_u64_e32 v[32:33], v[24:25], v[30:31]
	v_mul_u64_e32 v[34:35], v[28:29], v[34:35]
	;; [unrolled: 1-line block ×3, first 2 shown]
	s_delay_alu instid0(VALU_DEP_3) | instskip(SKIP_1) | instid1(VALU_DEP_2)
	v_add_nc_u64_e32 v[26:27], v[26:27], v[32:33]
	v_dual_mov_b32 v33, v10 :: v_dual_mov_b32 v37, v36
	v_add_co_u32 v11, vcc_lo, v26, v34
	s_delay_alu instid0(VALU_DEP_3) | instskip(SKIP_1) | instid1(VALU_DEP_4)
	v_add_co_ci_u32_e32 v32, vcc_lo, v27, v35, vcc_lo
	v_add_co_ci_u32_e32 v31, vcc_lo, 0, v31, vcc_lo
	v_add_nc_u64_e32 v[26:27], v[16:17], v[36:37]
	s_delay_alu instid0(VALU_DEP_2) | instskip(NEXT) | instid1(VALU_DEP_2)
	v_add_nc_u64_e32 v[30:31], v[32:33], v[30:31]
	v_xor_b32_e32 v32, v26, v36
	s_delay_alu instid0(VALU_DEP_2) | instskip(NEXT) | instid1(VALU_DEP_1)
	v_add_co_u32 v30, vcc_lo, v24, v30
	v_add_co_ci_u32_e64 v24, null, v28, v31, vcc_lo
	v_dual_mov_b32 v31, v10 :: v_dual_bitop2_b32 v28, v27, v36 bitop3:0x14
	v_mov_b32_e32 v11, v10
	s_delay_alu instid0(VALU_DEP_3) | instskip(NEXT) | instid1(VALU_DEP_3)
	v_mul_u64_e32 v[34:35], v[32:33], v[24:25]
	v_mul_u64_e32 v[26:27], v[28:29], v[30:31]
	;; [unrolled: 1-line block ×3, first 2 shown]
	v_mul_hi_u32 v30, v32, v30
	s_delay_alu instid0(VALU_DEP_1) | instskip(NEXT) | instid1(VALU_DEP_1)
	v_add_nc_u64_e32 v[30:31], v[30:31], v[34:35]
	v_add_co_u32 v10, vcc_lo, v30, v26
	s_delay_alu instid0(VALU_DEP_2) | instskip(SKIP_1) | instid1(VALU_DEP_1)
	v_add_co_ci_u32_e32 v10, vcc_lo, v31, v27, vcc_lo
	v_add_co_ci_u32_e32 v25, vcc_lo, 0, v25, vcc_lo
	v_add_nc_u64_e32 v[10:11], v[10:11], v[24:25]
	s_delay_alu instid0(VALU_DEP_1) | instskip(SKIP_1) | instid1(VALU_DEP_2)
	v_mul_u64_e32 v[24:25], v[20:21], v[10:11]
	v_add_nc_u64_e32 v[26:27], 1, v[10:11]
	v_sub_nc_u32_e32 v17, v28, v25
	s_delay_alu instid0(VALU_DEP_3) | instskip(NEXT) | instid1(VALU_DEP_1)
	v_sub_co_u32 v23, vcc_lo, v32, v24
	v_sub_co_ci_u32_e64 v28, null, v28, v25, vcc_lo
	s_delay_alu instid0(VALU_DEP_3) | instskip(NEXT) | instid1(VALU_DEP_3)
	v_sub_co_ci_u32_e64 v17, null, v17, v21, vcc_lo
	v_sub_co_u32 v24, s0, v23, v20
	s_delay_alu instid0(VALU_DEP_1) | instskip(NEXT) | instid1(VALU_DEP_2)
	v_subrev_co_ci_u32_e64 v17, null, 0, v17, s0
	v_cmp_ge_u32_e32 vcc_lo, v24, v20
	v_cndmask_b32_e64 v24, 0, -1, vcc_lo
	s_delay_alu instid0(VALU_DEP_3)
	v_cmp_ge_u32_e32 vcc_lo, v17, v21
	v_cndmask_b32_e64 v25, 0, -1, vcc_lo
	v_cmp_ge_u32_e32 vcc_lo, v23, v20
	v_cndmask_b32_e64 v20, 0, -1, vcc_lo
	;; [unrolled: 2-line block ×3, first 2 shown]
	v_cmp_eq_u32_e32 vcc_lo, v17, v21
	v_cndmask_b32_e32 v17, v25, v24, vcc_lo
	v_cmp_eq_u32_e32 vcc_lo, v28, v21
	v_add_nc_u64_e32 v[24:25], 2, v[10:11]
	v_cndmask_b32_e32 v20, v23, v20, vcc_lo
	s_delay_alu instid0(VALU_DEP_4) | instskip(NEXT) | instid1(VALU_DEP_2)
	v_cmp_ne_u32_e32 vcc_lo, 0, v17
	v_cmp_ne_u32_e64 s0, 0, v20
	s_delay_alu instid0(VALU_DEP_4) | instskip(NEXT) | instid1(VALU_DEP_1)
	v_dual_cndmask_b32 v17, v27, v25, vcc_lo :: v_dual_bitop2_b32 v20, v36, v22 bitop3:0x14
	v_dual_cndmask_b32 v21, v26, v24, vcc_lo :: v_dual_cndmask_b32 v11, v11, v17, s0
	s_delay_alu instid0(VALU_DEP_1) | instskip(NEXT) | instid1(VALU_DEP_2)
	v_dual_cndmask_b32 v10, v10, v21, s0 :: v_dual_mov_b32 v21, v20
	v_xor_b32_e32 v11, v11, v20
	s_delay_alu instid0(VALU_DEP_2) | instskip(NEXT) | instid1(VALU_DEP_1)
	v_xor_b32_e32 v10, v10, v20
	v_sub_nc_u64_e32 v[22:23], v[10:11], v[20:21]
                                        ; implicit-def: $vgpr20_vgpr21
.LBB65_12:
	s_and_not1_saveexec_b32 s0, s3
	s_cbranch_execz .LBB65_14
; %bb.13:
	v_cvt_f32_u32_e32 v10, v20
	v_dual_sub_nc_u32 v11, 0, v20 :: v_dual_mov_b32 v23, 0
	s_delay_alu instid0(VALU_DEP_2) | instskip(SKIP_1) | instid1(TRANS32_DEP_1)
	v_rcp_iflag_f32_e32 v10, v10
	v_nop
	v_mul_f32_e32 v10, 0x4f7ffffe, v10
	s_delay_alu instid0(VALU_DEP_1) | instskip(NEXT) | instid1(VALU_DEP_1)
	v_cvt_u32_f32_e32 v10, v10
	v_mul_lo_u32 v11, v11, v10
	s_delay_alu instid0(VALU_DEP_1) | instskip(NEXT) | instid1(VALU_DEP_1)
	v_mul_hi_u32 v11, v10, v11
	v_add_nc_u32_e32 v10, v10, v11
	s_delay_alu instid0(VALU_DEP_1) | instskip(NEXT) | instid1(VALU_DEP_1)
	v_mul_hi_u32 v10, v16, v10
	v_mul_lo_u32 v11, v10, v20
	s_delay_alu instid0(VALU_DEP_1) | instskip(NEXT) | instid1(VALU_DEP_1)
	v_dual_sub_nc_u32 v11, v16, v11 :: v_dual_add_nc_u32 v16, 1, v10
	v_sub_nc_u32_e32 v17, v11, v20
	v_cmp_ge_u32_e32 vcc_lo, v11, v20
	s_delay_alu instid0(VALU_DEP_2) | instskip(NEXT) | instid1(VALU_DEP_1)
	v_dual_cndmask_b32 v11, v11, v17 :: v_dual_cndmask_b32 v10, v10, v16
	v_cmp_ge_u32_e32 vcc_lo, v11, v20
	s_delay_alu instid0(VALU_DEP_2) | instskip(NEXT) | instid1(VALU_DEP_1)
	v_add_nc_u32_e32 v16, 1, v10
	v_cndmask_b32_e32 v22, v10, v16, vcc_lo
.LBB65_14:
	s_or_b32 exec_lo, exec_lo, s0
	s_delay_alu instid0(VALU_DEP_1) | instskip(NEXT) | instid1(VALU_DEP_1)
	v_mul_u64_e32 v[10:11], v[22:23], v[12:13]
	v_sub_nc_u64_e32 v[12:13], 0, v[10:11]
	s_delay_alu instid0(VALU_DEP_1)
	v_max_i64 v[10:11], v[10:11], v[12:13]
.LBB65_15:
	s_or_b32 exec_lo, exec_lo, s1
	v_sub_nc_u64_e32 v[12:13], 0, v[14:15]
	s_mov_b32 s1, exec_lo
	s_delay_alu instid0(VALU_DEP_1)
	v_max_i64 v[16:17], v[14:15], v[12:13]
	v_cmpx_ne_u64_e32 0, v[18:19]
	s_cbranch_execz .LBB65_23
; %bb.16:
	v_sub_nc_u64_e32 v[12:13], 0, v[18:19]
	s_mov_b32 s3, 0
	s_delay_alu instid0(VALU_DEP_1)
	v_max_i64 v[22:23], v[18:19], v[12:13]
	v_mov_b32_e32 v12, 0
	s_branch .LBB65_18
.LBB65_17:                              ;   in Loop: Header=BB65_18 Depth=1
	s_or_b32 exec_lo, exec_lo, s0
	s_delay_alu instid0(VALU_DEP_1) | instskip(SKIP_2) | instid1(SALU_CYCLE_1)
	v_cmp_eq_u64_e32 vcc_lo, 0, v[22:23]
	v_mov_b64_e32 v[16:17], v[20:21]
	s_or_b32 s3, vcc_lo, s3
	s_and_not1_b32 exec_lo, exec_lo, s3
	s_cbranch_execz .LBB65_22
.LBB65_18:                              ; =>This Inner Loop Header: Depth=1
	s_delay_alu instid0(VALU_DEP_2) | instskip(SKIP_1) | instid1(VALU_DEP_1)
	v_mov_b64_e32 v[20:21], v[22:23]
                                        ; implicit-def: $vgpr22_vgpr23
	s_mov_b32 s0, exec_lo
	v_or_b32_e32 v13, v17, v21
	s_delay_alu instid0(VALU_DEP_1)
	v_cmpx_ne_u64_e32 0, v[12:13]
	s_xor_b32 s13, exec_lo, s0
	s_cbranch_execz .LBB65_20
; %bb.19:                               ;   in Loop: Header=BB65_18 Depth=1
	s_delay_alu instid0(VALU_DEP_3) | instskip(SKIP_3) | instid1(VALU_DEP_3)
	v_cvt_f32_u32_e32 v13, v20
	v_cvt_f32_u32_e32 v22, v21
	v_sub_nc_u64_e32 v[24:25], 0, v[20:21]
	v_dual_mov_b32 v31, v12 :: v_dual_mov_b32 v33, v12
	v_fmac_f32_e32 v13, 0x4f800000, v22
	s_delay_alu instid0(VALU_DEP_1) | instskip(SKIP_1) | instid1(TRANS32_DEP_1)
	v_rcp_f32_e32 v13, v13
	v_nop
	v_mul_f32_e32 v13, 0x5f7ffffc, v13
	s_delay_alu instid0(VALU_DEP_1) | instskip(NEXT) | instid1(VALU_DEP_1)
	v_mul_f32_e32 v22, 0x2f800000, v13
	v_trunc_f32_e32 v23, v22
	s_delay_alu instid0(VALU_DEP_1) | instskip(SKIP_1) | instid1(VALU_DEP_2)
	v_cvt_u32_f32_e32 v27, v23
	v_fmac_f32_e32 v13, 0xcf800000, v23
	v_dual_mov_b32 v23, v12 :: v_dual_mov_b32 v32, v27
	s_delay_alu instid0(VALU_DEP_2) | instskip(NEXT) | instid1(VALU_DEP_1)
	v_cvt_u32_f32_e32 v22, v13
	v_mov_b32_e32 v26, v22
	s_delay_alu instid0(VALU_DEP_1) | instskip(NEXT) | instid1(VALU_DEP_1)
	v_mul_u64_e32 v[28:29], v[24:25], v[26:27]
	v_dual_mov_b32 v30, v29 :: v_dual_mov_b32 v29, v12
	s_delay_alu instid0(VALU_DEP_1) | instskip(NEXT) | instid1(VALU_DEP_2)
	v_mul_u64_e32 v[34:35], v[22:23], v[30:31]
	v_mul_u64_e32 v[36:37], v[32:33], v[28:29]
	;; [unrolled: 1-line block ×3, first 2 shown]
	v_mul_hi_u32 v28, v22, v28
	s_delay_alu instid0(VALU_DEP_1) | instskip(NEXT) | instid1(VALU_DEP_1)
	v_add_nc_u64_e32 v[28:29], v[28:29], v[34:35]
	v_add_co_u32 v13, vcc_lo, v28, v36
	s_delay_alu instid0(VALU_DEP_2) | instskip(SKIP_1) | instid1(VALU_DEP_1)
	v_add_co_ci_u32_e32 v32, vcc_lo, v29, v37, vcc_lo
	v_add_co_ci_u32_e32 v31, vcc_lo, 0, v31, vcc_lo
	v_add_nc_u64_e32 v[28:29], v[32:33], v[30:31]
	s_delay_alu instid0(VALU_DEP_1) | instskip(NEXT) | instid1(VALU_DEP_1)
	v_add_co_u32 v22, vcc_lo, v22, v28
	v_add_co_ci_u32_e64 v26, null, v27, v29, vcc_lo
	v_dual_mov_b32 v29, v12 :: v_dual_mov_b32 v27, v12
	s_delay_alu instid0(VALU_DEP_2) | instskip(NEXT) | instid1(VALU_DEP_1)
	v_mov_b32_e32 v23, v26
	v_mul_u64_e32 v[24:25], v[24:25], v[22:23]
	s_delay_alu instid0(VALU_DEP_1) | instskip(NEXT) | instid1(VALU_DEP_2)
	v_dual_mov_b32 v23, v12 :: v_dual_mov_b32 v28, v25
	v_dual_mov_b32 v32, v24 :: v_dual_mov_b32 v25, v12
	v_mul_hi_u32 v24, v22, v24
	s_delay_alu instid0(VALU_DEP_3) | instskip(NEXT) | instid1(VALU_DEP_3)
	v_mul_u64_e32 v[30:31], v[22:23], v[28:29]
	v_mul_u64_e32 v[32:33], v[26:27], v[32:33]
	;; [unrolled: 1-line block ×3, first 2 shown]
	s_delay_alu instid0(VALU_DEP_3) | instskip(SKIP_1) | instid1(VALU_DEP_2)
	v_add_nc_u64_e32 v[24:25], v[24:25], v[30:31]
	v_mov_b32_e32 v31, v12
	v_add_co_u32 v13, vcc_lo, v24, v32
	s_delay_alu instid0(VALU_DEP_3) | instskip(SKIP_1) | instid1(VALU_DEP_1)
	v_add_co_ci_u32_e32 v30, vcc_lo, v25, v33, vcc_lo
	v_add_co_ci_u32_e32 v29, vcc_lo, 0, v29, vcc_lo
	v_add_nc_u64_e32 v[24:25], v[30:31], v[28:29]
	v_dual_mov_b32 v28, v16 :: v_dual_mov_b32 v29, v12
	s_delay_alu instid0(VALU_DEP_2) | instskip(NEXT) | instid1(VALU_DEP_1)
	v_add_co_u32 v24, vcc_lo, v22, v24
	v_add_co_ci_u32_e64 v22, null, v26, v25, vcc_lo
	v_dual_mov_b32 v26, v17 :: v_dual_mov_b32 v25, v12
	s_delay_alu instid0(VALU_DEP_2) | instskip(NEXT) | instid1(VALU_DEP_2)
	v_mul_u64_e32 v[28:29], v[28:29], v[22:23]
	v_mul_u64_e32 v[22:23], v[26:27], v[22:23]
	s_delay_alu instid0(VALU_DEP_3) | instskip(SKIP_1) | instid1(VALU_DEP_1)
	v_mul_u64_e32 v[30:31], v[26:27], v[24:25]
	v_mul_hi_u32 v24, v16, v24
	v_add_nc_u64_e32 v[24:25], v[24:25], v[28:29]
	s_delay_alu instid0(VALU_DEP_1) | instskip(NEXT) | instid1(VALU_DEP_2)
	v_add_co_u32 v13, vcc_lo, v24, v30
	v_add_co_ci_u32_e32 v26, vcc_lo, v25, v31, vcc_lo
	v_add_co_ci_u32_e32 v23, vcc_lo, 0, v23, vcc_lo
	s_delay_alu instid0(VALU_DEP_1) | instskip(NEXT) | instid1(VALU_DEP_1)
	v_add_nc_u64_e32 v[22:23], v[26:27], v[22:23]
	v_mul_u64_e32 v[22:23], v[20:21], v[22:23]
	s_delay_alu instid0(VALU_DEP_1) | instskip(NEXT) | instid1(VALU_DEP_2)
	v_sub_nc_u32_e32 v13, v17, v23
	v_sub_co_u32 v16, vcc_lo, v16, v22
	s_delay_alu instid0(VALU_DEP_1) | instskip(NEXT) | instid1(VALU_DEP_3)
	v_sub_co_ci_u32_e64 v17, null, v17, v23, vcc_lo
	v_sub_co_ci_u32_e64 v13, null, v13, v21, vcc_lo
	s_delay_alu instid0(VALU_DEP_3) | instskip(SKIP_1) | instid1(VALU_DEP_3)
	v_sub_co_u32 v22, vcc_lo, v16, v20
	v_cmp_ge_u32_e64 s0, v16, v20
	v_subrev_co_ci_u32_e64 v23, null, 0, v13, vcc_lo
	v_sub_co_ci_u32_e64 v13, null, v13, v21, vcc_lo
	s_delay_alu instid0(VALU_DEP_3) | instskip(SKIP_2) | instid1(VALU_DEP_2)
	v_cndmask_b32_e64 v24, 0, -1, s0
	v_cmp_ge_u32_e64 s0, v22, v20
	v_cmp_ge_u32_e32 vcc_lo, v17, v21
	v_cndmask_b32_e64 v25, 0, -1, s0
	v_cmp_ge_u32_e64 s0, v23, v21
	v_cndmask_b32_e64 v27, 0, -1, vcc_lo
	v_cmp_eq_u32_e32 vcc_lo, v23, v21
	s_delay_alu instid0(VALU_DEP_3) | instskip(SKIP_1) | instid1(VALU_DEP_1)
	v_cndmask_b32_e64 v26, 0, -1, s0
	v_cmp_eq_u32_e64 s0, v17, v21
	v_dual_cndmask_b32 v25, v26, v25, vcc_lo :: v_dual_cndmask_b32 v24, v27, v24, s0
	v_sub_co_u32 v26, vcc_lo, v22, v20
	s_delay_alu instid0(VALU_DEP_1) | instskip(NEXT) | instid1(VALU_DEP_3)
	v_subrev_co_ci_u32_e64 v13, null, 0, v13, vcc_lo
	v_cmp_ne_u32_e32 vcc_lo, 0, v25
	s_delay_alu instid0(VALU_DEP_2) | instskip(SKIP_1) | instid1(VALU_DEP_2)
	v_dual_cndmask_b32 v13, v23, v13 :: v_dual_cndmask_b32 v22, v22, v26
	v_cmp_ne_u32_e32 vcc_lo, 0, v24
	v_dual_cndmask_b32 v23, v17, v13 :: v_dual_cndmask_b32 v22, v16, v22
                                        ; implicit-def: $vgpr16_vgpr17
.LBB65_20:                              ;   in Loop: Header=BB65_18 Depth=1
	s_and_not1_saveexec_b32 s0, s13
	s_cbranch_execz .LBB65_17
; %bb.21:                               ;   in Loop: Header=BB65_18 Depth=1
	v_cvt_f32_u32_e32 v13, v20
	v_dual_sub_nc_u32 v17, 0, v20 :: v_dual_mov_b32 v23, v12
	s_delay_alu instid0(VALU_DEP_2) | instskip(SKIP_1) | instid1(TRANS32_DEP_1)
	v_rcp_iflag_f32_e32 v13, v13
	v_nop
	v_mul_f32_e32 v13, 0x4f7ffffe, v13
	s_delay_alu instid0(VALU_DEP_1) | instskip(NEXT) | instid1(VALU_DEP_1)
	v_cvt_u32_f32_e32 v13, v13
	v_mul_lo_u32 v17, v17, v13
	s_delay_alu instid0(VALU_DEP_1) | instskip(NEXT) | instid1(VALU_DEP_1)
	v_mul_hi_u32 v17, v13, v17
	v_add_nc_u32_e32 v13, v13, v17
	s_delay_alu instid0(VALU_DEP_1) | instskip(NEXT) | instid1(VALU_DEP_1)
	v_mul_hi_u32 v13, v16, v13
	v_mul_lo_u32 v13, v13, v20
	s_delay_alu instid0(VALU_DEP_1) | instskip(NEXT) | instid1(VALU_DEP_1)
	v_sub_nc_u32_e32 v13, v16, v13
	v_sub_nc_u32_e32 v16, v13, v20
	v_cmp_ge_u32_e32 vcc_lo, v13, v20
	s_delay_alu instid0(VALU_DEP_2) | instskip(NEXT) | instid1(VALU_DEP_1)
	v_cndmask_b32_e32 v13, v13, v16, vcc_lo
	v_sub_nc_u32_e32 v16, v13, v20
	v_cmp_ge_u32_e32 vcc_lo, v13, v20
	s_delay_alu instid0(VALU_DEP_2)
	v_cndmask_b32_e32 v22, v13, v16, vcc_lo
	s_branch .LBB65_17
.LBB65_22:
	s_or_b32 exec_lo, exec_lo, s3
	v_mov_b64_e32 v[16:17], v[20:21]
.LBB65_23:
	s_or_b32 exec_lo, exec_lo, s1
	v_mov_b64_e32 v[12:13], 0
	s_mov_b32 s1, exec_lo
	s_delay_alu instid0(VALU_DEP_2)
	v_cmpx_ne_u64_e32 0, v[16:17]
	s_cbranch_execz .LBB65_29
; %bb.24:
	v_dual_mov_b32 v12, 0 :: v_dual_bitop2_b32 v13, v19, v17 bitop3:0x54
                                        ; implicit-def: $vgpr20_vgpr21
	s_mov_b32 s0, exec_lo
	s_delay_alu instid0(VALU_DEP_1)
	v_cmpx_ne_u64_e32 0, v[12:13]
	s_xor_b32 s3, exec_lo, s0
	s_cbranch_execz .LBB65_26
; %bb.25:
	v_dual_mov_b32 v23, v12 :: v_dual_ashrrev_i32 v20, 31, v17
	v_dual_mov_b32 v31, v12 :: v_dual_mov_b32 v33, v12
	s_delay_alu instid0(VALU_DEP_2) | instskip(NEXT) | instid1(VALU_DEP_1)
	v_mov_b32_e32 v21, v20
	v_add_nc_u64_e32 v[16:17], v[16:17], v[20:21]
	s_delay_alu instid0(VALU_DEP_1) | instskip(NEXT) | instid1(VALU_DEP_2)
	v_xor_b32_e32 v16, v16, v20
	v_xor_b32_e32 v17, v17, v20
	s_delay_alu instid0(VALU_DEP_2) | instskip(NEXT) | instid1(VALU_DEP_2)
	v_cvt_f32_u32_e32 v13, v16
	v_cvt_f32_u32_e32 v21, v17
	s_delay_alu instid0(VALU_DEP_1) | instskip(NEXT) | instid1(VALU_DEP_1)
	v_fmamk_f32 v13, v21, 0x4f800000, v13
	v_rcp_f32_e32 v13, v13
	v_nop
	s_delay_alu instid0(TRANS32_DEP_1) | instskip(NEXT) | instid1(VALU_DEP_1)
	v_mul_f32_e32 v13, 0x5f7ffffc, v13
	v_mul_f32_e32 v21, 0x2f800000, v13
	s_delay_alu instid0(VALU_DEP_1) | instskip(NEXT) | instid1(VALU_DEP_1)
	v_trunc_f32_e32 v21, v21
	v_fmamk_f32 v13, v21, 0xcf800000, v13
	v_cvt_u32_f32_e32 v27, v21
	s_delay_alu instid0(VALU_DEP_2) | instskip(NEXT) | instid1(VALU_DEP_1)
	v_cvt_u32_f32_e32 v22, v13
	v_dual_mov_b32 v32, v27 :: v_dual_mov_b32 v26, v22
	v_sub_nc_u64_e32 v[24:25], 0, v[16:17]
	s_delay_alu instid0(VALU_DEP_1) | instskip(NEXT) | instid1(VALU_DEP_1)
	v_mul_u64_e32 v[28:29], v[24:25], v[26:27]
	v_dual_mov_b32 v30, v29 :: v_dual_mov_b32 v29, v12
	s_delay_alu instid0(VALU_DEP_1) | instskip(NEXT) | instid1(VALU_DEP_2)
	v_mul_u64_e32 v[34:35], v[22:23], v[30:31]
	v_mul_u64_e32 v[36:37], v[32:33], v[28:29]
	;; [unrolled: 1-line block ×3, first 2 shown]
	v_mul_hi_u32 v28, v22, v28
	s_delay_alu instid0(VALU_DEP_1) | instskip(SKIP_1) | instid1(VALU_DEP_2)
	v_add_nc_u64_e32 v[28:29], v[28:29], v[34:35]
	v_ashrrev_i32_e32 v34, 31, v19
	v_add_co_u32 v13, vcc_lo, v28, v36
	s_delay_alu instid0(VALU_DEP_3) | instskip(SKIP_1) | instid1(VALU_DEP_1)
	v_add_co_ci_u32_e32 v32, vcc_lo, v29, v37, vcc_lo
	v_add_co_ci_u32_e32 v31, vcc_lo, 0, v31, vcc_lo
	v_add_nc_u64_e32 v[28:29], v[32:33], v[30:31]
	s_delay_alu instid0(VALU_DEP_1) | instskip(NEXT) | instid1(VALU_DEP_1)
	v_add_co_u32 v22, vcc_lo, v22, v28
	v_add_co_ci_u32_e64 v26, null, v27, v29, vcc_lo
	v_dual_mov_b32 v27, v12 :: v_dual_mov_b32 v29, v12
	s_delay_alu instid0(VALU_DEP_2) | instskip(NEXT) | instid1(VALU_DEP_1)
	v_mov_b32_e32 v23, v26
	v_mul_u64_e32 v[24:25], v[24:25], v[22:23]
	s_delay_alu instid0(VALU_DEP_1) | instskip(NEXT) | instid1(VALU_DEP_2)
	v_dual_mov_b32 v23, v12 :: v_dual_mov_b32 v28, v25
	v_dual_mov_b32 v32, v24 :: v_dual_mov_b32 v25, v12
	v_mul_hi_u32 v24, v22, v24
	s_delay_alu instid0(VALU_DEP_3) | instskip(NEXT) | instid1(VALU_DEP_3)
	v_mul_u64_e32 v[30:31], v[22:23], v[28:29]
	v_mul_u64_e32 v[32:33], v[26:27], v[32:33]
	;; [unrolled: 1-line block ×3, first 2 shown]
	s_delay_alu instid0(VALU_DEP_3) | instskip(SKIP_1) | instid1(VALU_DEP_2)
	v_add_nc_u64_e32 v[24:25], v[24:25], v[30:31]
	v_dual_mov_b32 v31, v12 :: v_dual_mov_b32 v35, v34
	v_add_co_u32 v13, vcc_lo, v24, v32
	s_delay_alu instid0(VALU_DEP_3) | instskip(SKIP_2) | instid1(VALU_DEP_2)
	v_add_co_ci_u32_e32 v30, vcc_lo, v25, v33, vcc_lo
	v_add_co_ci_u32_e32 v29, vcc_lo, 0, v29, vcc_lo
	v_mov_b32_e32 v13, v12
	v_add_nc_u64_e32 v[24:25], v[30:31], v[28:29]
	v_mov_b32_e32 v29, v12
	v_add_nc_u64_e32 v[18:19], v[18:19], v[34:35]
	s_delay_alu instid0(VALU_DEP_3) | instskip(NEXT) | instid1(VALU_DEP_2)
	v_add_co_u32 v24, vcc_lo, v22, v24
	v_xor_b32_e32 v28, v18, v34
	v_add_co_ci_u32_e64 v22, null, v26, v25, vcc_lo
	s_delay_alu instid0(VALU_DEP_4) | instskip(NEXT) | instid1(VALU_DEP_2)
	v_dual_mov_b32 v25, v12 :: v_dual_bitop2_b32 v26, v19, v34 bitop3:0x14
	v_mul_u64_e32 v[30:31], v[28:29], v[22:23]
	s_delay_alu instid0(VALU_DEP_2) | instskip(SKIP_2) | instid1(VALU_DEP_1)
	v_mul_u64_e32 v[18:19], v[26:27], v[24:25]
	v_mul_u64_e32 v[22:23], v[26:27], v[22:23]
	v_mul_hi_u32 v24, v28, v24
	v_add_nc_u64_e32 v[24:25], v[24:25], v[30:31]
	s_delay_alu instid0(VALU_DEP_1) | instskip(NEXT) | instid1(VALU_DEP_2)
	v_add_co_u32 v12, vcc_lo, v24, v18
	v_add_co_ci_u32_e32 v12, vcc_lo, v25, v19, vcc_lo
	v_add_co_ci_u32_e32 v23, vcc_lo, 0, v23, vcc_lo
	s_delay_alu instid0(VALU_DEP_1) | instskip(NEXT) | instid1(VALU_DEP_1)
	v_add_nc_u64_e32 v[12:13], v[12:13], v[22:23]
	v_mul_u64_e32 v[18:19], v[16:17], v[12:13]
	s_delay_alu instid0(VALU_DEP_1) | instskip(NEXT) | instid1(VALU_DEP_2)
	v_sub_nc_u32_e32 v21, v26, v19
	v_sub_co_u32 v18, vcc_lo, v28, v18
	s_delay_alu instid0(VALU_DEP_1) | instskip(NEXT) | instid1(VALU_DEP_3)
	v_sub_co_ci_u32_e64 v24, null, v26, v19, vcc_lo
	v_sub_co_ci_u32_e64 v21, null, v21, v17, vcc_lo
	s_delay_alu instid0(VALU_DEP_3) | instskip(NEXT) | instid1(VALU_DEP_1)
	v_sub_co_u32 v22, s0, v18, v16
	v_subrev_co_ci_u32_e64 v21, null, 0, v21, s0
	s_delay_alu instid0(VALU_DEP_2) | instskip(SKIP_1) | instid1(VALU_DEP_3)
	v_cmp_ge_u32_e32 vcc_lo, v22, v16
	v_cndmask_b32_e64 v19, 0, -1, vcc_lo
	v_cmp_ge_u32_e32 vcc_lo, v21, v17
	v_cndmask_b32_e64 v22, 0, -1, vcc_lo
	;; [unrolled: 2-line block ×4, first 2 shown]
	v_cmp_eq_u32_e32 vcc_lo, v21, v17
	v_cndmask_b32_e32 v21, v22, v19, vcc_lo
	v_cmp_eq_u32_e32 vcc_lo, v24, v17
	v_add_nc_u64_e32 v[18:19], 2, v[12:13]
	v_add_nc_u64_e32 v[22:23], 1, v[12:13]
	v_cndmask_b32_e32 v16, v25, v16, vcc_lo
	v_cmp_ne_u32_e32 vcc_lo, 0, v21
	s_delay_alu instid0(VALU_DEP_2) | instskip(NEXT) | instid1(VALU_DEP_4)
	v_cmp_ne_u32_e64 s0, 0, v16
	v_dual_cndmask_b32 v17, v23, v19 :: v_dual_cndmask_b32 v18, v22, v18
	s_delay_alu instid0(VALU_DEP_1) | instskip(NEXT) | instid1(VALU_DEP_2)
	v_dual_cndmask_b32 v13, v13, v17, s0 :: v_dual_bitop2_b32 v16, v34, v20 bitop3:0x14
	v_cndmask_b32_e64 v12, v12, v18, s0
                                        ; implicit-def: $vgpr18_vgpr19
	s_delay_alu instid0(VALU_DEP_2) | instskip(NEXT) | instid1(VALU_DEP_2)
	v_dual_mov_b32 v17, v16 :: v_dual_bitop2_b32 v13, v13, v16 bitop3:0x14
	v_xor_b32_e32 v12, v12, v16
	s_delay_alu instid0(VALU_DEP_1)
	v_sub_nc_u64_e32 v[20:21], v[12:13], v[16:17]
                                        ; implicit-def: $vgpr16_vgpr17
.LBB65_26:
	s_and_not1_saveexec_b32 s0, s3
	s_cbranch_execz .LBB65_28
; %bb.27:
	v_cvt_f32_u32_e32 v12, v16
	v_dual_sub_nc_u32 v13, 0, v16 :: v_dual_mov_b32 v21, 0
	s_delay_alu instid0(VALU_DEP_2) | instskip(SKIP_1) | instid1(TRANS32_DEP_1)
	v_rcp_iflag_f32_e32 v12, v12
	v_nop
	v_mul_f32_e32 v12, 0x4f7ffffe, v12
	s_delay_alu instid0(VALU_DEP_1) | instskip(NEXT) | instid1(VALU_DEP_1)
	v_cvt_u32_f32_e32 v12, v12
	v_mul_lo_u32 v13, v13, v12
	s_delay_alu instid0(VALU_DEP_1) | instskip(NEXT) | instid1(VALU_DEP_1)
	v_mul_hi_u32 v13, v12, v13
	v_add_nc_u32_e32 v12, v12, v13
	s_delay_alu instid0(VALU_DEP_1) | instskip(NEXT) | instid1(VALU_DEP_1)
	v_mul_hi_u32 v12, v18, v12
	v_mul_lo_u32 v13, v12, v16
	s_delay_alu instid0(VALU_DEP_1) | instskip(NEXT) | instid1(VALU_DEP_1)
	v_sub_nc_u32_e32 v13, v18, v13
	v_sub_nc_u32_e32 v18, v13, v16
	v_cmp_ge_u32_e32 vcc_lo, v13, v16
	s_delay_alu instid0(VALU_DEP_2) | instskip(NEXT) | instid1(VALU_DEP_1)
	v_dual_add_nc_u32 v17, 1, v12 :: v_dual_cndmask_b32 v13, v13, v18, vcc_lo
	v_cndmask_b32_e32 v12, v12, v17, vcc_lo
	s_delay_alu instid0(VALU_DEP_2) | instskip(NEXT) | instid1(VALU_DEP_2)
	v_cmp_ge_u32_e32 vcc_lo, v13, v16
	v_add_nc_u32_e32 v17, 1, v12
	s_delay_alu instid0(VALU_DEP_1)
	v_cndmask_b32_e32 v20, v12, v17, vcc_lo
.LBB65_28:
	s_or_b32 exec_lo, exec_lo, s0
	s_delay_alu instid0(VALU_DEP_1) | instskip(NEXT) | instid1(VALU_DEP_1)
	v_mul_u64_e32 v[12:13], v[20:21], v[14:15]
	v_sub_nc_u64_e32 v[14:15], 0, v[12:13]
	s_delay_alu instid0(VALU_DEP_1)
	v_max_i64 v[12:13], v[12:13], v[14:15]
.LBB65_29:
	s_or_b32 exec_lo, exec_lo, s1
	s_wait_loadcnt 0x0
	v_sub_nc_u64_e32 v[14:15], 0, v[2:3]
	s_mov_b32 s1, exec_lo
	s_delay_alu instid0(VALU_DEP_1)
	v_max_i64 v[16:17], v[2:3], v[14:15]
	v_cmpx_ne_u64_e32 0, v[6:7]
	s_cbranch_execz .LBB65_37
; %bb.30:
	v_sub_nc_u64_e32 v[14:15], 0, v[6:7]
	s_mov_b32 s3, 0
	s_delay_alu instid0(VALU_DEP_1)
	v_max_i64 v[20:21], v[6:7], v[14:15]
	v_mov_b32_e32 v14, 0
	s_branch .LBB65_32
.LBB65_31:                              ;   in Loop: Header=BB65_32 Depth=1
	s_or_b32 exec_lo, exec_lo, s0
	s_delay_alu instid0(VALU_DEP_1) | instskip(SKIP_2) | instid1(SALU_CYCLE_1)
	v_cmp_eq_u64_e32 vcc_lo, 0, v[20:21]
	v_mov_b64_e32 v[16:17], v[18:19]
	s_or_b32 s3, vcc_lo, s3
	s_and_not1_b32 exec_lo, exec_lo, s3
	s_cbranch_execz .LBB65_36
.LBB65_32:                              ; =>This Inner Loop Header: Depth=1
	s_delay_alu instid0(VALU_DEP_2) | instskip(SKIP_1) | instid1(VALU_DEP_1)
	v_mov_b64_e32 v[18:19], v[20:21]
                                        ; implicit-def: $vgpr20_vgpr21
	s_mov_b32 s0, exec_lo
	v_or_b32_e32 v15, v17, v19
	s_delay_alu instid0(VALU_DEP_1)
	v_cmpx_ne_u64_e32 0, v[14:15]
	s_xor_b32 s13, exec_lo, s0
	s_cbranch_execz .LBB65_34
; %bb.33:                               ;   in Loop: Header=BB65_32 Depth=1
	s_delay_alu instid0(VALU_DEP_3) | instskip(SKIP_3) | instid1(VALU_DEP_3)
	v_cvt_f32_u32_e32 v15, v18
	v_cvt_f32_u32_e32 v20, v19
	v_sub_nc_u64_e32 v[22:23], 0, v[18:19]
	v_dual_mov_b32 v29, v14 :: v_dual_mov_b32 v31, v14
	v_fmac_f32_e32 v15, 0x4f800000, v20
	s_delay_alu instid0(VALU_DEP_1) | instskip(SKIP_1) | instid1(TRANS32_DEP_1)
	v_rcp_f32_e32 v15, v15
	v_nop
	v_mul_f32_e32 v15, 0x5f7ffffc, v15
	s_delay_alu instid0(VALU_DEP_1) | instskip(NEXT) | instid1(VALU_DEP_1)
	v_mul_f32_e32 v20, 0x2f800000, v15
	v_trunc_f32_e32 v21, v20
	s_delay_alu instid0(VALU_DEP_1) | instskip(SKIP_1) | instid1(VALU_DEP_2)
	v_cvt_u32_f32_e32 v25, v21
	v_fmac_f32_e32 v15, 0xcf800000, v21
	v_dual_mov_b32 v21, v14 :: v_dual_mov_b32 v30, v25
	s_delay_alu instid0(VALU_DEP_2) | instskip(NEXT) | instid1(VALU_DEP_1)
	v_cvt_u32_f32_e32 v20, v15
	v_mov_b32_e32 v24, v20
	s_delay_alu instid0(VALU_DEP_1) | instskip(NEXT) | instid1(VALU_DEP_1)
	v_mul_u64_e32 v[26:27], v[22:23], v[24:25]
	v_dual_mov_b32 v28, v27 :: v_dual_mov_b32 v27, v14
	s_delay_alu instid0(VALU_DEP_1) | instskip(NEXT) | instid1(VALU_DEP_2)
	v_mul_u64_e32 v[32:33], v[20:21], v[28:29]
	v_mul_u64_e32 v[34:35], v[30:31], v[26:27]
	;; [unrolled: 1-line block ×3, first 2 shown]
	v_mul_hi_u32 v26, v20, v26
	s_delay_alu instid0(VALU_DEP_1) | instskip(NEXT) | instid1(VALU_DEP_1)
	v_add_nc_u64_e32 v[26:27], v[26:27], v[32:33]
	v_add_co_u32 v15, vcc_lo, v26, v34
	s_delay_alu instid0(VALU_DEP_2) | instskip(SKIP_1) | instid1(VALU_DEP_1)
	v_add_co_ci_u32_e32 v30, vcc_lo, v27, v35, vcc_lo
	v_add_co_ci_u32_e32 v29, vcc_lo, 0, v29, vcc_lo
	v_add_nc_u64_e32 v[26:27], v[30:31], v[28:29]
	s_delay_alu instid0(VALU_DEP_1) | instskip(NEXT) | instid1(VALU_DEP_1)
	v_add_co_u32 v20, vcc_lo, v20, v26
	v_add_co_ci_u32_e64 v24, null, v25, v27, vcc_lo
	v_dual_mov_b32 v27, v14 :: v_dual_mov_b32 v25, v14
	s_delay_alu instid0(VALU_DEP_2) | instskip(NEXT) | instid1(VALU_DEP_1)
	v_mov_b32_e32 v21, v24
	v_mul_u64_e32 v[22:23], v[22:23], v[20:21]
	s_delay_alu instid0(VALU_DEP_1) | instskip(NEXT) | instid1(VALU_DEP_2)
	v_dual_mov_b32 v21, v14 :: v_dual_mov_b32 v26, v23
	v_dual_mov_b32 v30, v22 :: v_dual_mov_b32 v23, v14
	v_mul_hi_u32 v22, v20, v22
	s_delay_alu instid0(VALU_DEP_3) | instskip(NEXT) | instid1(VALU_DEP_3)
	v_mul_u64_e32 v[28:29], v[20:21], v[26:27]
	v_mul_u64_e32 v[30:31], v[24:25], v[30:31]
	v_mul_u64_e32 v[26:27], v[24:25], v[26:27]
	s_delay_alu instid0(VALU_DEP_3) | instskip(SKIP_1) | instid1(VALU_DEP_2)
	v_add_nc_u64_e32 v[22:23], v[22:23], v[28:29]
	v_mov_b32_e32 v29, v14
	v_add_co_u32 v15, vcc_lo, v22, v30
	s_delay_alu instid0(VALU_DEP_3) | instskip(SKIP_1) | instid1(VALU_DEP_1)
	v_add_co_ci_u32_e32 v28, vcc_lo, v23, v31, vcc_lo
	v_add_co_ci_u32_e32 v27, vcc_lo, 0, v27, vcc_lo
	v_add_nc_u64_e32 v[22:23], v[28:29], v[26:27]
	v_dual_mov_b32 v26, v16 :: v_dual_mov_b32 v27, v14
	s_delay_alu instid0(VALU_DEP_2) | instskip(NEXT) | instid1(VALU_DEP_1)
	v_add_co_u32 v22, vcc_lo, v20, v22
	v_add_co_ci_u32_e64 v20, null, v24, v23, vcc_lo
	v_dual_mov_b32 v24, v17 :: v_dual_mov_b32 v23, v14
	s_delay_alu instid0(VALU_DEP_2) | instskip(NEXT) | instid1(VALU_DEP_2)
	v_mul_u64_e32 v[26:27], v[26:27], v[20:21]
	v_mul_u64_e32 v[20:21], v[24:25], v[20:21]
	s_delay_alu instid0(VALU_DEP_3) | instskip(SKIP_1) | instid1(VALU_DEP_1)
	v_mul_u64_e32 v[28:29], v[24:25], v[22:23]
	v_mul_hi_u32 v22, v16, v22
	v_add_nc_u64_e32 v[22:23], v[22:23], v[26:27]
	s_delay_alu instid0(VALU_DEP_1) | instskip(NEXT) | instid1(VALU_DEP_2)
	v_add_co_u32 v15, vcc_lo, v22, v28
	v_add_co_ci_u32_e32 v24, vcc_lo, v23, v29, vcc_lo
	v_add_co_ci_u32_e32 v21, vcc_lo, 0, v21, vcc_lo
	s_delay_alu instid0(VALU_DEP_1) | instskip(NEXT) | instid1(VALU_DEP_1)
	v_add_nc_u64_e32 v[20:21], v[24:25], v[20:21]
	v_mul_u64_e32 v[20:21], v[18:19], v[20:21]
	s_delay_alu instid0(VALU_DEP_1) | instskip(NEXT) | instid1(VALU_DEP_2)
	v_sub_nc_u32_e32 v15, v17, v21
	v_sub_co_u32 v16, vcc_lo, v16, v20
	s_delay_alu instid0(VALU_DEP_1) | instskip(NEXT) | instid1(VALU_DEP_3)
	v_sub_co_ci_u32_e64 v17, null, v17, v21, vcc_lo
	v_sub_co_ci_u32_e64 v15, null, v15, v19, vcc_lo
	s_delay_alu instid0(VALU_DEP_3) | instskip(SKIP_1) | instid1(VALU_DEP_3)
	v_sub_co_u32 v20, vcc_lo, v16, v18
	v_cmp_ge_u32_e64 s0, v16, v18
	v_subrev_co_ci_u32_e64 v21, null, 0, v15, vcc_lo
	v_sub_co_ci_u32_e64 v15, null, v15, v19, vcc_lo
	s_delay_alu instid0(VALU_DEP_3) | instskip(SKIP_2) | instid1(VALU_DEP_2)
	v_cndmask_b32_e64 v22, 0, -1, s0
	v_cmp_ge_u32_e64 s0, v20, v18
	v_cmp_ge_u32_e32 vcc_lo, v17, v19
	v_cndmask_b32_e64 v23, 0, -1, s0
	v_cmp_ge_u32_e64 s0, v21, v19
	v_cndmask_b32_e64 v25, 0, -1, vcc_lo
	v_cmp_eq_u32_e32 vcc_lo, v21, v19
	s_delay_alu instid0(VALU_DEP_3) | instskip(SKIP_1) | instid1(VALU_DEP_1)
	v_cndmask_b32_e64 v24, 0, -1, s0
	v_cmp_eq_u32_e64 s0, v17, v19
	v_dual_cndmask_b32 v23, v24, v23, vcc_lo :: v_dual_cndmask_b32 v22, v25, v22, s0
	v_sub_co_u32 v24, vcc_lo, v20, v18
	s_delay_alu instid0(VALU_DEP_1) | instskip(NEXT) | instid1(VALU_DEP_3)
	v_subrev_co_ci_u32_e64 v15, null, 0, v15, vcc_lo
	v_cmp_ne_u32_e32 vcc_lo, 0, v23
	s_delay_alu instid0(VALU_DEP_2) | instskip(SKIP_1) | instid1(VALU_DEP_2)
	v_dual_cndmask_b32 v15, v21, v15 :: v_dual_cndmask_b32 v20, v20, v24
	v_cmp_ne_u32_e32 vcc_lo, 0, v22
	v_dual_cndmask_b32 v21, v17, v15 :: v_dual_cndmask_b32 v20, v16, v20
                                        ; implicit-def: $vgpr16_vgpr17
.LBB65_34:                              ;   in Loop: Header=BB65_32 Depth=1
	s_and_not1_saveexec_b32 s0, s13
	s_cbranch_execz .LBB65_31
; %bb.35:                               ;   in Loop: Header=BB65_32 Depth=1
	v_cvt_f32_u32_e32 v15, v18
	v_dual_sub_nc_u32 v17, 0, v18 :: v_dual_mov_b32 v21, v14
	s_delay_alu instid0(VALU_DEP_2) | instskip(SKIP_1) | instid1(TRANS32_DEP_1)
	v_rcp_iflag_f32_e32 v15, v15
	v_nop
	v_mul_f32_e32 v15, 0x4f7ffffe, v15
	s_delay_alu instid0(VALU_DEP_1) | instskip(NEXT) | instid1(VALU_DEP_1)
	v_cvt_u32_f32_e32 v15, v15
	v_mul_lo_u32 v17, v17, v15
	s_delay_alu instid0(VALU_DEP_1) | instskip(NEXT) | instid1(VALU_DEP_1)
	v_mul_hi_u32 v17, v15, v17
	v_add_nc_u32_e32 v15, v15, v17
	s_delay_alu instid0(VALU_DEP_1) | instskip(NEXT) | instid1(VALU_DEP_1)
	v_mul_hi_u32 v15, v16, v15
	v_mul_lo_u32 v15, v15, v18
	s_delay_alu instid0(VALU_DEP_1) | instskip(NEXT) | instid1(VALU_DEP_1)
	v_sub_nc_u32_e32 v15, v16, v15
	v_sub_nc_u32_e32 v16, v15, v18
	v_cmp_ge_u32_e32 vcc_lo, v15, v18
	s_delay_alu instid0(VALU_DEP_2) | instskip(NEXT) | instid1(VALU_DEP_1)
	v_cndmask_b32_e32 v15, v15, v16, vcc_lo
	v_sub_nc_u32_e32 v16, v15, v18
	v_cmp_ge_u32_e32 vcc_lo, v15, v18
	s_delay_alu instid0(VALU_DEP_2)
	v_cndmask_b32_e32 v20, v15, v16, vcc_lo
	s_branch .LBB65_31
.LBB65_36:
	s_or_b32 exec_lo, exec_lo, s3
	v_mov_b64_e32 v[16:17], v[18:19]
.LBB65_37:
	s_or_b32 exec_lo, exec_lo, s1
	v_mov_b64_e32 v[14:15], 0
	s_mov_b32 s1, exec_lo
	s_delay_alu instid0(VALU_DEP_2)
	v_cmpx_ne_u64_e32 0, v[16:17]
	s_cbranch_execz .LBB65_43
; %bb.38:
	v_dual_mov_b32 v14, 0 :: v_dual_bitop2_b32 v15, v7, v17 bitop3:0x54
                                        ; implicit-def: $vgpr18_vgpr19
	s_mov_b32 s0, exec_lo
	s_delay_alu instid0(VALU_DEP_1)
	v_cmpx_ne_u64_e32 0, v[14:15]
	s_xor_b32 s3, exec_lo, s0
	s_cbranch_execz .LBB65_40
; %bb.39:
	v_dual_mov_b32 v21, v14 :: v_dual_ashrrev_i32 v18, 31, v17
	v_dual_mov_b32 v29, v14 :: v_dual_mov_b32 v31, v14
	s_delay_alu instid0(VALU_DEP_2) | instskip(NEXT) | instid1(VALU_DEP_1)
	v_mov_b32_e32 v19, v18
	v_add_nc_u64_e32 v[16:17], v[16:17], v[18:19]
	s_delay_alu instid0(VALU_DEP_1) | instskip(NEXT) | instid1(VALU_DEP_2)
	v_xor_b32_e32 v16, v16, v18
	v_xor_b32_e32 v17, v17, v18
	s_delay_alu instid0(VALU_DEP_2) | instskip(NEXT) | instid1(VALU_DEP_2)
	v_cvt_f32_u32_e32 v15, v16
	v_cvt_f32_u32_e32 v19, v17
	s_delay_alu instid0(VALU_DEP_1) | instskip(NEXT) | instid1(VALU_DEP_1)
	v_fmamk_f32 v15, v19, 0x4f800000, v15
	v_rcp_f32_e32 v15, v15
	v_nop
	s_delay_alu instid0(TRANS32_DEP_1) | instskip(NEXT) | instid1(VALU_DEP_1)
	v_mul_f32_e32 v15, 0x5f7ffffc, v15
	v_mul_f32_e32 v19, 0x2f800000, v15
	s_delay_alu instid0(VALU_DEP_1) | instskip(NEXT) | instid1(VALU_DEP_1)
	v_trunc_f32_e32 v19, v19
	v_fmamk_f32 v15, v19, 0xcf800000, v15
	v_cvt_u32_f32_e32 v25, v19
	s_delay_alu instid0(VALU_DEP_2) | instskip(NEXT) | instid1(VALU_DEP_1)
	v_cvt_u32_f32_e32 v20, v15
	v_dual_mov_b32 v30, v25 :: v_dual_mov_b32 v24, v20
	v_sub_nc_u64_e32 v[22:23], 0, v[16:17]
	s_delay_alu instid0(VALU_DEP_1) | instskip(NEXT) | instid1(VALU_DEP_1)
	v_mul_u64_e32 v[26:27], v[22:23], v[24:25]
	v_dual_mov_b32 v28, v27 :: v_dual_mov_b32 v27, v14
	s_delay_alu instid0(VALU_DEP_1) | instskip(NEXT) | instid1(VALU_DEP_2)
	v_mul_u64_e32 v[32:33], v[20:21], v[28:29]
	v_mul_u64_e32 v[34:35], v[30:31], v[26:27]
	;; [unrolled: 1-line block ×3, first 2 shown]
	v_mul_hi_u32 v26, v20, v26
	s_delay_alu instid0(VALU_DEP_1) | instskip(SKIP_1) | instid1(VALU_DEP_2)
	v_add_nc_u64_e32 v[26:27], v[26:27], v[32:33]
	v_ashrrev_i32_e32 v32, 31, v7
	v_add_co_u32 v15, vcc_lo, v26, v34
	s_delay_alu instid0(VALU_DEP_3) | instskip(SKIP_1) | instid1(VALU_DEP_1)
	v_add_co_ci_u32_e32 v30, vcc_lo, v27, v35, vcc_lo
	v_add_co_ci_u32_e32 v29, vcc_lo, 0, v29, vcc_lo
	v_add_nc_u64_e32 v[26:27], v[30:31], v[28:29]
	s_delay_alu instid0(VALU_DEP_1) | instskip(NEXT) | instid1(VALU_DEP_1)
	v_add_co_u32 v20, vcc_lo, v20, v26
	v_add_co_ci_u32_e64 v24, null, v25, v27, vcc_lo
	v_dual_mov_b32 v25, v14 :: v_dual_mov_b32 v27, v14
	s_delay_alu instid0(VALU_DEP_2) | instskip(NEXT) | instid1(VALU_DEP_1)
	v_mov_b32_e32 v21, v24
	v_mul_u64_e32 v[22:23], v[22:23], v[20:21]
	s_delay_alu instid0(VALU_DEP_1) | instskip(NEXT) | instid1(VALU_DEP_2)
	v_dual_mov_b32 v21, v14 :: v_dual_mov_b32 v26, v23
	v_dual_mov_b32 v30, v22 :: v_dual_mov_b32 v23, v14
	v_mul_hi_u32 v22, v20, v22
	s_delay_alu instid0(VALU_DEP_3) | instskip(NEXT) | instid1(VALU_DEP_3)
	v_mul_u64_e32 v[28:29], v[20:21], v[26:27]
	v_mul_u64_e32 v[30:31], v[24:25], v[30:31]
	;; [unrolled: 1-line block ×3, first 2 shown]
	s_delay_alu instid0(VALU_DEP_3) | instskip(SKIP_1) | instid1(VALU_DEP_2)
	v_add_nc_u64_e32 v[22:23], v[22:23], v[28:29]
	v_dual_mov_b32 v29, v14 :: v_dual_mov_b32 v33, v32
	v_add_co_u32 v15, vcc_lo, v22, v30
	s_delay_alu instid0(VALU_DEP_3) | instskip(SKIP_1) | instid1(VALU_DEP_4)
	v_add_co_ci_u32_e32 v28, vcc_lo, v23, v31, vcc_lo
	v_add_co_ci_u32_e32 v27, vcc_lo, 0, v27, vcc_lo
	v_add_nc_u64_e32 v[22:23], v[6:7], v[32:33]
	s_delay_alu instid0(VALU_DEP_2) | instskip(NEXT) | instid1(VALU_DEP_2)
	v_add_nc_u64_e32 v[26:27], v[28:29], v[26:27]
	v_xor_b32_e32 v28, v22, v32
	s_delay_alu instid0(VALU_DEP_2) | instskip(NEXT) | instid1(VALU_DEP_1)
	v_add_co_u32 v26, vcc_lo, v20, v26
	v_add_co_ci_u32_e64 v20, null, v24, v27, vcc_lo
	v_dual_mov_b32 v27, v14 :: v_dual_bitop2_b32 v24, v23, v32 bitop3:0x14
	v_mov_b32_e32 v15, v14
	s_delay_alu instid0(VALU_DEP_3) | instskip(NEXT) | instid1(VALU_DEP_3)
	v_mul_u64_e32 v[30:31], v[28:29], v[20:21]
	v_mul_u64_e32 v[22:23], v[24:25], v[26:27]
	;; [unrolled: 1-line block ×3, first 2 shown]
	v_mul_hi_u32 v26, v28, v26
	s_delay_alu instid0(VALU_DEP_1) | instskip(NEXT) | instid1(VALU_DEP_1)
	v_add_nc_u64_e32 v[26:27], v[26:27], v[30:31]
	v_add_co_u32 v7, vcc_lo, v26, v22
	s_delay_alu instid0(VALU_DEP_2) | instskip(SKIP_1) | instid1(VALU_DEP_1)
	v_add_co_ci_u32_e32 v14, vcc_lo, v27, v23, vcc_lo
	v_add_co_ci_u32_e32 v21, vcc_lo, 0, v21, vcc_lo
	v_add_nc_u64_e32 v[14:15], v[14:15], v[20:21]
	s_delay_alu instid0(VALU_DEP_1) | instskip(SKIP_1) | instid1(VALU_DEP_2)
	v_mul_u64_e32 v[20:21], v[16:17], v[14:15]
	v_add_nc_u64_e32 v[22:23], 1, v[14:15]
	v_sub_nc_u32_e32 v7, v24, v21
	s_delay_alu instid0(VALU_DEP_3) | instskip(NEXT) | instid1(VALU_DEP_1)
	v_sub_co_u32 v19, vcc_lo, v28, v20
	v_sub_co_ci_u32_e64 v24, null, v24, v21, vcc_lo
	s_delay_alu instid0(VALU_DEP_3) | instskip(NEXT) | instid1(VALU_DEP_3)
	v_sub_co_ci_u32_e64 v7, null, v7, v17, vcc_lo
	v_sub_co_u32 v20, s0, v19, v16
	s_delay_alu instid0(VALU_DEP_1) | instskip(NEXT) | instid1(VALU_DEP_2)
	v_subrev_co_ci_u32_e64 v7, null, 0, v7, s0
	v_cmp_ge_u32_e32 vcc_lo, v20, v16
	v_cndmask_b32_e64 v20, 0, -1, vcc_lo
	s_delay_alu instid0(VALU_DEP_3)
	v_cmp_ge_u32_e32 vcc_lo, v7, v17
	v_cndmask_b32_e64 v21, 0, -1, vcc_lo
	v_cmp_ge_u32_e32 vcc_lo, v19, v16
	v_cndmask_b32_e64 v16, 0, -1, vcc_lo
	;; [unrolled: 2-line block ×3, first 2 shown]
	v_cmp_eq_u32_e32 vcc_lo, v7, v17
	v_cndmask_b32_e32 v7, v21, v20, vcc_lo
	v_cmp_eq_u32_e32 vcc_lo, v24, v17
	v_add_nc_u64_e32 v[20:21], 2, v[14:15]
	v_cndmask_b32_e32 v16, v19, v16, vcc_lo
	s_delay_alu instid0(VALU_DEP_4) | instskip(NEXT) | instid1(VALU_DEP_2)
	v_cmp_ne_u32_e32 vcc_lo, 0, v7
	v_cmp_ne_u32_e64 s0, 0, v16
	s_delay_alu instid0(VALU_DEP_4) | instskip(NEXT) | instid1(VALU_DEP_1)
	v_dual_cndmask_b32 v7, v23, v21, vcc_lo :: v_dual_bitop2_b32 v16, v32, v18 bitop3:0x14
	v_dual_cndmask_b32 v17, v22, v20, vcc_lo :: v_dual_cndmask_b32 v7, v15, v7, s0
	s_delay_alu instid0(VALU_DEP_1) | instskip(NEXT) | instid1(VALU_DEP_2)
	v_dual_cndmask_b32 v14, v14, v17, s0 :: v_dual_mov_b32 v17, v16
	v_xor_b32_e32 v15, v7, v16
	s_delay_alu instid0(VALU_DEP_2) | instskip(NEXT) | instid1(VALU_DEP_1)
	v_xor_b32_e32 v14, v14, v16
	v_sub_nc_u64_e32 v[18:19], v[14:15], v[16:17]
                                        ; implicit-def: $vgpr16_vgpr17
.LBB65_40:
	s_and_not1_saveexec_b32 s0, s3
	s_cbranch_execz .LBB65_42
; %bb.41:
	v_cvt_f32_u32_e32 v7, v16
	v_dual_mov_b32 v19, 0 :: v_dual_sub_nc_u32 v14, 0, v16
	s_delay_alu instid0(VALU_DEP_2) | instskip(SKIP_1) | instid1(TRANS32_DEP_1)
	v_rcp_iflag_f32_e32 v7, v7
	v_nop
	v_mul_f32_e32 v7, 0x4f7ffffe, v7
	s_delay_alu instid0(VALU_DEP_1) | instskip(NEXT) | instid1(VALU_DEP_1)
	v_cvt_u32_f32_e32 v7, v7
	v_mul_lo_u32 v14, v14, v7
	s_delay_alu instid0(VALU_DEP_1) | instskip(NEXT) | instid1(VALU_DEP_1)
	v_mul_hi_u32 v14, v7, v14
	v_add_nc_u32_e32 v7, v7, v14
	s_delay_alu instid0(VALU_DEP_1) | instskip(NEXT) | instid1(VALU_DEP_1)
	v_mul_hi_u32 v7, v6, v7
	v_mul_lo_u32 v14, v7, v16
	s_delay_alu instid0(VALU_DEP_1) | instskip(NEXT) | instid1(VALU_DEP_1)
	v_dual_sub_nc_u32 v6, v6, v14 :: v_dual_add_nc_u32 v14, 1, v7
	v_sub_nc_u32_e32 v15, v6, v16
	v_cmp_ge_u32_e32 vcc_lo, v6, v16
	s_delay_alu instid0(VALU_DEP_2) | instskip(NEXT) | instid1(VALU_DEP_1)
	v_dual_cndmask_b32 v6, v6, v15 :: v_dual_cndmask_b32 v7, v7, v14
	v_cmp_ge_u32_e32 vcc_lo, v6, v16
	s_delay_alu instid0(VALU_DEP_2) | instskip(NEXT) | instid1(VALU_DEP_1)
	v_add_nc_u32_e32 v14, 1, v7
	v_cndmask_b32_e32 v18, v7, v14, vcc_lo
.LBB65_42:
	s_or_b32 exec_lo, exec_lo, s0
	s_delay_alu instid0(VALU_DEP_1) | instskip(NEXT) | instid1(VALU_DEP_1)
	v_mul_u64_e32 v[2:3], v[18:19], v[2:3]
	v_sub_nc_u64_e32 v[6:7], 0, v[2:3]
	s_delay_alu instid0(VALU_DEP_1)
	v_max_i64 v[14:15], v[2:3], v[6:7]
.LBB65_43:
	s_or_b32 exec_lo, exec_lo, s1
	v_sub_nc_u64_e32 v[2:3], 0, v[4:5]
	s_mov_b32 s1, exec_lo
	s_delay_alu instid0(VALU_DEP_1)
	v_max_i64 v[2:3], v[4:5], v[2:3]
	v_cmpx_ne_u64_e32 0, v[8:9]
	s_cbranch_execz .LBB65_51
; %bb.44:
	v_sub_nc_u64_e32 v[6:7], 0, v[8:9]
	s_mov_b32 s3, 0
	s_delay_alu instid0(VALU_DEP_1)
	v_max_i64 v[18:19], v[8:9], v[6:7]
	v_mov_b32_e32 v6, 0
	s_branch .LBB65_46
.LBB65_45:                              ;   in Loop: Header=BB65_46 Depth=1
	s_or_b32 exec_lo, exec_lo, s0
	s_delay_alu instid0(VALU_DEP_1) | instskip(SKIP_2) | instid1(SALU_CYCLE_1)
	v_cmp_eq_u64_e32 vcc_lo, 0, v[18:19]
	v_mov_b64_e32 v[2:3], v[16:17]
	s_or_b32 s3, vcc_lo, s3
	s_and_not1_b32 exec_lo, exec_lo, s3
	s_cbranch_execz .LBB65_50
.LBB65_46:                              ; =>This Inner Loop Header: Depth=1
	s_delay_alu instid0(VALU_DEP_2) | instskip(SKIP_1) | instid1(VALU_DEP_1)
	v_mov_b64_e32 v[16:17], v[18:19]
                                        ; implicit-def: $vgpr18_vgpr19
	s_mov_b32 s0, exec_lo
	v_or_b32_e32 v7, v3, v17
	s_delay_alu instid0(VALU_DEP_1)
	v_cmpx_ne_u64_e32 0, v[6:7]
	s_xor_b32 s13, exec_lo, s0
	s_cbranch_execz .LBB65_48
; %bb.47:                               ;   in Loop: Header=BB65_46 Depth=1
	s_delay_alu instid0(VALU_DEP_3) | instskip(SKIP_3) | instid1(VALU_DEP_3)
	v_cvt_f32_u32_e32 v7, v16
	v_cvt_f32_u32_e32 v18, v17
	v_sub_nc_u64_e32 v[20:21], 0, v[16:17]
	v_dual_mov_b32 v27, v6 :: v_dual_mov_b32 v29, v6
	v_fmac_f32_e32 v7, 0x4f800000, v18
	s_delay_alu instid0(VALU_DEP_1) | instskip(SKIP_1) | instid1(TRANS32_DEP_1)
	v_rcp_f32_e32 v7, v7
	v_nop
	v_mul_f32_e32 v7, 0x5f7ffffc, v7
	s_delay_alu instid0(VALU_DEP_1) | instskip(NEXT) | instid1(VALU_DEP_1)
	v_mul_f32_e32 v18, 0x2f800000, v7
	v_trunc_f32_e32 v19, v18
	s_delay_alu instid0(VALU_DEP_1) | instskip(SKIP_1) | instid1(VALU_DEP_2)
	v_cvt_u32_f32_e32 v23, v19
	v_fmac_f32_e32 v7, 0xcf800000, v19
	v_dual_mov_b32 v19, v6 :: v_dual_mov_b32 v28, v23
	s_delay_alu instid0(VALU_DEP_2) | instskip(NEXT) | instid1(VALU_DEP_1)
	v_cvt_u32_f32_e32 v18, v7
	v_mov_b32_e32 v22, v18
	s_delay_alu instid0(VALU_DEP_1) | instskip(NEXT) | instid1(VALU_DEP_1)
	v_mul_u64_e32 v[24:25], v[20:21], v[22:23]
	v_dual_mov_b32 v26, v25 :: v_dual_mov_b32 v25, v6
	s_delay_alu instid0(VALU_DEP_1) | instskip(NEXT) | instid1(VALU_DEP_2)
	v_mul_u64_e32 v[30:31], v[18:19], v[26:27]
	v_mul_u64_e32 v[32:33], v[28:29], v[24:25]
	;; [unrolled: 1-line block ×3, first 2 shown]
	v_mul_hi_u32 v24, v18, v24
	s_delay_alu instid0(VALU_DEP_1) | instskip(NEXT) | instid1(VALU_DEP_1)
	v_add_nc_u64_e32 v[24:25], v[24:25], v[30:31]
	v_add_co_u32 v7, vcc_lo, v24, v32
	s_delay_alu instid0(VALU_DEP_2) | instskip(SKIP_1) | instid1(VALU_DEP_1)
	v_add_co_ci_u32_e32 v28, vcc_lo, v25, v33, vcc_lo
	v_add_co_ci_u32_e32 v27, vcc_lo, 0, v27, vcc_lo
	v_add_nc_u64_e32 v[24:25], v[28:29], v[26:27]
	s_delay_alu instid0(VALU_DEP_1) | instskip(NEXT) | instid1(VALU_DEP_1)
	v_add_co_u32 v18, vcc_lo, v18, v24
	v_add_co_ci_u32_e64 v22, null, v23, v25, vcc_lo
	v_dual_mov_b32 v25, v6 :: v_dual_mov_b32 v23, v6
	s_delay_alu instid0(VALU_DEP_2) | instskip(NEXT) | instid1(VALU_DEP_1)
	v_mov_b32_e32 v19, v22
	v_mul_u64_e32 v[20:21], v[20:21], v[18:19]
	s_delay_alu instid0(VALU_DEP_1) | instskip(NEXT) | instid1(VALU_DEP_2)
	v_dual_mov_b32 v19, v6 :: v_dual_mov_b32 v24, v21
	v_dual_mov_b32 v28, v20 :: v_dual_mov_b32 v21, v6
	v_mul_hi_u32 v20, v18, v20
	s_delay_alu instid0(VALU_DEP_3) | instskip(NEXT) | instid1(VALU_DEP_3)
	v_mul_u64_e32 v[26:27], v[18:19], v[24:25]
	v_mul_u64_e32 v[28:29], v[22:23], v[28:29]
	v_mul_u64_e32 v[24:25], v[22:23], v[24:25]
	s_delay_alu instid0(VALU_DEP_3) | instskip(SKIP_1) | instid1(VALU_DEP_2)
	v_add_nc_u64_e32 v[20:21], v[20:21], v[26:27]
	v_mov_b32_e32 v27, v6
	v_add_co_u32 v7, vcc_lo, v20, v28
	s_delay_alu instid0(VALU_DEP_3) | instskip(SKIP_1) | instid1(VALU_DEP_1)
	v_add_co_ci_u32_e32 v26, vcc_lo, v21, v29, vcc_lo
	v_add_co_ci_u32_e32 v25, vcc_lo, 0, v25, vcc_lo
	v_add_nc_u64_e32 v[20:21], v[26:27], v[24:25]
	v_dual_mov_b32 v24, v2 :: v_dual_mov_b32 v25, v6
	s_delay_alu instid0(VALU_DEP_2) | instskip(NEXT) | instid1(VALU_DEP_1)
	v_add_co_u32 v20, vcc_lo, v18, v20
	v_add_co_ci_u32_e64 v18, null, v22, v21, vcc_lo
	v_dual_mov_b32 v22, v3 :: v_dual_mov_b32 v21, v6
	s_delay_alu instid0(VALU_DEP_2) | instskip(NEXT) | instid1(VALU_DEP_2)
	v_mul_u64_e32 v[24:25], v[24:25], v[18:19]
	v_mul_u64_e32 v[18:19], v[22:23], v[18:19]
	s_delay_alu instid0(VALU_DEP_3) | instskip(SKIP_1) | instid1(VALU_DEP_1)
	v_mul_u64_e32 v[26:27], v[22:23], v[20:21]
	v_mul_hi_u32 v20, v2, v20
	v_add_nc_u64_e32 v[20:21], v[20:21], v[24:25]
	s_delay_alu instid0(VALU_DEP_1) | instskip(NEXT) | instid1(VALU_DEP_2)
	v_add_co_u32 v7, vcc_lo, v20, v26
	v_add_co_ci_u32_e32 v22, vcc_lo, v21, v27, vcc_lo
	v_add_co_ci_u32_e32 v19, vcc_lo, 0, v19, vcc_lo
	s_delay_alu instid0(VALU_DEP_1) | instskip(NEXT) | instid1(VALU_DEP_1)
	v_add_nc_u64_e32 v[18:19], v[22:23], v[18:19]
	v_mul_u64_e32 v[18:19], v[16:17], v[18:19]
	s_delay_alu instid0(VALU_DEP_1) | instskip(NEXT) | instid1(VALU_DEP_2)
	v_sub_nc_u32_e32 v7, v3, v19
	v_sub_co_u32 v2, vcc_lo, v2, v18
	s_delay_alu instid0(VALU_DEP_1) | instskip(NEXT) | instid1(VALU_DEP_3)
	v_sub_co_ci_u32_e64 v3, null, v3, v19, vcc_lo
	v_sub_co_ci_u32_e64 v7, null, v7, v17, vcc_lo
	s_delay_alu instid0(VALU_DEP_3) | instskip(SKIP_1) | instid1(VALU_DEP_3)
	v_sub_co_u32 v18, vcc_lo, v2, v16
	v_cmp_ge_u32_e64 s0, v2, v16
	v_subrev_co_ci_u32_e64 v19, null, 0, v7, vcc_lo
	v_sub_co_ci_u32_e64 v7, null, v7, v17, vcc_lo
	s_delay_alu instid0(VALU_DEP_3) | instskip(SKIP_2) | instid1(VALU_DEP_2)
	v_cndmask_b32_e64 v20, 0, -1, s0
	v_cmp_ge_u32_e64 s0, v18, v16
	v_cmp_ge_u32_e32 vcc_lo, v3, v17
	v_cndmask_b32_e64 v21, 0, -1, s0
	v_cmp_ge_u32_e64 s0, v19, v17
	v_cndmask_b32_e64 v23, 0, -1, vcc_lo
	v_cmp_eq_u32_e32 vcc_lo, v19, v17
	s_delay_alu instid0(VALU_DEP_3) | instskip(SKIP_1) | instid1(VALU_DEP_1)
	v_cndmask_b32_e64 v22, 0, -1, s0
	v_cmp_eq_u32_e64 s0, v3, v17
	v_dual_cndmask_b32 v21, v22, v21, vcc_lo :: v_dual_cndmask_b32 v20, v23, v20, s0
	v_sub_co_u32 v22, vcc_lo, v18, v16
	s_delay_alu instid0(VALU_DEP_1) | instskip(NEXT) | instid1(VALU_DEP_3)
	v_subrev_co_ci_u32_e64 v7, null, 0, v7, vcc_lo
	v_cmp_ne_u32_e32 vcc_lo, 0, v21
	s_delay_alu instid0(VALU_DEP_2) | instskip(SKIP_1) | instid1(VALU_DEP_2)
	v_dual_cndmask_b32 v7, v19, v7 :: v_dual_cndmask_b32 v18, v18, v22
	v_cmp_ne_u32_e32 vcc_lo, 0, v20
	v_dual_cndmask_b32 v19, v3, v7 :: v_dual_cndmask_b32 v18, v2, v18
                                        ; implicit-def: $vgpr2_vgpr3
.LBB65_48:                              ;   in Loop: Header=BB65_46 Depth=1
	s_and_not1_saveexec_b32 s0, s13
	s_cbranch_execz .LBB65_45
; %bb.49:                               ;   in Loop: Header=BB65_46 Depth=1
	v_cvt_f32_u32_e32 v3, v16
	v_dual_sub_nc_u32 v7, 0, v16 :: v_dual_mov_b32 v19, v6
	s_delay_alu instid0(VALU_DEP_2) | instskip(SKIP_1) | instid1(TRANS32_DEP_1)
	v_rcp_iflag_f32_e32 v3, v3
	v_nop
	v_mul_f32_e32 v3, 0x4f7ffffe, v3
	s_delay_alu instid0(VALU_DEP_1) | instskip(NEXT) | instid1(VALU_DEP_1)
	v_cvt_u32_f32_e32 v3, v3
	v_mul_lo_u32 v7, v7, v3
	s_delay_alu instid0(VALU_DEP_1) | instskip(NEXT) | instid1(VALU_DEP_1)
	v_mul_hi_u32 v7, v3, v7
	v_add_nc_u32_e32 v3, v3, v7
	s_delay_alu instid0(VALU_DEP_1) | instskip(NEXT) | instid1(VALU_DEP_1)
	v_mul_hi_u32 v3, v2, v3
	v_mul_lo_u32 v3, v3, v16
	s_delay_alu instid0(VALU_DEP_1) | instskip(NEXT) | instid1(VALU_DEP_1)
	v_sub_nc_u32_e32 v2, v2, v3
	v_sub_nc_u32_e32 v3, v2, v16
	v_cmp_ge_u32_e32 vcc_lo, v2, v16
	s_delay_alu instid0(VALU_DEP_2) | instskip(NEXT) | instid1(VALU_DEP_1)
	v_cndmask_b32_e32 v2, v2, v3, vcc_lo
	v_sub_nc_u32_e32 v3, v2, v16
	v_cmp_ge_u32_e32 vcc_lo, v2, v16
	s_delay_alu instid0(VALU_DEP_2)
	v_cndmask_b32_e32 v18, v2, v3, vcc_lo
	s_branch .LBB65_45
.LBB65_50:
	s_or_b32 exec_lo, exec_lo, s3
	v_mov_b64_e32 v[2:3], v[16:17]
.LBB65_51:
	s_or_b32 exec_lo, exec_lo, s1
	v_mov_b64_e32 v[16:17], 0
	s_mov_b32 s1, exec_lo
	s_delay_alu instid0(VALU_DEP_2)
	v_cmpx_ne_u64_e32 0, v[2:3]
	s_cbranch_execz .LBB65_57
; %bb.52:
	v_dual_mov_b32 v6, 0 :: v_dual_bitop2_b32 v7, v9, v3 bitop3:0x54
                                        ; implicit-def: $vgpr16_vgpr17
	s_mov_b32 s0, exec_lo
	s_delay_alu instid0(VALU_DEP_1)
	v_cmpx_ne_u64_e32 0, v[6:7]
	s_xor_b32 s3, exec_lo, s0
	s_cbranch_execz .LBB65_54
; %bb.53:
	v_dual_mov_b32 v19, v6 :: v_dual_ashrrev_i32 v16, 31, v3
	v_dual_mov_b32 v27, v6 :: v_dual_mov_b32 v29, v6
	s_delay_alu instid0(VALU_DEP_2) | instskip(NEXT) | instid1(VALU_DEP_1)
	v_mov_b32_e32 v17, v16
	v_add_nc_u64_e32 v[2:3], v[2:3], v[16:17]
	s_delay_alu instid0(VALU_DEP_1) | instskip(NEXT) | instid1(VALU_DEP_2)
	v_xor_b32_e32 v2, v2, v16
	v_xor_b32_e32 v3, v3, v16
	s_delay_alu instid0(VALU_DEP_2) | instskip(NEXT) | instid1(VALU_DEP_2)
	v_cvt_f32_u32_e32 v7, v2
	v_cvt_f32_u32_e32 v17, v3
	s_delay_alu instid0(VALU_DEP_1) | instskip(NEXT) | instid1(VALU_DEP_1)
	v_fmamk_f32 v7, v17, 0x4f800000, v7
	v_rcp_f32_e32 v7, v7
	v_nop
	s_delay_alu instid0(TRANS32_DEP_1) | instskip(NEXT) | instid1(VALU_DEP_1)
	v_mul_f32_e32 v7, 0x5f7ffffc, v7
	v_mul_f32_e32 v17, 0x2f800000, v7
	s_delay_alu instid0(VALU_DEP_1) | instskip(NEXT) | instid1(VALU_DEP_1)
	v_trunc_f32_e32 v17, v17
	v_fmamk_f32 v7, v17, 0xcf800000, v7
	v_cvt_u32_f32_e32 v23, v17
	s_delay_alu instid0(VALU_DEP_2) | instskip(NEXT) | instid1(VALU_DEP_1)
	v_cvt_u32_f32_e32 v18, v7
	v_dual_mov_b32 v28, v23 :: v_dual_mov_b32 v22, v18
	v_sub_nc_u64_e32 v[20:21], 0, v[2:3]
	s_delay_alu instid0(VALU_DEP_1) | instskip(NEXT) | instid1(VALU_DEP_1)
	v_mul_u64_e32 v[24:25], v[20:21], v[22:23]
	v_dual_mov_b32 v26, v25 :: v_dual_mov_b32 v25, v6
	s_delay_alu instid0(VALU_DEP_1) | instskip(NEXT) | instid1(VALU_DEP_2)
	v_mul_u64_e32 v[30:31], v[18:19], v[26:27]
	v_mul_u64_e32 v[32:33], v[28:29], v[24:25]
	;; [unrolled: 1-line block ×3, first 2 shown]
	v_mul_hi_u32 v24, v18, v24
	s_delay_alu instid0(VALU_DEP_1) | instskip(SKIP_1) | instid1(VALU_DEP_2)
	v_add_nc_u64_e32 v[24:25], v[24:25], v[30:31]
	v_ashrrev_i32_e32 v30, 31, v9
	v_add_co_u32 v7, vcc_lo, v24, v32
	s_delay_alu instid0(VALU_DEP_3) | instskip(SKIP_1) | instid1(VALU_DEP_1)
	v_add_co_ci_u32_e32 v28, vcc_lo, v25, v33, vcc_lo
	v_add_co_ci_u32_e32 v27, vcc_lo, 0, v27, vcc_lo
	v_add_nc_u64_e32 v[24:25], v[28:29], v[26:27]
	s_delay_alu instid0(VALU_DEP_1) | instskip(NEXT) | instid1(VALU_DEP_1)
	v_add_co_u32 v18, vcc_lo, v18, v24
	v_add_co_ci_u32_e64 v22, null, v23, v25, vcc_lo
	v_dual_mov_b32 v23, v6 :: v_dual_mov_b32 v25, v6
	s_delay_alu instid0(VALU_DEP_2) | instskip(NEXT) | instid1(VALU_DEP_1)
	v_mov_b32_e32 v19, v22
	v_mul_u64_e32 v[20:21], v[20:21], v[18:19]
	s_delay_alu instid0(VALU_DEP_1) | instskip(NEXT) | instid1(VALU_DEP_2)
	v_dual_mov_b32 v19, v6 :: v_dual_mov_b32 v24, v21
	v_dual_mov_b32 v28, v20 :: v_dual_mov_b32 v21, v6
	v_mul_hi_u32 v20, v18, v20
	s_delay_alu instid0(VALU_DEP_3) | instskip(NEXT) | instid1(VALU_DEP_3)
	v_mul_u64_e32 v[26:27], v[18:19], v[24:25]
	v_mul_u64_e32 v[28:29], v[22:23], v[28:29]
	;; [unrolled: 1-line block ×3, first 2 shown]
	s_delay_alu instid0(VALU_DEP_3) | instskip(SKIP_1) | instid1(VALU_DEP_2)
	v_add_nc_u64_e32 v[20:21], v[20:21], v[26:27]
	v_dual_mov_b32 v27, v6 :: v_dual_mov_b32 v31, v30
	v_add_co_u32 v7, vcc_lo, v20, v28
	s_delay_alu instid0(VALU_DEP_3) | instskip(SKIP_2) | instid1(VALU_DEP_2)
	v_add_co_ci_u32_e32 v26, vcc_lo, v21, v29, vcc_lo
	v_add_co_ci_u32_e32 v25, vcc_lo, 0, v25, vcc_lo
	v_mov_b32_e32 v7, v6
	v_add_nc_u64_e32 v[20:21], v[26:27], v[24:25]
	v_mov_b32_e32 v25, v6
	v_add_nc_u64_e32 v[8:9], v[8:9], v[30:31]
	s_delay_alu instid0(VALU_DEP_3) | instskip(NEXT) | instid1(VALU_DEP_2)
	v_add_co_u32 v20, vcc_lo, v18, v20
	v_xor_b32_e32 v24, v8, v30
	v_add_co_ci_u32_e64 v18, null, v22, v21, vcc_lo
	s_delay_alu instid0(VALU_DEP_4) | instskip(NEXT) | instid1(VALU_DEP_2)
	v_dual_mov_b32 v21, v6 :: v_dual_bitop2_b32 v22, v9, v30 bitop3:0x14
	v_mul_u64_e32 v[26:27], v[24:25], v[18:19]
	s_delay_alu instid0(VALU_DEP_2) | instskip(SKIP_2) | instid1(VALU_DEP_1)
	v_mul_u64_e32 v[8:9], v[22:23], v[20:21]
	v_mul_u64_e32 v[18:19], v[22:23], v[18:19]
	v_mul_hi_u32 v20, v24, v20
	v_add_nc_u64_e32 v[20:21], v[20:21], v[26:27]
	s_delay_alu instid0(VALU_DEP_1) | instskip(NEXT) | instid1(VALU_DEP_2)
	v_add_co_u32 v6, vcc_lo, v20, v8
	v_add_co_ci_u32_e32 v6, vcc_lo, v21, v9, vcc_lo
	v_add_co_ci_u32_e32 v19, vcc_lo, 0, v19, vcc_lo
	s_delay_alu instid0(VALU_DEP_1) | instskip(NEXT) | instid1(VALU_DEP_1)
	v_add_nc_u64_e32 v[6:7], v[6:7], v[18:19]
	v_mul_u64_e32 v[8:9], v[2:3], v[6:7]
	s_delay_alu instid0(VALU_DEP_1) | instskip(NEXT) | instid1(VALU_DEP_2)
	v_sub_nc_u32_e32 v17, v22, v9
	v_sub_co_u32 v8, vcc_lo, v24, v8
	s_delay_alu instid0(VALU_DEP_1) | instskip(NEXT) | instid1(VALU_DEP_3)
	v_sub_co_ci_u32_e64 v20, null, v22, v9, vcc_lo
	v_sub_co_ci_u32_e64 v17, null, v17, v3, vcc_lo
	s_delay_alu instid0(VALU_DEP_3) | instskip(NEXT) | instid1(VALU_DEP_1)
	v_sub_co_u32 v18, s0, v8, v2
	v_subrev_co_ci_u32_e64 v17, null, 0, v17, s0
	s_delay_alu instid0(VALU_DEP_2) | instskip(SKIP_1) | instid1(VALU_DEP_3)
	v_cmp_ge_u32_e32 vcc_lo, v18, v2
	v_cndmask_b32_e64 v9, 0, -1, vcc_lo
	v_cmp_ge_u32_e32 vcc_lo, v17, v3
	v_cndmask_b32_e64 v18, 0, -1, vcc_lo
	;; [unrolled: 2-line block ×4, first 2 shown]
	v_cmp_eq_u32_e32 vcc_lo, v17, v3
	v_cndmask_b32_e32 v17, v18, v9, vcc_lo
	v_cmp_eq_u32_e32 vcc_lo, v20, v3
	v_add_nc_u64_e32 v[8:9], 2, v[6:7]
	v_add_nc_u64_e32 v[18:19], 1, v[6:7]
	v_cndmask_b32_e32 v2, v21, v2, vcc_lo
	v_cmp_ne_u32_e32 vcc_lo, 0, v17
	s_delay_alu instid0(VALU_DEP_2) | instskip(NEXT) | instid1(VALU_DEP_4)
	v_cmp_ne_u32_e64 s0, 0, v2
	v_dual_cndmask_b32 v3, v19, v9 :: v_dual_cndmask_b32 v8, v18, v8
	s_delay_alu instid0(VALU_DEP_1) | instskip(NEXT) | instid1(VALU_DEP_2)
	v_dual_cndmask_b32 v7, v7, v3, s0 :: v_dual_bitop2_b32 v2, v30, v16 bitop3:0x14
	v_cndmask_b32_e64 v6, v6, v8, s0
	s_delay_alu instid0(VALU_DEP_2) | instskip(NEXT) | instid1(VALU_DEP_3)
	v_mov_b32_e32 v3, v2
                                        ; implicit-def: $vgpr8_vgpr9
	v_xor_b32_e32 v7, v7, v2
	s_delay_alu instid0(VALU_DEP_3) | instskip(NEXT) | instid1(VALU_DEP_1)
	v_xor_b32_e32 v6, v6, v2
	v_sub_nc_u64_e32 v[16:17], v[6:7], v[2:3]
                                        ; implicit-def: $vgpr2_vgpr3
.LBB65_54:
	s_and_not1_saveexec_b32 s0, s3
	s_cbranch_execz .LBB65_56
; %bb.55:
	v_cvt_f32_u32_e32 v3, v2
	v_dual_mov_b32 v17, 0 :: v_dual_sub_nc_u32 v6, 0, v2
	s_delay_alu instid0(VALU_DEP_2) | instskip(SKIP_1) | instid1(TRANS32_DEP_1)
	v_rcp_iflag_f32_e32 v3, v3
	v_nop
	v_mul_f32_e32 v3, 0x4f7ffffe, v3
	s_delay_alu instid0(VALU_DEP_1) | instskip(NEXT) | instid1(VALU_DEP_1)
	v_cvt_u32_f32_e32 v3, v3
	v_mul_lo_u32 v6, v6, v3
	s_delay_alu instid0(VALU_DEP_1) | instskip(NEXT) | instid1(VALU_DEP_1)
	v_mul_hi_u32 v6, v3, v6
	v_add_nc_u32_e32 v3, v3, v6
	s_delay_alu instid0(VALU_DEP_1) | instskip(NEXT) | instid1(VALU_DEP_1)
	v_mul_hi_u32 v3, v8, v3
	v_mul_lo_u32 v6, v3, v2
	s_delay_alu instid0(VALU_DEP_1) | instskip(NEXT) | instid1(VALU_DEP_1)
	v_dual_sub_nc_u32 v6, v8, v6 :: v_dual_add_nc_u32 v7, 1, v3
	v_sub_nc_u32_e32 v8, v6, v2
	v_cmp_ge_u32_e32 vcc_lo, v6, v2
	s_delay_alu instid0(VALU_DEP_2) | instskip(NEXT) | instid1(VALU_DEP_1)
	v_dual_cndmask_b32 v6, v6, v8 :: v_dual_cndmask_b32 v3, v3, v7
	v_cmp_ge_u32_e32 vcc_lo, v6, v2
	s_delay_alu instid0(VALU_DEP_2) | instskip(NEXT) | instid1(VALU_DEP_1)
	v_add_nc_u32_e32 v7, 1, v3
	v_cndmask_b32_e32 v16, v3, v7, vcc_lo
.LBB65_56:
	s_or_b32 exec_lo, exec_lo, s0
	s_delay_alu instid0(VALU_DEP_1) | instskip(NEXT) | instid1(VALU_DEP_1)
	v_mul_u64_e32 v[2:3], v[16:17], v[4:5]
	v_sub_nc_u64_e32 v[4:5], 0, v[2:3]
	s_delay_alu instid0(VALU_DEP_1)
	v_max_i64 v[16:17], v[2:3], v[4:5]
.LBB65_57:
	s_or_b32 exec_lo, exec_lo, s1
	s_add_nc_u64 s[10:11], s[4:5], s[10:11]
	s_mov_b32 s0, 0
	s_clause 0x1
	global_store_b128 v1, v[10:13], s[10:11]
	global_store_b128 v1, v[14:17], s[10:11] offset:16
.LBB65_58:
	s_and_b32 vcc_lo, exec_lo, s0
	s_cbranch_vccz .LBB65_139
; %bb.59:
	s_wait_xcnt 0x0
	v_mov_b64_e32 v[16:17], 0
	v_mov_b64_e32 v[18:19], 0
	v_mov_b64_e32 v[12:13], 0
	v_cmp_gt_i32_e64 s0, s12, v0
	v_dual_mov_b32 v6, v0 :: v_dual_bitop2_b32 v1, s2, v0 bitop3:0x54
	v_or_b32_e32 v26, 0x100, v0
	s_and_saveexec_b32 s1, s0
	s_cbranch_execz .LBB65_61
; %bb.60:
	s_clause 0x1
	global_load_b64 v[18:19], v1, s[6:7] scale_offset
	global_load_b64 v[12:13], v1, s[8:9] scale_offset
	v_or_b32_e32 v6, 0x100, v0
.LBB65_61:
	s_wait_xcnt 0x0
	s_or_b32 exec_lo, exec_lo, s1
	v_mov_b64_e32 v[14:15], 0
	s_mov_b32 s1, exec_lo
	v_cmpx_gt_i32_e64 s12, v6
	s_cbranch_execz .LBB65_63
; %bb.62:
	v_add_nc_u32_e32 v2, s2, v6
	v_add_nc_u32_e32 v6, 0x100, v6
	s_clause 0x1
	global_load_b64 v[16:17], v2, s[6:7] scale_offset
	global_load_b64 v[14:15], v2, s[8:9] scale_offset
.LBB65_63:
	s_wait_xcnt 0x0
	s_or_b32 exec_lo, exec_lo, s1
	v_mov_b64_e32 v[4:5], 0
	v_mov_b64_e32 v[10:11], 0
	;; [unrolled: 1-line block ×3, first 2 shown]
	s_mov_b32 s1, exec_lo
	v_cmpx_gt_i32_e64 s12, v6
	s_cbranch_execz .LBB65_65
; %bb.64:
	v_add_nc_u32_e32 v2, s2, v6
	v_add_nc_u32_e32 v6, 0x100, v6
	s_clause 0x1
	global_load_b64 v[10:11], v2, s[6:7] scale_offset
	global_load_b64 v[8:9], v2, s[8:9] scale_offset
.LBB65_65:
	s_wait_xcnt 0x0
	s_or_b32 exec_lo, exec_lo, s1
	v_mov_b64_e32 v[2:3], 0
	s_mov_b32 s1, exec_lo
	v_cmpx_gt_i32_e64 s12, v6
	s_cbranch_execz .LBB65_67
; %bb.66:
	v_add_nc_u32_e32 v6, s2, v6
	s_clause 0x1
	global_load_b64 v[4:5], v6, s[6:7] scale_offset
	global_load_b64 v[2:3], v6, s[8:9] scale_offset
	s_wait_xcnt 0x0
	s_or_b32 exec_lo, exec_lo, s1
                                        ; implicit-def: $vgpr6_vgpr7
	s_and_saveexec_b32 s3, s0
	s_cbranch_execz .LBB65_83
	s_branch .LBB65_68
.LBB65_67:
	s_or_b32 exec_lo, exec_lo, s1
                                        ; implicit-def: $vgpr6_vgpr7
	s_and_saveexec_b32 s3, s0
	s_cbranch_execz .LBB65_83
.LBB65_68:
	s_wait_loadcnt 0x0
	v_sub_nc_u64_e32 v[6:7], 0, v[12:13]
	s_mov_b32 s6, exec_lo
	s_delay_alu instid0(VALU_DEP_1)
	v_max_i64 v[20:21], v[12:13], v[6:7]
	v_cmpx_ne_u64_e32 0, v[18:19]
	s_cbranch_execz .LBB65_76
; %bb.69:
	v_sub_nc_u64_e32 v[6:7], 0, v[18:19]
	s_mov_b32 s7, 0
	s_delay_alu instid0(VALU_DEP_1)
	v_max_i64 v[24:25], v[18:19], v[6:7]
	v_mov_b32_e32 v6, 0
	s_branch .LBB65_71
.LBB65_70:                              ;   in Loop: Header=BB65_71 Depth=1
	s_or_b32 exec_lo, exec_lo, s1
	s_delay_alu instid0(VALU_DEP_1) | instskip(SKIP_2) | instid1(SALU_CYCLE_1)
	v_cmp_eq_u64_e32 vcc_lo, 0, v[24:25]
	v_mov_b64_e32 v[20:21], v[22:23]
	s_or_b32 s7, vcc_lo, s7
	s_and_not1_b32 exec_lo, exec_lo, s7
	s_cbranch_execz .LBB65_75
.LBB65_71:                              ; =>This Inner Loop Header: Depth=1
	s_delay_alu instid0(VALU_DEP_2) | instskip(SKIP_1) | instid1(VALU_DEP_1)
	v_mov_b64_e32 v[22:23], v[24:25]
                                        ; implicit-def: $vgpr24_vgpr25
	s_mov_b32 s1, exec_lo
	v_or_b32_e32 v7, v21, v23
	s_delay_alu instid0(VALU_DEP_1)
	v_cmpx_ne_u64_e32 0, v[6:7]
	s_xor_b32 s8, exec_lo, s1
	s_cbranch_execz .LBB65_73
; %bb.72:                               ;   in Loop: Header=BB65_71 Depth=1
	s_delay_alu instid0(VALU_DEP_3) | instskip(SKIP_3) | instid1(VALU_DEP_3)
	v_cvt_f32_u32_e32 v7, v22
	v_cvt_f32_u32_e32 v24, v23
	v_sub_nc_u64_e32 v[28:29], 0, v[22:23]
	v_dual_mov_b32 v35, v6 :: v_dual_mov_b32 v37, v6
	v_fmac_f32_e32 v7, 0x4f800000, v24
	s_delay_alu instid0(VALU_DEP_1) | instskip(SKIP_1) | instid1(TRANS32_DEP_1)
	v_rcp_f32_e32 v7, v7
	v_nop
	v_mul_f32_e32 v7, 0x5f7ffffc, v7
	s_delay_alu instid0(VALU_DEP_1) | instskip(NEXT) | instid1(VALU_DEP_1)
	v_mul_f32_e32 v24, 0x2f800000, v7
	v_trunc_f32_e32 v25, v24
	s_delay_alu instid0(VALU_DEP_1) | instskip(SKIP_1) | instid1(VALU_DEP_2)
	v_cvt_u32_f32_e32 v31, v25
	v_fmac_f32_e32 v7, 0xcf800000, v25
	v_dual_mov_b32 v25, v6 :: v_dual_mov_b32 v36, v31
	s_delay_alu instid0(VALU_DEP_2) | instskip(NEXT) | instid1(VALU_DEP_1)
	v_cvt_u32_f32_e32 v24, v7
	v_mov_b32_e32 v30, v24
	s_delay_alu instid0(VALU_DEP_1) | instskip(NEXT) | instid1(VALU_DEP_1)
	v_mul_u64_e32 v[32:33], v[28:29], v[30:31]
	v_dual_mov_b32 v34, v33 :: v_dual_mov_b32 v33, v6
	s_delay_alu instid0(VALU_DEP_1) | instskip(NEXT) | instid1(VALU_DEP_2)
	v_mul_u64_e32 v[38:39], v[24:25], v[34:35]
	v_mul_u64_e32 v[40:41], v[36:37], v[32:33]
	;; [unrolled: 1-line block ×3, first 2 shown]
	v_mul_hi_u32 v32, v24, v32
	s_delay_alu instid0(VALU_DEP_1) | instskip(NEXT) | instid1(VALU_DEP_1)
	v_add_nc_u64_e32 v[32:33], v[32:33], v[38:39]
	v_add_co_u32 v7, vcc_lo, v32, v40
	s_delay_alu instid0(VALU_DEP_2) | instskip(SKIP_1) | instid1(VALU_DEP_1)
	v_add_co_ci_u32_e32 v36, vcc_lo, v33, v41, vcc_lo
	v_add_co_ci_u32_e32 v35, vcc_lo, 0, v35, vcc_lo
	v_add_nc_u64_e32 v[32:33], v[36:37], v[34:35]
	s_delay_alu instid0(VALU_DEP_1) | instskip(NEXT) | instid1(VALU_DEP_1)
	v_add_co_u32 v24, vcc_lo, v24, v32
	v_add_co_ci_u32_e64 v30, null, v31, v33, vcc_lo
	v_dual_mov_b32 v33, v6 :: v_dual_mov_b32 v31, v6
	s_delay_alu instid0(VALU_DEP_2) | instskip(NEXT) | instid1(VALU_DEP_1)
	v_mov_b32_e32 v25, v30
	v_mul_u64_e32 v[28:29], v[28:29], v[24:25]
	s_delay_alu instid0(VALU_DEP_1) | instskip(NEXT) | instid1(VALU_DEP_2)
	v_dual_mov_b32 v25, v6 :: v_dual_mov_b32 v32, v29
	v_dual_mov_b32 v36, v28 :: v_dual_mov_b32 v29, v6
	v_mul_hi_u32 v28, v24, v28
	s_delay_alu instid0(VALU_DEP_3) | instskip(NEXT) | instid1(VALU_DEP_3)
	v_mul_u64_e32 v[34:35], v[24:25], v[32:33]
	v_mul_u64_e32 v[36:37], v[30:31], v[36:37]
	;; [unrolled: 1-line block ×3, first 2 shown]
	s_delay_alu instid0(VALU_DEP_3) | instskip(SKIP_1) | instid1(VALU_DEP_2)
	v_add_nc_u64_e32 v[28:29], v[28:29], v[34:35]
	v_mov_b32_e32 v35, v6
	v_add_co_u32 v7, vcc_lo, v28, v36
	s_delay_alu instid0(VALU_DEP_3) | instskip(SKIP_1) | instid1(VALU_DEP_1)
	v_add_co_ci_u32_e32 v34, vcc_lo, v29, v37, vcc_lo
	v_add_co_ci_u32_e32 v33, vcc_lo, 0, v33, vcc_lo
	v_add_nc_u64_e32 v[28:29], v[34:35], v[32:33]
	v_dual_mov_b32 v32, v20 :: v_dual_mov_b32 v33, v6
	s_delay_alu instid0(VALU_DEP_2) | instskip(NEXT) | instid1(VALU_DEP_1)
	v_add_co_u32 v28, vcc_lo, v24, v28
	v_add_co_ci_u32_e64 v24, null, v30, v29, vcc_lo
	v_dual_mov_b32 v30, v21 :: v_dual_mov_b32 v29, v6
	s_delay_alu instid0(VALU_DEP_2) | instskip(NEXT) | instid1(VALU_DEP_2)
	v_mul_u64_e32 v[32:33], v[32:33], v[24:25]
	v_mul_u64_e32 v[24:25], v[30:31], v[24:25]
	s_delay_alu instid0(VALU_DEP_3) | instskip(SKIP_1) | instid1(VALU_DEP_1)
	v_mul_u64_e32 v[34:35], v[30:31], v[28:29]
	v_mul_hi_u32 v28, v20, v28
	v_add_nc_u64_e32 v[28:29], v[28:29], v[32:33]
	s_delay_alu instid0(VALU_DEP_1) | instskip(NEXT) | instid1(VALU_DEP_2)
	v_add_co_u32 v7, vcc_lo, v28, v34
	v_add_co_ci_u32_e32 v30, vcc_lo, v29, v35, vcc_lo
	v_add_co_ci_u32_e32 v25, vcc_lo, 0, v25, vcc_lo
	s_delay_alu instid0(VALU_DEP_1) | instskip(NEXT) | instid1(VALU_DEP_1)
	v_add_nc_u64_e32 v[24:25], v[30:31], v[24:25]
	v_mul_u64_e32 v[24:25], v[22:23], v[24:25]
	s_delay_alu instid0(VALU_DEP_1) | instskip(NEXT) | instid1(VALU_DEP_2)
	v_sub_nc_u32_e32 v7, v21, v25
	v_sub_co_u32 v20, vcc_lo, v20, v24
	s_delay_alu instid0(VALU_DEP_1) | instskip(NEXT) | instid1(VALU_DEP_3)
	v_sub_co_ci_u32_e64 v21, null, v21, v25, vcc_lo
	v_sub_co_ci_u32_e64 v7, null, v7, v23, vcc_lo
	s_delay_alu instid0(VALU_DEP_3) | instskip(SKIP_1) | instid1(VALU_DEP_3)
	v_sub_co_u32 v24, vcc_lo, v20, v22
	v_cmp_ge_u32_e64 s1, v20, v22
	v_subrev_co_ci_u32_e64 v25, null, 0, v7, vcc_lo
	v_sub_co_ci_u32_e64 v7, null, v7, v23, vcc_lo
	s_delay_alu instid0(VALU_DEP_3) | instskip(SKIP_2) | instid1(VALU_DEP_2)
	v_cndmask_b32_e64 v27, 0, -1, s1
	v_cmp_ge_u32_e64 s1, v24, v22
	v_cmp_ge_u32_e32 vcc_lo, v21, v23
	v_cndmask_b32_e64 v28, 0, -1, s1
	v_cmp_ge_u32_e64 s1, v25, v23
	v_cndmask_b32_e64 v30, 0, -1, vcc_lo
	v_cmp_eq_u32_e32 vcc_lo, v25, v23
	s_delay_alu instid0(VALU_DEP_3) | instskip(SKIP_1) | instid1(VALU_DEP_1)
	v_cndmask_b32_e64 v29, 0, -1, s1
	v_cmp_eq_u32_e64 s1, v21, v23
	v_dual_cndmask_b32 v28, v29, v28, vcc_lo :: v_dual_cndmask_b32 v27, v30, v27, s1
	v_sub_co_u32 v29, vcc_lo, v24, v22
	s_delay_alu instid0(VALU_DEP_1) | instskip(NEXT) | instid1(VALU_DEP_3)
	v_subrev_co_ci_u32_e64 v7, null, 0, v7, vcc_lo
	v_cmp_ne_u32_e32 vcc_lo, 0, v28
	s_delay_alu instid0(VALU_DEP_2) | instskip(SKIP_1) | instid1(VALU_DEP_2)
	v_dual_cndmask_b32 v7, v25, v7 :: v_dual_cndmask_b32 v24, v24, v29
	v_cmp_ne_u32_e32 vcc_lo, 0, v27
	v_dual_cndmask_b32 v25, v21, v7 :: v_dual_cndmask_b32 v24, v20, v24
                                        ; implicit-def: $vgpr20_vgpr21
.LBB65_73:                              ;   in Loop: Header=BB65_71 Depth=1
	s_and_not1_saveexec_b32 s1, s8
	s_cbranch_execz .LBB65_70
; %bb.74:                               ;   in Loop: Header=BB65_71 Depth=1
	v_cvt_f32_u32_e32 v7, v22
	v_dual_sub_nc_u32 v21, 0, v22 :: v_dual_mov_b32 v25, v6
	s_delay_alu instid0(VALU_DEP_2) | instskip(SKIP_1) | instid1(TRANS32_DEP_1)
	v_rcp_iflag_f32_e32 v7, v7
	v_nop
	v_mul_f32_e32 v7, 0x4f7ffffe, v7
	s_delay_alu instid0(VALU_DEP_1) | instskip(NEXT) | instid1(VALU_DEP_1)
	v_cvt_u32_f32_e32 v7, v7
	v_mul_lo_u32 v21, v21, v7
	s_delay_alu instid0(VALU_DEP_1) | instskip(NEXT) | instid1(VALU_DEP_1)
	v_mul_hi_u32 v21, v7, v21
	v_add_nc_u32_e32 v7, v7, v21
	s_delay_alu instid0(VALU_DEP_1) | instskip(NEXT) | instid1(VALU_DEP_1)
	v_mul_hi_u32 v7, v20, v7
	v_mul_lo_u32 v7, v7, v22
	s_delay_alu instid0(VALU_DEP_1) | instskip(NEXT) | instid1(VALU_DEP_1)
	v_sub_nc_u32_e32 v7, v20, v7
	v_sub_nc_u32_e32 v20, v7, v22
	v_cmp_ge_u32_e32 vcc_lo, v7, v22
	s_delay_alu instid0(VALU_DEP_2) | instskip(NEXT) | instid1(VALU_DEP_1)
	v_cndmask_b32_e32 v7, v7, v20, vcc_lo
	v_sub_nc_u32_e32 v20, v7, v22
	v_cmp_ge_u32_e32 vcc_lo, v7, v22
	s_delay_alu instid0(VALU_DEP_2)
	v_cndmask_b32_e32 v24, v7, v20, vcc_lo
	s_branch .LBB65_70
.LBB65_75:
	s_or_b32 exec_lo, exec_lo, s7
	v_mov_b64_e32 v[20:21], v[22:23]
.LBB65_76:
	s_or_b32 exec_lo, exec_lo, s6
	v_mov_b64_e32 v[6:7], 0
	s_mov_b32 s6, exec_lo
	s_delay_alu instid0(VALU_DEP_2)
	v_cmpx_ne_u64_e32 0, v[20:21]
	s_cbranch_execz .LBB65_82
; %bb.77:
	v_dual_mov_b32 v6, 0 :: v_dual_bitop2_b32 v7, v19, v21 bitop3:0x54
                                        ; implicit-def: $vgpr22_vgpr23
	s_mov_b32 s1, exec_lo
	s_delay_alu instid0(VALU_DEP_1)
	v_cmpx_ne_u64_e32 0, v[6:7]
	s_xor_b32 s7, exec_lo, s1
	s_cbranch_execz .LBB65_79
; %bb.78:
	v_dual_mov_b32 v25, v6 :: v_dual_ashrrev_i32 v22, 31, v21
	v_dual_mov_b32 v35, v6 :: v_dual_mov_b32 v37, v6
	s_delay_alu instid0(VALU_DEP_2) | instskip(NEXT) | instid1(VALU_DEP_1)
	v_mov_b32_e32 v23, v22
	v_add_nc_u64_e32 v[20:21], v[20:21], v[22:23]
	s_delay_alu instid0(VALU_DEP_1) | instskip(NEXT) | instid1(VALU_DEP_2)
	v_xor_b32_e32 v20, v20, v22
	v_xor_b32_e32 v21, v21, v22
	s_delay_alu instid0(VALU_DEP_2) | instskip(NEXT) | instid1(VALU_DEP_2)
	v_cvt_f32_u32_e32 v7, v20
	v_cvt_f32_u32_e32 v23, v21
	s_delay_alu instid0(VALU_DEP_1) | instskip(NEXT) | instid1(VALU_DEP_1)
	v_fmamk_f32 v7, v23, 0x4f800000, v7
	v_rcp_f32_e32 v7, v7
	v_nop
	s_delay_alu instid0(TRANS32_DEP_1) | instskip(NEXT) | instid1(VALU_DEP_1)
	v_mul_f32_e32 v7, 0x5f7ffffc, v7
	v_mul_f32_e32 v23, 0x2f800000, v7
	s_delay_alu instid0(VALU_DEP_1) | instskip(NEXT) | instid1(VALU_DEP_1)
	v_trunc_f32_e32 v23, v23
	v_fmamk_f32 v7, v23, 0xcf800000, v7
	v_cvt_u32_f32_e32 v31, v23
	s_delay_alu instid0(VALU_DEP_2) | instskip(NEXT) | instid1(VALU_DEP_1)
	v_cvt_u32_f32_e32 v24, v7
	v_dual_mov_b32 v36, v31 :: v_dual_mov_b32 v30, v24
	v_sub_nc_u64_e32 v[28:29], 0, v[20:21]
	s_delay_alu instid0(VALU_DEP_1) | instskip(NEXT) | instid1(VALU_DEP_1)
	v_mul_u64_e32 v[32:33], v[28:29], v[30:31]
	v_dual_mov_b32 v34, v33 :: v_dual_mov_b32 v33, v6
	s_delay_alu instid0(VALU_DEP_1) | instskip(NEXT) | instid1(VALU_DEP_2)
	v_mul_u64_e32 v[38:39], v[24:25], v[34:35]
	v_mul_u64_e32 v[40:41], v[36:37], v[32:33]
	;; [unrolled: 1-line block ×3, first 2 shown]
	v_mul_hi_u32 v32, v24, v32
	s_delay_alu instid0(VALU_DEP_1) | instskip(SKIP_1) | instid1(VALU_DEP_2)
	v_add_nc_u64_e32 v[32:33], v[32:33], v[38:39]
	v_ashrrev_i32_e32 v38, 31, v19
	v_add_co_u32 v7, vcc_lo, v32, v40
	s_delay_alu instid0(VALU_DEP_3) | instskip(SKIP_1) | instid1(VALU_DEP_1)
	v_add_co_ci_u32_e32 v36, vcc_lo, v33, v41, vcc_lo
	v_add_co_ci_u32_e32 v35, vcc_lo, 0, v35, vcc_lo
	v_add_nc_u64_e32 v[32:33], v[36:37], v[34:35]
	s_delay_alu instid0(VALU_DEP_1) | instskip(NEXT) | instid1(VALU_DEP_1)
	v_add_co_u32 v24, vcc_lo, v24, v32
	v_add_co_ci_u32_e64 v30, null, v31, v33, vcc_lo
	v_dual_mov_b32 v33, v6 :: v_dual_mov_b32 v31, v6
	s_delay_alu instid0(VALU_DEP_2) | instskip(NEXT) | instid1(VALU_DEP_1)
	v_mov_b32_e32 v25, v30
	v_mul_u64_e32 v[28:29], v[28:29], v[24:25]
	s_delay_alu instid0(VALU_DEP_1) | instskip(NEXT) | instid1(VALU_DEP_2)
	v_dual_mov_b32 v25, v6 :: v_dual_mov_b32 v32, v29
	v_dual_mov_b32 v36, v28 :: v_dual_mov_b32 v29, v6
	v_mul_hi_u32 v28, v24, v28
	s_delay_alu instid0(VALU_DEP_3) | instskip(NEXT) | instid1(VALU_DEP_3)
	v_mul_u64_e32 v[34:35], v[24:25], v[32:33]
	v_mul_u64_e32 v[36:37], v[30:31], v[36:37]
	;; [unrolled: 1-line block ×3, first 2 shown]
	s_delay_alu instid0(VALU_DEP_3) | instskip(SKIP_1) | instid1(VALU_DEP_2)
	v_add_nc_u64_e32 v[28:29], v[28:29], v[34:35]
	v_dual_mov_b32 v35, v6 :: v_dual_mov_b32 v39, v38
	v_add_co_u32 v7, vcc_lo, v28, v36
	s_delay_alu instid0(VALU_DEP_3) | instskip(SKIP_2) | instid1(VALU_DEP_2)
	v_add_co_ci_u32_e32 v34, vcc_lo, v29, v37, vcc_lo
	v_add_co_ci_u32_e32 v33, vcc_lo, 0, v33, vcc_lo
	v_mov_b32_e32 v7, v6
	v_add_nc_u64_e32 v[28:29], v[34:35], v[32:33]
	v_mov_b32_e32 v33, v6
	v_add_nc_u64_e32 v[18:19], v[18:19], v[38:39]
	s_delay_alu instid0(VALU_DEP_3) | instskip(NEXT) | instid1(VALU_DEP_2)
	v_add_co_u32 v28, vcc_lo, v24, v28
	v_xor_b32_e32 v32, v18, v38
	v_add_co_ci_u32_e64 v24, null, v30, v29, vcc_lo
	s_delay_alu instid0(VALU_DEP_4) | instskip(NEXT) | instid1(VALU_DEP_2)
	v_dual_mov_b32 v29, v6 :: v_dual_bitop2_b32 v30, v19, v38 bitop3:0x14
	v_mul_u64_e32 v[34:35], v[32:33], v[24:25]
	s_delay_alu instid0(VALU_DEP_2) | instskip(SKIP_2) | instid1(VALU_DEP_1)
	v_mul_u64_e32 v[18:19], v[30:31], v[28:29]
	v_mul_u64_e32 v[24:25], v[30:31], v[24:25]
	v_mul_hi_u32 v28, v32, v28
	v_add_nc_u64_e32 v[28:29], v[28:29], v[34:35]
	s_delay_alu instid0(VALU_DEP_1) | instskip(NEXT) | instid1(VALU_DEP_2)
	v_add_co_u32 v6, vcc_lo, v28, v18
	v_add_co_ci_u32_e32 v6, vcc_lo, v29, v19, vcc_lo
	v_add_co_ci_u32_e32 v25, vcc_lo, 0, v25, vcc_lo
	s_delay_alu instid0(VALU_DEP_1) | instskip(NEXT) | instid1(VALU_DEP_1)
	v_add_nc_u64_e32 v[6:7], v[6:7], v[24:25]
	v_mul_u64_e32 v[18:19], v[20:21], v[6:7]
	s_delay_alu instid0(VALU_DEP_1) | instskip(NEXT) | instid1(VALU_DEP_2)
	v_sub_nc_u32_e32 v23, v30, v19
	v_sub_co_u32 v18, vcc_lo, v32, v18
	s_delay_alu instid0(VALU_DEP_1) | instskip(NEXT) | instid1(VALU_DEP_3)
	v_sub_co_ci_u32_e64 v27, null, v30, v19, vcc_lo
	v_sub_co_ci_u32_e64 v23, null, v23, v21, vcc_lo
	s_delay_alu instid0(VALU_DEP_3) | instskip(NEXT) | instid1(VALU_DEP_1)
	v_sub_co_u32 v24, s1, v18, v20
	v_subrev_co_ci_u32_e64 v23, null, 0, v23, s1
	s_delay_alu instid0(VALU_DEP_2) | instskip(SKIP_1) | instid1(VALU_DEP_3)
	v_cmp_ge_u32_e32 vcc_lo, v24, v20
	v_cndmask_b32_e64 v19, 0, -1, vcc_lo
	v_cmp_ge_u32_e32 vcc_lo, v23, v21
	v_cndmask_b32_e64 v24, 0, -1, vcc_lo
	;; [unrolled: 2-line block ×4, first 2 shown]
	v_cmp_eq_u32_e32 vcc_lo, v23, v21
	v_cndmask_b32_e32 v23, v24, v19, vcc_lo
	v_cmp_eq_u32_e32 vcc_lo, v27, v21
	v_add_nc_u64_e32 v[18:19], 2, v[6:7]
	v_add_nc_u64_e32 v[24:25], 1, v[6:7]
	v_cndmask_b32_e32 v20, v28, v20, vcc_lo
	v_cmp_ne_u32_e32 vcc_lo, 0, v23
	s_delay_alu instid0(VALU_DEP_2) | instskip(NEXT) | instid1(VALU_DEP_4)
	v_cmp_ne_u32_e64 s1, 0, v20
	v_dual_cndmask_b32 v19, v25, v19 :: v_dual_cndmask_b32 v20, v24, v18
	s_delay_alu instid0(VALU_DEP_1) | instskip(NEXT) | instid1(VALU_DEP_2)
	v_dual_cndmask_b32 v7, v7, v19, s1 :: v_dual_bitop2_b32 v18, v38, v22 bitop3:0x14
	v_cndmask_b32_e64 v6, v6, v20, s1
	s_delay_alu instid0(VALU_DEP_2) | instskip(NEXT) | instid1(VALU_DEP_3)
	v_mov_b32_e32 v19, v18
                                        ; implicit-def: $vgpr20_vgpr21
	v_xor_b32_e32 v7, v7, v18
	s_delay_alu instid0(VALU_DEP_3) | instskip(NEXT) | instid1(VALU_DEP_1)
	v_xor_b32_e32 v6, v6, v18
	v_sub_nc_u64_e32 v[22:23], v[6:7], v[18:19]
                                        ; implicit-def: $vgpr18_vgpr19
.LBB65_79:
	s_and_not1_saveexec_b32 s1, s7
	s_cbranch_execz .LBB65_81
; %bb.80:
	v_cvt_f32_u32_e32 v6, v20
	v_dual_sub_nc_u32 v7, 0, v20 :: v_dual_mov_b32 v23, 0
	s_delay_alu instid0(VALU_DEP_2) | instskip(SKIP_1) | instid1(TRANS32_DEP_1)
	v_rcp_iflag_f32_e32 v6, v6
	v_nop
	v_mul_f32_e32 v6, 0x4f7ffffe, v6
	s_delay_alu instid0(VALU_DEP_1) | instskip(NEXT) | instid1(VALU_DEP_1)
	v_cvt_u32_f32_e32 v6, v6
	v_mul_lo_u32 v7, v7, v6
	s_delay_alu instid0(VALU_DEP_1) | instskip(NEXT) | instid1(VALU_DEP_1)
	v_mul_hi_u32 v7, v6, v7
	v_add_nc_u32_e32 v6, v6, v7
	s_delay_alu instid0(VALU_DEP_1) | instskip(NEXT) | instid1(VALU_DEP_1)
	v_mul_hi_u32 v6, v18, v6
	v_mul_lo_u32 v7, v6, v20
	s_delay_alu instid0(VALU_DEP_1) | instskip(NEXT) | instid1(VALU_DEP_1)
	v_dual_sub_nc_u32 v7, v18, v7 :: v_dual_add_nc_u32 v18, 1, v6
	v_sub_nc_u32_e32 v19, v7, v20
	v_cmp_ge_u32_e32 vcc_lo, v7, v20
	s_delay_alu instid0(VALU_DEP_2) | instskip(NEXT) | instid1(VALU_DEP_1)
	v_dual_cndmask_b32 v7, v7, v19 :: v_dual_cndmask_b32 v6, v6, v18
	v_cmp_ge_u32_e32 vcc_lo, v7, v20
	s_delay_alu instid0(VALU_DEP_2) | instskip(NEXT) | instid1(VALU_DEP_1)
	v_add_nc_u32_e32 v18, 1, v6
	v_cndmask_b32_e32 v22, v6, v18, vcc_lo
.LBB65_81:
	s_or_b32 exec_lo, exec_lo, s1
	s_delay_alu instid0(VALU_DEP_1) | instskip(NEXT) | instid1(VALU_DEP_1)
	v_mul_u64_e32 v[6:7], v[22:23], v[12:13]
	v_sub_nc_u64_e32 v[12:13], 0, v[6:7]
	s_delay_alu instid0(VALU_DEP_1)
	v_max_i64 v[6:7], v[6:7], v[12:13]
.LBB65_82:
	s_or_b32 exec_lo, exec_lo, s6
.LBB65_83:
	s_delay_alu instid0(SALU_CYCLE_1) | instskip(NEXT) | instid1(SALU_CYCLE_1)
	s_or_b32 exec_lo, exec_lo, s3
	s_mov_b32 s3, exec_lo
                                        ; implicit-def: $vgpr12_vgpr13
	v_cmpx_gt_i32_e64 s12, v26
	s_cbranch_execz .LBB65_99
; %bb.84:
	s_wait_loadcnt 0x0
	v_sub_nc_u64_e32 v[12:13], 0, v[14:15]
	s_mov_b32 s6, exec_lo
	s_delay_alu instid0(VALU_DEP_1)
	v_max_i64 v[18:19], v[14:15], v[12:13]
	v_cmpx_ne_u64_e32 0, v[16:17]
	s_cbranch_execz .LBB65_92
; %bb.85:
	v_sub_nc_u64_e32 v[12:13], 0, v[16:17]
	s_mov_b32 s7, 0
	s_delay_alu instid0(VALU_DEP_1)
	v_max_i64 v[22:23], v[16:17], v[12:13]
	v_mov_b32_e32 v12, 0
	s_branch .LBB65_87
.LBB65_86:                              ;   in Loop: Header=BB65_87 Depth=1
	s_or_b32 exec_lo, exec_lo, s1
	s_delay_alu instid0(VALU_DEP_1) | instskip(SKIP_2) | instid1(SALU_CYCLE_1)
	v_cmp_eq_u64_e32 vcc_lo, 0, v[22:23]
	v_mov_b64_e32 v[18:19], v[20:21]
	s_or_b32 s7, vcc_lo, s7
	s_and_not1_b32 exec_lo, exec_lo, s7
	s_cbranch_execz .LBB65_91
.LBB65_87:                              ; =>This Inner Loop Header: Depth=1
	s_delay_alu instid0(VALU_DEP_2) | instskip(SKIP_1) | instid1(VALU_DEP_1)
	v_mov_b64_e32 v[20:21], v[22:23]
                                        ; implicit-def: $vgpr22_vgpr23
	s_mov_b32 s1, exec_lo
	v_or_b32_e32 v13, v19, v21
	s_delay_alu instid0(VALU_DEP_1)
	v_cmpx_ne_u64_e32 0, v[12:13]
	s_xor_b32 s8, exec_lo, s1
	s_cbranch_execz .LBB65_89
; %bb.88:                               ;   in Loop: Header=BB65_87 Depth=1
	s_delay_alu instid0(VALU_DEP_3) | instskip(SKIP_3) | instid1(VALU_DEP_3)
	v_cvt_f32_u32_e32 v13, v20
	v_cvt_f32_u32_e32 v22, v21
	v_sub_nc_u64_e32 v[24:25], 0, v[20:21]
	v_dual_mov_b32 v33, v12 :: v_dual_mov_b32 v35, v12
	v_fmac_f32_e32 v13, 0x4f800000, v22
	s_delay_alu instid0(VALU_DEP_1) | instskip(SKIP_1) | instid1(TRANS32_DEP_1)
	v_rcp_f32_e32 v13, v13
	v_nop
	v_mul_f32_e32 v13, 0x5f7ffffc, v13
	s_delay_alu instid0(VALU_DEP_1) | instskip(NEXT) | instid1(VALU_DEP_1)
	v_mul_f32_e32 v22, 0x2f800000, v13
	v_trunc_f32_e32 v23, v22
	s_delay_alu instid0(VALU_DEP_1) | instskip(SKIP_1) | instid1(VALU_DEP_2)
	v_cvt_u32_f32_e32 v29, v23
	v_fmac_f32_e32 v13, 0xcf800000, v23
	v_dual_mov_b32 v23, v12 :: v_dual_mov_b32 v34, v29
	s_delay_alu instid0(VALU_DEP_2) | instskip(NEXT) | instid1(VALU_DEP_1)
	v_cvt_u32_f32_e32 v22, v13
	v_mov_b32_e32 v28, v22
	s_delay_alu instid0(VALU_DEP_1) | instskip(NEXT) | instid1(VALU_DEP_1)
	v_mul_u64_e32 v[30:31], v[24:25], v[28:29]
	v_dual_mov_b32 v32, v31 :: v_dual_mov_b32 v31, v12
	s_delay_alu instid0(VALU_DEP_1) | instskip(NEXT) | instid1(VALU_DEP_2)
	v_mul_u64_e32 v[36:37], v[22:23], v[32:33]
	v_mul_u64_e32 v[38:39], v[34:35], v[30:31]
	;; [unrolled: 1-line block ×3, first 2 shown]
	v_mul_hi_u32 v30, v22, v30
	s_delay_alu instid0(VALU_DEP_1) | instskip(NEXT) | instid1(VALU_DEP_1)
	v_add_nc_u64_e32 v[30:31], v[30:31], v[36:37]
	v_add_co_u32 v13, vcc_lo, v30, v38
	s_delay_alu instid0(VALU_DEP_2) | instskip(SKIP_1) | instid1(VALU_DEP_1)
	v_add_co_ci_u32_e32 v34, vcc_lo, v31, v39, vcc_lo
	v_add_co_ci_u32_e32 v33, vcc_lo, 0, v33, vcc_lo
	v_add_nc_u64_e32 v[30:31], v[34:35], v[32:33]
	s_delay_alu instid0(VALU_DEP_1) | instskip(NEXT) | instid1(VALU_DEP_1)
	v_add_co_u32 v22, vcc_lo, v22, v30
	v_add_co_ci_u32_e64 v28, null, v29, v31, vcc_lo
	v_dual_mov_b32 v31, v12 :: v_dual_mov_b32 v29, v12
	s_delay_alu instid0(VALU_DEP_2) | instskip(NEXT) | instid1(VALU_DEP_1)
	v_mov_b32_e32 v23, v28
	v_mul_u64_e32 v[24:25], v[24:25], v[22:23]
	s_delay_alu instid0(VALU_DEP_1) | instskip(NEXT) | instid1(VALU_DEP_2)
	v_dual_mov_b32 v23, v12 :: v_dual_mov_b32 v30, v25
	v_dual_mov_b32 v34, v24 :: v_dual_mov_b32 v25, v12
	v_mul_hi_u32 v24, v22, v24
	s_delay_alu instid0(VALU_DEP_3) | instskip(NEXT) | instid1(VALU_DEP_3)
	v_mul_u64_e32 v[32:33], v[22:23], v[30:31]
	v_mul_u64_e32 v[34:35], v[28:29], v[34:35]
	;; [unrolled: 1-line block ×3, first 2 shown]
	s_delay_alu instid0(VALU_DEP_3) | instskip(SKIP_1) | instid1(VALU_DEP_2)
	v_add_nc_u64_e32 v[24:25], v[24:25], v[32:33]
	v_mov_b32_e32 v33, v12
	v_add_co_u32 v13, vcc_lo, v24, v34
	s_delay_alu instid0(VALU_DEP_3) | instskip(SKIP_1) | instid1(VALU_DEP_1)
	v_add_co_ci_u32_e32 v32, vcc_lo, v25, v35, vcc_lo
	v_add_co_ci_u32_e32 v31, vcc_lo, 0, v31, vcc_lo
	v_add_nc_u64_e32 v[24:25], v[32:33], v[30:31]
	v_dual_mov_b32 v30, v18 :: v_dual_mov_b32 v31, v12
	s_delay_alu instid0(VALU_DEP_2) | instskip(NEXT) | instid1(VALU_DEP_1)
	v_add_co_u32 v24, vcc_lo, v22, v24
	v_add_co_ci_u32_e64 v22, null, v28, v25, vcc_lo
	v_dual_mov_b32 v28, v19 :: v_dual_mov_b32 v25, v12
	s_delay_alu instid0(VALU_DEP_2) | instskip(NEXT) | instid1(VALU_DEP_2)
	v_mul_u64_e32 v[30:31], v[30:31], v[22:23]
	v_mul_u64_e32 v[22:23], v[28:29], v[22:23]
	s_delay_alu instid0(VALU_DEP_3) | instskip(SKIP_1) | instid1(VALU_DEP_1)
	v_mul_u64_e32 v[32:33], v[28:29], v[24:25]
	v_mul_hi_u32 v24, v18, v24
	v_add_nc_u64_e32 v[24:25], v[24:25], v[30:31]
	s_delay_alu instid0(VALU_DEP_1) | instskip(NEXT) | instid1(VALU_DEP_2)
	v_add_co_u32 v13, vcc_lo, v24, v32
	v_add_co_ci_u32_e32 v28, vcc_lo, v25, v33, vcc_lo
	v_add_co_ci_u32_e32 v23, vcc_lo, 0, v23, vcc_lo
	s_delay_alu instid0(VALU_DEP_1) | instskip(NEXT) | instid1(VALU_DEP_1)
	v_add_nc_u64_e32 v[22:23], v[28:29], v[22:23]
	v_mul_u64_e32 v[22:23], v[20:21], v[22:23]
	s_delay_alu instid0(VALU_DEP_1) | instskip(NEXT) | instid1(VALU_DEP_2)
	v_sub_nc_u32_e32 v13, v19, v23
	v_sub_co_u32 v18, vcc_lo, v18, v22
	s_delay_alu instid0(VALU_DEP_1) | instskip(NEXT) | instid1(VALU_DEP_3)
	v_sub_co_ci_u32_e64 v19, null, v19, v23, vcc_lo
	v_sub_co_ci_u32_e64 v13, null, v13, v21, vcc_lo
	s_delay_alu instid0(VALU_DEP_3) | instskip(SKIP_1) | instid1(VALU_DEP_3)
	v_sub_co_u32 v22, vcc_lo, v18, v20
	v_cmp_ge_u32_e64 s1, v18, v20
	v_subrev_co_ci_u32_e64 v23, null, 0, v13, vcc_lo
	v_sub_co_ci_u32_e64 v13, null, v13, v21, vcc_lo
	s_delay_alu instid0(VALU_DEP_3) | instskip(SKIP_2) | instid1(VALU_DEP_2)
	v_cndmask_b32_e64 v24, 0, -1, s1
	v_cmp_ge_u32_e64 s1, v22, v20
	v_cmp_ge_u32_e32 vcc_lo, v19, v21
	v_cndmask_b32_e64 v25, 0, -1, s1
	v_cmp_ge_u32_e64 s1, v23, v21
	v_cndmask_b32_e64 v28, 0, -1, vcc_lo
	v_cmp_eq_u32_e32 vcc_lo, v23, v21
	s_delay_alu instid0(VALU_DEP_3) | instskip(SKIP_1) | instid1(VALU_DEP_1)
	v_cndmask_b32_e64 v27, 0, -1, s1
	v_cmp_eq_u32_e64 s1, v19, v21
	v_dual_cndmask_b32 v25, v27, v25, vcc_lo :: v_dual_cndmask_b32 v24, v28, v24, s1
	v_sub_co_u32 v27, vcc_lo, v22, v20
	s_delay_alu instid0(VALU_DEP_1) | instskip(NEXT) | instid1(VALU_DEP_3)
	v_subrev_co_ci_u32_e64 v13, null, 0, v13, vcc_lo
	v_cmp_ne_u32_e32 vcc_lo, 0, v25
	s_delay_alu instid0(VALU_DEP_2) | instskip(SKIP_1) | instid1(VALU_DEP_2)
	v_dual_cndmask_b32 v13, v23, v13 :: v_dual_cndmask_b32 v22, v22, v27
	v_cmp_ne_u32_e32 vcc_lo, 0, v24
	v_dual_cndmask_b32 v23, v19, v13 :: v_dual_cndmask_b32 v22, v18, v22
                                        ; implicit-def: $vgpr18_vgpr19
.LBB65_89:                              ;   in Loop: Header=BB65_87 Depth=1
	s_and_not1_saveexec_b32 s1, s8
	s_cbranch_execz .LBB65_86
; %bb.90:                               ;   in Loop: Header=BB65_87 Depth=1
	v_cvt_f32_u32_e32 v13, v20
	v_dual_sub_nc_u32 v19, 0, v20 :: v_dual_mov_b32 v23, v12
	s_delay_alu instid0(VALU_DEP_2) | instskip(SKIP_1) | instid1(TRANS32_DEP_1)
	v_rcp_iflag_f32_e32 v13, v13
	v_nop
	v_mul_f32_e32 v13, 0x4f7ffffe, v13
	s_delay_alu instid0(VALU_DEP_1) | instskip(NEXT) | instid1(VALU_DEP_1)
	v_cvt_u32_f32_e32 v13, v13
	v_mul_lo_u32 v19, v19, v13
	s_delay_alu instid0(VALU_DEP_1) | instskip(NEXT) | instid1(VALU_DEP_1)
	v_mul_hi_u32 v19, v13, v19
	v_add_nc_u32_e32 v13, v13, v19
	s_delay_alu instid0(VALU_DEP_1) | instskip(NEXT) | instid1(VALU_DEP_1)
	v_mul_hi_u32 v13, v18, v13
	v_mul_lo_u32 v13, v13, v20
	s_delay_alu instid0(VALU_DEP_1) | instskip(NEXT) | instid1(VALU_DEP_1)
	v_sub_nc_u32_e32 v13, v18, v13
	v_sub_nc_u32_e32 v18, v13, v20
	v_cmp_ge_u32_e32 vcc_lo, v13, v20
	s_delay_alu instid0(VALU_DEP_2) | instskip(NEXT) | instid1(VALU_DEP_1)
	v_cndmask_b32_e32 v13, v13, v18, vcc_lo
	v_sub_nc_u32_e32 v18, v13, v20
	v_cmp_ge_u32_e32 vcc_lo, v13, v20
	s_delay_alu instid0(VALU_DEP_2)
	v_cndmask_b32_e32 v22, v13, v18, vcc_lo
	s_branch .LBB65_86
.LBB65_91:
	s_or_b32 exec_lo, exec_lo, s7
	v_mov_b64_e32 v[18:19], v[20:21]
.LBB65_92:
	s_or_b32 exec_lo, exec_lo, s6
	v_mov_b64_e32 v[12:13], 0
	s_mov_b32 s6, exec_lo
	s_delay_alu instid0(VALU_DEP_2)
	v_cmpx_ne_u64_e32 0, v[18:19]
	s_cbranch_execz .LBB65_98
; %bb.93:
	v_dual_mov_b32 v12, 0 :: v_dual_bitop2_b32 v13, v17, v19 bitop3:0x54
                                        ; implicit-def: $vgpr20_vgpr21
	s_mov_b32 s1, exec_lo
	s_delay_alu instid0(VALU_DEP_1)
	v_cmpx_ne_u64_e32 0, v[12:13]
	s_xor_b32 s7, exec_lo, s1
	s_cbranch_execz .LBB65_95
; %bb.94:
	v_dual_mov_b32 v23, v12 :: v_dual_ashrrev_i32 v20, 31, v19
	v_dual_mov_b32 v33, v12 :: v_dual_mov_b32 v35, v12
	s_delay_alu instid0(VALU_DEP_2) | instskip(NEXT) | instid1(VALU_DEP_1)
	v_mov_b32_e32 v21, v20
	v_add_nc_u64_e32 v[18:19], v[18:19], v[20:21]
	s_delay_alu instid0(VALU_DEP_1) | instskip(NEXT) | instid1(VALU_DEP_2)
	v_xor_b32_e32 v18, v18, v20
	v_xor_b32_e32 v19, v19, v20
	s_delay_alu instid0(VALU_DEP_2) | instskip(NEXT) | instid1(VALU_DEP_2)
	v_cvt_f32_u32_e32 v13, v18
	v_cvt_f32_u32_e32 v21, v19
	s_delay_alu instid0(VALU_DEP_1) | instskip(NEXT) | instid1(VALU_DEP_1)
	v_fmamk_f32 v13, v21, 0x4f800000, v13
	v_rcp_f32_e32 v13, v13
	v_nop
	s_delay_alu instid0(TRANS32_DEP_1) | instskip(NEXT) | instid1(VALU_DEP_1)
	v_mul_f32_e32 v13, 0x5f7ffffc, v13
	v_mul_f32_e32 v21, 0x2f800000, v13
	s_delay_alu instid0(VALU_DEP_1) | instskip(NEXT) | instid1(VALU_DEP_1)
	v_trunc_f32_e32 v21, v21
	v_fmamk_f32 v13, v21, 0xcf800000, v13
	v_cvt_u32_f32_e32 v29, v21
	s_delay_alu instid0(VALU_DEP_2) | instskip(NEXT) | instid1(VALU_DEP_1)
	v_cvt_u32_f32_e32 v22, v13
	v_dual_mov_b32 v34, v29 :: v_dual_mov_b32 v28, v22
	v_sub_nc_u64_e32 v[24:25], 0, v[18:19]
	s_delay_alu instid0(VALU_DEP_1) | instskip(NEXT) | instid1(VALU_DEP_1)
	v_mul_u64_e32 v[30:31], v[24:25], v[28:29]
	v_dual_mov_b32 v32, v31 :: v_dual_mov_b32 v31, v12
	s_delay_alu instid0(VALU_DEP_1) | instskip(NEXT) | instid1(VALU_DEP_2)
	v_mul_u64_e32 v[36:37], v[22:23], v[32:33]
	v_mul_u64_e32 v[38:39], v[34:35], v[30:31]
	v_mul_u64_e32 v[32:33], v[34:35], v[32:33]
	v_mul_hi_u32 v30, v22, v30
	s_delay_alu instid0(VALU_DEP_1) | instskip(SKIP_1) | instid1(VALU_DEP_2)
	v_add_nc_u64_e32 v[30:31], v[30:31], v[36:37]
	v_ashrrev_i32_e32 v36, 31, v17
	v_add_co_u32 v13, vcc_lo, v30, v38
	s_delay_alu instid0(VALU_DEP_3) | instskip(SKIP_1) | instid1(VALU_DEP_1)
	v_add_co_ci_u32_e32 v34, vcc_lo, v31, v39, vcc_lo
	v_add_co_ci_u32_e32 v33, vcc_lo, 0, v33, vcc_lo
	v_add_nc_u64_e32 v[30:31], v[34:35], v[32:33]
	s_delay_alu instid0(VALU_DEP_1) | instskip(NEXT) | instid1(VALU_DEP_1)
	v_add_co_u32 v22, vcc_lo, v22, v30
	v_add_co_ci_u32_e64 v28, null, v29, v31, vcc_lo
	v_dual_mov_b32 v29, v12 :: v_dual_mov_b32 v31, v12
	s_delay_alu instid0(VALU_DEP_2) | instskip(NEXT) | instid1(VALU_DEP_1)
	v_mov_b32_e32 v23, v28
	v_mul_u64_e32 v[24:25], v[24:25], v[22:23]
	s_delay_alu instid0(VALU_DEP_1) | instskip(NEXT) | instid1(VALU_DEP_2)
	v_dual_mov_b32 v23, v12 :: v_dual_mov_b32 v30, v25
	v_dual_mov_b32 v34, v24 :: v_dual_mov_b32 v25, v12
	v_mul_hi_u32 v24, v22, v24
	s_delay_alu instid0(VALU_DEP_3) | instskip(NEXT) | instid1(VALU_DEP_3)
	v_mul_u64_e32 v[32:33], v[22:23], v[30:31]
	v_mul_u64_e32 v[34:35], v[28:29], v[34:35]
	;; [unrolled: 1-line block ×3, first 2 shown]
	s_delay_alu instid0(VALU_DEP_3) | instskip(SKIP_1) | instid1(VALU_DEP_2)
	v_add_nc_u64_e32 v[24:25], v[24:25], v[32:33]
	v_dual_mov_b32 v33, v12 :: v_dual_mov_b32 v37, v36
	v_add_co_u32 v13, vcc_lo, v24, v34
	s_delay_alu instid0(VALU_DEP_3) | instskip(SKIP_2) | instid1(VALU_DEP_2)
	v_add_co_ci_u32_e32 v32, vcc_lo, v25, v35, vcc_lo
	v_add_co_ci_u32_e32 v31, vcc_lo, 0, v31, vcc_lo
	v_mov_b32_e32 v13, v12
	v_add_nc_u64_e32 v[24:25], v[32:33], v[30:31]
	v_mov_b32_e32 v31, v12
	v_add_nc_u64_e32 v[16:17], v[16:17], v[36:37]
	s_delay_alu instid0(VALU_DEP_3) | instskip(NEXT) | instid1(VALU_DEP_2)
	v_add_co_u32 v24, vcc_lo, v22, v24
	v_xor_b32_e32 v30, v16, v36
	v_add_co_ci_u32_e64 v22, null, v28, v25, vcc_lo
	s_delay_alu instid0(VALU_DEP_4) | instskip(NEXT) | instid1(VALU_DEP_2)
	v_dual_mov_b32 v25, v12 :: v_dual_bitop2_b32 v28, v17, v36 bitop3:0x14
	v_mul_u64_e32 v[32:33], v[30:31], v[22:23]
	s_delay_alu instid0(VALU_DEP_2) | instskip(SKIP_2) | instid1(VALU_DEP_1)
	v_mul_u64_e32 v[16:17], v[28:29], v[24:25]
	v_mul_u64_e32 v[22:23], v[28:29], v[22:23]
	v_mul_hi_u32 v24, v30, v24
	v_add_nc_u64_e32 v[24:25], v[24:25], v[32:33]
	s_delay_alu instid0(VALU_DEP_1) | instskip(NEXT) | instid1(VALU_DEP_2)
	v_add_co_u32 v12, vcc_lo, v24, v16
	v_add_co_ci_u32_e32 v12, vcc_lo, v25, v17, vcc_lo
	v_add_co_ci_u32_e32 v23, vcc_lo, 0, v23, vcc_lo
	s_delay_alu instid0(VALU_DEP_1) | instskip(NEXT) | instid1(VALU_DEP_1)
	v_add_nc_u64_e32 v[12:13], v[12:13], v[22:23]
	v_mul_u64_e32 v[16:17], v[18:19], v[12:13]
	s_delay_alu instid0(VALU_DEP_1) | instskip(NEXT) | instid1(VALU_DEP_2)
	v_sub_nc_u32_e32 v21, v28, v17
	v_sub_co_u32 v16, vcc_lo, v30, v16
	s_delay_alu instid0(VALU_DEP_1) | instskip(NEXT) | instid1(VALU_DEP_3)
	v_sub_co_ci_u32_e64 v24, null, v28, v17, vcc_lo
	v_sub_co_ci_u32_e64 v21, null, v21, v19, vcc_lo
	s_delay_alu instid0(VALU_DEP_3) | instskip(NEXT) | instid1(VALU_DEP_1)
	v_sub_co_u32 v22, s1, v16, v18
	v_subrev_co_ci_u32_e64 v21, null, 0, v21, s1
	s_delay_alu instid0(VALU_DEP_2) | instskip(SKIP_1) | instid1(VALU_DEP_3)
	v_cmp_ge_u32_e32 vcc_lo, v22, v18
	v_cndmask_b32_e64 v17, 0, -1, vcc_lo
	v_cmp_ge_u32_e32 vcc_lo, v21, v19
	v_cndmask_b32_e64 v22, 0, -1, vcc_lo
	;; [unrolled: 2-line block ×4, first 2 shown]
	v_cmp_eq_u32_e32 vcc_lo, v21, v19
	v_cndmask_b32_e32 v21, v22, v17, vcc_lo
	v_cmp_eq_u32_e32 vcc_lo, v24, v19
	v_add_nc_u64_e32 v[16:17], 2, v[12:13]
	v_add_nc_u64_e32 v[22:23], 1, v[12:13]
	v_cndmask_b32_e32 v18, v25, v18, vcc_lo
	v_cmp_ne_u32_e32 vcc_lo, 0, v21
	s_delay_alu instid0(VALU_DEP_2) | instskip(NEXT) | instid1(VALU_DEP_4)
	v_cmp_ne_u32_e64 s1, 0, v18
	v_dual_cndmask_b32 v17, v23, v17 :: v_dual_cndmask_b32 v18, v22, v16
	s_delay_alu instid0(VALU_DEP_1) | instskip(NEXT) | instid1(VALU_DEP_2)
	v_dual_cndmask_b32 v13, v13, v17, s1 :: v_dual_bitop2_b32 v16, v36, v20 bitop3:0x14
	v_cndmask_b32_e64 v12, v12, v18, s1
	s_delay_alu instid0(VALU_DEP_2) | instskip(NEXT) | instid1(VALU_DEP_3)
	v_mov_b32_e32 v17, v16
                                        ; implicit-def: $vgpr18_vgpr19
	v_xor_b32_e32 v13, v13, v16
	s_delay_alu instid0(VALU_DEP_3) | instskip(NEXT) | instid1(VALU_DEP_1)
	v_xor_b32_e32 v12, v12, v16
	v_sub_nc_u64_e32 v[20:21], v[12:13], v[16:17]
                                        ; implicit-def: $vgpr16_vgpr17
.LBB65_95:
	s_and_not1_saveexec_b32 s1, s7
	s_cbranch_execz .LBB65_97
; %bb.96:
	v_cvt_f32_u32_e32 v12, v18
	v_dual_sub_nc_u32 v13, 0, v18 :: v_dual_mov_b32 v21, 0
	s_delay_alu instid0(VALU_DEP_2) | instskip(SKIP_1) | instid1(TRANS32_DEP_1)
	v_rcp_iflag_f32_e32 v12, v12
	v_nop
	v_mul_f32_e32 v12, 0x4f7ffffe, v12
	s_delay_alu instid0(VALU_DEP_1) | instskip(NEXT) | instid1(VALU_DEP_1)
	v_cvt_u32_f32_e32 v12, v12
	v_mul_lo_u32 v13, v13, v12
	s_delay_alu instid0(VALU_DEP_1) | instskip(NEXT) | instid1(VALU_DEP_1)
	v_mul_hi_u32 v13, v12, v13
	v_add_nc_u32_e32 v12, v12, v13
	s_delay_alu instid0(VALU_DEP_1) | instskip(NEXT) | instid1(VALU_DEP_1)
	v_mul_hi_u32 v12, v16, v12
	v_mul_lo_u32 v13, v12, v18
	s_delay_alu instid0(VALU_DEP_1) | instskip(NEXT) | instid1(VALU_DEP_1)
	v_dual_sub_nc_u32 v13, v16, v13 :: v_dual_add_nc_u32 v16, 1, v12
	v_sub_nc_u32_e32 v17, v13, v18
	v_cmp_ge_u32_e32 vcc_lo, v13, v18
	s_delay_alu instid0(VALU_DEP_2) | instskip(NEXT) | instid1(VALU_DEP_1)
	v_dual_cndmask_b32 v13, v13, v17 :: v_dual_cndmask_b32 v12, v12, v16
	v_cmp_ge_u32_e32 vcc_lo, v13, v18
	s_delay_alu instid0(VALU_DEP_2) | instskip(NEXT) | instid1(VALU_DEP_1)
	v_add_nc_u32_e32 v16, 1, v12
	v_cndmask_b32_e32 v20, v12, v16, vcc_lo
.LBB65_97:
	s_or_b32 exec_lo, exec_lo, s1
	s_delay_alu instid0(VALU_DEP_1) | instskip(NEXT) | instid1(VALU_DEP_1)
	v_mul_u64_e32 v[12:13], v[20:21], v[14:15]
	v_sub_nc_u64_e32 v[14:15], 0, v[12:13]
	s_delay_alu instid0(VALU_DEP_1)
	v_max_i64 v[12:13], v[12:13], v[14:15]
.LBB65_98:
	s_or_b32 exec_lo, exec_lo, s6
.LBB65_99:
	s_delay_alu instid0(SALU_CYCLE_1) | instskip(SKIP_2) | instid1(VALU_DEP_1)
	s_or_b32 exec_lo, exec_lo, s3
	s_wait_loadcnt 0x0
	v_or_b32_e32 v14, 0x200, v0
	v_cmp_gt_i32_e32 vcc_lo, s12, v14
                                        ; implicit-def: $vgpr14_vgpr15
	s_and_saveexec_b32 s3, vcc_lo
	s_cbranch_execz .LBB65_115
; %bb.100:
	v_sub_nc_u64_e32 v[14:15], 0, v[8:9]
	s_mov_b32 s6, exec_lo
	s_delay_alu instid0(VALU_DEP_1)
	v_max_i64 v[16:17], v[8:9], v[14:15]
	v_cmpx_ne_u64_e32 0, v[10:11]
	s_cbranch_execz .LBB65_108
; %bb.101:
	v_sub_nc_u64_e32 v[14:15], 0, v[10:11]
	s_mov_b32 s7, 0
	s_delay_alu instid0(VALU_DEP_1)
	v_max_i64 v[20:21], v[10:11], v[14:15]
	v_mov_b32_e32 v14, 0
	s_branch .LBB65_103
.LBB65_102:                             ;   in Loop: Header=BB65_103 Depth=1
	s_or_b32 exec_lo, exec_lo, s1
	s_delay_alu instid0(VALU_DEP_1) | instskip(SKIP_2) | instid1(SALU_CYCLE_1)
	v_cmp_eq_u64_e32 vcc_lo, 0, v[20:21]
	v_mov_b64_e32 v[16:17], v[18:19]
	s_or_b32 s7, vcc_lo, s7
	s_and_not1_b32 exec_lo, exec_lo, s7
	s_cbranch_execz .LBB65_107
.LBB65_103:                             ; =>This Inner Loop Header: Depth=1
	s_delay_alu instid0(VALU_DEP_2) | instskip(SKIP_1) | instid1(VALU_DEP_1)
	v_mov_b64_e32 v[18:19], v[20:21]
                                        ; implicit-def: $vgpr20_vgpr21
	s_mov_b32 s1, exec_lo
	v_or_b32_e32 v15, v17, v19
	s_delay_alu instid0(VALU_DEP_1)
	v_cmpx_ne_u64_e32 0, v[14:15]
	s_xor_b32 s8, exec_lo, s1
	s_cbranch_execz .LBB65_105
; %bb.104:                              ;   in Loop: Header=BB65_103 Depth=1
	s_delay_alu instid0(VALU_DEP_3) | instskip(SKIP_3) | instid1(VALU_DEP_3)
	v_cvt_f32_u32_e32 v15, v18
	v_cvt_f32_u32_e32 v20, v19
	v_sub_nc_u64_e32 v[22:23], 0, v[18:19]
	v_dual_mov_b32 v31, v14 :: v_dual_mov_b32 v33, v14
	v_fmac_f32_e32 v15, 0x4f800000, v20
	s_delay_alu instid0(VALU_DEP_1) | instskip(SKIP_1) | instid1(TRANS32_DEP_1)
	v_rcp_f32_e32 v15, v15
	v_nop
	v_mul_f32_e32 v15, 0x5f7ffffc, v15
	s_delay_alu instid0(VALU_DEP_1) | instskip(NEXT) | instid1(VALU_DEP_1)
	v_mul_f32_e32 v20, 0x2f800000, v15
	v_trunc_f32_e32 v21, v20
	s_delay_alu instid0(VALU_DEP_1) | instskip(SKIP_1) | instid1(VALU_DEP_2)
	v_cvt_u32_f32_e32 v25, v21
	v_fmac_f32_e32 v15, 0xcf800000, v21
	v_dual_mov_b32 v21, v14 :: v_dual_mov_b32 v32, v25
	s_delay_alu instid0(VALU_DEP_2) | instskip(NEXT) | instid1(VALU_DEP_1)
	v_cvt_u32_f32_e32 v20, v15
	v_mov_b32_e32 v24, v20
	s_delay_alu instid0(VALU_DEP_1) | instskip(NEXT) | instid1(VALU_DEP_1)
	v_mul_u64_e32 v[28:29], v[22:23], v[24:25]
	v_dual_mov_b32 v30, v29 :: v_dual_mov_b32 v29, v14
	s_delay_alu instid0(VALU_DEP_1) | instskip(NEXT) | instid1(VALU_DEP_2)
	v_mul_u64_e32 v[34:35], v[20:21], v[30:31]
	v_mul_u64_e32 v[36:37], v[32:33], v[28:29]
	;; [unrolled: 1-line block ×3, first 2 shown]
	v_mul_hi_u32 v28, v20, v28
	s_delay_alu instid0(VALU_DEP_1) | instskip(NEXT) | instid1(VALU_DEP_1)
	v_add_nc_u64_e32 v[28:29], v[28:29], v[34:35]
	v_add_co_u32 v15, vcc_lo, v28, v36
	s_delay_alu instid0(VALU_DEP_2) | instskip(SKIP_1) | instid1(VALU_DEP_1)
	v_add_co_ci_u32_e32 v32, vcc_lo, v29, v37, vcc_lo
	v_add_co_ci_u32_e32 v31, vcc_lo, 0, v31, vcc_lo
	v_add_nc_u64_e32 v[28:29], v[32:33], v[30:31]
	s_delay_alu instid0(VALU_DEP_1) | instskip(NEXT) | instid1(VALU_DEP_1)
	v_add_co_u32 v20, vcc_lo, v20, v28
	v_add_co_ci_u32_e64 v24, null, v25, v29, vcc_lo
	v_dual_mov_b32 v29, v14 :: v_dual_mov_b32 v25, v14
	s_delay_alu instid0(VALU_DEP_2) | instskip(NEXT) | instid1(VALU_DEP_1)
	v_mov_b32_e32 v21, v24
	v_mul_u64_e32 v[22:23], v[22:23], v[20:21]
	s_delay_alu instid0(VALU_DEP_1) | instskip(NEXT) | instid1(VALU_DEP_2)
	v_dual_mov_b32 v21, v14 :: v_dual_mov_b32 v28, v23
	v_dual_mov_b32 v32, v22 :: v_dual_mov_b32 v23, v14
	v_mul_hi_u32 v22, v20, v22
	s_delay_alu instid0(VALU_DEP_3) | instskip(NEXT) | instid1(VALU_DEP_3)
	v_mul_u64_e32 v[30:31], v[20:21], v[28:29]
	v_mul_u64_e32 v[32:33], v[24:25], v[32:33]
	;; [unrolled: 1-line block ×3, first 2 shown]
	s_delay_alu instid0(VALU_DEP_3) | instskip(SKIP_1) | instid1(VALU_DEP_2)
	v_add_nc_u64_e32 v[22:23], v[22:23], v[30:31]
	v_mov_b32_e32 v31, v14
	v_add_co_u32 v15, vcc_lo, v22, v32
	s_delay_alu instid0(VALU_DEP_3) | instskip(SKIP_1) | instid1(VALU_DEP_1)
	v_add_co_ci_u32_e32 v30, vcc_lo, v23, v33, vcc_lo
	v_add_co_ci_u32_e32 v29, vcc_lo, 0, v29, vcc_lo
	v_add_nc_u64_e32 v[22:23], v[30:31], v[28:29]
	v_dual_mov_b32 v28, v16 :: v_dual_mov_b32 v29, v14
	s_delay_alu instid0(VALU_DEP_2) | instskip(NEXT) | instid1(VALU_DEP_1)
	v_add_co_u32 v22, vcc_lo, v20, v22
	v_add_co_ci_u32_e64 v20, null, v24, v23, vcc_lo
	v_dual_mov_b32 v24, v17 :: v_dual_mov_b32 v23, v14
	s_delay_alu instid0(VALU_DEP_2) | instskip(NEXT) | instid1(VALU_DEP_2)
	v_mul_u64_e32 v[28:29], v[28:29], v[20:21]
	v_mul_u64_e32 v[20:21], v[24:25], v[20:21]
	s_delay_alu instid0(VALU_DEP_3) | instskip(SKIP_1) | instid1(VALU_DEP_1)
	v_mul_u64_e32 v[30:31], v[24:25], v[22:23]
	v_mul_hi_u32 v22, v16, v22
	v_add_nc_u64_e32 v[22:23], v[22:23], v[28:29]
	s_delay_alu instid0(VALU_DEP_1) | instskip(NEXT) | instid1(VALU_DEP_2)
	v_add_co_u32 v15, vcc_lo, v22, v30
	v_add_co_ci_u32_e32 v24, vcc_lo, v23, v31, vcc_lo
	v_add_co_ci_u32_e32 v21, vcc_lo, 0, v21, vcc_lo
	s_delay_alu instid0(VALU_DEP_1) | instskip(NEXT) | instid1(VALU_DEP_1)
	v_add_nc_u64_e32 v[20:21], v[24:25], v[20:21]
	v_mul_u64_e32 v[20:21], v[18:19], v[20:21]
	s_delay_alu instid0(VALU_DEP_1) | instskip(NEXT) | instid1(VALU_DEP_2)
	v_sub_nc_u32_e32 v15, v17, v21
	v_sub_co_u32 v16, vcc_lo, v16, v20
	s_delay_alu instid0(VALU_DEP_1) | instskip(NEXT) | instid1(VALU_DEP_3)
	v_sub_co_ci_u32_e64 v17, null, v17, v21, vcc_lo
	v_sub_co_ci_u32_e64 v15, null, v15, v19, vcc_lo
	s_delay_alu instid0(VALU_DEP_3) | instskip(SKIP_1) | instid1(VALU_DEP_3)
	v_sub_co_u32 v20, vcc_lo, v16, v18
	v_cmp_ge_u32_e64 s1, v16, v18
	v_subrev_co_ci_u32_e64 v21, null, 0, v15, vcc_lo
	v_sub_co_ci_u32_e64 v15, null, v15, v19, vcc_lo
	s_delay_alu instid0(VALU_DEP_3) | instskip(SKIP_2) | instid1(VALU_DEP_2)
	v_cndmask_b32_e64 v22, 0, -1, s1
	v_cmp_ge_u32_e64 s1, v20, v18
	v_cmp_ge_u32_e32 vcc_lo, v17, v19
	v_cndmask_b32_e64 v23, 0, -1, s1
	v_cmp_ge_u32_e64 s1, v21, v19
	v_cndmask_b32_e64 v25, 0, -1, vcc_lo
	v_cmp_eq_u32_e32 vcc_lo, v21, v19
	s_delay_alu instid0(VALU_DEP_3) | instskip(SKIP_1) | instid1(VALU_DEP_1)
	v_cndmask_b32_e64 v24, 0, -1, s1
	v_cmp_eq_u32_e64 s1, v17, v19
	v_dual_cndmask_b32 v23, v24, v23, vcc_lo :: v_dual_cndmask_b32 v22, v25, v22, s1
	v_sub_co_u32 v24, vcc_lo, v20, v18
	s_delay_alu instid0(VALU_DEP_1) | instskip(NEXT) | instid1(VALU_DEP_3)
	v_subrev_co_ci_u32_e64 v15, null, 0, v15, vcc_lo
	v_cmp_ne_u32_e32 vcc_lo, 0, v23
	s_delay_alu instid0(VALU_DEP_2) | instskip(SKIP_1) | instid1(VALU_DEP_2)
	v_dual_cndmask_b32 v15, v21, v15 :: v_dual_cndmask_b32 v20, v20, v24
	v_cmp_ne_u32_e32 vcc_lo, 0, v22
	v_dual_cndmask_b32 v21, v17, v15 :: v_dual_cndmask_b32 v20, v16, v20
                                        ; implicit-def: $vgpr16_vgpr17
.LBB65_105:                             ;   in Loop: Header=BB65_103 Depth=1
	s_and_not1_saveexec_b32 s1, s8
	s_cbranch_execz .LBB65_102
; %bb.106:                              ;   in Loop: Header=BB65_103 Depth=1
	v_cvt_f32_u32_e32 v15, v18
	v_dual_sub_nc_u32 v17, 0, v18 :: v_dual_mov_b32 v21, v14
	s_delay_alu instid0(VALU_DEP_2) | instskip(SKIP_1) | instid1(TRANS32_DEP_1)
	v_rcp_iflag_f32_e32 v15, v15
	v_nop
	v_mul_f32_e32 v15, 0x4f7ffffe, v15
	s_delay_alu instid0(VALU_DEP_1) | instskip(NEXT) | instid1(VALU_DEP_1)
	v_cvt_u32_f32_e32 v15, v15
	v_mul_lo_u32 v17, v17, v15
	s_delay_alu instid0(VALU_DEP_1) | instskip(NEXT) | instid1(VALU_DEP_1)
	v_mul_hi_u32 v17, v15, v17
	v_add_nc_u32_e32 v15, v15, v17
	s_delay_alu instid0(VALU_DEP_1) | instskip(NEXT) | instid1(VALU_DEP_1)
	v_mul_hi_u32 v15, v16, v15
	v_mul_lo_u32 v15, v15, v18
	s_delay_alu instid0(VALU_DEP_1) | instskip(NEXT) | instid1(VALU_DEP_1)
	v_sub_nc_u32_e32 v15, v16, v15
	v_sub_nc_u32_e32 v16, v15, v18
	v_cmp_ge_u32_e32 vcc_lo, v15, v18
	s_delay_alu instid0(VALU_DEP_2) | instskip(NEXT) | instid1(VALU_DEP_1)
	v_cndmask_b32_e32 v15, v15, v16, vcc_lo
	v_sub_nc_u32_e32 v16, v15, v18
	v_cmp_ge_u32_e32 vcc_lo, v15, v18
	s_delay_alu instid0(VALU_DEP_2)
	v_cndmask_b32_e32 v20, v15, v16, vcc_lo
	s_branch .LBB65_102
.LBB65_107:
	s_or_b32 exec_lo, exec_lo, s7
	v_mov_b64_e32 v[16:17], v[18:19]
.LBB65_108:
	s_or_b32 exec_lo, exec_lo, s6
	v_mov_b64_e32 v[14:15], 0
	s_mov_b32 s6, exec_lo
	s_delay_alu instid0(VALU_DEP_2)
	v_cmpx_ne_u64_e32 0, v[16:17]
	s_cbranch_execz .LBB65_114
; %bb.109:
	v_dual_mov_b32 v14, 0 :: v_dual_bitop2_b32 v15, v11, v17 bitop3:0x54
                                        ; implicit-def: $vgpr18_vgpr19
	s_mov_b32 s1, exec_lo
	s_delay_alu instid0(VALU_DEP_1)
	v_cmpx_ne_u64_e32 0, v[14:15]
	s_xor_b32 s7, exec_lo, s1
	s_cbranch_execz .LBB65_111
; %bb.110:
	v_dual_mov_b32 v21, v14 :: v_dual_ashrrev_i32 v18, 31, v17
	v_dual_mov_b32 v31, v14 :: v_dual_mov_b32 v33, v14
	s_delay_alu instid0(VALU_DEP_2) | instskip(NEXT) | instid1(VALU_DEP_1)
	v_mov_b32_e32 v19, v18
	v_add_nc_u64_e32 v[16:17], v[16:17], v[18:19]
	s_delay_alu instid0(VALU_DEP_1) | instskip(NEXT) | instid1(VALU_DEP_2)
	v_xor_b32_e32 v16, v16, v18
	v_xor_b32_e32 v17, v17, v18
	s_delay_alu instid0(VALU_DEP_2) | instskip(NEXT) | instid1(VALU_DEP_2)
	v_cvt_f32_u32_e32 v15, v16
	v_cvt_f32_u32_e32 v19, v17
	s_delay_alu instid0(VALU_DEP_1) | instskip(NEXT) | instid1(VALU_DEP_1)
	v_fmamk_f32 v15, v19, 0x4f800000, v15
	v_rcp_f32_e32 v15, v15
	v_nop
	s_delay_alu instid0(TRANS32_DEP_1) | instskip(NEXT) | instid1(VALU_DEP_1)
	v_mul_f32_e32 v15, 0x5f7ffffc, v15
	v_mul_f32_e32 v19, 0x2f800000, v15
	s_delay_alu instid0(VALU_DEP_1) | instskip(NEXT) | instid1(VALU_DEP_1)
	v_trunc_f32_e32 v19, v19
	v_fmamk_f32 v15, v19, 0xcf800000, v15
	v_cvt_u32_f32_e32 v25, v19
	s_delay_alu instid0(VALU_DEP_2) | instskip(NEXT) | instid1(VALU_DEP_1)
	v_cvt_u32_f32_e32 v20, v15
	v_dual_mov_b32 v32, v25 :: v_dual_mov_b32 v24, v20
	v_sub_nc_u64_e32 v[22:23], 0, v[16:17]
	s_delay_alu instid0(VALU_DEP_1) | instskip(NEXT) | instid1(VALU_DEP_1)
	v_mul_u64_e32 v[28:29], v[22:23], v[24:25]
	v_dual_mov_b32 v30, v29 :: v_dual_mov_b32 v29, v14
	s_delay_alu instid0(VALU_DEP_1) | instskip(NEXT) | instid1(VALU_DEP_2)
	v_mul_u64_e32 v[34:35], v[20:21], v[30:31]
	v_mul_u64_e32 v[36:37], v[32:33], v[28:29]
	;; [unrolled: 1-line block ×3, first 2 shown]
	v_mul_hi_u32 v28, v20, v28
	s_delay_alu instid0(VALU_DEP_1) | instskip(SKIP_1) | instid1(VALU_DEP_2)
	v_add_nc_u64_e32 v[28:29], v[28:29], v[34:35]
	v_ashrrev_i32_e32 v34, 31, v11
	v_add_co_u32 v15, vcc_lo, v28, v36
	s_delay_alu instid0(VALU_DEP_3) | instskip(SKIP_1) | instid1(VALU_DEP_1)
	v_add_co_ci_u32_e32 v32, vcc_lo, v29, v37, vcc_lo
	v_add_co_ci_u32_e32 v31, vcc_lo, 0, v31, vcc_lo
	v_add_nc_u64_e32 v[28:29], v[32:33], v[30:31]
	s_delay_alu instid0(VALU_DEP_1) | instskip(NEXT) | instid1(VALU_DEP_1)
	v_add_co_u32 v20, vcc_lo, v20, v28
	v_add_co_ci_u32_e64 v24, null, v25, v29, vcc_lo
	v_dual_mov_b32 v25, v14 :: v_dual_mov_b32 v29, v14
	s_delay_alu instid0(VALU_DEP_2) | instskip(NEXT) | instid1(VALU_DEP_1)
	v_mov_b32_e32 v21, v24
	v_mul_u64_e32 v[22:23], v[22:23], v[20:21]
	s_delay_alu instid0(VALU_DEP_1) | instskip(NEXT) | instid1(VALU_DEP_2)
	v_dual_mov_b32 v21, v14 :: v_dual_mov_b32 v28, v23
	v_dual_mov_b32 v32, v22 :: v_dual_mov_b32 v23, v14
	v_mul_hi_u32 v22, v20, v22
	s_delay_alu instid0(VALU_DEP_3) | instskip(NEXT) | instid1(VALU_DEP_3)
	v_mul_u64_e32 v[30:31], v[20:21], v[28:29]
	v_mul_u64_e32 v[32:33], v[24:25], v[32:33]
	;; [unrolled: 1-line block ×3, first 2 shown]
	s_delay_alu instid0(VALU_DEP_3) | instskip(SKIP_1) | instid1(VALU_DEP_2)
	v_add_nc_u64_e32 v[22:23], v[22:23], v[30:31]
	v_dual_mov_b32 v31, v14 :: v_dual_mov_b32 v35, v34
	v_add_co_u32 v15, vcc_lo, v22, v32
	s_delay_alu instid0(VALU_DEP_3) | instskip(SKIP_2) | instid1(VALU_DEP_2)
	v_add_co_ci_u32_e32 v30, vcc_lo, v23, v33, vcc_lo
	v_add_co_ci_u32_e32 v29, vcc_lo, 0, v29, vcc_lo
	v_mov_b32_e32 v15, v14
	v_add_nc_u64_e32 v[22:23], v[30:31], v[28:29]
	v_mov_b32_e32 v29, v14
	v_add_nc_u64_e32 v[10:11], v[10:11], v[34:35]
	s_delay_alu instid0(VALU_DEP_3) | instskip(NEXT) | instid1(VALU_DEP_1)
	v_add_co_u32 v22, vcc_lo, v20, v22
	v_add_co_ci_u32_e64 v20, null, v24, v23, vcc_lo
	s_delay_alu instid0(VALU_DEP_3) | instskip(NEXT) | instid1(VALU_DEP_4)
	v_dual_mov_b32 v23, v14 :: v_dual_bitop2_b32 v24, v11, v34 bitop3:0x14
	v_xor_b32_e32 v28, v10, v34
	s_delay_alu instid0(VALU_DEP_2) | instskip(NEXT) | instid1(VALU_DEP_2)
	v_mul_u64_e32 v[10:11], v[24:25], v[22:23]
	v_mul_u64_e32 v[30:31], v[28:29], v[20:21]
	;; [unrolled: 1-line block ×3, first 2 shown]
	v_mul_hi_u32 v22, v28, v22
	s_delay_alu instid0(VALU_DEP_1) | instskip(NEXT) | instid1(VALU_DEP_1)
	v_add_nc_u64_e32 v[22:23], v[22:23], v[30:31]
	v_add_co_u32 v10, vcc_lo, v22, v10
	s_delay_alu instid0(VALU_DEP_2) | instskip(SKIP_1) | instid1(VALU_DEP_1)
	v_add_co_ci_u32_e32 v14, vcc_lo, v23, v11, vcc_lo
	v_add_co_ci_u32_e32 v21, vcc_lo, 0, v21, vcc_lo
	v_add_nc_u64_e32 v[10:11], v[14:15], v[20:21]
	s_delay_alu instid0(VALU_DEP_1) | instskip(NEXT) | instid1(VALU_DEP_1)
	v_mul_u64_e32 v[14:15], v[16:17], v[10:11]
	v_sub_nc_u32_e32 v19, v24, v15
	s_delay_alu instid0(VALU_DEP_2) | instskip(NEXT) | instid1(VALU_DEP_1)
	v_sub_co_u32 v14, vcc_lo, v28, v14
	v_sub_co_ci_u32_e64 v22, null, v24, v15, vcc_lo
	s_delay_alu instid0(VALU_DEP_3) | instskip(NEXT) | instid1(VALU_DEP_3)
	v_sub_co_ci_u32_e64 v19, null, v19, v17, vcc_lo
	v_sub_co_u32 v20, s1, v14, v16
	s_delay_alu instid0(VALU_DEP_1) | instskip(NEXT) | instid1(VALU_DEP_2)
	v_subrev_co_ci_u32_e64 v19, null, 0, v19, s1
	v_cmp_ge_u32_e32 vcc_lo, v20, v16
	v_cndmask_b32_e64 v15, 0, -1, vcc_lo
	s_delay_alu instid0(VALU_DEP_3)
	v_cmp_ge_u32_e32 vcc_lo, v19, v17
	v_cndmask_b32_e64 v20, 0, -1, vcc_lo
	v_cmp_ge_u32_e32 vcc_lo, v14, v16
	v_cndmask_b32_e64 v16, 0, -1, vcc_lo
	;; [unrolled: 2-line block ×3, first 2 shown]
	v_cmp_eq_u32_e32 vcc_lo, v19, v17
	v_cndmask_b32_e32 v19, v20, v15, vcc_lo
	v_cmp_eq_u32_e32 vcc_lo, v22, v17
	v_add_nc_u64_e32 v[14:15], 2, v[10:11]
	v_add_nc_u64_e32 v[20:21], 1, v[10:11]
	v_cndmask_b32_e32 v16, v23, v16, vcc_lo
	v_cmp_ne_u32_e32 vcc_lo, 0, v19
	s_delay_alu instid0(VALU_DEP_2) | instskip(NEXT) | instid1(VALU_DEP_4)
	v_cmp_ne_u32_e64 s1, 0, v16
	v_dual_cndmask_b32 v15, v21, v15 :: v_dual_cndmask_b32 v16, v20, v14
	s_delay_alu instid0(VALU_DEP_1) | instskip(NEXT) | instid1(VALU_DEP_2)
	v_dual_cndmask_b32 v11, v11, v15, s1 :: v_dual_bitop2_b32 v14, v34, v18 bitop3:0x14
	v_cndmask_b32_e64 v10, v10, v16, s1
	s_delay_alu instid0(VALU_DEP_2) | instskip(NEXT) | instid1(VALU_DEP_3)
	v_mov_b32_e32 v15, v14
                                        ; implicit-def: $vgpr16_vgpr17
	v_xor_b32_e32 v11, v11, v14
	s_delay_alu instid0(VALU_DEP_3) | instskip(NEXT) | instid1(VALU_DEP_1)
	v_xor_b32_e32 v10, v10, v14
	v_sub_nc_u64_e32 v[18:19], v[10:11], v[14:15]
                                        ; implicit-def: $vgpr10_vgpr11
.LBB65_111:
	s_and_not1_saveexec_b32 s1, s7
	s_cbranch_execz .LBB65_113
; %bb.112:
	v_cvt_f32_u32_e32 v11, v16
	v_dual_mov_b32 v19, 0 :: v_dual_sub_nc_u32 v14, 0, v16
	s_delay_alu instid0(VALU_DEP_2) | instskip(SKIP_1) | instid1(TRANS32_DEP_1)
	v_rcp_iflag_f32_e32 v11, v11
	v_nop
	v_mul_f32_e32 v11, 0x4f7ffffe, v11
	s_delay_alu instid0(VALU_DEP_1) | instskip(NEXT) | instid1(VALU_DEP_1)
	v_cvt_u32_f32_e32 v11, v11
	v_mul_lo_u32 v14, v14, v11
	s_delay_alu instid0(VALU_DEP_1) | instskip(NEXT) | instid1(VALU_DEP_1)
	v_mul_hi_u32 v14, v11, v14
	v_add_nc_u32_e32 v11, v11, v14
	s_delay_alu instid0(VALU_DEP_1) | instskip(NEXT) | instid1(VALU_DEP_1)
	v_mul_hi_u32 v11, v10, v11
	v_mul_lo_u32 v14, v11, v16
	s_delay_alu instid0(VALU_DEP_1) | instskip(NEXT) | instid1(VALU_DEP_1)
	v_dual_sub_nc_u32 v10, v10, v14 :: v_dual_add_nc_u32 v14, 1, v11
	v_sub_nc_u32_e32 v15, v10, v16
	v_cmp_ge_u32_e32 vcc_lo, v10, v16
	s_delay_alu instid0(VALU_DEP_2) | instskip(NEXT) | instid1(VALU_DEP_1)
	v_dual_cndmask_b32 v10, v10, v15 :: v_dual_cndmask_b32 v11, v11, v14
	v_cmp_ge_u32_e32 vcc_lo, v10, v16
	s_delay_alu instid0(VALU_DEP_2) | instskip(NEXT) | instid1(VALU_DEP_1)
	v_add_nc_u32_e32 v14, 1, v11
	v_cndmask_b32_e32 v18, v11, v14, vcc_lo
.LBB65_113:
	s_or_b32 exec_lo, exec_lo, s1
	s_delay_alu instid0(VALU_DEP_1) | instskip(NEXT) | instid1(VALU_DEP_1)
	v_mul_u64_e32 v[8:9], v[18:19], v[8:9]
	v_sub_nc_u64_e32 v[10:11], 0, v[8:9]
	s_delay_alu instid0(VALU_DEP_1)
	v_max_i64 v[14:15], v[8:9], v[10:11]
.LBB65_114:
	s_or_b32 exec_lo, exec_lo, s6
.LBB65_115:
	s_delay_alu instid0(SALU_CYCLE_1) | instskip(SKIP_2) | instid1(VALU_DEP_1)
	s_or_b32 exec_lo, exec_lo, s3
	v_or_b32_e32 v8, 0x300, v0
	s_mov_b32 s3, exec_lo
                                        ; implicit-def: $vgpr10_vgpr11
	v_cmpx_gt_i32_e64 s12, v8
	s_cbranch_execz .LBB65_123
; %bb.116:
	v_sub_nc_u64_e32 v[8:9], 0, v[2:3]
	s_mov_b32 s6, exec_lo
	s_delay_alu instid0(VALU_DEP_1)
	v_max_i64 v[8:9], v[2:3], v[8:9]
	v_cmpx_ne_u64_e32 0, v[4:5]
	s_cbranch_execz .LBB65_128
; %bb.117:
	v_sub_nc_u64_e32 v[10:11], 0, v[4:5]
	s_mov_b32 s7, 0
	s_delay_alu instid0(VALU_DEP_1)
	v_max_i64 v[18:19], v[4:5], v[10:11]
	v_mov_b32_e32 v10, 0
	s_branch .LBB65_119
.LBB65_118:                             ;   in Loop: Header=BB65_119 Depth=1
	s_or_b32 exec_lo, exec_lo, s1
	s_delay_alu instid0(VALU_DEP_1) | instskip(SKIP_2) | instid1(SALU_CYCLE_1)
	v_cmp_eq_u64_e32 vcc_lo, 0, v[18:19]
	v_mov_b64_e32 v[8:9], v[16:17]
	s_or_b32 s7, vcc_lo, s7
	s_and_not1_b32 exec_lo, exec_lo, s7
	s_cbranch_execz .LBB65_127
.LBB65_119:                             ; =>This Inner Loop Header: Depth=1
	s_delay_alu instid0(VALU_DEP_2) | instskip(SKIP_1) | instid1(VALU_DEP_1)
	v_mov_b64_e32 v[16:17], v[18:19]
                                        ; implicit-def: $vgpr18_vgpr19
	s_mov_b32 s1, exec_lo
	v_or_b32_e32 v11, v9, v17
	s_delay_alu instid0(VALU_DEP_1)
	v_cmpx_ne_u64_e32 0, v[10:11]
	s_xor_b32 s8, exec_lo, s1
	s_cbranch_execz .LBB65_121
; %bb.120:                              ;   in Loop: Header=BB65_119 Depth=1
	s_delay_alu instid0(VALU_DEP_3) | instskip(SKIP_3) | instid1(VALU_DEP_3)
	v_cvt_f32_u32_e32 v11, v16
	v_cvt_f32_u32_e32 v18, v17
	v_sub_nc_u64_e32 v[20:21], 0, v[16:17]
	v_dual_mov_b32 v29, v10 :: v_dual_mov_b32 v31, v10
	v_fmac_f32_e32 v11, 0x4f800000, v18
	s_delay_alu instid0(VALU_DEP_1) | instskip(SKIP_1) | instid1(TRANS32_DEP_1)
	v_rcp_f32_e32 v11, v11
	v_nop
	v_mul_f32_e32 v11, 0x5f7ffffc, v11
	s_delay_alu instid0(VALU_DEP_1) | instskip(NEXT) | instid1(VALU_DEP_1)
	v_mul_f32_e32 v18, 0x2f800000, v11
	v_trunc_f32_e32 v19, v18
	s_delay_alu instid0(VALU_DEP_1) | instskip(SKIP_1) | instid1(VALU_DEP_2)
	v_cvt_u32_f32_e32 v23, v19
	v_fmac_f32_e32 v11, 0xcf800000, v19
	v_dual_mov_b32 v19, v10 :: v_dual_mov_b32 v30, v23
	s_delay_alu instid0(VALU_DEP_2) | instskip(NEXT) | instid1(VALU_DEP_1)
	v_cvt_u32_f32_e32 v18, v11
	v_mov_b32_e32 v22, v18
	s_delay_alu instid0(VALU_DEP_1) | instskip(NEXT) | instid1(VALU_DEP_1)
	v_mul_u64_e32 v[24:25], v[20:21], v[22:23]
	v_dual_mov_b32 v28, v25 :: v_dual_mov_b32 v25, v10
	s_delay_alu instid0(VALU_DEP_1) | instskip(NEXT) | instid1(VALU_DEP_2)
	v_mul_u64_e32 v[32:33], v[18:19], v[28:29]
	v_mul_u64_e32 v[34:35], v[30:31], v[24:25]
	;; [unrolled: 1-line block ×3, first 2 shown]
	v_mul_hi_u32 v24, v18, v24
	s_delay_alu instid0(VALU_DEP_1) | instskip(NEXT) | instid1(VALU_DEP_1)
	v_add_nc_u64_e32 v[24:25], v[24:25], v[32:33]
	v_add_co_u32 v11, vcc_lo, v24, v34
	s_delay_alu instid0(VALU_DEP_2) | instskip(SKIP_1) | instid1(VALU_DEP_1)
	v_add_co_ci_u32_e32 v30, vcc_lo, v25, v35, vcc_lo
	v_add_co_ci_u32_e32 v29, vcc_lo, 0, v29, vcc_lo
	v_add_nc_u64_e32 v[24:25], v[30:31], v[28:29]
	s_delay_alu instid0(VALU_DEP_1) | instskip(NEXT) | instid1(VALU_DEP_1)
	v_add_co_u32 v18, vcc_lo, v18, v24
	v_add_co_ci_u32_e64 v22, null, v23, v25, vcc_lo
	v_dual_mov_b32 v25, v10 :: v_dual_mov_b32 v23, v10
	s_delay_alu instid0(VALU_DEP_2) | instskip(NEXT) | instid1(VALU_DEP_1)
	v_mov_b32_e32 v19, v22
	v_mul_u64_e32 v[20:21], v[20:21], v[18:19]
	s_delay_alu instid0(VALU_DEP_1) | instskip(NEXT) | instid1(VALU_DEP_2)
	v_dual_mov_b32 v19, v10 :: v_dual_mov_b32 v24, v21
	v_dual_mov_b32 v30, v20 :: v_dual_mov_b32 v21, v10
	v_mul_hi_u32 v20, v18, v20
	s_delay_alu instid0(VALU_DEP_3) | instskip(NEXT) | instid1(VALU_DEP_3)
	v_mul_u64_e32 v[28:29], v[18:19], v[24:25]
	v_mul_u64_e32 v[30:31], v[22:23], v[30:31]
	;; [unrolled: 1-line block ×3, first 2 shown]
	s_delay_alu instid0(VALU_DEP_3) | instskip(SKIP_1) | instid1(VALU_DEP_2)
	v_add_nc_u64_e32 v[20:21], v[20:21], v[28:29]
	v_mov_b32_e32 v29, v10
	v_add_co_u32 v11, vcc_lo, v20, v30
	s_delay_alu instid0(VALU_DEP_3) | instskip(SKIP_1) | instid1(VALU_DEP_1)
	v_add_co_ci_u32_e32 v28, vcc_lo, v21, v31, vcc_lo
	v_add_co_ci_u32_e32 v25, vcc_lo, 0, v25, vcc_lo
	v_add_nc_u64_e32 v[20:21], v[28:29], v[24:25]
	v_dual_mov_b32 v24, v8 :: v_dual_mov_b32 v25, v10
	s_delay_alu instid0(VALU_DEP_2) | instskip(NEXT) | instid1(VALU_DEP_1)
	v_add_co_u32 v20, vcc_lo, v18, v20
	v_add_co_ci_u32_e64 v18, null, v22, v21, vcc_lo
	v_dual_mov_b32 v22, v9 :: v_dual_mov_b32 v21, v10
	s_delay_alu instid0(VALU_DEP_2) | instskip(NEXT) | instid1(VALU_DEP_2)
	v_mul_u64_e32 v[24:25], v[24:25], v[18:19]
	v_mul_u64_e32 v[18:19], v[22:23], v[18:19]
	s_delay_alu instid0(VALU_DEP_3) | instskip(SKIP_1) | instid1(VALU_DEP_1)
	v_mul_u64_e32 v[28:29], v[22:23], v[20:21]
	v_mul_hi_u32 v20, v8, v20
	v_add_nc_u64_e32 v[20:21], v[20:21], v[24:25]
	s_delay_alu instid0(VALU_DEP_1) | instskip(NEXT) | instid1(VALU_DEP_2)
	v_add_co_u32 v11, vcc_lo, v20, v28
	v_add_co_ci_u32_e32 v22, vcc_lo, v21, v29, vcc_lo
	v_add_co_ci_u32_e32 v19, vcc_lo, 0, v19, vcc_lo
	s_delay_alu instid0(VALU_DEP_1) | instskip(NEXT) | instid1(VALU_DEP_1)
	v_add_nc_u64_e32 v[18:19], v[22:23], v[18:19]
	v_mul_u64_e32 v[18:19], v[16:17], v[18:19]
	s_delay_alu instid0(VALU_DEP_1) | instskip(NEXT) | instid1(VALU_DEP_2)
	v_sub_nc_u32_e32 v11, v9, v19
	v_sub_co_u32 v8, vcc_lo, v8, v18
	s_delay_alu instid0(VALU_DEP_1) | instskip(NEXT) | instid1(VALU_DEP_3)
	v_sub_co_ci_u32_e64 v9, null, v9, v19, vcc_lo
	v_sub_co_ci_u32_e64 v11, null, v11, v17, vcc_lo
	s_delay_alu instid0(VALU_DEP_3) | instskip(SKIP_1) | instid1(VALU_DEP_3)
	v_sub_co_u32 v18, vcc_lo, v8, v16
	v_cmp_ge_u32_e64 s1, v8, v16
	v_subrev_co_ci_u32_e64 v19, null, 0, v11, vcc_lo
	v_sub_co_ci_u32_e64 v11, null, v11, v17, vcc_lo
	s_delay_alu instid0(VALU_DEP_3) | instskip(SKIP_2) | instid1(VALU_DEP_2)
	v_cndmask_b32_e64 v20, 0, -1, s1
	v_cmp_ge_u32_e64 s1, v18, v16
	v_cmp_ge_u32_e32 vcc_lo, v9, v17
	v_cndmask_b32_e64 v21, 0, -1, s1
	v_cmp_ge_u32_e64 s1, v19, v17
	v_cndmask_b32_e64 v23, 0, -1, vcc_lo
	v_cmp_eq_u32_e32 vcc_lo, v19, v17
	s_delay_alu instid0(VALU_DEP_3) | instskip(SKIP_1) | instid1(VALU_DEP_1)
	v_cndmask_b32_e64 v22, 0, -1, s1
	v_cmp_eq_u32_e64 s1, v9, v17
	v_dual_cndmask_b32 v21, v22, v21, vcc_lo :: v_dual_cndmask_b32 v20, v23, v20, s1
	v_sub_co_u32 v22, vcc_lo, v18, v16
	s_delay_alu instid0(VALU_DEP_1) | instskip(NEXT) | instid1(VALU_DEP_3)
	v_subrev_co_ci_u32_e64 v11, null, 0, v11, vcc_lo
	v_cmp_ne_u32_e32 vcc_lo, 0, v21
	s_delay_alu instid0(VALU_DEP_2) | instskip(SKIP_1) | instid1(VALU_DEP_2)
	v_dual_cndmask_b32 v11, v19, v11 :: v_dual_cndmask_b32 v18, v18, v22
	v_cmp_ne_u32_e32 vcc_lo, 0, v20
	v_dual_cndmask_b32 v19, v9, v11 :: v_dual_cndmask_b32 v18, v8, v18
                                        ; implicit-def: $vgpr8_vgpr9
.LBB65_121:                             ;   in Loop: Header=BB65_119 Depth=1
	s_and_not1_saveexec_b32 s1, s8
	s_cbranch_execz .LBB65_118
; %bb.122:                              ;   in Loop: Header=BB65_119 Depth=1
	v_cvt_f32_u32_e32 v9, v16
	v_dual_sub_nc_u32 v11, 0, v16 :: v_dual_mov_b32 v19, v10
	s_delay_alu instid0(VALU_DEP_2) | instskip(SKIP_1) | instid1(TRANS32_DEP_1)
	v_rcp_iflag_f32_e32 v9, v9
	v_nop
	v_mul_f32_e32 v9, 0x4f7ffffe, v9
	s_delay_alu instid0(VALU_DEP_1) | instskip(NEXT) | instid1(VALU_DEP_1)
	v_cvt_u32_f32_e32 v9, v9
	v_mul_lo_u32 v11, v11, v9
	s_delay_alu instid0(VALU_DEP_1) | instskip(NEXT) | instid1(VALU_DEP_1)
	v_mul_hi_u32 v11, v9, v11
	v_add_nc_u32_e32 v9, v9, v11
	s_delay_alu instid0(VALU_DEP_1) | instskip(NEXT) | instid1(VALU_DEP_1)
	v_mul_hi_u32 v9, v8, v9
	v_mul_lo_u32 v9, v9, v16
	s_delay_alu instid0(VALU_DEP_1) | instskip(NEXT) | instid1(VALU_DEP_1)
	v_sub_nc_u32_e32 v8, v8, v9
	v_sub_nc_u32_e32 v9, v8, v16
	v_cmp_ge_u32_e32 vcc_lo, v8, v16
	s_delay_alu instid0(VALU_DEP_2) | instskip(NEXT) | instid1(VALU_DEP_1)
	v_cndmask_b32_e32 v8, v8, v9, vcc_lo
	v_sub_nc_u32_e32 v9, v8, v16
	v_cmp_ge_u32_e32 vcc_lo, v8, v16
	s_delay_alu instid0(VALU_DEP_2)
	v_cndmask_b32_e32 v18, v8, v9, vcc_lo
	s_branch .LBB65_118
.LBB65_123:
	s_or_b32 exec_lo, exec_lo, s3
	s_and_saveexec_b32 s1, s0
	s_delay_alu instid0(SALU_CYCLE_1)
	s_xor_b32 s0, exec_lo, s1
	s_cbranch_execz .LBB65_135
.LBB65_124:
	v_mov_b32_e32 v0, v26
	global_store_b64 v1, v[6:7], s[4:5] scale_offset
	s_wait_xcnt 0x0
	s_or_b32 exec_lo, exec_lo, s0
	s_delay_alu instid0(SALU_CYCLE_1)
	s_mov_b32 s0, exec_lo
	v_cmpx_gt_i32_e64 s12, v0
	s_cbranch_execnz .LBB65_136
.LBB65_125:
	s_or_b32 exec_lo, exec_lo, s0
	s_delay_alu instid0(SALU_CYCLE_1)
	s_mov_b32 s0, exec_lo
	v_cmpx_gt_i32_e64 s12, v0
	s_cbranch_execz .LBB65_137
.LBB65_126:
	v_add_nc_u32_e32 v1, s2, v0
	v_add_nc_u32_e32 v0, 0x100, v0
	global_store_b64 v1, v[14:15], s[4:5] scale_offset
	s_wait_xcnt 0x0
	s_or_b32 exec_lo, exec_lo, s0
	s_delay_alu instid0(SALU_CYCLE_1)
	s_mov_b32 s0, exec_lo
	v_cmpx_gt_i32_e64 s12, v0
	s_cbranch_execnz .LBB65_138
	s_branch .LBB65_139
.LBB65_127:
	s_or_b32 exec_lo, exec_lo, s7
	v_mov_b64_e32 v[8:9], v[16:17]
.LBB65_128:
	s_or_b32 exec_lo, exec_lo, s6
	v_mov_b64_e32 v[10:11], 0
	s_mov_b32 s6, exec_lo
	s_delay_alu instid0(VALU_DEP_2)
	v_cmpx_ne_u64_e32 0, v[8:9]
	s_cbranch_execz .LBB65_134
; %bb.129:
	v_dual_mov_b32 v10, 0 :: v_dual_bitop2_b32 v11, v5, v9 bitop3:0x54
                                        ; implicit-def: $vgpr16_vgpr17
	s_mov_b32 s1, exec_lo
	s_delay_alu instid0(VALU_DEP_1)
	v_cmpx_ne_u64_e32 0, v[10:11]
	s_xor_b32 s7, exec_lo, s1
	s_cbranch_execz .LBB65_131
; %bb.130:
	v_dual_mov_b32 v19, v10 :: v_dual_ashrrev_i32 v16, 31, v9
	v_dual_mov_b32 v29, v10 :: v_dual_mov_b32 v31, v10
	s_delay_alu instid0(VALU_DEP_2) | instskip(NEXT) | instid1(VALU_DEP_1)
	v_mov_b32_e32 v17, v16
	v_add_nc_u64_e32 v[8:9], v[8:9], v[16:17]
	s_delay_alu instid0(VALU_DEP_1) | instskip(NEXT) | instid1(VALU_DEP_2)
	v_xor_b32_e32 v8, v8, v16
	v_xor_b32_e32 v9, v9, v16
	s_delay_alu instid0(VALU_DEP_2) | instskip(NEXT) | instid1(VALU_DEP_2)
	v_cvt_f32_u32_e32 v11, v8
	v_cvt_f32_u32_e32 v17, v9
	s_delay_alu instid0(VALU_DEP_1) | instskip(NEXT) | instid1(VALU_DEP_1)
	v_fmamk_f32 v11, v17, 0x4f800000, v11
	v_rcp_f32_e32 v11, v11
	v_nop
	s_delay_alu instid0(TRANS32_DEP_1) | instskip(NEXT) | instid1(VALU_DEP_1)
	v_mul_f32_e32 v11, 0x5f7ffffc, v11
	v_mul_f32_e32 v17, 0x2f800000, v11
	s_delay_alu instid0(VALU_DEP_1) | instskip(NEXT) | instid1(VALU_DEP_1)
	v_trunc_f32_e32 v17, v17
	v_fmamk_f32 v11, v17, 0xcf800000, v11
	v_cvt_u32_f32_e32 v23, v17
	s_delay_alu instid0(VALU_DEP_2) | instskip(NEXT) | instid1(VALU_DEP_1)
	v_cvt_u32_f32_e32 v18, v11
	v_dual_mov_b32 v30, v23 :: v_dual_mov_b32 v22, v18
	v_sub_nc_u64_e32 v[20:21], 0, v[8:9]
	s_delay_alu instid0(VALU_DEP_1) | instskip(NEXT) | instid1(VALU_DEP_1)
	v_mul_u64_e32 v[24:25], v[20:21], v[22:23]
	v_dual_mov_b32 v28, v25 :: v_dual_mov_b32 v25, v10
	s_delay_alu instid0(VALU_DEP_1) | instskip(NEXT) | instid1(VALU_DEP_2)
	v_mul_u64_e32 v[32:33], v[18:19], v[28:29]
	v_mul_u64_e32 v[34:35], v[30:31], v[24:25]
	;; [unrolled: 1-line block ×3, first 2 shown]
	v_mul_hi_u32 v24, v18, v24
	s_delay_alu instid0(VALU_DEP_1) | instskip(SKIP_1) | instid1(VALU_DEP_2)
	v_add_nc_u64_e32 v[24:25], v[24:25], v[32:33]
	v_ashrrev_i32_e32 v32, 31, v5
	v_add_co_u32 v11, vcc_lo, v24, v34
	s_delay_alu instid0(VALU_DEP_3) | instskip(SKIP_1) | instid1(VALU_DEP_1)
	v_add_co_ci_u32_e32 v30, vcc_lo, v25, v35, vcc_lo
	v_add_co_ci_u32_e32 v29, vcc_lo, 0, v29, vcc_lo
	v_add_nc_u64_e32 v[24:25], v[30:31], v[28:29]
	s_delay_alu instid0(VALU_DEP_1) | instskip(NEXT) | instid1(VALU_DEP_1)
	v_add_co_u32 v18, vcc_lo, v18, v24
	v_add_co_ci_u32_e64 v22, null, v23, v25, vcc_lo
	v_dual_mov_b32 v23, v10 :: v_dual_mov_b32 v25, v10
	s_delay_alu instid0(VALU_DEP_2) | instskip(NEXT) | instid1(VALU_DEP_1)
	v_mov_b32_e32 v19, v22
	v_mul_u64_e32 v[20:21], v[20:21], v[18:19]
	s_delay_alu instid0(VALU_DEP_1) | instskip(NEXT) | instid1(VALU_DEP_2)
	v_dual_mov_b32 v19, v10 :: v_dual_mov_b32 v24, v21
	v_dual_mov_b32 v30, v20 :: v_dual_mov_b32 v21, v10
	v_mul_hi_u32 v20, v18, v20
	s_delay_alu instid0(VALU_DEP_3) | instskip(NEXT) | instid1(VALU_DEP_3)
	v_mul_u64_e32 v[28:29], v[18:19], v[24:25]
	v_mul_u64_e32 v[30:31], v[22:23], v[30:31]
	;; [unrolled: 1-line block ×3, first 2 shown]
	s_delay_alu instid0(VALU_DEP_3) | instskip(SKIP_1) | instid1(VALU_DEP_2)
	v_add_nc_u64_e32 v[20:21], v[20:21], v[28:29]
	v_dual_mov_b32 v29, v10 :: v_dual_mov_b32 v33, v32
	v_add_co_u32 v11, vcc_lo, v20, v30
	s_delay_alu instid0(VALU_DEP_3) | instskip(SKIP_2) | instid1(VALU_DEP_2)
	v_add_co_ci_u32_e32 v28, vcc_lo, v21, v31, vcc_lo
	v_add_co_ci_u32_e32 v25, vcc_lo, 0, v25, vcc_lo
	v_mov_b32_e32 v11, v10
	v_add_nc_u64_e32 v[20:21], v[28:29], v[24:25]
	v_mov_b32_e32 v25, v10
	v_add_nc_u64_e32 v[4:5], v[4:5], v[32:33]
	s_delay_alu instid0(VALU_DEP_3) | instskip(NEXT) | instid1(VALU_DEP_2)
	v_add_co_u32 v20, vcc_lo, v18, v20
	v_xor_b32_e32 v24, v4, v32
	v_add_co_ci_u32_e64 v18, null, v22, v21, vcc_lo
	s_delay_alu instid0(VALU_DEP_4) | instskip(NEXT) | instid1(VALU_DEP_2)
	v_dual_mov_b32 v21, v10 :: v_dual_bitop2_b32 v22, v5, v32 bitop3:0x14
	v_mul_u64_e32 v[28:29], v[24:25], v[18:19]
	s_delay_alu instid0(VALU_DEP_2) | instskip(SKIP_2) | instid1(VALU_DEP_1)
	v_mul_u64_e32 v[4:5], v[22:23], v[20:21]
	v_mul_u64_e32 v[18:19], v[22:23], v[18:19]
	v_mul_hi_u32 v20, v24, v20
	v_add_nc_u64_e32 v[20:21], v[20:21], v[28:29]
	s_delay_alu instid0(VALU_DEP_1) | instskip(NEXT) | instid1(VALU_DEP_2)
	v_add_co_u32 v4, vcc_lo, v20, v4
	v_add_co_ci_u32_e32 v10, vcc_lo, v21, v5, vcc_lo
	v_add_co_ci_u32_e32 v19, vcc_lo, 0, v19, vcc_lo
	s_delay_alu instid0(VALU_DEP_1) | instskip(NEXT) | instid1(VALU_DEP_1)
	v_add_nc_u64_e32 v[4:5], v[10:11], v[18:19]
	v_mul_u64_e32 v[10:11], v[8:9], v[4:5]
	s_delay_alu instid0(VALU_DEP_1) | instskip(NEXT) | instid1(VALU_DEP_2)
	v_sub_nc_u32_e32 v17, v22, v11
	v_sub_co_u32 v10, vcc_lo, v24, v10
	s_delay_alu instid0(VALU_DEP_1) | instskip(NEXT) | instid1(VALU_DEP_3)
	v_sub_co_ci_u32_e64 v20, null, v22, v11, vcc_lo
	v_sub_co_ci_u32_e64 v17, null, v17, v9, vcc_lo
	s_delay_alu instid0(VALU_DEP_3) | instskip(NEXT) | instid1(VALU_DEP_1)
	v_sub_co_u32 v18, s1, v10, v8
	v_subrev_co_ci_u32_e64 v17, null, 0, v17, s1
	s_delay_alu instid0(VALU_DEP_2) | instskip(SKIP_1) | instid1(VALU_DEP_3)
	v_cmp_ge_u32_e32 vcc_lo, v18, v8
	v_cndmask_b32_e64 v11, 0, -1, vcc_lo
	v_cmp_ge_u32_e32 vcc_lo, v17, v9
	v_cndmask_b32_e64 v18, 0, -1, vcc_lo
	;; [unrolled: 2-line block ×4, first 2 shown]
	v_cmp_eq_u32_e32 vcc_lo, v17, v9
	v_cndmask_b32_e32 v17, v18, v11, vcc_lo
	v_cmp_eq_u32_e32 vcc_lo, v20, v9
	v_add_nc_u64_e32 v[10:11], 2, v[4:5]
	v_add_nc_u64_e32 v[18:19], 1, v[4:5]
	v_cndmask_b32_e32 v8, v21, v8, vcc_lo
	v_cmp_ne_u32_e32 vcc_lo, 0, v17
	s_delay_alu instid0(VALU_DEP_2) | instskip(NEXT) | instid1(VALU_DEP_4)
	v_cmp_ne_u32_e64 s1, 0, v8
	v_dual_cndmask_b32 v9, v19, v11 :: v_dual_cndmask_b32 v10, v18, v10
	s_delay_alu instid0(VALU_DEP_1) | instskip(NEXT) | instid1(VALU_DEP_2)
	v_dual_cndmask_b32 v5, v5, v9, s1 :: v_dual_bitop2_b32 v8, v32, v16 bitop3:0x14
	v_cndmask_b32_e64 v4, v4, v10, s1
	s_delay_alu instid0(VALU_DEP_2) | instskip(NEXT) | instid1(VALU_DEP_2)
	v_dual_mov_b32 v9, v8 :: v_dual_bitop2_b32 v5, v5, v8 bitop3:0x14
	v_xor_b32_e32 v4, v4, v8
	s_delay_alu instid0(VALU_DEP_1)
	v_sub_nc_u64_e32 v[16:17], v[4:5], v[8:9]
                                        ; implicit-def: $vgpr8_vgpr9
                                        ; implicit-def: $vgpr4_vgpr5
.LBB65_131:
	s_and_not1_saveexec_b32 s1, s7
	s_cbranch_execz .LBB65_133
; %bb.132:
	v_cvt_f32_u32_e32 v5, v8
	v_dual_sub_nc_u32 v9, 0, v8 :: v_dual_mov_b32 v17, 0
	s_delay_alu instid0(VALU_DEP_2) | instskip(SKIP_1) | instid1(TRANS32_DEP_1)
	v_rcp_iflag_f32_e32 v5, v5
	v_nop
	v_mul_f32_e32 v5, 0x4f7ffffe, v5
	s_delay_alu instid0(VALU_DEP_1) | instskip(NEXT) | instid1(VALU_DEP_1)
	v_cvt_u32_f32_e32 v5, v5
	v_mul_lo_u32 v9, v9, v5
	s_delay_alu instid0(VALU_DEP_1) | instskip(NEXT) | instid1(VALU_DEP_1)
	v_mul_hi_u32 v9, v5, v9
	v_add_nc_u32_e32 v5, v5, v9
	s_delay_alu instid0(VALU_DEP_1) | instskip(NEXT) | instid1(VALU_DEP_1)
	v_mul_hi_u32 v5, v4, v5
	v_mul_lo_u32 v9, v5, v8
	s_delay_alu instid0(VALU_DEP_1) | instskip(NEXT) | instid1(VALU_DEP_1)
	v_sub_nc_u32_e32 v4, v4, v9
	v_dual_add_nc_u32 v9, 1, v5 :: v_dual_sub_nc_u32 v10, v4, v8
	v_cmp_ge_u32_e32 vcc_lo, v4, v8
	s_delay_alu instid0(VALU_DEP_2) | instskip(NEXT) | instid1(VALU_DEP_1)
	v_dual_cndmask_b32 v4, v4, v10 :: v_dual_cndmask_b32 v5, v5, v9
	v_cmp_ge_u32_e32 vcc_lo, v4, v8
	s_delay_alu instid0(VALU_DEP_2) | instskip(NEXT) | instid1(VALU_DEP_1)
	v_add_nc_u32_e32 v9, 1, v5
	v_cndmask_b32_e32 v16, v5, v9, vcc_lo
.LBB65_133:
	s_or_b32 exec_lo, exec_lo, s1
	s_delay_alu instid0(VALU_DEP_1) | instskip(NEXT) | instid1(VALU_DEP_1)
	v_mul_u64_e32 v[2:3], v[16:17], v[2:3]
	v_sub_nc_u64_e32 v[4:5], 0, v[2:3]
	s_delay_alu instid0(VALU_DEP_1)
	v_max_i64 v[10:11], v[2:3], v[4:5]
.LBB65_134:
	s_or_b32 exec_lo, exec_lo, s6
	s_delay_alu instid0(SALU_CYCLE_1) | instskip(SKIP_1) | instid1(SALU_CYCLE_1)
	s_or_b32 exec_lo, exec_lo, s3
	s_and_saveexec_b32 s1, s0
	s_xor_b32 s0, exec_lo, s1
	s_cbranch_execnz .LBB65_124
.LBB65_135:
	s_or_b32 exec_lo, exec_lo, s0
	s_delay_alu instid0(SALU_CYCLE_1)
	s_mov_b32 s0, exec_lo
	v_cmpx_gt_i32_e64 s12, v0
	s_cbranch_execz .LBB65_125
.LBB65_136:
	v_add_nc_u32_e32 v1, s2, v0
	v_add_nc_u32_e32 v0, 0x100, v0
	global_store_b64 v1, v[12:13], s[4:5] scale_offset
	s_wait_xcnt 0x0
	s_or_b32 exec_lo, exec_lo, s0
	s_delay_alu instid0(SALU_CYCLE_1)
	s_mov_b32 s0, exec_lo
	v_cmpx_gt_i32_e64 s12, v0
	s_cbranch_execnz .LBB65_126
.LBB65_137:
	s_or_b32 exec_lo, exec_lo, s0
	s_delay_alu instid0(SALU_CYCLE_1)
	s_mov_b32 s0, exec_lo
	v_cmpx_gt_i32_e64 s12, v0
	s_cbranch_execz .LBB65_139
.LBB65_138:
	v_add_nc_u32_e32 v0, s2, v0
	global_store_b64 v0, v[10:11], s[4:5] scale_offset
.LBB65_139:
	s_endpgm
	.section	.rodata,"a",@progbits
	.p2align	6, 0x0
	.amdhsa_kernel _ZN2at6native29vectorized_elementwise_kernelILi8EZZZNS0_15lcm_kernel_cudaERNS_18TensorIteratorBaseEENKUlvE_clEvENKUlvE2_clEvEUlllE_St5arrayIPcLm3EEEEviT0_T1_
		.amdhsa_group_segment_fixed_size 0
		.amdhsa_private_segment_fixed_size 0
		.amdhsa_kernarg_size 32
		.amdhsa_user_sgpr_count 2
		.amdhsa_user_sgpr_dispatch_ptr 0
		.amdhsa_user_sgpr_queue_ptr 0
		.amdhsa_user_sgpr_kernarg_segment_ptr 1
		.amdhsa_user_sgpr_dispatch_id 0
		.amdhsa_user_sgpr_kernarg_preload_length 0
		.amdhsa_user_sgpr_kernarg_preload_offset 0
		.amdhsa_user_sgpr_private_segment_size 0
		.amdhsa_wavefront_size32 1
		.amdhsa_uses_dynamic_stack 0
		.amdhsa_enable_private_segment 0
		.amdhsa_system_sgpr_workgroup_id_x 1
		.amdhsa_system_sgpr_workgroup_id_y 0
		.amdhsa_system_sgpr_workgroup_id_z 0
		.amdhsa_system_sgpr_workgroup_info 0
		.amdhsa_system_vgpr_workitem_id 0
		.amdhsa_next_free_vgpr 42
		.amdhsa_next_free_sgpr 16
		.amdhsa_named_barrier_count 0
		.amdhsa_reserve_vcc 1
		.amdhsa_float_round_mode_32 0
		.amdhsa_float_round_mode_16_64 0
		.amdhsa_float_denorm_mode_32 3
		.amdhsa_float_denorm_mode_16_64 3
		.amdhsa_fp16_overflow 0
		.amdhsa_memory_ordered 1
		.amdhsa_forward_progress 1
		.amdhsa_inst_pref_size 119
		.amdhsa_round_robin_scheduling 0
		.amdhsa_exception_fp_ieee_invalid_op 0
		.amdhsa_exception_fp_denorm_src 0
		.amdhsa_exception_fp_ieee_div_zero 0
		.amdhsa_exception_fp_ieee_overflow 0
		.amdhsa_exception_fp_ieee_underflow 0
		.amdhsa_exception_fp_ieee_inexact 0
		.amdhsa_exception_int_div_zero 0
	.end_amdhsa_kernel
	.section	.text._ZN2at6native29vectorized_elementwise_kernelILi8EZZZNS0_15lcm_kernel_cudaERNS_18TensorIteratorBaseEENKUlvE_clEvENKUlvE2_clEvEUlllE_St5arrayIPcLm3EEEEviT0_T1_,"axG",@progbits,_ZN2at6native29vectorized_elementwise_kernelILi8EZZZNS0_15lcm_kernel_cudaERNS_18TensorIteratorBaseEENKUlvE_clEvENKUlvE2_clEvEUlllE_St5arrayIPcLm3EEEEviT0_T1_,comdat
.Lfunc_end65:
	.size	_ZN2at6native29vectorized_elementwise_kernelILi8EZZZNS0_15lcm_kernel_cudaERNS_18TensorIteratorBaseEENKUlvE_clEvENKUlvE2_clEvEUlllE_St5arrayIPcLm3EEEEviT0_T1_, .Lfunc_end65-_ZN2at6native29vectorized_elementwise_kernelILi8EZZZNS0_15lcm_kernel_cudaERNS_18TensorIteratorBaseEENKUlvE_clEvENKUlvE2_clEvEUlllE_St5arrayIPcLm3EEEEviT0_T1_
                                        ; -- End function
	.set _ZN2at6native29vectorized_elementwise_kernelILi8EZZZNS0_15lcm_kernel_cudaERNS_18TensorIteratorBaseEENKUlvE_clEvENKUlvE2_clEvEUlllE_St5arrayIPcLm3EEEEviT0_T1_.num_vgpr, 42
	.set _ZN2at6native29vectorized_elementwise_kernelILi8EZZZNS0_15lcm_kernel_cudaERNS_18TensorIteratorBaseEENKUlvE_clEvENKUlvE2_clEvEUlllE_St5arrayIPcLm3EEEEviT0_T1_.num_agpr, 0
	.set _ZN2at6native29vectorized_elementwise_kernelILi8EZZZNS0_15lcm_kernel_cudaERNS_18TensorIteratorBaseEENKUlvE_clEvENKUlvE2_clEvEUlllE_St5arrayIPcLm3EEEEviT0_T1_.numbered_sgpr, 16
	.set _ZN2at6native29vectorized_elementwise_kernelILi8EZZZNS0_15lcm_kernel_cudaERNS_18TensorIteratorBaseEENKUlvE_clEvENKUlvE2_clEvEUlllE_St5arrayIPcLm3EEEEviT0_T1_.num_named_barrier, 0
	.set _ZN2at6native29vectorized_elementwise_kernelILi8EZZZNS0_15lcm_kernel_cudaERNS_18TensorIteratorBaseEENKUlvE_clEvENKUlvE2_clEvEUlllE_St5arrayIPcLm3EEEEviT0_T1_.private_seg_size, 0
	.set _ZN2at6native29vectorized_elementwise_kernelILi8EZZZNS0_15lcm_kernel_cudaERNS_18TensorIteratorBaseEENKUlvE_clEvENKUlvE2_clEvEUlllE_St5arrayIPcLm3EEEEviT0_T1_.uses_vcc, 1
	.set _ZN2at6native29vectorized_elementwise_kernelILi8EZZZNS0_15lcm_kernel_cudaERNS_18TensorIteratorBaseEENKUlvE_clEvENKUlvE2_clEvEUlllE_St5arrayIPcLm3EEEEviT0_T1_.uses_flat_scratch, 0
	.set _ZN2at6native29vectorized_elementwise_kernelILi8EZZZNS0_15lcm_kernel_cudaERNS_18TensorIteratorBaseEENKUlvE_clEvENKUlvE2_clEvEUlllE_St5arrayIPcLm3EEEEviT0_T1_.has_dyn_sized_stack, 0
	.set _ZN2at6native29vectorized_elementwise_kernelILi8EZZZNS0_15lcm_kernel_cudaERNS_18TensorIteratorBaseEENKUlvE_clEvENKUlvE2_clEvEUlllE_St5arrayIPcLm3EEEEviT0_T1_.has_recursion, 0
	.set _ZN2at6native29vectorized_elementwise_kernelILi8EZZZNS0_15lcm_kernel_cudaERNS_18TensorIteratorBaseEENKUlvE_clEvENKUlvE2_clEvEUlllE_St5arrayIPcLm3EEEEviT0_T1_.has_indirect_call, 0
	.section	.AMDGPU.csdata,"",@progbits
; Kernel info:
; codeLenInByte = 15128
; TotalNumSgprs: 18
; NumVgprs: 42
; ScratchSize: 0
; MemoryBound: 1
; FloatMode: 240
; IeeeMode: 1
; LDSByteSize: 0 bytes/workgroup (compile time only)
; SGPRBlocks: 0
; VGPRBlocks: 2
; NumSGPRsForWavesPerEU: 18
; NumVGPRsForWavesPerEU: 42
; NamedBarCnt: 0
; Occupancy: 16
; WaveLimiterHint : 0
; COMPUTE_PGM_RSRC2:SCRATCH_EN: 0
; COMPUTE_PGM_RSRC2:USER_SGPR: 2
; COMPUTE_PGM_RSRC2:TRAP_HANDLER: 0
; COMPUTE_PGM_RSRC2:TGID_X_EN: 1
; COMPUTE_PGM_RSRC2:TGID_Y_EN: 0
; COMPUTE_PGM_RSRC2:TGID_Z_EN: 0
; COMPUTE_PGM_RSRC2:TIDIG_COMP_CNT: 0
	.section	.text._ZN2at6native29vectorized_elementwise_kernelILi4EZZZNS0_15lcm_kernel_cudaERNS_18TensorIteratorBaseEENKUlvE_clEvENKUlvE2_clEvEUlllE_St5arrayIPcLm3EEEEviT0_T1_,"axG",@progbits,_ZN2at6native29vectorized_elementwise_kernelILi4EZZZNS0_15lcm_kernel_cudaERNS_18TensorIteratorBaseEENKUlvE_clEvENKUlvE2_clEvEUlllE_St5arrayIPcLm3EEEEviT0_T1_,comdat
	.globl	_ZN2at6native29vectorized_elementwise_kernelILi4EZZZNS0_15lcm_kernel_cudaERNS_18TensorIteratorBaseEENKUlvE_clEvENKUlvE2_clEvEUlllE_St5arrayIPcLm3EEEEviT0_T1_ ; -- Begin function _ZN2at6native29vectorized_elementwise_kernelILi4EZZZNS0_15lcm_kernel_cudaERNS_18TensorIteratorBaseEENKUlvE_clEvENKUlvE2_clEvEUlllE_St5arrayIPcLm3EEEEviT0_T1_
	.p2align	8
	.type	_ZN2at6native29vectorized_elementwise_kernelILi4EZZZNS0_15lcm_kernel_cudaERNS_18TensorIteratorBaseEENKUlvE_clEvENKUlvE2_clEvEUlllE_St5arrayIPcLm3EEEEviT0_T1_,@function
_ZN2at6native29vectorized_elementwise_kernelILi4EZZZNS0_15lcm_kernel_cudaERNS_18TensorIteratorBaseEENKUlvE_clEvENKUlvE2_clEvEUlllE_St5arrayIPcLm3EEEEviT0_T1_: ; @_ZN2at6native29vectorized_elementwise_kernelILi4EZZZNS0_15lcm_kernel_cudaERNS_18TensorIteratorBaseEENKUlvE_clEvENKUlvE2_clEvEUlllE_St5arrayIPcLm3EEEEviT0_T1_
; %bb.0:
	s_clause 0x2
	s_load_b32 s3, s[0:1], 0x0
	s_load_b128 s[4:7], s[0:1], 0x8
	s_load_b64 s[8:9], s[0:1], 0x18
	s_wait_xcnt 0x0
	s_bfe_u32 s0, ttmp6, 0x4000c
	s_and_b32 s1, ttmp6, 15
	s_add_co_i32 s0, s0, 1
	s_getreg_b32 s2, hwreg(HW_REG_IB_STS2, 6, 4)
	s_mul_i32 s0, ttmp9, s0
	s_delay_alu instid0(SALU_CYCLE_1) | instskip(SKIP_2) | instid1(SALU_CYCLE_1)
	s_add_co_i32 s1, s1, s0
	s_cmp_eq_u32 s2, 0
	s_cselect_b32 s0, ttmp9, s1
	s_lshl_b32 s2, s0, 10
	s_mov_b32 s0, -1
	s_wait_kmcnt 0x0
	s_sub_co_i32 s12, s3, s2
	s_delay_alu instid0(SALU_CYCLE_1)
	s_cmp_gt_i32 s12, 0x3ff
	s_cbranch_scc0 .LBB66_58
; %bb.1:
	s_ashr_i32 s3, s2, 31
	v_lshlrev_b32_e32 v1, 5, v0
	s_lshl_b64 s[10:11], s[2:3], 3
	s_delay_alu instid0(SALU_CYCLE_1) | instskip(SKIP_4) | instid1(VALU_DEP_1)
	s_add_nc_u64 s[0:1], s[8:9], s[10:11]
	s_add_nc_u64 s[14:15], s[6:7], s[10:11]
	global_load_b128 v[12:15], v1, s[0:1]
	s_wait_loadcnt 0x0
	v_sub_nc_u64_e32 v[10:11], 0, v[12:13]
	v_max_i64 v[20:21], v[12:13], v[10:11]
	v_mov_b32_e32 v10, 0
	s_clause 0x2
	global_load_b128 v[16:19], v1, s[14:15]
	global_load_b128 v[6:9], v1, s[14:15] offset:16
	global_load_b128 v[2:5], v1, s[0:1] offset:16
	s_wait_xcnt 0x0
	s_mov_b32 s1, exec_lo
	s_wait_loadcnt 0x2
	v_cmpx_ne_u64_e32 0, v[16:17]
	s_cbranch_execz .LBB66_9
; %bb.2:
	v_sub_nc_u64_e32 v[22:23], 0, v[16:17]
	s_mov_b32 s3, 0
	s_delay_alu instid0(VALU_DEP_1)
	v_max_i64 v[24:25], v[16:17], v[22:23]
	s_branch .LBB66_4
.LBB66_3:                               ;   in Loop: Header=BB66_4 Depth=1
	s_or_b32 exec_lo, exec_lo, s0
	s_delay_alu instid0(VALU_DEP_1) | instskip(SKIP_2) | instid1(SALU_CYCLE_1)
	v_cmp_eq_u64_e32 vcc_lo, 0, v[24:25]
	v_mov_b64_e32 v[20:21], v[22:23]
	s_or_b32 s3, vcc_lo, s3
	s_and_not1_b32 exec_lo, exec_lo, s3
	s_cbranch_execz .LBB66_8
.LBB66_4:                               ; =>This Inner Loop Header: Depth=1
	s_delay_alu instid0(VALU_DEP_1) | instskip(SKIP_1) | instid1(VALU_DEP_1)
	v_mov_b64_e32 v[22:23], v[24:25]
                                        ; implicit-def: $vgpr24_vgpr25
	s_mov_b32 s0, exec_lo
	v_or_b32_e32 v11, v21, v23
	s_delay_alu instid0(VALU_DEP_1)
	v_cmpx_ne_u64_e32 0, v[10:11]
	s_xor_b32 s13, exec_lo, s0
	s_cbranch_execz .LBB66_6
; %bb.5:                                ;   in Loop: Header=BB66_4 Depth=1
	s_delay_alu instid0(VALU_DEP_3) | instskip(SKIP_3) | instid1(VALU_DEP_3)
	v_cvt_f32_u32_e32 v11, v22
	v_cvt_f32_u32_e32 v24, v23
	v_sub_nc_u64_e32 v[26:27], 0, v[22:23]
	v_dual_mov_b32 v33, v10 :: v_dual_mov_b32 v35, v10
	v_fmac_f32_e32 v11, 0x4f800000, v24
	s_delay_alu instid0(VALU_DEP_1) | instskip(SKIP_1) | instid1(TRANS32_DEP_1)
	v_rcp_f32_e32 v11, v11
	v_nop
	v_mul_f32_e32 v11, 0x5f7ffffc, v11
	s_delay_alu instid0(VALU_DEP_1) | instskip(NEXT) | instid1(VALU_DEP_1)
	v_mul_f32_e32 v24, 0x2f800000, v11
	v_trunc_f32_e32 v25, v24
	s_delay_alu instid0(VALU_DEP_1) | instskip(SKIP_1) | instid1(VALU_DEP_2)
	v_cvt_u32_f32_e32 v29, v25
	v_fmac_f32_e32 v11, 0xcf800000, v25
	v_dual_mov_b32 v25, v10 :: v_dual_mov_b32 v34, v29
	s_delay_alu instid0(VALU_DEP_2) | instskip(NEXT) | instid1(VALU_DEP_1)
	v_cvt_u32_f32_e32 v24, v11
	v_mov_b32_e32 v28, v24
	s_delay_alu instid0(VALU_DEP_1) | instskip(NEXT) | instid1(VALU_DEP_1)
	v_mul_u64_e32 v[30:31], v[26:27], v[28:29]
	v_dual_mov_b32 v32, v31 :: v_dual_mov_b32 v31, v10
	s_delay_alu instid0(VALU_DEP_1) | instskip(NEXT) | instid1(VALU_DEP_2)
	v_mul_u64_e32 v[36:37], v[24:25], v[32:33]
	v_mul_u64_e32 v[38:39], v[34:35], v[30:31]
	;; [unrolled: 1-line block ×3, first 2 shown]
	v_mul_hi_u32 v30, v24, v30
	s_delay_alu instid0(VALU_DEP_1) | instskip(NEXT) | instid1(VALU_DEP_1)
	v_add_nc_u64_e32 v[30:31], v[30:31], v[36:37]
	v_add_co_u32 v11, vcc_lo, v30, v38
	s_delay_alu instid0(VALU_DEP_2) | instskip(SKIP_1) | instid1(VALU_DEP_1)
	v_add_co_ci_u32_e32 v34, vcc_lo, v31, v39, vcc_lo
	v_add_co_ci_u32_e32 v33, vcc_lo, 0, v33, vcc_lo
	v_add_nc_u64_e32 v[30:31], v[34:35], v[32:33]
	s_delay_alu instid0(VALU_DEP_1) | instskip(NEXT) | instid1(VALU_DEP_1)
	v_add_co_u32 v24, vcc_lo, v24, v30
	v_add_co_ci_u32_e64 v28, null, v29, v31, vcc_lo
	v_dual_mov_b32 v31, v10 :: v_dual_mov_b32 v29, v10
	s_delay_alu instid0(VALU_DEP_2) | instskip(NEXT) | instid1(VALU_DEP_1)
	v_mov_b32_e32 v25, v28
	v_mul_u64_e32 v[26:27], v[26:27], v[24:25]
	s_delay_alu instid0(VALU_DEP_1) | instskip(NEXT) | instid1(VALU_DEP_2)
	v_dual_mov_b32 v25, v10 :: v_dual_mov_b32 v30, v27
	v_dual_mov_b32 v34, v26 :: v_dual_mov_b32 v27, v10
	v_mul_hi_u32 v26, v24, v26
	s_delay_alu instid0(VALU_DEP_3) | instskip(NEXT) | instid1(VALU_DEP_3)
	v_mul_u64_e32 v[32:33], v[24:25], v[30:31]
	v_mul_u64_e32 v[34:35], v[28:29], v[34:35]
	v_mul_u64_e32 v[30:31], v[28:29], v[30:31]
	s_delay_alu instid0(VALU_DEP_3) | instskip(SKIP_1) | instid1(VALU_DEP_2)
	v_add_nc_u64_e32 v[26:27], v[26:27], v[32:33]
	v_mov_b32_e32 v33, v10
	v_add_co_u32 v11, vcc_lo, v26, v34
	s_delay_alu instid0(VALU_DEP_3) | instskip(SKIP_1) | instid1(VALU_DEP_1)
	v_add_co_ci_u32_e32 v32, vcc_lo, v27, v35, vcc_lo
	v_add_co_ci_u32_e32 v31, vcc_lo, 0, v31, vcc_lo
	v_add_nc_u64_e32 v[26:27], v[32:33], v[30:31]
	v_dual_mov_b32 v30, v20 :: v_dual_mov_b32 v31, v10
	s_delay_alu instid0(VALU_DEP_2) | instskip(NEXT) | instid1(VALU_DEP_1)
	v_add_co_u32 v26, vcc_lo, v24, v26
	v_add_co_ci_u32_e64 v24, null, v28, v27, vcc_lo
	v_dual_mov_b32 v28, v21 :: v_dual_mov_b32 v27, v10
	s_delay_alu instid0(VALU_DEP_2) | instskip(NEXT) | instid1(VALU_DEP_2)
	v_mul_u64_e32 v[30:31], v[30:31], v[24:25]
	v_mul_u64_e32 v[24:25], v[28:29], v[24:25]
	s_delay_alu instid0(VALU_DEP_3) | instskip(SKIP_1) | instid1(VALU_DEP_1)
	v_mul_u64_e32 v[32:33], v[28:29], v[26:27]
	v_mul_hi_u32 v26, v20, v26
	v_add_nc_u64_e32 v[26:27], v[26:27], v[30:31]
	s_delay_alu instid0(VALU_DEP_1) | instskip(NEXT) | instid1(VALU_DEP_2)
	v_add_co_u32 v11, vcc_lo, v26, v32
	v_add_co_ci_u32_e32 v28, vcc_lo, v27, v33, vcc_lo
	v_add_co_ci_u32_e32 v25, vcc_lo, 0, v25, vcc_lo
	s_delay_alu instid0(VALU_DEP_1) | instskip(NEXT) | instid1(VALU_DEP_1)
	v_add_nc_u64_e32 v[24:25], v[28:29], v[24:25]
	v_mul_u64_e32 v[24:25], v[22:23], v[24:25]
	s_delay_alu instid0(VALU_DEP_1) | instskip(NEXT) | instid1(VALU_DEP_2)
	v_sub_nc_u32_e32 v11, v21, v25
	v_sub_co_u32 v20, vcc_lo, v20, v24
	s_delay_alu instid0(VALU_DEP_1) | instskip(NEXT) | instid1(VALU_DEP_3)
	v_sub_co_ci_u32_e64 v21, null, v21, v25, vcc_lo
	v_sub_co_ci_u32_e64 v11, null, v11, v23, vcc_lo
	s_delay_alu instid0(VALU_DEP_3) | instskip(SKIP_1) | instid1(VALU_DEP_3)
	v_sub_co_u32 v24, vcc_lo, v20, v22
	v_cmp_ge_u32_e64 s0, v20, v22
	v_subrev_co_ci_u32_e64 v25, null, 0, v11, vcc_lo
	v_sub_co_ci_u32_e64 v11, null, v11, v23, vcc_lo
	s_delay_alu instid0(VALU_DEP_3) | instskip(SKIP_2) | instid1(VALU_DEP_2)
	v_cndmask_b32_e64 v26, 0, -1, s0
	v_cmp_ge_u32_e64 s0, v24, v22
	v_cmp_ge_u32_e32 vcc_lo, v21, v23
	v_cndmask_b32_e64 v27, 0, -1, s0
	v_cmp_ge_u32_e64 s0, v25, v23
	v_cndmask_b32_e64 v29, 0, -1, vcc_lo
	v_cmp_eq_u32_e32 vcc_lo, v25, v23
	s_delay_alu instid0(VALU_DEP_3) | instskip(SKIP_1) | instid1(VALU_DEP_1)
	v_cndmask_b32_e64 v28, 0, -1, s0
	v_cmp_eq_u32_e64 s0, v21, v23
	v_dual_cndmask_b32 v27, v28, v27, vcc_lo :: v_dual_cndmask_b32 v26, v29, v26, s0
	v_sub_co_u32 v28, vcc_lo, v24, v22
	s_delay_alu instid0(VALU_DEP_1) | instskip(NEXT) | instid1(VALU_DEP_3)
	v_subrev_co_ci_u32_e64 v11, null, 0, v11, vcc_lo
	v_cmp_ne_u32_e32 vcc_lo, 0, v27
	s_delay_alu instid0(VALU_DEP_2) | instskip(SKIP_1) | instid1(VALU_DEP_2)
	v_dual_cndmask_b32 v11, v25, v11 :: v_dual_cndmask_b32 v24, v24, v28
	v_cmp_ne_u32_e32 vcc_lo, 0, v26
	v_dual_cndmask_b32 v25, v21, v11 :: v_dual_cndmask_b32 v24, v20, v24
                                        ; implicit-def: $vgpr20_vgpr21
.LBB66_6:                               ;   in Loop: Header=BB66_4 Depth=1
	s_and_not1_saveexec_b32 s0, s13
	s_cbranch_execz .LBB66_3
; %bb.7:                                ;   in Loop: Header=BB66_4 Depth=1
	v_cvt_f32_u32_e32 v11, v22
	v_dual_sub_nc_u32 v21, 0, v22 :: v_dual_mov_b32 v25, v10
	s_delay_alu instid0(VALU_DEP_2) | instskip(SKIP_1) | instid1(TRANS32_DEP_1)
	v_rcp_iflag_f32_e32 v11, v11
	v_nop
	v_mul_f32_e32 v11, 0x4f7ffffe, v11
	s_delay_alu instid0(VALU_DEP_1) | instskip(NEXT) | instid1(VALU_DEP_1)
	v_cvt_u32_f32_e32 v11, v11
	v_mul_lo_u32 v21, v21, v11
	s_delay_alu instid0(VALU_DEP_1) | instskip(NEXT) | instid1(VALU_DEP_1)
	v_mul_hi_u32 v21, v11, v21
	v_add_nc_u32_e32 v11, v11, v21
	s_delay_alu instid0(VALU_DEP_1) | instskip(NEXT) | instid1(VALU_DEP_1)
	v_mul_hi_u32 v11, v20, v11
	v_mul_lo_u32 v11, v11, v22
	s_delay_alu instid0(VALU_DEP_1) | instskip(NEXT) | instid1(VALU_DEP_1)
	v_sub_nc_u32_e32 v11, v20, v11
	v_sub_nc_u32_e32 v20, v11, v22
	v_cmp_ge_u32_e32 vcc_lo, v11, v22
	s_delay_alu instid0(VALU_DEP_2) | instskip(NEXT) | instid1(VALU_DEP_1)
	v_cndmask_b32_e32 v11, v11, v20, vcc_lo
	v_sub_nc_u32_e32 v20, v11, v22
	v_cmp_ge_u32_e32 vcc_lo, v11, v22
	s_delay_alu instid0(VALU_DEP_2)
	v_cndmask_b32_e32 v24, v11, v20, vcc_lo
	s_branch .LBB66_3
.LBB66_8:
	s_or_b32 exec_lo, exec_lo, s3
	v_mov_b64_e32 v[20:21], v[22:23]
.LBB66_9:
	s_or_b32 exec_lo, exec_lo, s1
	v_mov_b64_e32 v[10:11], 0
	s_mov_b32 s1, exec_lo
	s_delay_alu instid0(VALU_DEP_2)
	v_cmpx_ne_u64_e32 0, v[20:21]
	s_cbranch_execz .LBB66_15
; %bb.10:
	v_dual_mov_b32 v10, 0 :: v_dual_bitop2_b32 v11, v17, v21 bitop3:0x54
                                        ; implicit-def: $vgpr22_vgpr23
	s_mov_b32 s0, exec_lo
	s_delay_alu instid0(VALU_DEP_1)
	v_cmpx_ne_u64_e32 0, v[10:11]
	s_xor_b32 s3, exec_lo, s0
	s_cbranch_execz .LBB66_12
; %bb.11:
	v_dual_mov_b32 v25, v10 :: v_dual_ashrrev_i32 v22, 31, v21
	v_dual_mov_b32 v33, v10 :: v_dual_mov_b32 v35, v10
	s_delay_alu instid0(VALU_DEP_2) | instskip(NEXT) | instid1(VALU_DEP_1)
	v_mov_b32_e32 v23, v22
	v_add_nc_u64_e32 v[20:21], v[20:21], v[22:23]
	s_delay_alu instid0(VALU_DEP_1) | instskip(NEXT) | instid1(VALU_DEP_2)
	v_xor_b32_e32 v20, v20, v22
	v_xor_b32_e32 v21, v21, v22
	s_delay_alu instid0(VALU_DEP_2) | instskip(NEXT) | instid1(VALU_DEP_2)
	v_cvt_f32_u32_e32 v11, v20
	v_cvt_f32_u32_e32 v23, v21
	s_delay_alu instid0(VALU_DEP_1) | instskip(NEXT) | instid1(VALU_DEP_1)
	v_fmamk_f32 v11, v23, 0x4f800000, v11
	v_rcp_f32_e32 v11, v11
	v_nop
	s_delay_alu instid0(TRANS32_DEP_1) | instskip(NEXT) | instid1(VALU_DEP_1)
	v_mul_f32_e32 v11, 0x5f7ffffc, v11
	v_mul_f32_e32 v23, 0x2f800000, v11
	s_delay_alu instid0(VALU_DEP_1) | instskip(NEXT) | instid1(VALU_DEP_1)
	v_trunc_f32_e32 v23, v23
	v_fmamk_f32 v11, v23, 0xcf800000, v11
	v_cvt_u32_f32_e32 v29, v23
	s_delay_alu instid0(VALU_DEP_2) | instskip(NEXT) | instid1(VALU_DEP_1)
	v_cvt_u32_f32_e32 v24, v11
	v_dual_mov_b32 v34, v29 :: v_dual_mov_b32 v28, v24
	v_sub_nc_u64_e32 v[26:27], 0, v[20:21]
	s_delay_alu instid0(VALU_DEP_1) | instskip(NEXT) | instid1(VALU_DEP_1)
	v_mul_u64_e32 v[30:31], v[26:27], v[28:29]
	v_dual_mov_b32 v32, v31 :: v_dual_mov_b32 v31, v10
	s_delay_alu instid0(VALU_DEP_1) | instskip(NEXT) | instid1(VALU_DEP_2)
	v_mul_u64_e32 v[36:37], v[24:25], v[32:33]
	v_mul_u64_e32 v[38:39], v[34:35], v[30:31]
	;; [unrolled: 1-line block ×3, first 2 shown]
	v_mul_hi_u32 v30, v24, v30
	s_delay_alu instid0(VALU_DEP_1) | instskip(SKIP_1) | instid1(VALU_DEP_2)
	v_add_nc_u64_e32 v[30:31], v[30:31], v[36:37]
	v_ashrrev_i32_e32 v36, 31, v17
	v_add_co_u32 v11, vcc_lo, v30, v38
	s_delay_alu instid0(VALU_DEP_3) | instskip(SKIP_1) | instid1(VALU_DEP_1)
	v_add_co_ci_u32_e32 v34, vcc_lo, v31, v39, vcc_lo
	v_add_co_ci_u32_e32 v33, vcc_lo, 0, v33, vcc_lo
	v_add_nc_u64_e32 v[30:31], v[34:35], v[32:33]
	s_delay_alu instid0(VALU_DEP_1) | instskip(NEXT) | instid1(VALU_DEP_1)
	v_add_co_u32 v24, vcc_lo, v24, v30
	v_add_co_ci_u32_e64 v28, null, v29, v31, vcc_lo
	v_dual_mov_b32 v29, v10 :: v_dual_mov_b32 v31, v10
	s_delay_alu instid0(VALU_DEP_2) | instskip(NEXT) | instid1(VALU_DEP_1)
	v_mov_b32_e32 v25, v28
	v_mul_u64_e32 v[26:27], v[26:27], v[24:25]
	s_delay_alu instid0(VALU_DEP_1) | instskip(NEXT) | instid1(VALU_DEP_2)
	v_dual_mov_b32 v25, v10 :: v_dual_mov_b32 v30, v27
	v_dual_mov_b32 v34, v26 :: v_dual_mov_b32 v27, v10
	v_mul_hi_u32 v26, v24, v26
	s_delay_alu instid0(VALU_DEP_3) | instskip(NEXT) | instid1(VALU_DEP_3)
	v_mul_u64_e32 v[32:33], v[24:25], v[30:31]
	v_mul_u64_e32 v[34:35], v[28:29], v[34:35]
	;; [unrolled: 1-line block ×3, first 2 shown]
	s_delay_alu instid0(VALU_DEP_3) | instskip(SKIP_1) | instid1(VALU_DEP_2)
	v_add_nc_u64_e32 v[26:27], v[26:27], v[32:33]
	v_dual_mov_b32 v33, v10 :: v_dual_mov_b32 v37, v36
	v_add_co_u32 v11, vcc_lo, v26, v34
	s_delay_alu instid0(VALU_DEP_3) | instskip(SKIP_1) | instid1(VALU_DEP_4)
	v_add_co_ci_u32_e32 v32, vcc_lo, v27, v35, vcc_lo
	v_add_co_ci_u32_e32 v31, vcc_lo, 0, v31, vcc_lo
	v_add_nc_u64_e32 v[26:27], v[16:17], v[36:37]
	s_delay_alu instid0(VALU_DEP_2) | instskip(NEXT) | instid1(VALU_DEP_2)
	v_add_nc_u64_e32 v[30:31], v[32:33], v[30:31]
	v_xor_b32_e32 v32, v26, v36
	s_delay_alu instid0(VALU_DEP_2) | instskip(NEXT) | instid1(VALU_DEP_1)
	v_add_co_u32 v30, vcc_lo, v24, v30
	v_add_co_ci_u32_e64 v24, null, v28, v31, vcc_lo
	v_dual_mov_b32 v31, v10 :: v_dual_bitop2_b32 v28, v27, v36 bitop3:0x14
	v_mov_b32_e32 v11, v10
	s_delay_alu instid0(VALU_DEP_3) | instskip(NEXT) | instid1(VALU_DEP_3)
	v_mul_u64_e32 v[34:35], v[32:33], v[24:25]
	v_mul_u64_e32 v[26:27], v[28:29], v[30:31]
	v_mul_u64_e32 v[24:25], v[28:29], v[24:25]
	v_mul_hi_u32 v30, v32, v30
	s_delay_alu instid0(VALU_DEP_1) | instskip(NEXT) | instid1(VALU_DEP_1)
	v_add_nc_u64_e32 v[30:31], v[30:31], v[34:35]
	v_add_co_u32 v10, vcc_lo, v30, v26
	s_delay_alu instid0(VALU_DEP_2) | instskip(SKIP_1) | instid1(VALU_DEP_1)
	v_add_co_ci_u32_e32 v10, vcc_lo, v31, v27, vcc_lo
	v_add_co_ci_u32_e32 v25, vcc_lo, 0, v25, vcc_lo
	v_add_nc_u64_e32 v[10:11], v[10:11], v[24:25]
	s_delay_alu instid0(VALU_DEP_1) | instskip(SKIP_1) | instid1(VALU_DEP_2)
	v_mul_u64_e32 v[24:25], v[20:21], v[10:11]
	v_add_nc_u64_e32 v[26:27], 1, v[10:11]
	v_sub_nc_u32_e32 v17, v28, v25
	s_delay_alu instid0(VALU_DEP_3) | instskip(NEXT) | instid1(VALU_DEP_1)
	v_sub_co_u32 v23, vcc_lo, v32, v24
	v_sub_co_ci_u32_e64 v28, null, v28, v25, vcc_lo
	s_delay_alu instid0(VALU_DEP_3) | instskip(NEXT) | instid1(VALU_DEP_3)
	v_sub_co_ci_u32_e64 v17, null, v17, v21, vcc_lo
	v_sub_co_u32 v24, s0, v23, v20
	s_delay_alu instid0(VALU_DEP_1) | instskip(NEXT) | instid1(VALU_DEP_2)
	v_subrev_co_ci_u32_e64 v17, null, 0, v17, s0
	v_cmp_ge_u32_e32 vcc_lo, v24, v20
	v_cndmask_b32_e64 v24, 0, -1, vcc_lo
	s_delay_alu instid0(VALU_DEP_3)
	v_cmp_ge_u32_e32 vcc_lo, v17, v21
	v_cndmask_b32_e64 v25, 0, -1, vcc_lo
	v_cmp_ge_u32_e32 vcc_lo, v23, v20
	v_cndmask_b32_e64 v20, 0, -1, vcc_lo
	;; [unrolled: 2-line block ×3, first 2 shown]
	v_cmp_eq_u32_e32 vcc_lo, v17, v21
	v_cndmask_b32_e32 v17, v25, v24, vcc_lo
	v_cmp_eq_u32_e32 vcc_lo, v28, v21
	v_add_nc_u64_e32 v[24:25], 2, v[10:11]
	v_cndmask_b32_e32 v20, v23, v20, vcc_lo
	s_delay_alu instid0(VALU_DEP_4) | instskip(NEXT) | instid1(VALU_DEP_2)
	v_cmp_ne_u32_e32 vcc_lo, 0, v17
	v_cmp_ne_u32_e64 s0, 0, v20
	s_delay_alu instid0(VALU_DEP_4) | instskip(NEXT) | instid1(VALU_DEP_1)
	v_dual_cndmask_b32 v17, v27, v25, vcc_lo :: v_dual_bitop2_b32 v20, v36, v22 bitop3:0x14
	v_dual_cndmask_b32 v21, v26, v24, vcc_lo :: v_dual_cndmask_b32 v11, v11, v17, s0
	s_delay_alu instid0(VALU_DEP_1) | instskip(NEXT) | instid1(VALU_DEP_2)
	v_dual_cndmask_b32 v10, v10, v21, s0 :: v_dual_mov_b32 v21, v20
	v_xor_b32_e32 v11, v11, v20
	s_delay_alu instid0(VALU_DEP_2) | instskip(NEXT) | instid1(VALU_DEP_1)
	v_xor_b32_e32 v10, v10, v20
	v_sub_nc_u64_e32 v[22:23], v[10:11], v[20:21]
                                        ; implicit-def: $vgpr20_vgpr21
.LBB66_12:
	s_and_not1_saveexec_b32 s0, s3
	s_cbranch_execz .LBB66_14
; %bb.13:
	v_cvt_f32_u32_e32 v10, v20
	v_dual_sub_nc_u32 v11, 0, v20 :: v_dual_mov_b32 v23, 0
	s_delay_alu instid0(VALU_DEP_2) | instskip(SKIP_1) | instid1(TRANS32_DEP_1)
	v_rcp_iflag_f32_e32 v10, v10
	v_nop
	v_mul_f32_e32 v10, 0x4f7ffffe, v10
	s_delay_alu instid0(VALU_DEP_1) | instskip(NEXT) | instid1(VALU_DEP_1)
	v_cvt_u32_f32_e32 v10, v10
	v_mul_lo_u32 v11, v11, v10
	s_delay_alu instid0(VALU_DEP_1) | instskip(NEXT) | instid1(VALU_DEP_1)
	v_mul_hi_u32 v11, v10, v11
	v_add_nc_u32_e32 v10, v10, v11
	s_delay_alu instid0(VALU_DEP_1) | instskip(NEXT) | instid1(VALU_DEP_1)
	v_mul_hi_u32 v10, v16, v10
	v_mul_lo_u32 v11, v10, v20
	s_delay_alu instid0(VALU_DEP_1) | instskip(NEXT) | instid1(VALU_DEP_1)
	v_dual_sub_nc_u32 v11, v16, v11 :: v_dual_add_nc_u32 v16, 1, v10
	v_sub_nc_u32_e32 v17, v11, v20
	v_cmp_ge_u32_e32 vcc_lo, v11, v20
	s_delay_alu instid0(VALU_DEP_2) | instskip(NEXT) | instid1(VALU_DEP_1)
	v_dual_cndmask_b32 v11, v11, v17 :: v_dual_cndmask_b32 v10, v10, v16
	v_cmp_ge_u32_e32 vcc_lo, v11, v20
	s_delay_alu instid0(VALU_DEP_2) | instskip(NEXT) | instid1(VALU_DEP_1)
	v_add_nc_u32_e32 v16, 1, v10
	v_cndmask_b32_e32 v22, v10, v16, vcc_lo
.LBB66_14:
	s_or_b32 exec_lo, exec_lo, s0
	s_delay_alu instid0(VALU_DEP_1) | instskip(NEXT) | instid1(VALU_DEP_1)
	v_mul_u64_e32 v[10:11], v[22:23], v[12:13]
	v_sub_nc_u64_e32 v[12:13], 0, v[10:11]
	s_delay_alu instid0(VALU_DEP_1)
	v_max_i64 v[10:11], v[10:11], v[12:13]
.LBB66_15:
	s_or_b32 exec_lo, exec_lo, s1
	v_sub_nc_u64_e32 v[12:13], 0, v[14:15]
	s_mov_b32 s1, exec_lo
	s_delay_alu instid0(VALU_DEP_1)
	v_max_i64 v[16:17], v[14:15], v[12:13]
	v_cmpx_ne_u64_e32 0, v[18:19]
	s_cbranch_execz .LBB66_23
; %bb.16:
	v_sub_nc_u64_e32 v[12:13], 0, v[18:19]
	s_mov_b32 s3, 0
	s_delay_alu instid0(VALU_DEP_1)
	v_max_i64 v[22:23], v[18:19], v[12:13]
	v_mov_b32_e32 v12, 0
	s_branch .LBB66_18
.LBB66_17:                              ;   in Loop: Header=BB66_18 Depth=1
	s_or_b32 exec_lo, exec_lo, s0
	s_delay_alu instid0(VALU_DEP_1) | instskip(SKIP_2) | instid1(SALU_CYCLE_1)
	v_cmp_eq_u64_e32 vcc_lo, 0, v[22:23]
	v_mov_b64_e32 v[16:17], v[20:21]
	s_or_b32 s3, vcc_lo, s3
	s_and_not1_b32 exec_lo, exec_lo, s3
	s_cbranch_execz .LBB66_22
.LBB66_18:                              ; =>This Inner Loop Header: Depth=1
	s_delay_alu instid0(VALU_DEP_2) | instskip(SKIP_1) | instid1(VALU_DEP_1)
	v_mov_b64_e32 v[20:21], v[22:23]
                                        ; implicit-def: $vgpr22_vgpr23
	s_mov_b32 s0, exec_lo
	v_or_b32_e32 v13, v17, v21
	s_delay_alu instid0(VALU_DEP_1)
	v_cmpx_ne_u64_e32 0, v[12:13]
	s_xor_b32 s13, exec_lo, s0
	s_cbranch_execz .LBB66_20
; %bb.19:                               ;   in Loop: Header=BB66_18 Depth=1
	s_delay_alu instid0(VALU_DEP_3) | instskip(SKIP_3) | instid1(VALU_DEP_3)
	v_cvt_f32_u32_e32 v13, v20
	v_cvt_f32_u32_e32 v22, v21
	v_sub_nc_u64_e32 v[24:25], 0, v[20:21]
	v_dual_mov_b32 v31, v12 :: v_dual_mov_b32 v33, v12
	v_fmac_f32_e32 v13, 0x4f800000, v22
	s_delay_alu instid0(VALU_DEP_1) | instskip(SKIP_1) | instid1(TRANS32_DEP_1)
	v_rcp_f32_e32 v13, v13
	v_nop
	v_mul_f32_e32 v13, 0x5f7ffffc, v13
	s_delay_alu instid0(VALU_DEP_1) | instskip(NEXT) | instid1(VALU_DEP_1)
	v_mul_f32_e32 v22, 0x2f800000, v13
	v_trunc_f32_e32 v23, v22
	s_delay_alu instid0(VALU_DEP_1) | instskip(SKIP_1) | instid1(VALU_DEP_2)
	v_cvt_u32_f32_e32 v27, v23
	v_fmac_f32_e32 v13, 0xcf800000, v23
	v_dual_mov_b32 v23, v12 :: v_dual_mov_b32 v32, v27
	s_delay_alu instid0(VALU_DEP_2) | instskip(NEXT) | instid1(VALU_DEP_1)
	v_cvt_u32_f32_e32 v22, v13
	v_mov_b32_e32 v26, v22
	s_delay_alu instid0(VALU_DEP_1) | instskip(NEXT) | instid1(VALU_DEP_1)
	v_mul_u64_e32 v[28:29], v[24:25], v[26:27]
	v_dual_mov_b32 v30, v29 :: v_dual_mov_b32 v29, v12
	s_delay_alu instid0(VALU_DEP_1) | instskip(NEXT) | instid1(VALU_DEP_2)
	v_mul_u64_e32 v[34:35], v[22:23], v[30:31]
	v_mul_u64_e32 v[36:37], v[32:33], v[28:29]
	;; [unrolled: 1-line block ×3, first 2 shown]
	v_mul_hi_u32 v28, v22, v28
	s_delay_alu instid0(VALU_DEP_1) | instskip(NEXT) | instid1(VALU_DEP_1)
	v_add_nc_u64_e32 v[28:29], v[28:29], v[34:35]
	v_add_co_u32 v13, vcc_lo, v28, v36
	s_delay_alu instid0(VALU_DEP_2) | instskip(SKIP_1) | instid1(VALU_DEP_1)
	v_add_co_ci_u32_e32 v32, vcc_lo, v29, v37, vcc_lo
	v_add_co_ci_u32_e32 v31, vcc_lo, 0, v31, vcc_lo
	v_add_nc_u64_e32 v[28:29], v[32:33], v[30:31]
	s_delay_alu instid0(VALU_DEP_1) | instskip(NEXT) | instid1(VALU_DEP_1)
	v_add_co_u32 v22, vcc_lo, v22, v28
	v_add_co_ci_u32_e64 v26, null, v27, v29, vcc_lo
	v_dual_mov_b32 v29, v12 :: v_dual_mov_b32 v27, v12
	s_delay_alu instid0(VALU_DEP_2) | instskip(NEXT) | instid1(VALU_DEP_1)
	v_mov_b32_e32 v23, v26
	v_mul_u64_e32 v[24:25], v[24:25], v[22:23]
	s_delay_alu instid0(VALU_DEP_1) | instskip(NEXT) | instid1(VALU_DEP_2)
	v_dual_mov_b32 v23, v12 :: v_dual_mov_b32 v28, v25
	v_dual_mov_b32 v32, v24 :: v_dual_mov_b32 v25, v12
	v_mul_hi_u32 v24, v22, v24
	s_delay_alu instid0(VALU_DEP_3) | instskip(NEXT) | instid1(VALU_DEP_3)
	v_mul_u64_e32 v[30:31], v[22:23], v[28:29]
	v_mul_u64_e32 v[32:33], v[26:27], v[32:33]
	;; [unrolled: 1-line block ×3, first 2 shown]
	s_delay_alu instid0(VALU_DEP_3) | instskip(SKIP_1) | instid1(VALU_DEP_2)
	v_add_nc_u64_e32 v[24:25], v[24:25], v[30:31]
	v_mov_b32_e32 v31, v12
	v_add_co_u32 v13, vcc_lo, v24, v32
	s_delay_alu instid0(VALU_DEP_3) | instskip(SKIP_1) | instid1(VALU_DEP_1)
	v_add_co_ci_u32_e32 v30, vcc_lo, v25, v33, vcc_lo
	v_add_co_ci_u32_e32 v29, vcc_lo, 0, v29, vcc_lo
	v_add_nc_u64_e32 v[24:25], v[30:31], v[28:29]
	v_dual_mov_b32 v28, v16 :: v_dual_mov_b32 v29, v12
	s_delay_alu instid0(VALU_DEP_2) | instskip(NEXT) | instid1(VALU_DEP_1)
	v_add_co_u32 v24, vcc_lo, v22, v24
	v_add_co_ci_u32_e64 v22, null, v26, v25, vcc_lo
	v_dual_mov_b32 v26, v17 :: v_dual_mov_b32 v25, v12
	s_delay_alu instid0(VALU_DEP_2) | instskip(NEXT) | instid1(VALU_DEP_2)
	v_mul_u64_e32 v[28:29], v[28:29], v[22:23]
	v_mul_u64_e32 v[22:23], v[26:27], v[22:23]
	s_delay_alu instid0(VALU_DEP_3) | instskip(SKIP_1) | instid1(VALU_DEP_1)
	v_mul_u64_e32 v[30:31], v[26:27], v[24:25]
	v_mul_hi_u32 v24, v16, v24
	v_add_nc_u64_e32 v[24:25], v[24:25], v[28:29]
	s_delay_alu instid0(VALU_DEP_1) | instskip(NEXT) | instid1(VALU_DEP_2)
	v_add_co_u32 v13, vcc_lo, v24, v30
	v_add_co_ci_u32_e32 v26, vcc_lo, v25, v31, vcc_lo
	v_add_co_ci_u32_e32 v23, vcc_lo, 0, v23, vcc_lo
	s_delay_alu instid0(VALU_DEP_1) | instskip(NEXT) | instid1(VALU_DEP_1)
	v_add_nc_u64_e32 v[22:23], v[26:27], v[22:23]
	v_mul_u64_e32 v[22:23], v[20:21], v[22:23]
	s_delay_alu instid0(VALU_DEP_1) | instskip(NEXT) | instid1(VALU_DEP_2)
	v_sub_nc_u32_e32 v13, v17, v23
	v_sub_co_u32 v16, vcc_lo, v16, v22
	s_delay_alu instid0(VALU_DEP_1) | instskip(NEXT) | instid1(VALU_DEP_3)
	v_sub_co_ci_u32_e64 v17, null, v17, v23, vcc_lo
	v_sub_co_ci_u32_e64 v13, null, v13, v21, vcc_lo
	s_delay_alu instid0(VALU_DEP_3) | instskip(SKIP_1) | instid1(VALU_DEP_3)
	v_sub_co_u32 v22, vcc_lo, v16, v20
	v_cmp_ge_u32_e64 s0, v16, v20
	v_subrev_co_ci_u32_e64 v23, null, 0, v13, vcc_lo
	v_sub_co_ci_u32_e64 v13, null, v13, v21, vcc_lo
	s_delay_alu instid0(VALU_DEP_3) | instskip(SKIP_2) | instid1(VALU_DEP_2)
	v_cndmask_b32_e64 v24, 0, -1, s0
	v_cmp_ge_u32_e64 s0, v22, v20
	v_cmp_ge_u32_e32 vcc_lo, v17, v21
	v_cndmask_b32_e64 v25, 0, -1, s0
	v_cmp_ge_u32_e64 s0, v23, v21
	v_cndmask_b32_e64 v27, 0, -1, vcc_lo
	v_cmp_eq_u32_e32 vcc_lo, v23, v21
	s_delay_alu instid0(VALU_DEP_3) | instskip(SKIP_1) | instid1(VALU_DEP_1)
	v_cndmask_b32_e64 v26, 0, -1, s0
	v_cmp_eq_u32_e64 s0, v17, v21
	v_dual_cndmask_b32 v25, v26, v25, vcc_lo :: v_dual_cndmask_b32 v24, v27, v24, s0
	v_sub_co_u32 v26, vcc_lo, v22, v20
	s_delay_alu instid0(VALU_DEP_1) | instskip(NEXT) | instid1(VALU_DEP_3)
	v_subrev_co_ci_u32_e64 v13, null, 0, v13, vcc_lo
	v_cmp_ne_u32_e32 vcc_lo, 0, v25
	s_delay_alu instid0(VALU_DEP_2) | instskip(SKIP_1) | instid1(VALU_DEP_2)
	v_dual_cndmask_b32 v13, v23, v13 :: v_dual_cndmask_b32 v22, v22, v26
	v_cmp_ne_u32_e32 vcc_lo, 0, v24
	v_dual_cndmask_b32 v23, v17, v13 :: v_dual_cndmask_b32 v22, v16, v22
                                        ; implicit-def: $vgpr16_vgpr17
.LBB66_20:                              ;   in Loop: Header=BB66_18 Depth=1
	s_and_not1_saveexec_b32 s0, s13
	s_cbranch_execz .LBB66_17
; %bb.21:                               ;   in Loop: Header=BB66_18 Depth=1
	v_cvt_f32_u32_e32 v13, v20
	v_dual_sub_nc_u32 v17, 0, v20 :: v_dual_mov_b32 v23, v12
	s_delay_alu instid0(VALU_DEP_2) | instskip(SKIP_1) | instid1(TRANS32_DEP_1)
	v_rcp_iflag_f32_e32 v13, v13
	v_nop
	v_mul_f32_e32 v13, 0x4f7ffffe, v13
	s_delay_alu instid0(VALU_DEP_1) | instskip(NEXT) | instid1(VALU_DEP_1)
	v_cvt_u32_f32_e32 v13, v13
	v_mul_lo_u32 v17, v17, v13
	s_delay_alu instid0(VALU_DEP_1) | instskip(NEXT) | instid1(VALU_DEP_1)
	v_mul_hi_u32 v17, v13, v17
	v_add_nc_u32_e32 v13, v13, v17
	s_delay_alu instid0(VALU_DEP_1) | instskip(NEXT) | instid1(VALU_DEP_1)
	v_mul_hi_u32 v13, v16, v13
	v_mul_lo_u32 v13, v13, v20
	s_delay_alu instid0(VALU_DEP_1) | instskip(NEXT) | instid1(VALU_DEP_1)
	v_sub_nc_u32_e32 v13, v16, v13
	v_sub_nc_u32_e32 v16, v13, v20
	v_cmp_ge_u32_e32 vcc_lo, v13, v20
	s_delay_alu instid0(VALU_DEP_2) | instskip(NEXT) | instid1(VALU_DEP_1)
	v_cndmask_b32_e32 v13, v13, v16, vcc_lo
	v_sub_nc_u32_e32 v16, v13, v20
	v_cmp_ge_u32_e32 vcc_lo, v13, v20
	s_delay_alu instid0(VALU_DEP_2)
	v_cndmask_b32_e32 v22, v13, v16, vcc_lo
	s_branch .LBB66_17
.LBB66_22:
	s_or_b32 exec_lo, exec_lo, s3
	v_mov_b64_e32 v[16:17], v[20:21]
.LBB66_23:
	s_or_b32 exec_lo, exec_lo, s1
	v_mov_b64_e32 v[12:13], 0
	s_mov_b32 s1, exec_lo
	s_delay_alu instid0(VALU_DEP_2)
	v_cmpx_ne_u64_e32 0, v[16:17]
	s_cbranch_execz .LBB66_29
; %bb.24:
	v_dual_mov_b32 v12, 0 :: v_dual_bitop2_b32 v13, v19, v17 bitop3:0x54
                                        ; implicit-def: $vgpr20_vgpr21
	s_mov_b32 s0, exec_lo
	s_delay_alu instid0(VALU_DEP_1)
	v_cmpx_ne_u64_e32 0, v[12:13]
	s_xor_b32 s3, exec_lo, s0
	s_cbranch_execz .LBB66_26
; %bb.25:
	v_dual_mov_b32 v23, v12 :: v_dual_ashrrev_i32 v20, 31, v17
	v_dual_mov_b32 v31, v12 :: v_dual_mov_b32 v33, v12
	s_delay_alu instid0(VALU_DEP_2) | instskip(NEXT) | instid1(VALU_DEP_1)
	v_mov_b32_e32 v21, v20
	v_add_nc_u64_e32 v[16:17], v[16:17], v[20:21]
	s_delay_alu instid0(VALU_DEP_1) | instskip(NEXT) | instid1(VALU_DEP_2)
	v_xor_b32_e32 v16, v16, v20
	v_xor_b32_e32 v17, v17, v20
	s_delay_alu instid0(VALU_DEP_2) | instskip(NEXT) | instid1(VALU_DEP_2)
	v_cvt_f32_u32_e32 v13, v16
	v_cvt_f32_u32_e32 v21, v17
	s_delay_alu instid0(VALU_DEP_1) | instskip(NEXT) | instid1(VALU_DEP_1)
	v_fmamk_f32 v13, v21, 0x4f800000, v13
	v_rcp_f32_e32 v13, v13
	v_nop
	s_delay_alu instid0(TRANS32_DEP_1) | instskip(NEXT) | instid1(VALU_DEP_1)
	v_mul_f32_e32 v13, 0x5f7ffffc, v13
	v_mul_f32_e32 v21, 0x2f800000, v13
	s_delay_alu instid0(VALU_DEP_1) | instskip(NEXT) | instid1(VALU_DEP_1)
	v_trunc_f32_e32 v21, v21
	v_fmamk_f32 v13, v21, 0xcf800000, v13
	v_cvt_u32_f32_e32 v27, v21
	s_delay_alu instid0(VALU_DEP_2) | instskip(NEXT) | instid1(VALU_DEP_1)
	v_cvt_u32_f32_e32 v22, v13
	v_dual_mov_b32 v32, v27 :: v_dual_mov_b32 v26, v22
	v_sub_nc_u64_e32 v[24:25], 0, v[16:17]
	s_delay_alu instid0(VALU_DEP_1) | instskip(NEXT) | instid1(VALU_DEP_1)
	v_mul_u64_e32 v[28:29], v[24:25], v[26:27]
	v_dual_mov_b32 v30, v29 :: v_dual_mov_b32 v29, v12
	s_delay_alu instid0(VALU_DEP_1) | instskip(NEXT) | instid1(VALU_DEP_2)
	v_mul_u64_e32 v[34:35], v[22:23], v[30:31]
	v_mul_u64_e32 v[36:37], v[32:33], v[28:29]
	;; [unrolled: 1-line block ×3, first 2 shown]
	v_mul_hi_u32 v28, v22, v28
	s_delay_alu instid0(VALU_DEP_1) | instskip(SKIP_1) | instid1(VALU_DEP_2)
	v_add_nc_u64_e32 v[28:29], v[28:29], v[34:35]
	v_ashrrev_i32_e32 v34, 31, v19
	v_add_co_u32 v13, vcc_lo, v28, v36
	s_delay_alu instid0(VALU_DEP_3) | instskip(SKIP_1) | instid1(VALU_DEP_1)
	v_add_co_ci_u32_e32 v32, vcc_lo, v29, v37, vcc_lo
	v_add_co_ci_u32_e32 v31, vcc_lo, 0, v31, vcc_lo
	v_add_nc_u64_e32 v[28:29], v[32:33], v[30:31]
	s_delay_alu instid0(VALU_DEP_1) | instskip(NEXT) | instid1(VALU_DEP_1)
	v_add_co_u32 v22, vcc_lo, v22, v28
	v_add_co_ci_u32_e64 v26, null, v27, v29, vcc_lo
	v_dual_mov_b32 v27, v12 :: v_dual_mov_b32 v29, v12
	s_delay_alu instid0(VALU_DEP_2) | instskip(NEXT) | instid1(VALU_DEP_1)
	v_mov_b32_e32 v23, v26
	v_mul_u64_e32 v[24:25], v[24:25], v[22:23]
	s_delay_alu instid0(VALU_DEP_1) | instskip(NEXT) | instid1(VALU_DEP_2)
	v_dual_mov_b32 v23, v12 :: v_dual_mov_b32 v28, v25
	v_dual_mov_b32 v32, v24 :: v_dual_mov_b32 v25, v12
	v_mul_hi_u32 v24, v22, v24
	s_delay_alu instid0(VALU_DEP_3) | instskip(NEXT) | instid1(VALU_DEP_3)
	v_mul_u64_e32 v[30:31], v[22:23], v[28:29]
	v_mul_u64_e32 v[32:33], v[26:27], v[32:33]
	;; [unrolled: 1-line block ×3, first 2 shown]
	s_delay_alu instid0(VALU_DEP_3) | instskip(SKIP_1) | instid1(VALU_DEP_2)
	v_add_nc_u64_e32 v[24:25], v[24:25], v[30:31]
	v_dual_mov_b32 v31, v12 :: v_dual_mov_b32 v35, v34
	v_add_co_u32 v13, vcc_lo, v24, v32
	s_delay_alu instid0(VALU_DEP_3) | instskip(SKIP_2) | instid1(VALU_DEP_2)
	v_add_co_ci_u32_e32 v30, vcc_lo, v25, v33, vcc_lo
	v_add_co_ci_u32_e32 v29, vcc_lo, 0, v29, vcc_lo
	v_mov_b32_e32 v13, v12
	v_add_nc_u64_e32 v[24:25], v[30:31], v[28:29]
	v_mov_b32_e32 v29, v12
	v_add_nc_u64_e32 v[18:19], v[18:19], v[34:35]
	s_delay_alu instid0(VALU_DEP_3) | instskip(NEXT) | instid1(VALU_DEP_2)
	v_add_co_u32 v24, vcc_lo, v22, v24
	v_xor_b32_e32 v28, v18, v34
	v_add_co_ci_u32_e64 v22, null, v26, v25, vcc_lo
	s_delay_alu instid0(VALU_DEP_4) | instskip(NEXT) | instid1(VALU_DEP_2)
	v_dual_mov_b32 v25, v12 :: v_dual_bitop2_b32 v26, v19, v34 bitop3:0x14
	v_mul_u64_e32 v[30:31], v[28:29], v[22:23]
	s_delay_alu instid0(VALU_DEP_2) | instskip(SKIP_2) | instid1(VALU_DEP_1)
	v_mul_u64_e32 v[18:19], v[26:27], v[24:25]
	v_mul_u64_e32 v[22:23], v[26:27], v[22:23]
	v_mul_hi_u32 v24, v28, v24
	v_add_nc_u64_e32 v[24:25], v[24:25], v[30:31]
	s_delay_alu instid0(VALU_DEP_1) | instskip(NEXT) | instid1(VALU_DEP_2)
	v_add_co_u32 v12, vcc_lo, v24, v18
	v_add_co_ci_u32_e32 v12, vcc_lo, v25, v19, vcc_lo
	v_add_co_ci_u32_e32 v23, vcc_lo, 0, v23, vcc_lo
	s_delay_alu instid0(VALU_DEP_1) | instskip(NEXT) | instid1(VALU_DEP_1)
	v_add_nc_u64_e32 v[12:13], v[12:13], v[22:23]
	v_mul_u64_e32 v[18:19], v[16:17], v[12:13]
	s_delay_alu instid0(VALU_DEP_1) | instskip(NEXT) | instid1(VALU_DEP_2)
	v_sub_nc_u32_e32 v21, v26, v19
	v_sub_co_u32 v18, vcc_lo, v28, v18
	s_delay_alu instid0(VALU_DEP_1) | instskip(NEXT) | instid1(VALU_DEP_3)
	v_sub_co_ci_u32_e64 v24, null, v26, v19, vcc_lo
	v_sub_co_ci_u32_e64 v21, null, v21, v17, vcc_lo
	s_delay_alu instid0(VALU_DEP_3) | instskip(NEXT) | instid1(VALU_DEP_1)
	v_sub_co_u32 v22, s0, v18, v16
	v_subrev_co_ci_u32_e64 v21, null, 0, v21, s0
	s_delay_alu instid0(VALU_DEP_2) | instskip(SKIP_1) | instid1(VALU_DEP_3)
	v_cmp_ge_u32_e32 vcc_lo, v22, v16
	v_cndmask_b32_e64 v19, 0, -1, vcc_lo
	v_cmp_ge_u32_e32 vcc_lo, v21, v17
	v_cndmask_b32_e64 v22, 0, -1, vcc_lo
	;; [unrolled: 2-line block ×4, first 2 shown]
	v_cmp_eq_u32_e32 vcc_lo, v21, v17
	v_cndmask_b32_e32 v21, v22, v19, vcc_lo
	v_cmp_eq_u32_e32 vcc_lo, v24, v17
	v_add_nc_u64_e32 v[18:19], 2, v[12:13]
	v_add_nc_u64_e32 v[22:23], 1, v[12:13]
	v_cndmask_b32_e32 v16, v25, v16, vcc_lo
	v_cmp_ne_u32_e32 vcc_lo, 0, v21
	s_delay_alu instid0(VALU_DEP_2) | instskip(NEXT) | instid1(VALU_DEP_4)
	v_cmp_ne_u32_e64 s0, 0, v16
	v_dual_cndmask_b32 v17, v23, v19 :: v_dual_cndmask_b32 v18, v22, v18
	s_delay_alu instid0(VALU_DEP_1) | instskip(NEXT) | instid1(VALU_DEP_2)
	v_dual_cndmask_b32 v13, v13, v17, s0 :: v_dual_bitop2_b32 v16, v34, v20 bitop3:0x14
	v_cndmask_b32_e64 v12, v12, v18, s0
                                        ; implicit-def: $vgpr18_vgpr19
	s_delay_alu instid0(VALU_DEP_2) | instskip(NEXT) | instid1(VALU_DEP_2)
	v_dual_mov_b32 v17, v16 :: v_dual_bitop2_b32 v13, v13, v16 bitop3:0x14
	v_xor_b32_e32 v12, v12, v16
	s_delay_alu instid0(VALU_DEP_1)
	v_sub_nc_u64_e32 v[20:21], v[12:13], v[16:17]
                                        ; implicit-def: $vgpr16_vgpr17
.LBB66_26:
	s_and_not1_saveexec_b32 s0, s3
	s_cbranch_execz .LBB66_28
; %bb.27:
	v_cvt_f32_u32_e32 v12, v16
	v_dual_sub_nc_u32 v13, 0, v16 :: v_dual_mov_b32 v21, 0
	s_delay_alu instid0(VALU_DEP_2) | instskip(SKIP_1) | instid1(TRANS32_DEP_1)
	v_rcp_iflag_f32_e32 v12, v12
	v_nop
	v_mul_f32_e32 v12, 0x4f7ffffe, v12
	s_delay_alu instid0(VALU_DEP_1) | instskip(NEXT) | instid1(VALU_DEP_1)
	v_cvt_u32_f32_e32 v12, v12
	v_mul_lo_u32 v13, v13, v12
	s_delay_alu instid0(VALU_DEP_1) | instskip(NEXT) | instid1(VALU_DEP_1)
	v_mul_hi_u32 v13, v12, v13
	v_add_nc_u32_e32 v12, v12, v13
	s_delay_alu instid0(VALU_DEP_1) | instskip(NEXT) | instid1(VALU_DEP_1)
	v_mul_hi_u32 v12, v18, v12
	v_mul_lo_u32 v13, v12, v16
	s_delay_alu instid0(VALU_DEP_1) | instskip(NEXT) | instid1(VALU_DEP_1)
	v_sub_nc_u32_e32 v13, v18, v13
	v_sub_nc_u32_e32 v18, v13, v16
	v_cmp_ge_u32_e32 vcc_lo, v13, v16
	s_delay_alu instid0(VALU_DEP_2) | instskip(NEXT) | instid1(VALU_DEP_1)
	v_dual_add_nc_u32 v17, 1, v12 :: v_dual_cndmask_b32 v13, v13, v18, vcc_lo
	v_cndmask_b32_e32 v12, v12, v17, vcc_lo
	s_delay_alu instid0(VALU_DEP_2) | instskip(NEXT) | instid1(VALU_DEP_2)
	v_cmp_ge_u32_e32 vcc_lo, v13, v16
	v_add_nc_u32_e32 v17, 1, v12
	s_delay_alu instid0(VALU_DEP_1)
	v_cndmask_b32_e32 v20, v12, v17, vcc_lo
.LBB66_28:
	s_or_b32 exec_lo, exec_lo, s0
	s_delay_alu instid0(VALU_DEP_1) | instskip(NEXT) | instid1(VALU_DEP_1)
	v_mul_u64_e32 v[12:13], v[20:21], v[14:15]
	v_sub_nc_u64_e32 v[14:15], 0, v[12:13]
	s_delay_alu instid0(VALU_DEP_1)
	v_max_i64 v[12:13], v[12:13], v[14:15]
.LBB66_29:
	s_or_b32 exec_lo, exec_lo, s1
	s_wait_loadcnt 0x0
	v_sub_nc_u64_e32 v[14:15], 0, v[2:3]
	s_mov_b32 s1, exec_lo
	s_delay_alu instid0(VALU_DEP_1)
	v_max_i64 v[16:17], v[2:3], v[14:15]
	v_cmpx_ne_u64_e32 0, v[6:7]
	s_cbranch_execz .LBB66_37
; %bb.30:
	v_sub_nc_u64_e32 v[14:15], 0, v[6:7]
	s_mov_b32 s3, 0
	s_delay_alu instid0(VALU_DEP_1)
	v_max_i64 v[20:21], v[6:7], v[14:15]
	v_mov_b32_e32 v14, 0
	s_branch .LBB66_32
.LBB66_31:                              ;   in Loop: Header=BB66_32 Depth=1
	s_or_b32 exec_lo, exec_lo, s0
	s_delay_alu instid0(VALU_DEP_1) | instskip(SKIP_2) | instid1(SALU_CYCLE_1)
	v_cmp_eq_u64_e32 vcc_lo, 0, v[20:21]
	v_mov_b64_e32 v[16:17], v[18:19]
	s_or_b32 s3, vcc_lo, s3
	s_and_not1_b32 exec_lo, exec_lo, s3
	s_cbranch_execz .LBB66_36
.LBB66_32:                              ; =>This Inner Loop Header: Depth=1
	s_delay_alu instid0(VALU_DEP_2) | instskip(SKIP_1) | instid1(VALU_DEP_1)
	v_mov_b64_e32 v[18:19], v[20:21]
                                        ; implicit-def: $vgpr20_vgpr21
	s_mov_b32 s0, exec_lo
	v_or_b32_e32 v15, v17, v19
	s_delay_alu instid0(VALU_DEP_1)
	v_cmpx_ne_u64_e32 0, v[14:15]
	s_xor_b32 s13, exec_lo, s0
	s_cbranch_execz .LBB66_34
; %bb.33:                               ;   in Loop: Header=BB66_32 Depth=1
	s_delay_alu instid0(VALU_DEP_3) | instskip(SKIP_3) | instid1(VALU_DEP_3)
	v_cvt_f32_u32_e32 v15, v18
	v_cvt_f32_u32_e32 v20, v19
	v_sub_nc_u64_e32 v[22:23], 0, v[18:19]
	v_dual_mov_b32 v29, v14 :: v_dual_mov_b32 v31, v14
	v_fmac_f32_e32 v15, 0x4f800000, v20
	s_delay_alu instid0(VALU_DEP_1) | instskip(SKIP_1) | instid1(TRANS32_DEP_1)
	v_rcp_f32_e32 v15, v15
	v_nop
	v_mul_f32_e32 v15, 0x5f7ffffc, v15
	s_delay_alu instid0(VALU_DEP_1) | instskip(NEXT) | instid1(VALU_DEP_1)
	v_mul_f32_e32 v20, 0x2f800000, v15
	v_trunc_f32_e32 v21, v20
	s_delay_alu instid0(VALU_DEP_1) | instskip(SKIP_1) | instid1(VALU_DEP_2)
	v_cvt_u32_f32_e32 v25, v21
	v_fmac_f32_e32 v15, 0xcf800000, v21
	v_dual_mov_b32 v21, v14 :: v_dual_mov_b32 v30, v25
	s_delay_alu instid0(VALU_DEP_2) | instskip(NEXT) | instid1(VALU_DEP_1)
	v_cvt_u32_f32_e32 v20, v15
	v_mov_b32_e32 v24, v20
	s_delay_alu instid0(VALU_DEP_1) | instskip(NEXT) | instid1(VALU_DEP_1)
	v_mul_u64_e32 v[26:27], v[22:23], v[24:25]
	v_dual_mov_b32 v28, v27 :: v_dual_mov_b32 v27, v14
	s_delay_alu instid0(VALU_DEP_1) | instskip(NEXT) | instid1(VALU_DEP_2)
	v_mul_u64_e32 v[32:33], v[20:21], v[28:29]
	v_mul_u64_e32 v[34:35], v[30:31], v[26:27]
	;; [unrolled: 1-line block ×3, first 2 shown]
	v_mul_hi_u32 v26, v20, v26
	s_delay_alu instid0(VALU_DEP_1) | instskip(NEXT) | instid1(VALU_DEP_1)
	v_add_nc_u64_e32 v[26:27], v[26:27], v[32:33]
	v_add_co_u32 v15, vcc_lo, v26, v34
	s_delay_alu instid0(VALU_DEP_2) | instskip(SKIP_1) | instid1(VALU_DEP_1)
	v_add_co_ci_u32_e32 v30, vcc_lo, v27, v35, vcc_lo
	v_add_co_ci_u32_e32 v29, vcc_lo, 0, v29, vcc_lo
	v_add_nc_u64_e32 v[26:27], v[30:31], v[28:29]
	s_delay_alu instid0(VALU_DEP_1) | instskip(NEXT) | instid1(VALU_DEP_1)
	v_add_co_u32 v20, vcc_lo, v20, v26
	v_add_co_ci_u32_e64 v24, null, v25, v27, vcc_lo
	v_dual_mov_b32 v27, v14 :: v_dual_mov_b32 v25, v14
	s_delay_alu instid0(VALU_DEP_2) | instskip(NEXT) | instid1(VALU_DEP_1)
	v_mov_b32_e32 v21, v24
	v_mul_u64_e32 v[22:23], v[22:23], v[20:21]
	s_delay_alu instid0(VALU_DEP_1) | instskip(NEXT) | instid1(VALU_DEP_2)
	v_dual_mov_b32 v21, v14 :: v_dual_mov_b32 v26, v23
	v_dual_mov_b32 v30, v22 :: v_dual_mov_b32 v23, v14
	v_mul_hi_u32 v22, v20, v22
	s_delay_alu instid0(VALU_DEP_3) | instskip(NEXT) | instid1(VALU_DEP_3)
	v_mul_u64_e32 v[28:29], v[20:21], v[26:27]
	v_mul_u64_e32 v[30:31], v[24:25], v[30:31]
	;; [unrolled: 1-line block ×3, first 2 shown]
	s_delay_alu instid0(VALU_DEP_3) | instskip(SKIP_1) | instid1(VALU_DEP_2)
	v_add_nc_u64_e32 v[22:23], v[22:23], v[28:29]
	v_mov_b32_e32 v29, v14
	v_add_co_u32 v15, vcc_lo, v22, v30
	s_delay_alu instid0(VALU_DEP_3) | instskip(SKIP_1) | instid1(VALU_DEP_1)
	v_add_co_ci_u32_e32 v28, vcc_lo, v23, v31, vcc_lo
	v_add_co_ci_u32_e32 v27, vcc_lo, 0, v27, vcc_lo
	v_add_nc_u64_e32 v[22:23], v[28:29], v[26:27]
	v_dual_mov_b32 v26, v16 :: v_dual_mov_b32 v27, v14
	s_delay_alu instid0(VALU_DEP_2) | instskip(NEXT) | instid1(VALU_DEP_1)
	v_add_co_u32 v22, vcc_lo, v20, v22
	v_add_co_ci_u32_e64 v20, null, v24, v23, vcc_lo
	v_dual_mov_b32 v24, v17 :: v_dual_mov_b32 v23, v14
	s_delay_alu instid0(VALU_DEP_2) | instskip(NEXT) | instid1(VALU_DEP_2)
	v_mul_u64_e32 v[26:27], v[26:27], v[20:21]
	v_mul_u64_e32 v[20:21], v[24:25], v[20:21]
	s_delay_alu instid0(VALU_DEP_3) | instskip(SKIP_1) | instid1(VALU_DEP_1)
	v_mul_u64_e32 v[28:29], v[24:25], v[22:23]
	v_mul_hi_u32 v22, v16, v22
	v_add_nc_u64_e32 v[22:23], v[22:23], v[26:27]
	s_delay_alu instid0(VALU_DEP_1) | instskip(NEXT) | instid1(VALU_DEP_2)
	v_add_co_u32 v15, vcc_lo, v22, v28
	v_add_co_ci_u32_e32 v24, vcc_lo, v23, v29, vcc_lo
	v_add_co_ci_u32_e32 v21, vcc_lo, 0, v21, vcc_lo
	s_delay_alu instid0(VALU_DEP_1) | instskip(NEXT) | instid1(VALU_DEP_1)
	v_add_nc_u64_e32 v[20:21], v[24:25], v[20:21]
	v_mul_u64_e32 v[20:21], v[18:19], v[20:21]
	s_delay_alu instid0(VALU_DEP_1) | instskip(NEXT) | instid1(VALU_DEP_2)
	v_sub_nc_u32_e32 v15, v17, v21
	v_sub_co_u32 v16, vcc_lo, v16, v20
	s_delay_alu instid0(VALU_DEP_1) | instskip(NEXT) | instid1(VALU_DEP_3)
	v_sub_co_ci_u32_e64 v17, null, v17, v21, vcc_lo
	v_sub_co_ci_u32_e64 v15, null, v15, v19, vcc_lo
	s_delay_alu instid0(VALU_DEP_3) | instskip(SKIP_1) | instid1(VALU_DEP_3)
	v_sub_co_u32 v20, vcc_lo, v16, v18
	v_cmp_ge_u32_e64 s0, v16, v18
	v_subrev_co_ci_u32_e64 v21, null, 0, v15, vcc_lo
	v_sub_co_ci_u32_e64 v15, null, v15, v19, vcc_lo
	s_delay_alu instid0(VALU_DEP_3) | instskip(SKIP_2) | instid1(VALU_DEP_2)
	v_cndmask_b32_e64 v22, 0, -1, s0
	v_cmp_ge_u32_e64 s0, v20, v18
	v_cmp_ge_u32_e32 vcc_lo, v17, v19
	v_cndmask_b32_e64 v23, 0, -1, s0
	v_cmp_ge_u32_e64 s0, v21, v19
	v_cndmask_b32_e64 v25, 0, -1, vcc_lo
	v_cmp_eq_u32_e32 vcc_lo, v21, v19
	s_delay_alu instid0(VALU_DEP_3) | instskip(SKIP_1) | instid1(VALU_DEP_1)
	v_cndmask_b32_e64 v24, 0, -1, s0
	v_cmp_eq_u32_e64 s0, v17, v19
	v_dual_cndmask_b32 v23, v24, v23, vcc_lo :: v_dual_cndmask_b32 v22, v25, v22, s0
	v_sub_co_u32 v24, vcc_lo, v20, v18
	s_delay_alu instid0(VALU_DEP_1) | instskip(NEXT) | instid1(VALU_DEP_3)
	v_subrev_co_ci_u32_e64 v15, null, 0, v15, vcc_lo
	v_cmp_ne_u32_e32 vcc_lo, 0, v23
	s_delay_alu instid0(VALU_DEP_2) | instskip(SKIP_1) | instid1(VALU_DEP_2)
	v_dual_cndmask_b32 v15, v21, v15 :: v_dual_cndmask_b32 v20, v20, v24
	v_cmp_ne_u32_e32 vcc_lo, 0, v22
	v_dual_cndmask_b32 v21, v17, v15 :: v_dual_cndmask_b32 v20, v16, v20
                                        ; implicit-def: $vgpr16_vgpr17
.LBB66_34:                              ;   in Loop: Header=BB66_32 Depth=1
	s_and_not1_saveexec_b32 s0, s13
	s_cbranch_execz .LBB66_31
; %bb.35:                               ;   in Loop: Header=BB66_32 Depth=1
	v_cvt_f32_u32_e32 v15, v18
	v_dual_sub_nc_u32 v17, 0, v18 :: v_dual_mov_b32 v21, v14
	s_delay_alu instid0(VALU_DEP_2) | instskip(SKIP_1) | instid1(TRANS32_DEP_1)
	v_rcp_iflag_f32_e32 v15, v15
	v_nop
	v_mul_f32_e32 v15, 0x4f7ffffe, v15
	s_delay_alu instid0(VALU_DEP_1) | instskip(NEXT) | instid1(VALU_DEP_1)
	v_cvt_u32_f32_e32 v15, v15
	v_mul_lo_u32 v17, v17, v15
	s_delay_alu instid0(VALU_DEP_1) | instskip(NEXT) | instid1(VALU_DEP_1)
	v_mul_hi_u32 v17, v15, v17
	v_add_nc_u32_e32 v15, v15, v17
	s_delay_alu instid0(VALU_DEP_1) | instskip(NEXT) | instid1(VALU_DEP_1)
	v_mul_hi_u32 v15, v16, v15
	v_mul_lo_u32 v15, v15, v18
	s_delay_alu instid0(VALU_DEP_1) | instskip(NEXT) | instid1(VALU_DEP_1)
	v_sub_nc_u32_e32 v15, v16, v15
	v_sub_nc_u32_e32 v16, v15, v18
	v_cmp_ge_u32_e32 vcc_lo, v15, v18
	s_delay_alu instid0(VALU_DEP_2) | instskip(NEXT) | instid1(VALU_DEP_1)
	v_cndmask_b32_e32 v15, v15, v16, vcc_lo
	v_sub_nc_u32_e32 v16, v15, v18
	v_cmp_ge_u32_e32 vcc_lo, v15, v18
	s_delay_alu instid0(VALU_DEP_2)
	v_cndmask_b32_e32 v20, v15, v16, vcc_lo
	s_branch .LBB66_31
.LBB66_36:
	s_or_b32 exec_lo, exec_lo, s3
	v_mov_b64_e32 v[16:17], v[18:19]
.LBB66_37:
	s_or_b32 exec_lo, exec_lo, s1
	v_mov_b64_e32 v[14:15], 0
	s_mov_b32 s1, exec_lo
	s_delay_alu instid0(VALU_DEP_2)
	v_cmpx_ne_u64_e32 0, v[16:17]
	s_cbranch_execz .LBB66_43
; %bb.38:
	v_dual_mov_b32 v14, 0 :: v_dual_bitop2_b32 v15, v7, v17 bitop3:0x54
                                        ; implicit-def: $vgpr18_vgpr19
	s_mov_b32 s0, exec_lo
	s_delay_alu instid0(VALU_DEP_1)
	v_cmpx_ne_u64_e32 0, v[14:15]
	s_xor_b32 s3, exec_lo, s0
	s_cbranch_execz .LBB66_40
; %bb.39:
	v_dual_mov_b32 v21, v14 :: v_dual_ashrrev_i32 v18, 31, v17
	v_dual_mov_b32 v29, v14 :: v_dual_mov_b32 v31, v14
	s_delay_alu instid0(VALU_DEP_2) | instskip(NEXT) | instid1(VALU_DEP_1)
	v_mov_b32_e32 v19, v18
	v_add_nc_u64_e32 v[16:17], v[16:17], v[18:19]
	s_delay_alu instid0(VALU_DEP_1) | instskip(NEXT) | instid1(VALU_DEP_2)
	v_xor_b32_e32 v16, v16, v18
	v_xor_b32_e32 v17, v17, v18
	s_delay_alu instid0(VALU_DEP_2) | instskip(NEXT) | instid1(VALU_DEP_2)
	v_cvt_f32_u32_e32 v15, v16
	v_cvt_f32_u32_e32 v19, v17
	s_delay_alu instid0(VALU_DEP_1) | instskip(NEXT) | instid1(VALU_DEP_1)
	v_fmamk_f32 v15, v19, 0x4f800000, v15
	v_rcp_f32_e32 v15, v15
	v_nop
	s_delay_alu instid0(TRANS32_DEP_1) | instskip(NEXT) | instid1(VALU_DEP_1)
	v_mul_f32_e32 v15, 0x5f7ffffc, v15
	v_mul_f32_e32 v19, 0x2f800000, v15
	s_delay_alu instid0(VALU_DEP_1) | instskip(NEXT) | instid1(VALU_DEP_1)
	v_trunc_f32_e32 v19, v19
	v_fmamk_f32 v15, v19, 0xcf800000, v15
	v_cvt_u32_f32_e32 v25, v19
	s_delay_alu instid0(VALU_DEP_2) | instskip(NEXT) | instid1(VALU_DEP_1)
	v_cvt_u32_f32_e32 v20, v15
	v_dual_mov_b32 v30, v25 :: v_dual_mov_b32 v24, v20
	v_sub_nc_u64_e32 v[22:23], 0, v[16:17]
	s_delay_alu instid0(VALU_DEP_1) | instskip(NEXT) | instid1(VALU_DEP_1)
	v_mul_u64_e32 v[26:27], v[22:23], v[24:25]
	v_dual_mov_b32 v28, v27 :: v_dual_mov_b32 v27, v14
	s_delay_alu instid0(VALU_DEP_1) | instskip(NEXT) | instid1(VALU_DEP_2)
	v_mul_u64_e32 v[32:33], v[20:21], v[28:29]
	v_mul_u64_e32 v[34:35], v[30:31], v[26:27]
	v_mul_u64_e32 v[28:29], v[30:31], v[28:29]
	v_mul_hi_u32 v26, v20, v26
	s_delay_alu instid0(VALU_DEP_1) | instskip(SKIP_1) | instid1(VALU_DEP_2)
	v_add_nc_u64_e32 v[26:27], v[26:27], v[32:33]
	v_ashrrev_i32_e32 v32, 31, v7
	v_add_co_u32 v15, vcc_lo, v26, v34
	s_delay_alu instid0(VALU_DEP_3) | instskip(SKIP_1) | instid1(VALU_DEP_1)
	v_add_co_ci_u32_e32 v30, vcc_lo, v27, v35, vcc_lo
	v_add_co_ci_u32_e32 v29, vcc_lo, 0, v29, vcc_lo
	v_add_nc_u64_e32 v[26:27], v[30:31], v[28:29]
	s_delay_alu instid0(VALU_DEP_1) | instskip(NEXT) | instid1(VALU_DEP_1)
	v_add_co_u32 v20, vcc_lo, v20, v26
	v_add_co_ci_u32_e64 v24, null, v25, v27, vcc_lo
	v_dual_mov_b32 v25, v14 :: v_dual_mov_b32 v27, v14
	s_delay_alu instid0(VALU_DEP_2) | instskip(NEXT) | instid1(VALU_DEP_1)
	v_mov_b32_e32 v21, v24
	v_mul_u64_e32 v[22:23], v[22:23], v[20:21]
	s_delay_alu instid0(VALU_DEP_1) | instskip(NEXT) | instid1(VALU_DEP_2)
	v_dual_mov_b32 v21, v14 :: v_dual_mov_b32 v26, v23
	v_dual_mov_b32 v30, v22 :: v_dual_mov_b32 v23, v14
	v_mul_hi_u32 v22, v20, v22
	s_delay_alu instid0(VALU_DEP_3) | instskip(NEXT) | instid1(VALU_DEP_3)
	v_mul_u64_e32 v[28:29], v[20:21], v[26:27]
	v_mul_u64_e32 v[30:31], v[24:25], v[30:31]
	v_mul_u64_e32 v[26:27], v[24:25], v[26:27]
	s_delay_alu instid0(VALU_DEP_3) | instskip(SKIP_1) | instid1(VALU_DEP_2)
	v_add_nc_u64_e32 v[22:23], v[22:23], v[28:29]
	v_dual_mov_b32 v29, v14 :: v_dual_mov_b32 v33, v32
	v_add_co_u32 v15, vcc_lo, v22, v30
	s_delay_alu instid0(VALU_DEP_3) | instskip(SKIP_1) | instid1(VALU_DEP_4)
	v_add_co_ci_u32_e32 v28, vcc_lo, v23, v31, vcc_lo
	v_add_co_ci_u32_e32 v27, vcc_lo, 0, v27, vcc_lo
	v_add_nc_u64_e32 v[22:23], v[6:7], v[32:33]
	s_delay_alu instid0(VALU_DEP_2) | instskip(NEXT) | instid1(VALU_DEP_2)
	v_add_nc_u64_e32 v[26:27], v[28:29], v[26:27]
	v_xor_b32_e32 v28, v22, v32
	s_delay_alu instid0(VALU_DEP_2) | instskip(NEXT) | instid1(VALU_DEP_1)
	v_add_co_u32 v26, vcc_lo, v20, v26
	v_add_co_ci_u32_e64 v20, null, v24, v27, vcc_lo
	v_dual_mov_b32 v27, v14 :: v_dual_bitop2_b32 v24, v23, v32 bitop3:0x14
	v_mov_b32_e32 v15, v14
	s_delay_alu instid0(VALU_DEP_3) | instskip(NEXT) | instid1(VALU_DEP_3)
	v_mul_u64_e32 v[30:31], v[28:29], v[20:21]
	v_mul_u64_e32 v[22:23], v[24:25], v[26:27]
	;; [unrolled: 1-line block ×3, first 2 shown]
	v_mul_hi_u32 v26, v28, v26
	s_delay_alu instid0(VALU_DEP_1) | instskip(NEXT) | instid1(VALU_DEP_1)
	v_add_nc_u64_e32 v[26:27], v[26:27], v[30:31]
	v_add_co_u32 v7, vcc_lo, v26, v22
	s_delay_alu instid0(VALU_DEP_2) | instskip(SKIP_1) | instid1(VALU_DEP_1)
	v_add_co_ci_u32_e32 v14, vcc_lo, v27, v23, vcc_lo
	v_add_co_ci_u32_e32 v21, vcc_lo, 0, v21, vcc_lo
	v_add_nc_u64_e32 v[14:15], v[14:15], v[20:21]
	s_delay_alu instid0(VALU_DEP_1) | instskip(SKIP_1) | instid1(VALU_DEP_2)
	v_mul_u64_e32 v[20:21], v[16:17], v[14:15]
	v_add_nc_u64_e32 v[22:23], 1, v[14:15]
	v_sub_nc_u32_e32 v7, v24, v21
	s_delay_alu instid0(VALU_DEP_3) | instskip(NEXT) | instid1(VALU_DEP_1)
	v_sub_co_u32 v19, vcc_lo, v28, v20
	v_sub_co_ci_u32_e64 v24, null, v24, v21, vcc_lo
	s_delay_alu instid0(VALU_DEP_3) | instskip(NEXT) | instid1(VALU_DEP_3)
	v_sub_co_ci_u32_e64 v7, null, v7, v17, vcc_lo
	v_sub_co_u32 v20, s0, v19, v16
	s_delay_alu instid0(VALU_DEP_1) | instskip(NEXT) | instid1(VALU_DEP_2)
	v_subrev_co_ci_u32_e64 v7, null, 0, v7, s0
	v_cmp_ge_u32_e32 vcc_lo, v20, v16
	v_cndmask_b32_e64 v20, 0, -1, vcc_lo
	s_delay_alu instid0(VALU_DEP_3)
	v_cmp_ge_u32_e32 vcc_lo, v7, v17
	v_cndmask_b32_e64 v21, 0, -1, vcc_lo
	v_cmp_ge_u32_e32 vcc_lo, v19, v16
	v_cndmask_b32_e64 v16, 0, -1, vcc_lo
	;; [unrolled: 2-line block ×3, first 2 shown]
	v_cmp_eq_u32_e32 vcc_lo, v7, v17
	v_cndmask_b32_e32 v7, v21, v20, vcc_lo
	v_cmp_eq_u32_e32 vcc_lo, v24, v17
	v_add_nc_u64_e32 v[20:21], 2, v[14:15]
	v_cndmask_b32_e32 v16, v19, v16, vcc_lo
	s_delay_alu instid0(VALU_DEP_4) | instskip(NEXT) | instid1(VALU_DEP_2)
	v_cmp_ne_u32_e32 vcc_lo, 0, v7
	v_cmp_ne_u32_e64 s0, 0, v16
	s_delay_alu instid0(VALU_DEP_4) | instskip(NEXT) | instid1(VALU_DEP_1)
	v_dual_cndmask_b32 v7, v23, v21, vcc_lo :: v_dual_bitop2_b32 v16, v32, v18 bitop3:0x14
	v_dual_cndmask_b32 v17, v22, v20, vcc_lo :: v_dual_cndmask_b32 v7, v15, v7, s0
	s_delay_alu instid0(VALU_DEP_1) | instskip(NEXT) | instid1(VALU_DEP_2)
	v_dual_cndmask_b32 v14, v14, v17, s0 :: v_dual_mov_b32 v17, v16
	v_xor_b32_e32 v15, v7, v16
	s_delay_alu instid0(VALU_DEP_2) | instskip(NEXT) | instid1(VALU_DEP_1)
	v_xor_b32_e32 v14, v14, v16
	v_sub_nc_u64_e32 v[18:19], v[14:15], v[16:17]
                                        ; implicit-def: $vgpr16_vgpr17
.LBB66_40:
	s_and_not1_saveexec_b32 s0, s3
	s_cbranch_execz .LBB66_42
; %bb.41:
	v_cvt_f32_u32_e32 v7, v16
	v_dual_mov_b32 v19, 0 :: v_dual_sub_nc_u32 v14, 0, v16
	s_delay_alu instid0(VALU_DEP_2) | instskip(SKIP_1) | instid1(TRANS32_DEP_1)
	v_rcp_iflag_f32_e32 v7, v7
	v_nop
	v_mul_f32_e32 v7, 0x4f7ffffe, v7
	s_delay_alu instid0(VALU_DEP_1) | instskip(NEXT) | instid1(VALU_DEP_1)
	v_cvt_u32_f32_e32 v7, v7
	v_mul_lo_u32 v14, v14, v7
	s_delay_alu instid0(VALU_DEP_1) | instskip(NEXT) | instid1(VALU_DEP_1)
	v_mul_hi_u32 v14, v7, v14
	v_add_nc_u32_e32 v7, v7, v14
	s_delay_alu instid0(VALU_DEP_1) | instskip(NEXT) | instid1(VALU_DEP_1)
	v_mul_hi_u32 v7, v6, v7
	v_mul_lo_u32 v14, v7, v16
	s_delay_alu instid0(VALU_DEP_1) | instskip(NEXT) | instid1(VALU_DEP_1)
	v_dual_sub_nc_u32 v6, v6, v14 :: v_dual_add_nc_u32 v14, 1, v7
	v_sub_nc_u32_e32 v15, v6, v16
	v_cmp_ge_u32_e32 vcc_lo, v6, v16
	s_delay_alu instid0(VALU_DEP_2) | instskip(NEXT) | instid1(VALU_DEP_1)
	v_dual_cndmask_b32 v6, v6, v15 :: v_dual_cndmask_b32 v7, v7, v14
	v_cmp_ge_u32_e32 vcc_lo, v6, v16
	s_delay_alu instid0(VALU_DEP_2) | instskip(NEXT) | instid1(VALU_DEP_1)
	v_add_nc_u32_e32 v14, 1, v7
	v_cndmask_b32_e32 v18, v7, v14, vcc_lo
.LBB66_42:
	s_or_b32 exec_lo, exec_lo, s0
	s_delay_alu instid0(VALU_DEP_1) | instskip(NEXT) | instid1(VALU_DEP_1)
	v_mul_u64_e32 v[2:3], v[18:19], v[2:3]
	v_sub_nc_u64_e32 v[6:7], 0, v[2:3]
	s_delay_alu instid0(VALU_DEP_1)
	v_max_i64 v[14:15], v[2:3], v[6:7]
.LBB66_43:
	s_or_b32 exec_lo, exec_lo, s1
	v_sub_nc_u64_e32 v[2:3], 0, v[4:5]
	s_mov_b32 s1, exec_lo
	s_delay_alu instid0(VALU_DEP_1)
	v_max_i64 v[2:3], v[4:5], v[2:3]
	v_cmpx_ne_u64_e32 0, v[8:9]
	s_cbranch_execz .LBB66_51
; %bb.44:
	v_sub_nc_u64_e32 v[6:7], 0, v[8:9]
	s_mov_b32 s3, 0
	s_delay_alu instid0(VALU_DEP_1)
	v_max_i64 v[18:19], v[8:9], v[6:7]
	v_mov_b32_e32 v6, 0
	s_branch .LBB66_46
.LBB66_45:                              ;   in Loop: Header=BB66_46 Depth=1
	s_or_b32 exec_lo, exec_lo, s0
	s_delay_alu instid0(VALU_DEP_1) | instskip(SKIP_2) | instid1(SALU_CYCLE_1)
	v_cmp_eq_u64_e32 vcc_lo, 0, v[18:19]
	v_mov_b64_e32 v[2:3], v[16:17]
	s_or_b32 s3, vcc_lo, s3
	s_and_not1_b32 exec_lo, exec_lo, s3
	s_cbranch_execz .LBB66_50
.LBB66_46:                              ; =>This Inner Loop Header: Depth=1
	s_delay_alu instid0(VALU_DEP_2) | instskip(SKIP_1) | instid1(VALU_DEP_1)
	v_mov_b64_e32 v[16:17], v[18:19]
                                        ; implicit-def: $vgpr18_vgpr19
	s_mov_b32 s0, exec_lo
	v_or_b32_e32 v7, v3, v17
	s_delay_alu instid0(VALU_DEP_1)
	v_cmpx_ne_u64_e32 0, v[6:7]
	s_xor_b32 s13, exec_lo, s0
	s_cbranch_execz .LBB66_48
; %bb.47:                               ;   in Loop: Header=BB66_46 Depth=1
	s_delay_alu instid0(VALU_DEP_3) | instskip(SKIP_3) | instid1(VALU_DEP_3)
	v_cvt_f32_u32_e32 v7, v16
	v_cvt_f32_u32_e32 v18, v17
	v_sub_nc_u64_e32 v[20:21], 0, v[16:17]
	v_dual_mov_b32 v27, v6 :: v_dual_mov_b32 v29, v6
	v_fmac_f32_e32 v7, 0x4f800000, v18
	s_delay_alu instid0(VALU_DEP_1) | instskip(SKIP_1) | instid1(TRANS32_DEP_1)
	v_rcp_f32_e32 v7, v7
	v_nop
	v_mul_f32_e32 v7, 0x5f7ffffc, v7
	s_delay_alu instid0(VALU_DEP_1) | instskip(NEXT) | instid1(VALU_DEP_1)
	v_mul_f32_e32 v18, 0x2f800000, v7
	v_trunc_f32_e32 v19, v18
	s_delay_alu instid0(VALU_DEP_1) | instskip(SKIP_1) | instid1(VALU_DEP_2)
	v_cvt_u32_f32_e32 v23, v19
	v_fmac_f32_e32 v7, 0xcf800000, v19
	v_dual_mov_b32 v19, v6 :: v_dual_mov_b32 v28, v23
	s_delay_alu instid0(VALU_DEP_2) | instskip(NEXT) | instid1(VALU_DEP_1)
	v_cvt_u32_f32_e32 v18, v7
	v_mov_b32_e32 v22, v18
	s_delay_alu instid0(VALU_DEP_1) | instskip(NEXT) | instid1(VALU_DEP_1)
	v_mul_u64_e32 v[24:25], v[20:21], v[22:23]
	v_dual_mov_b32 v26, v25 :: v_dual_mov_b32 v25, v6
	s_delay_alu instid0(VALU_DEP_1) | instskip(NEXT) | instid1(VALU_DEP_2)
	v_mul_u64_e32 v[30:31], v[18:19], v[26:27]
	v_mul_u64_e32 v[32:33], v[28:29], v[24:25]
	;; [unrolled: 1-line block ×3, first 2 shown]
	v_mul_hi_u32 v24, v18, v24
	s_delay_alu instid0(VALU_DEP_1) | instskip(NEXT) | instid1(VALU_DEP_1)
	v_add_nc_u64_e32 v[24:25], v[24:25], v[30:31]
	v_add_co_u32 v7, vcc_lo, v24, v32
	s_delay_alu instid0(VALU_DEP_2) | instskip(SKIP_1) | instid1(VALU_DEP_1)
	v_add_co_ci_u32_e32 v28, vcc_lo, v25, v33, vcc_lo
	v_add_co_ci_u32_e32 v27, vcc_lo, 0, v27, vcc_lo
	v_add_nc_u64_e32 v[24:25], v[28:29], v[26:27]
	s_delay_alu instid0(VALU_DEP_1) | instskip(NEXT) | instid1(VALU_DEP_1)
	v_add_co_u32 v18, vcc_lo, v18, v24
	v_add_co_ci_u32_e64 v22, null, v23, v25, vcc_lo
	v_dual_mov_b32 v25, v6 :: v_dual_mov_b32 v23, v6
	s_delay_alu instid0(VALU_DEP_2) | instskip(NEXT) | instid1(VALU_DEP_1)
	v_mov_b32_e32 v19, v22
	v_mul_u64_e32 v[20:21], v[20:21], v[18:19]
	s_delay_alu instid0(VALU_DEP_1) | instskip(NEXT) | instid1(VALU_DEP_2)
	v_dual_mov_b32 v19, v6 :: v_dual_mov_b32 v24, v21
	v_dual_mov_b32 v28, v20 :: v_dual_mov_b32 v21, v6
	v_mul_hi_u32 v20, v18, v20
	s_delay_alu instid0(VALU_DEP_3) | instskip(NEXT) | instid1(VALU_DEP_3)
	v_mul_u64_e32 v[26:27], v[18:19], v[24:25]
	v_mul_u64_e32 v[28:29], v[22:23], v[28:29]
	;; [unrolled: 1-line block ×3, first 2 shown]
	s_delay_alu instid0(VALU_DEP_3) | instskip(SKIP_1) | instid1(VALU_DEP_2)
	v_add_nc_u64_e32 v[20:21], v[20:21], v[26:27]
	v_mov_b32_e32 v27, v6
	v_add_co_u32 v7, vcc_lo, v20, v28
	s_delay_alu instid0(VALU_DEP_3) | instskip(SKIP_1) | instid1(VALU_DEP_1)
	v_add_co_ci_u32_e32 v26, vcc_lo, v21, v29, vcc_lo
	v_add_co_ci_u32_e32 v25, vcc_lo, 0, v25, vcc_lo
	v_add_nc_u64_e32 v[20:21], v[26:27], v[24:25]
	v_dual_mov_b32 v24, v2 :: v_dual_mov_b32 v25, v6
	s_delay_alu instid0(VALU_DEP_2) | instskip(NEXT) | instid1(VALU_DEP_1)
	v_add_co_u32 v20, vcc_lo, v18, v20
	v_add_co_ci_u32_e64 v18, null, v22, v21, vcc_lo
	v_dual_mov_b32 v22, v3 :: v_dual_mov_b32 v21, v6
	s_delay_alu instid0(VALU_DEP_2) | instskip(NEXT) | instid1(VALU_DEP_2)
	v_mul_u64_e32 v[24:25], v[24:25], v[18:19]
	v_mul_u64_e32 v[18:19], v[22:23], v[18:19]
	s_delay_alu instid0(VALU_DEP_3) | instskip(SKIP_1) | instid1(VALU_DEP_1)
	v_mul_u64_e32 v[26:27], v[22:23], v[20:21]
	v_mul_hi_u32 v20, v2, v20
	v_add_nc_u64_e32 v[20:21], v[20:21], v[24:25]
	s_delay_alu instid0(VALU_DEP_1) | instskip(NEXT) | instid1(VALU_DEP_2)
	v_add_co_u32 v7, vcc_lo, v20, v26
	v_add_co_ci_u32_e32 v22, vcc_lo, v21, v27, vcc_lo
	v_add_co_ci_u32_e32 v19, vcc_lo, 0, v19, vcc_lo
	s_delay_alu instid0(VALU_DEP_1) | instskip(NEXT) | instid1(VALU_DEP_1)
	v_add_nc_u64_e32 v[18:19], v[22:23], v[18:19]
	v_mul_u64_e32 v[18:19], v[16:17], v[18:19]
	s_delay_alu instid0(VALU_DEP_1) | instskip(NEXT) | instid1(VALU_DEP_2)
	v_sub_nc_u32_e32 v7, v3, v19
	v_sub_co_u32 v2, vcc_lo, v2, v18
	s_delay_alu instid0(VALU_DEP_1) | instskip(NEXT) | instid1(VALU_DEP_3)
	v_sub_co_ci_u32_e64 v3, null, v3, v19, vcc_lo
	v_sub_co_ci_u32_e64 v7, null, v7, v17, vcc_lo
	s_delay_alu instid0(VALU_DEP_3) | instskip(SKIP_1) | instid1(VALU_DEP_3)
	v_sub_co_u32 v18, vcc_lo, v2, v16
	v_cmp_ge_u32_e64 s0, v2, v16
	v_subrev_co_ci_u32_e64 v19, null, 0, v7, vcc_lo
	v_sub_co_ci_u32_e64 v7, null, v7, v17, vcc_lo
	s_delay_alu instid0(VALU_DEP_3) | instskip(SKIP_2) | instid1(VALU_DEP_2)
	v_cndmask_b32_e64 v20, 0, -1, s0
	v_cmp_ge_u32_e64 s0, v18, v16
	v_cmp_ge_u32_e32 vcc_lo, v3, v17
	v_cndmask_b32_e64 v21, 0, -1, s0
	v_cmp_ge_u32_e64 s0, v19, v17
	v_cndmask_b32_e64 v23, 0, -1, vcc_lo
	v_cmp_eq_u32_e32 vcc_lo, v19, v17
	s_delay_alu instid0(VALU_DEP_3) | instskip(SKIP_1) | instid1(VALU_DEP_1)
	v_cndmask_b32_e64 v22, 0, -1, s0
	v_cmp_eq_u32_e64 s0, v3, v17
	v_dual_cndmask_b32 v21, v22, v21, vcc_lo :: v_dual_cndmask_b32 v20, v23, v20, s0
	v_sub_co_u32 v22, vcc_lo, v18, v16
	s_delay_alu instid0(VALU_DEP_1) | instskip(NEXT) | instid1(VALU_DEP_3)
	v_subrev_co_ci_u32_e64 v7, null, 0, v7, vcc_lo
	v_cmp_ne_u32_e32 vcc_lo, 0, v21
	s_delay_alu instid0(VALU_DEP_2) | instskip(SKIP_1) | instid1(VALU_DEP_2)
	v_dual_cndmask_b32 v7, v19, v7 :: v_dual_cndmask_b32 v18, v18, v22
	v_cmp_ne_u32_e32 vcc_lo, 0, v20
	v_dual_cndmask_b32 v19, v3, v7 :: v_dual_cndmask_b32 v18, v2, v18
                                        ; implicit-def: $vgpr2_vgpr3
.LBB66_48:                              ;   in Loop: Header=BB66_46 Depth=1
	s_and_not1_saveexec_b32 s0, s13
	s_cbranch_execz .LBB66_45
; %bb.49:                               ;   in Loop: Header=BB66_46 Depth=1
	v_cvt_f32_u32_e32 v3, v16
	v_dual_sub_nc_u32 v7, 0, v16 :: v_dual_mov_b32 v19, v6
	s_delay_alu instid0(VALU_DEP_2) | instskip(SKIP_1) | instid1(TRANS32_DEP_1)
	v_rcp_iflag_f32_e32 v3, v3
	v_nop
	v_mul_f32_e32 v3, 0x4f7ffffe, v3
	s_delay_alu instid0(VALU_DEP_1) | instskip(NEXT) | instid1(VALU_DEP_1)
	v_cvt_u32_f32_e32 v3, v3
	v_mul_lo_u32 v7, v7, v3
	s_delay_alu instid0(VALU_DEP_1) | instskip(NEXT) | instid1(VALU_DEP_1)
	v_mul_hi_u32 v7, v3, v7
	v_add_nc_u32_e32 v3, v3, v7
	s_delay_alu instid0(VALU_DEP_1) | instskip(NEXT) | instid1(VALU_DEP_1)
	v_mul_hi_u32 v3, v2, v3
	v_mul_lo_u32 v3, v3, v16
	s_delay_alu instid0(VALU_DEP_1) | instskip(NEXT) | instid1(VALU_DEP_1)
	v_sub_nc_u32_e32 v2, v2, v3
	v_sub_nc_u32_e32 v3, v2, v16
	v_cmp_ge_u32_e32 vcc_lo, v2, v16
	s_delay_alu instid0(VALU_DEP_2) | instskip(NEXT) | instid1(VALU_DEP_1)
	v_cndmask_b32_e32 v2, v2, v3, vcc_lo
	v_sub_nc_u32_e32 v3, v2, v16
	v_cmp_ge_u32_e32 vcc_lo, v2, v16
	s_delay_alu instid0(VALU_DEP_2)
	v_cndmask_b32_e32 v18, v2, v3, vcc_lo
	s_branch .LBB66_45
.LBB66_50:
	s_or_b32 exec_lo, exec_lo, s3
	v_mov_b64_e32 v[2:3], v[16:17]
.LBB66_51:
	s_or_b32 exec_lo, exec_lo, s1
	v_mov_b64_e32 v[16:17], 0
	s_mov_b32 s1, exec_lo
	s_delay_alu instid0(VALU_DEP_2)
	v_cmpx_ne_u64_e32 0, v[2:3]
	s_cbranch_execz .LBB66_57
; %bb.52:
	v_dual_mov_b32 v6, 0 :: v_dual_bitop2_b32 v7, v9, v3 bitop3:0x54
                                        ; implicit-def: $vgpr16_vgpr17
	s_mov_b32 s0, exec_lo
	s_delay_alu instid0(VALU_DEP_1)
	v_cmpx_ne_u64_e32 0, v[6:7]
	s_xor_b32 s3, exec_lo, s0
	s_cbranch_execz .LBB66_54
; %bb.53:
	v_dual_mov_b32 v19, v6 :: v_dual_ashrrev_i32 v16, 31, v3
	v_dual_mov_b32 v27, v6 :: v_dual_mov_b32 v29, v6
	s_delay_alu instid0(VALU_DEP_2) | instskip(NEXT) | instid1(VALU_DEP_1)
	v_mov_b32_e32 v17, v16
	v_add_nc_u64_e32 v[2:3], v[2:3], v[16:17]
	s_delay_alu instid0(VALU_DEP_1) | instskip(NEXT) | instid1(VALU_DEP_2)
	v_xor_b32_e32 v2, v2, v16
	v_xor_b32_e32 v3, v3, v16
	s_delay_alu instid0(VALU_DEP_2) | instskip(NEXT) | instid1(VALU_DEP_2)
	v_cvt_f32_u32_e32 v7, v2
	v_cvt_f32_u32_e32 v17, v3
	s_delay_alu instid0(VALU_DEP_1) | instskip(NEXT) | instid1(VALU_DEP_1)
	v_fmamk_f32 v7, v17, 0x4f800000, v7
	v_rcp_f32_e32 v7, v7
	v_nop
	s_delay_alu instid0(TRANS32_DEP_1) | instskip(NEXT) | instid1(VALU_DEP_1)
	v_mul_f32_e32 v7, 0x5f7ffffc, v7
	v_mul_f32_e32 v17, 0x2f800000, v7
	s_delay_alu instid0(VALU_DEP_1) | instskip(NEXT) | instid1(VALU_DEP_1)
	v_trunc_f32_e32 v17, v17
	v_fmamk_f32 v7, v17, 0xcf800000, v7
	v_cvt_u32_f32_e32 v23, v17
	s_delay_alu instid0(VALU_DEP_2) | instskip(NEXT) | instid1(VALU_DEP_1)
	v_cvt_u32_f32_e32 v18, v7
	v_dual_mov_b32 v28, v23 :: v_dual_mov_b32 v22, v18
	v_sub_nc_u64_e32 v[20:21], 0, v[2:3]
	s_delay_alu instid0(VALU_DEP_1) | instskip(NEXT) | instid1(VALU_DEP_1)
	v_mul_u64_e32 v[24:25], v[20:21], v[22:23]
	v_dual_mov_b32 v26, v25 :: v_dual_mov_b32 v25, v6
	s_delay_alu instid0(VALU_DEP_1) | instskip(NEXT) | instid1(VALU_DEP_2)
	v_mul_u64_e32 v[30:31], v[18:19], v[26:27]
	v_mul_u64_e32 v[32:33], v[28:29], v[24:25]
	v_mul_u64_e32 v[26:27], v[28:29], v[26:27]
	v_mul_hi_u32 v24, v18, v24
	s_delay_alu instid0(VALU_DEP_1) | instskip(SKIP_1) | instid1(VALU_DEP_2)
	v_add_nc_u64_e32 v[24:25], v[24:25], v[30:31]
	v_ashrrev_i32_e32 v30, 31, v9
	v_add_co_u32 v7, vcc_lo, v24, v32
	s_delay_alu instid0(VALU_DEP_3) | instskip(SKIP_1) | instid1(VALU_DEP_1)
	v_add_co_ci_u32_e32 v28, vcc_lo, v25, v33, vcc_lo
	v_add_co_ci_u32_e32 v27, vcc_lo, 0, v27, vcc_lo
	v_add_nc_u64_e32 v[24:25], v[28:29], v[26:27]
	s_delay_alu instid0(VALU_DEP_1) | instskip(NEXT) | instid1(VALU_DEP_1)
	v_add_co_u32 v18, vcc_lo, v18, v24
	v_add_co_ci_u32_e64 v22, null, v23, v25, vcc_lo
	v_dual_mov_b32 v23, v6 :: v_dual_mov_b32 v25, v6
	s_delay_alu instid0(VALU_DEP_2) | instskip(NEXT) | instid1(VALU_DEP_1)
	v_mov_b32_e32 v19, v22
	v_mul_u64_e32 v[20:21], v[20:21], v[18:19]
	s_delay_alu instid0(VALU_DEP_1) | instskip(NEXT) | instid1(VALU_DEP_2)
	v_dual_mov_b32 v19, v6 :: v_dual_mov_b32 v24, v21
	v_dual_mov_b32 v28, v20 :: v_dual_mov_b32 v21, v6
	v_mul_hi_u32 v20, v18, v20
	s_delay_alu instid0(VALU_DEP_3) | instskip(NEXT) | instid1(VALU_DEP_3)
	v_mul_u64_e32 v[26:27], v[18:19], v[24:25]
	v_mul_u64_e32 v[28:29], v[22:23], v[28:29]
	;; [unrolled: 1-line block ×3, first 2 shown]
	s_delay_alu instid0(VALU_DEP_3) | instskip(SKIP_1) | instid1(VALU_DEP_2)
	v_add_nc_u64_e32 v[20:21], v[20:21], v[26:27]
	v_dual_mov_b32 v27, v6 :: v_dual_mov_b32 v31, v30
	v_add_co_u32 v7, vcc_lo, v20, v28
	s_delay_alu instid0(VALU_DEP_3) | instskip(SKIP_2) | instid1(VALU_DEP_2)
	v_add_co_ci_u32_e32 v26, vcc_lo, v21, v29, vcc_lo
	v_add_co_ci_u32_e32 v25, vcc_lo, 0, v25, vcc_lo
	v_mov_b32_e32 v7, v6
	v_add_nc_u64_e32 v[20:21], v[26:27], v[24:25]
	v_mov_b32_e32 v25, v6
	v_add_nc_u64_e32 v[8:9], v[8:9], v[30:31]
	s_delay_alu instid0(VALU_DEP_3) | instskip(NEXT) | instid1(VALU_DEP_2)
	v_add_co_u32 v20, vcc_lo, v18, v20
	v_xor_b32_e32 v24, v8, v30
	v_add_co_ci_u32_e64 v18, null, v22, v21, vcc_lo
	s_delay_alu instid0(VALU_DEP_4) | instskip(NEXT) | instid1(VALU_DEP_2)
	v_dual_mov_b32 v21, v6 :: v_dual_bitop2_b32 v22, v9, v30 bitop3:0x14
	v_mul_u64_e32 v[26:27], v[24:25], v[18:19]
	s_delay_alu instid0(VALU_DEP_2) | instskip(SKIP_2) | instid1(VALU_DEP_1)
	v_mul_u64_e32 v[8:9], v[22:23], v[20:21]
	v_mul_u64_e32 v[18:19], v[22:23], v[18:19]
	v_mul_hi_u32 v20, v24, v20
	v_add_nc_u64_e32 v[20:21], v[20:21], v[26:27]
	s_delay_alu instid0(VALU_DEP_1) | instskip(NEXT) | instid1(VALU_DEP_2)
	v_add_co_u32 v6, vcc_lo, v20, v8
	v_add_co_ci_u32_e32 v6, vcc_lo, v21, v9, vcc_lo
	v_add_co_ci_u32_e32 v19, vcc_lo, 0, v19, vcc_lo
	s_delay_alu instid0(VALU_DEP_1) | instskip(NEXT) | instid1(VALU_DEP_1)
	v_add_nc_u64_e32 v[6:7], v[6:7], v[18:19]
	v_mul_u64_e32 v[8:9], v[2:3], v[6:7]
	s_delay_alu instid0(VALU_DEP_1) | instskip(NEXT) | instid1(VALU_DEP_2)
	v_sub_nc_u32_e32 v17, v22, v9
	v_sub_co_u32 v8, vcc_lo, v24, v8
	s_delay_alu instid0(VALU_DEP_1) | instskip(NEXT) | instid1(VALU_DEP_3)
	v_sub_co_ci_u32_e64 v20, null, v22, v9, vcc_lo
	v_sub_co_ci_u32_e64 v17, null, v17, v3, vcc_lo
	s_delay_alu instid0(VALU_DEP_3) | instskip(NEXT) | instid1(VALU_DEP_1)
	v_sub_co_u32 v18, s0, v8, v2
	v_subrev_co_ci_u32_e64 v17, null, 0, v17, s0
	s_delay_alu instid0(VALU_DEP_2) | instskip(SKIP_1) | instid1(VALU_DEP_3)
	v_cmp_ge_u32_e32 vcc_lo, v18, v2
	v_cndmask_b32_e64 v9, 0, -1, vcc_lo
	v_cmp_ge_u32_e32 vcc_lo, v17, v3
	v_cndmask_b32_e64 v18, 0, -1, vcc_lo
	;; [unrolled: 2-line block ×4, first 2 shown]
	v_cmp_eq_u32_e32 vcc_lo, v17, v3
	v_cndmask_b32_e32 v17, v18, v9, vcc_lo
	v_cmp_eq_u32_e32 vcc_lo, v20, v3
	v_add_nc_u64_e32 v[8:9], 2, v[6:7]
	v_add_nc_u64_e32 v[18:19], 1, v[6:7]
	v_cndmask_b32_e32 v2, v21, v2, vcc_lo
	v_cmp_ne_u32_e32 vcc_lo, 0, v17
	s_delay_alu instid0(VALU_DEP_2) | instskip(NEXT) | instid1(VALU_DEP_4)
	v_cmp_ne_u32_e64 s0, 0, v2
	v_dual_cndmask_b32 v3, v19, v9 :: v_dual_cndmask_b32 v8, v18, v8
	s_delay_alu instid0(VALU_DEP_1) | instskip(NEXT) | instid1(VALU_DEP_2)
	v_dual_cndmask_b32 v7, v7, v3, s0 :: v_dual_bitop2_b32 v2, v30, v16 bitop3:0x14
	v_cndmask_b32_e64 v6, v6, v8, s0
	s_delay_alu instid0(VALU_DEP_2) | instskip(NEXT) | instid1(VALU_DEP_3)
	v_mov_b32_e32 v3, v2
                                        ; implicit-def: $vgpr8_vgpr9
	v_xor_b32_e32 v7, v7, v2
	s_delay_alu instid0(VALU_DEP_3) | instskip(NEXT) | instid1(VALU_DEP_1)
	v_xor_b32_e32 v6, v6, v2
	v_sub_nc_u64_e32 v[16:17], v[6:7], v[2:3]
                                        ; implicit-def: $vgpr2_vgpr3
.LBB66_54:
	s_and_not1_saveexec_b32 s0, s3
	s_cbranch_execz .LBB66_56
; %bb.55:
	v_cvt_f32_u32_e32 v3, v2
	v_dual_mov_b32 v17, 0 :: v_dual_sub_nc_u32 v6, 0, v2
	s_delay_alu instid0(VALU_DEP_2) | instskip(SKIP_1) | instid1(TRANS32_DEP_1)
	v_rcp_iflag_f32_e32 v3, v3
	v_nop
	v_mul_f32_e32 v3, 0x4f7ffffe, v3
	s_delay_alu instid0(VALU_DEP_1) | instskip(NEXT) | instid1(VALU_DEP_1)
	v_cvt_u32_f32_e32 v3, v3
	v_mul_lo_u32 v6, v6, v3
	s_delay_alu instid0(VALU_DEP_1) | instskip(NEXT) | instid1(VALU_DEP_1)
	v_mul_hi_u32 v6, v3, v6
	v_add_nc_u32_e32 v3, v3, v6
	s_delay_alu instid0(VALU_DEP_1) | instskip(NEXT) | instid1(VALU_DEP_1)
	v_mul_hi_u32 v3, v8, v3
	v_mul_lo_u32 v6, v3, v2
	s_delay_alu instid0(VALU_DEP_1) | instskip(NEXT) | instid1(VALU_DEP_1)
	v_dual_sub_nc_u32 v6, v8, v6 :: v_dual_add_nc_u32 v7, 1, v3
	v_sub_nc_u32_e32 v8, v6, v2
	v_cmp_ge_u32_e32 vcc_lo, v6, v2
	s_delay_alu instid0(VALU_DEP_2) | instskip(NEXT) | instid1(VALU_DEP_1)
	v_dual_cndmask_b32 v6, v6, v8 :: v_dual_cndmask_b32 v3, v3, v7
	v_cmp_ge_u32_e32 vcc_lo, v6, v2
	s_delay_alu instid0(VALU_DEP_2) | instskip(NEXT) | instid1(VALU_DEP_1)
	v_add_nc_u32_e32 v7, 1, v3
	v_cndmask_b32_e32 v16, v3, v7, vcc_lo
.LBB66_56:
	s_or_b32 exec_lo, exec_lo, s0
	s_delay_alu instid0(VALU_DEP_1) | instskip(NEXT) | instid1(VALU_DEP_1)
	v_mul_u64_e32 v[2:3], v[16:17], v[4:5]
	v_sub_nc_u64_e32 v[4:5], 0, v[2:3]
	s_delay_alu instid0(VALU_DEP_1)
	v_max_i64 v[16:17], v[2:3], v[4:5]
.LBB66_57:
	s_or_b32 exec_lo, exec_lo, s1
	s_add_nc_u64 s[10:11], s[4:5], s[10:11]
	s_mov_b32 s0, 0
	s_clause 0x1
	global_store_b128 v1, v[10:13], s[10:11]
	global_store_b128 v1, v[14:17], s[10:11] offset:16
.LBB66_58:
	s_and_b32 vcc_lo, exec_lo, s0
	s_cbranch_vccz .LBB66_139
; %bb.59:
	s_wait_xcnt 0x0
	v_mov_b64_e32 v[16:17], 0
	v_mov_b64_e32 v[18:19], 0
	;; [unrolled: 1-line block ×3, first 2 shown]
	v_cmp_gt_i32_e64 s0, s12, v0
	v_dual_mov_b32 v6, v0 :: v_dual_bitop2_b32 v1, s2, v0 bitop3:0x54
	v_or_b32_e32 v26, 0x100, v0
	s_and_saveexec_b32 s1, s0
	s_cbranch_execz .LBB66_61
; %bb.60:
	s_clause 0x1
	global_load_b64 v[18:19], v1, s[6:7] scale_offset
	global_load_b64 v[12:13], v1, s[8:9] scale_offset
	v_or_b32_e32 v6, 0x100, v0
.LBB66_61:
	s_wait_xcnt 0x0
	s_or_b32 exec_lo, exec_lo, s1
	v_mov_b64_e32 v[14:15], 0
	s_mov_b32 s1, exec_lo
	v_cmpx_gt_i32_e64 s12, v6
	s_cbranch_execz .LBB66_63
; %bb.62:
	v_add_nc_u32_e32 v2, s2, v6
	v_add_nc_u32_e32 v6, 0x100, v6
	s_clause 0x1
	global_load_b64 v[16:17], v2, s[6:7] scale_offset
	global_load_b64 v[14:15], v2, s[8:9] scale_offset
.LBB66_63:
	s_wait_xcnt 0x0
	s_or_b32 exec_lo, exec_lo, s1
	v_mov_b64_e32 v[4:5], 0
	v_mov_b64_e32 v[10:11], 0
	;; [unrolled: 1-line block ×3, first 2 shown]
	s_mov_b32 s1, exec_lo
	v_cmpx_gt_i32_e64 s12, v6
	s_cbranch_execz .LBB66_65
; %bb.64:
	v_add_nc_u32_e32 v2, s2, v6
	v_add_nc_u32_e32 v6, 0x100, v6
	s_clause 0x1
	global_load_b64 v[10:11], v2, s[6:7] scale_offset
	global_load_b64 v[8:9], v2, s[8:9] scale_offset
.LBB66_65:
	s_wait_xcnt 0x0
	s_or_b32 exec_lo, exec_lo, s1
	v_mov_b64_e32 v[2:3], 0
	s_mov_b32 s1, exec_lo
	v_cmpx_gt_i32_e64 s12, v6
	s_cbranch_execz .LBB66_67
; %bb.66:
	v_add_nc_u32_e32 v6, s2, v6
	s_clause 0x1
	global_load_b64 v[4:5], v6, s[6:7] scale_offset
	global_load_b64 v[2:3], v6, s[8:9] scale_offset
	s_wait_xcnt 0x0
	s_or_b32 exec_lo, exec_lo, s1
                                        ; implicit-def: $vgpr6_vgpr7
	s_and_saveexec_b32 s3, s0
	s_cbranch_execz .LBB66_83
	s_branch .LBB66_68
.LBB66_67:
	s_or_b32 exec_lo, exec_lo, s1
                                        ; implicit-def: $vgpr6_vgpr7
	s_and_saveexec_b32 s3, s0
	s_cbranch_execz .LBB66_83
.LBB66_68:
	s_wait_loadcnt 0x0
	v_sub_nc_u64_e32 v[6:7], 0, v[12:13]
	s_mov_b32 s6, exec_lo
	s_delay_alu instid0(VALU_DEP_1)
	v_max_i64 v[20:21], v[12:13], v[6:7]
	v_cmpx_ne_u64_e32 0, v[18:19]
	s_cbranch_execz .LBB66_76
; %bb.69:
	v_sub_nc_u64_e32 v[6:7], 0, v[18:19]
	s_mov_b32 s7, 0
	s_delay_alu instid0(VALU_DEP_1)
	v_max_i64 v[24:25], v[18:19], v[6:7]
	v_mov_b32_e32 v6, 0
	s_branch .LBB66_71
.LBB66_70:                              ;   in Loop: Header=BB66_71 Depth=1
	s_or_b32 exec_lo, exec_lo, s1
	s_delay_alu instid0(VALU_DEP_1) | instskip(SKIP_2) | instid1(SALU_CYCLE_1)
	v_cmp_eq_u64_e32 vcc_lo, 0, v[24:25]
	v_mov_b64_e32 v[20:21], v[22:23]
	s_or_b32 s7, vcc_lo, s7
	s_and_not1_b32 exec_lo, exec_lo, s7
	s_cbranch_execz .LBB66_75
.LBB66_71:                              ; =>This Inner Loop Header: Depth=1
	s_delay_alu instid0(VALU_DEP_2) | instskip(SKIP_1) | instid1(VALU_DEP_1)
	v_mov_b64_e32 v[22:23], v[24:25]
                                        ; implicit-def: $vgpr24_vgpr25
	s_mov_b32 s1, exec_lo
	v_or_b32_e32 v7, v21, v23
	s_delay_alu instid0(VALU_DEP_1)
	v_cmpx_ne_u64_e32 0, v[6:7]
	s_xor_b32 s8, exec_lo, s1
	s_cbranch_execz .LBB66_73
; %bb.72:                               ;   in Loop: Header=BB66_71 Depth=1
	s_delay_alu instid0(VALU_DEP_3) | instskip(SKIP_3) | instid1(VALU_DEP_3)
	v_cvt_f32_u32_e32 v7, v22
	v_cvt_f32_u32_e32 v24, v23
	v_sub_nc_u64_e32 v[28:29], 0, v[22:23]
	v_dual_mov_b32 v35, v6 :: v_dual_mov_b32 v37, v6
	v_fmac_f32_e32 v7, 0x4f800000, v24
	s_delay_alu instid0(VALU_DEP_1) | instskip(SKIP_1) | instid1(TRANS32_DEP_1)
	v_rcp_f32_e32 v7, v7
	v_nop
	v_mul_f32_e32 v7, 0x5f7ffffc, v7
	s_delay_alu instid0(VALU_DEP_1) | instskip(NEXT) | instid1(VALU_DEP_1)
	v_mul_f32_e32 v24, 0x2f800000, v7
	v_trunc_f32_e32 v25, v24
	s_delay_alu instid0(VALU_DEP_1) | instskip(SKIP_1) | instid1(VALU_DEP_2)
	v_cvt_u32_f32_e32 v31, v25
	v_fmac_f32_e32 v7, 0xcf800000, v25
	v_dual_mov_b32 v25, v6 :: v_dual_mov_b32 v36, v31
	s_delay_alu instid0(VALU_DEP_2) | instskip(NEXT) | instid1(VALU_DEP_1)
	v_cvt_u32_f32_e32 v24, v7
	v_mov_b32_e32 v30, v24
	s_delay_alu instid0(VALU_DEP_1) | instskip(NEXT) | instid1(VALU_DEP_1)
	v_mul_u64_e32 v[32:33], v[28:29], v[30:31]
	v_dual_mov_b32 v34, v33 :: v_dual_mov_b32 v33, v6
	s_delay_alu instid0(VALU_DEP_1) | instskip(NEXT) | instid1(VALU_DEP_2)
	v_mul_u64_e32 v[38:39], v[24:25], v[34:35]
	v_mul_u64_e32 v[40:41], v[36:37], v[32:33]
	;; [unrolled: 1-line block ×3, first 2 shown]
	v_mul_hi_u32 v32, v24, v32
	s_delay_alu instid0(VALU_DEP_1) | instskip(NEXT) | instid1(VALU_DEP_1)
	v_add_nc_u64_e32 v[32:33], v[32:33], v[38:39]
	v_add_co_u32 v7, vcc_lo, v32, v40
	s_delay_alu instid0(VALU_DEP_2) | instskip(SKIP_1) | instid1(VALU_DEP_1)
	v_add_co_ci_u32_e32 v36, vcc_lo, v33, v41, vcc_lo
	v_add_co_ci_u32_e32 v35, vcc_lo, 0, v35, vcc_lo
	v_add_nc_u64_e32 v[32:33], v[36:37], v[34:35]
	s_delay_alu instid0(VALU_DEP_1) | instskip(NEXT) | instid1(VALU_DEP_1)
	v_add_co_u32 v24, vcc_lo, v24, v32
	v_add_co_ci_u32_e64 v30, null, v31, v33, vcc_lo
	v_dual_mov_b32 v33, v6 :: v_dual_mov_b32 v31, v6
	s_delay_alu instid0(VALU_DEP_2) | instskip(NEXT) | instid1(VALU_DEP_1)
	v_mov_b32_e32 v25, v30
	v_mul_u64_e32 v[28:29], v[28:29], v[24:25]
	s_delay_alu instid0(VALU_DEP_1) | instskip(NEXT) | instid1(VALU_DEP_2)
	v_dual_mov_b32 v25, v6 :: v_dual_mov_b32 v32, v29
	v_dual_mov_b32 v36, v28 :: v_dual_mov_b32 v29, v6
	v_mul_hi_u32 v28, v24, v28
	s_delay_alu instid0(VALU_DEP_3) | instskip(NEXT) | instid1(VALU_DEP_3)
	v_mul_u64_e32 v[34:35], v[24:25], v[32:33]
	v_mul_u64_e32 v[36:37], v[30:31], v[36:37]
	;; [unrolled: 1-line block ×3, first 2 shown]
	s_delay_alu instid0(VALU_DEP_3) | instskip(SKIP_1) | instid1(VALU_DEP_2)
	v_add_nc_u64_e32 v[28:29], v[28:29], v[34:35]
	v_mov_b32_e32 v35, v6
	v_add_co_u32 v7, vcc_lo, v28, v36
	s_delay_alu instid0(VALU_DEP_3) | instskip(SKIP_1) | instid1(VALU_DEP_1)
	v_add_co_ci_u32_e32 v34, vcc_lo, v29, v37, vcc_lo
	v_add_co_ci_u32_e32 v33, vcc_lo, 0, v33, vcc_lo
	v_add_nc_u64_e32 v[28:29], v[34:35], v[32:33]
	v_dual_mov_b32 v32, v20 :: v_dual_mov_b32 v33, v6
	s_delay_alu instid0(VALU_DEP_2) | instskip(NEXT) | instid1(VALU_DEP_1)
	v_add_co_u32 v28, vcc_lo, v24, v28
	v_add_co_ci_u32_e64 v24, null, v30, v29, vcc_lo
	v_dual_mov_b32 v30, v21 :: v_dual_mov_b32 v29, v6
	s_delay_alu instid0(VALU_DEP_2) | instskip(NEXT) | instid1(VALU_DEP_2)
	v_mul_u64_e32 v[32:33], v[32:33], v[24:25]
	v_mul_u64_e32 v[24:25], v[30:31], v[24:25]
	s_delay_alu instid0(VALU_DEP_3) | instskip(SKIP_1) | instid1(VALU_DEP_1)
	v_mul_u64_e32 v[34:35], v[30:31], v[28:29]
	v_mul_hi_u32 v28, v20, v28
	v_add_nc_u64_e32 v[28:29], v[28:29], v[32:33]
	s_delay_alu instid0(VALU_DEP_1) | instskip(NEXT) | instid1(VALU_DEP_2)
	v_add_co_u32 v7, vcc_lo, v28, v34
	v_add_co_ci_u32_e32 v30, vcc_lo, v29, v35, vcc_lo
	v_add_co_ci_u32_e32 v25, vcc_lo, 0, v25, vcc_lo
	s_delay_alu instid0(VALU_DEP_1) | instskip(NEXT) | instid1(VALU_DEP_1)
	v_add_nc_u64_e32 v[24:25], v[30:31], v[24:25]
	v_mul_u64_e32 v[24:25], v[22:23], v[24:25]
	s_delay_alu instid0(VALU_DEP_1) | instskip(NEXT) | instid1(VALU_DEP_2)
	v_sub_nc_u32_e32 v7, v21, v25
	v_sub_co_u32 v20, vcc_lo, v20, v24
	s_delay_alu instid0(VALU_DEP_1) | instskip(NEXT) | instid1(VALU_DEP_3)
	v_sub_co_ci_u32_e64 v21, null, v21, v25, vcc_lo
	v_sub_co_ci_u32_e64 v7, null, v7, v23, vcc_lo
	s_delay_alu instid0(VALU_DEP_3) | instskip(SKIP_1) | instid1(VALU_DEP_3)
	v_sub_co_u32 v24, vcc_lo, v20, v22
	v_cmp_ge_u32_e64 s1, v20, v22
	v_subrev_co_ci_u32_e64 v25, null, 0, v7, vcc_lo
	v_sub_co_ci_u32_e64 v7, null, v7, v23, vcc_lo
	s_delay_alu instid0(VALU_DEP_3) | instskip(SKIP_2) | instid1(VALU_DEP_2)
	v_cndmask_b32_e64 v27, 0, -1, s1
	v_cmp_ge_u32_e64 s1, v24, v22
	v_cmp_ge_u32_e32 vcc_lo, v21, v23
	v_cndmask_b32_e64 v28, 0, -1, s1
	v_cmp_ge_u32_e64 s1, v25, v23
	v_cndmask_b32_e64 v30, 0, -1, vcc_lo
	v_cmp_eq_u32_e32 vcc_lo, v25, v23
	s_delay_alu instid0(VALU_DEP_3) | instskip(SKIP_1) | instid1(VALU_DEP_1)
	v_cndmask_b32_e64 v29, 0, -1, s1
	v_cmp_eq_u32_e64 s1, v21, v23
	v_dual_cndmask_b32 v28, v29, v28, vcc_lo :: v_dual_cndmask_b32 v27, v30, v27, s1
	v_sub_co_u32 v29, vcc_lo, v24, v22
	s_delay_alu instid0(VALU_DEP_1) | instskip(NEXT) | instid1(VALU_DEP_3)
	v_subrev_co_ci_u32_e64 v7, null, 0, v7, vcc_lo
	v_cmp_ne_u32_e32 vcc_lo, 0, v28
	s_delay_alu instid0(VALU_DEP_2) | instskip(SKIP_1) | instid1(VALU_DEP_2)
	v_dual_cndmask_b32 v7, v25, v7 :: v_dual_cndmask_b32 v24, v24, v29
	v_cmp_ne_u32_e32 vcc_lo, 0, v27
	v_dual_cndmask_b32 v25, v21, v7 :: v_dual_cndmask_b32 v24, v20, v24
                                        ; implicit-def: $vgpr20_vgpr21
.LBB66_73:                              ;   in Loop: Header=BB66_71 Depth=1
	s_and_not1_saveexec_b32 s1, s8
	s_cbranch_execz .LBB66_70
; %bb.74:                               ;   in Loop: Header=BB66_71 Depth=1
	v_cvt_f32_u32_e32 v7, v22
	v_dual_sub_nc_u32 v21, 0, v22 :: v_dual_mov_b32 v25, v6
	s_delay_alu instid0(VALU_DEP_2) | instskip(SKIP_1) | instid1(TRANS32_DEP_1)
	v_rcp_iflag_f32_e32 v7, v7
	v_nop
	v_mul_f32_e32 v7, 0x4f7ffffe, v7
	s_delay_alu instid0(VALU_DEP_1) | instskip(NEXT) | instid1(VALU_DEP_1)
	v_cvt_u32_f32_e32 v7, v7
	v_mul_lo_u32 v21, v21, v7
	s_delay_alu instid0(VALU_DEP_1) | instskip(NEXT) | instid1(VALU_DEP_1)
	v_mul_hi_u32 v21, v7, v21
	v_add_nc_u32_e32 v7, v7, v21
	s_delay_alu instid0(VALU_DEP_1) | instskip(NEXT) | instid1(VALU_DEP_1)
	v_mul_hi_u32 v7, v20, v7
	v_mul_lo_u32 v7, v7, v22
	s_delay_alu instid0(VALU_DEP_1) | instskip(NEXT) | instid1(VALU_DEP_1)
	v_sub_nc_u32_e32 v7, v20, v7
	v_sub_nc_u32_e32 v20, v7, v22
	v_cmp_ge_u32_e32 vcc_lo, v7, v22
	s_delay_alu instid0(VALU_DEP_2) | instskip(NEXT) | instid1(VALU_DEP_1)
	v_cndmask_b32_e32 v7, v7, v20, vcc_lo
	v_sub_nc_u32_e32 v20, v7, v22
	v_cmp_ge_u32_e32 vcc_lo, v7, v22
	s_delay_alu instid0(VALU_DEP_2)
	v_cndmask_b32_e32 v24, v7, v20, vcc_lo
	s_branch .LBB66_70
.LBB66_75:
	s_or_b32 exec_lo, exec_lo, s7
	v_mov_b64_e32 v[20:21], v[22:23]
.LBB66_76:
	s_or_b32 exec_lo, exec_lo, s6
	v_mov_b64_e32 v[6:7], 0
	s_mov_b32 s6, exec_lo
	s_delay_alu instid0(VALU_DEP_2)
	v_cmpx_ne_u64_e32 0, v[20:21]
	s_cbranch_execz .LBB66_82
; %bb.77:
	v_dual_mov_b32 v6, 0 :: v_dual_bitop2_b32 v7, v19, v21 bitop3:0x54
                                        ; implicit-def: $vgpr22_vgpr23
	s_mov_b32 s1, exec_lo
	s_delay_alu instid0(VALU_DEP_1)
	v_cmpx_ne_u64_e32 0, v[6:7]
	s_xor_b32 s7, exec_lo, s1
	s_cbranch_execz .LBB66_79
; %bb.78:
	v_dual_mov_b32 v25, v6 :: v_dual_ashrrev_i32 v22, 31, v21
	v_dual_mov_b32 v35, v6 :: v_dual_mov_b32 v37, v6
	s_delay_alu instid0(VALU_DEP_2) | instskip(NEXT) | instid1(VALU_DEP_1)
	v_mov_b32_e32 v23, v22
	v_add_nc_u64_e32 v[20:21], v[20:21], v[22:23]
	s_delay_alu instid0(VALU_DEP_1) | instskip(NEXT) | instid1(VALU_DEP_2)
	v_xor_b32_e32 v20, v20, v22
	v_xor_b32_e32 v21, v21, v22
	s_delay_alu instid0(VALU_DEP_2) | instskip(NEXT) | instid1(VALU_DEP_2)
	v_cvt_f32_u32_e32 v7, v20
	v_cvt_f32_u32_e32 v23, v21
	s_delay_alu instid0(VALU_DEP_1) | instskip(NEXT) | instid1(VALU_DEP_1)
	v_fmamk_f32 v7, v23, 0x4f800000, v7
	v_rcp_f32_e32 v7, v7
	v_nop
	s_delay_alu instid0(TRANS32_DEP_1) | instskip(NEXT) | instid1(VALU_DEP_1)
	v_mul_f32_e32 v7, 0x5f7ffffc, v7
	v_mul_f32_e32 v23, 0x2f800000, v7
	s_delay_alu instid0(VALU_DEP_1) | instskip(NEXT) | instid1(VALU_DEP_1)
	v_trunc_f32_e32 v23, v23
	v_fmamk_f32 v7, v23, 0xcf800000, v7
	v_cvt_u32_f32_e32 v31, v23
	s_delay_alu instid0(VALU_DEP_2) | instskip(NEXT) | instid1(VALU_DEP_1)
	v_cvt_u32_f32_e32 v24, v7
	v_dual_mov_b32 v36, v31 :: v_dual_mov_b32 v30, v24
	v_sub_nc_u64_e32 v[28:29], 0, v[20:21]
	s_delay_alu instid0(VALU_DEP_1) | instskip(NEXT) | instid1(VALU_DEP_1)
	v_mul_u64_e32 v[32:33], v[28:29], v[30:31]
	v_dual_mov_b32 v34, v33 :: v_dual_mov_b32 v33, v6
	s_delay_alu instid0(VALU_DEP_1) | instskip(NEXT) | instid1(VALU_DEP_2)
	v_mul_u64_e32 v[38:39], v[24:25], v[34:35]
	v_mul_u64_e32 v[40:41], v[36:37], v[32:33]
	;; [unrolled: 1-line block ×3, first 2 shown]
	v_mul_hi_u32 v32, v24, v32
	s_delay_alu instid0(VALU_DEP_1) | instskip(SKIP_1) | instid1(VALU_DEP_2)
	v_add_nc_u64_e32 v[32:33], v[32:33], v[38:39]
	v_ashrrev_i32_e32 v38, 31, v19
	v_add_co_u32 v7, vcc_lo, v32, v40
	s_delay_alu instid0(VALU_DEP_3) | instskip(SKIP_1) | instid1(VALU_DEP_1)
	v_add_co_ci_u32_e32 v36, vcc_lo, v33, v41, vcc_lo
	v_add_co_ci_u32_e32 v35, vcc_lo, 0, v35, vcc_lo
	v_add_nc_u64_e32 v[32:33], v[36:37], v[34:35]
	s_delay_alu instid0(VALU_DEP_1) | instskip(NEXT) | instid1(VALU_DEP_1)
	v_add_co_u32 v24, vcc_lo, v24, v32
	v_add_co_ci_u32_e64 v30, null, v31, v33, vcc_lo
	v_dual_mov_b32 v33, v6 :: v_dual_mov_b32 v31, v6
	s_delay_alu instid0(VALU_DEP_2) | instskip(NEXT) | instid1(VALU_DEP_1)
	v_mov_b32_e32 v25, v30
	v_mul_u64_e32 v[28:29], v[28:29], v[24:25]
	s_delay_alu instid0(VALU_DEP_1) | instskip(NEXT) | instid1(VALU_DEP_2)
	v_dual_mov_b32 v25, v6 :: v_dual_mov_b32 v32, v29
	v_dual_mov_b32 v36, v28 :: v_dual_mov_b32 v29, v6
	v_mul_hi_u32 v28, v24, v28
	s_delay_alu instid0(VALU_DEP_3) | instskip(NEXT) | instid1(VALU_DEP_3)
	v_mul_u64_e32 v[34:35], v[24:25], v[32:33]
	v_mul_u64_e32 v[36:37], v[30:31], v[36:37]
	;; [unrolled: 1-line block ×3, first 2 shown]
	s_delay_alu instid0(VALU_DEP_3) | instskip(SKIP_1) | instid1(VALU_DEP_2)
	v_add_nc_u64_e32 v[28:29], v[28:29], v[34:35]
	v_dual_mov_b32 v35, v6 :: v_dual_mov_b32 v39, v38
	v_add_co_u32 v7, vcc_lo, v28, v36
	s_delay_alu instid0(VALU_DEP_3) | instskip(SKIP_2) | instid1(VALU_DEP_2)
	v_add_co_ci_u32_e32 v34, vcc_lo, v29, v37, vcc_lo
	v_add_co_ci_u32_e32 v33, vcc_lo, 0, v33, vcc_lo
	v_mov_b32_e32 v7, v6
	v_add_nc_u64_e32 v[28:29], v[34:35], v[32:33]
	v_mov_b32_e32 v33, v6
	v_add_nc_u64_e32 v[18:19], v[18:19], v[38:39]
	s_delay_alu instid0(VALU_DEP_3) | instskip(NEXT) | instid1(VALU_DEP_2)
	v_add_co_u32 v28, vcc_lo, v24, v28
	v_xor_b32_e32 v32, v18, v38
	v_add_co_ci_u32_e64 v24, null, v30, v29, vcc_lo
	s_delay_alu instid0(VALU_DEP_4) | instskip(NEXT) | instid1(VALU_DEP_2)
	v_dual_mov_b32 v29, v6 :: v_dual_bitop2_b32 v30, v19, v38 bitop3:0x14
	v_mul_u64_e32 v[34:35], v[32:33], v[24:25]
	s_delay_alu instid0(VALU_DEP_2) | instskip(SKIP_2) | instid1(VALU_DEP_1)
	v_mul_u64_e32 v[18:19], v[30:31], v[28:29]
	v_mul_u64_e32 v[24:25], v[30:31], v[24:25]
	v_mul_hi_u32 v28, v32, v28
	v_add_nc_u64_e32 v[28:29], v[28:29], v[34:35]
	s_delay_alu instid0(VALU_DEP_1) | instskip(NEXT) | instid1(VALU_DEP_2)
	v_add_co_u32 v6, vcc_lo, v28, v18
	v_add_co_ci_u32_e32 v6, vcc_lo, v29, v19, vcc_lo
	v_add_co_ci_u32_e32 v25, vcc_lo, 0, v25, vcc_lo
	s_delay_alu instid0(VALU_DEP_1) | instskip(NEXT) | instid1(VALU_DEP_1)
	v_add_nc_u64_e32 v[6:7], v[6:7], v[24:25]
	v_mul_u64_e32 v[18:19], v[20:21], v[6:7]
	s_delay_alu instid0(VALU_DEP_1) | instskip(NEXT) | instid1(VALU_DEP_2)
	v_sub_nc_u32_e32 v23, v30, v19
	v_sub_co_u32 v18, vcc_lo, v32, v18
	s_delay_alu instid0(VALU_DEP_1) | instskip(NEXT) | instid1(VALU_DEP_3)
	v_sub_co_ci_u32_e64 v27, null, v30, v19, vcc_lo
	v_sub_co_ci_u32_e64 v23, null, v23, v21, vcc_lo
	s_delay_alu instid0(VALU_DEP_3) | instskip(NEXT) | instid1(VALU_DEP_1)
	v_sub_co_u32 v24, s1, v18, v20
	v_subrev_co_ci_u32_e64 v23, null, 0, v23, s1
	s_delay_alu instid0(VALU_DEP_2) | instskip(SKIP_1) | instid1(VALU_DEP_3)
	v_cmp_ge_u32_e32 vcc_lo, v24, v20
	v_cndmask_b32_e64 v19, 0, -1, vcc_lo
	v_cmp_ge_u32_e32 vcc_lo, v23, v21
	v_cndmask_b32_e64 v24, 0, -1, vcc_lo
	;; [unrolled: 2-line block ×4, first 2 shown]
	v_cmp_eq_u32_e32 vcc_lo, v23, v21
	v_cndmask_b32_e32 v23, v24, v19, vcc_lo
	v_cmp_eq_u32_e32 vcc_lo, v27, v21
	v_add_nc_u64_e32 v[18:19], 2, v[6:7]
	v_add_nc_u64_e32 v[24:25], 1, v[6:7]
	v_cndmask_b32_e32 v20, v28, v20, vcc_lo
	v_cmp_ne_u32_e32 vcc_lo, 0, v23
	s_delay_alu instid0(VALU_DEP_2) | instskip(NEXT) | instid1(VALU_DEP_4)
	v_cmp_ne_u32_e64 s1, 0, v20
	v_dual_cndmask_b32 v19, v25, v19 :: v_dual_cndmask_b32 v20, v24, v18
	s_delay_alu instid0(VALU_DEP_1) | instskip(NEXT) | instid1(VALU_DEP_2)
	v_dual_cndmask_b32 v7, v7, v19, s1 :: v_dual_bitop2_b32 v18, v38, v22 bitop3:0x14
	v_cndmask_b32_e64 v6, v6, v20, s1
	s_delay_alu instid0(VALU_DEP_2) | instskip(NEXT) | instid1(VALU_DEP_3)
	v_mov_b32_e32 v19, v18
                                        ; implicit-def: $vgpr20_vgpr21
	v_xor_b32_e32 v7, v7, v18
	s_delay_alu instid0(VALU_DEP_3) | instskip(NEXT) | instid1(VALU_DEP_1)
	v_xor_b32_e32 v6, v6, v18
	v_sub_nc_u64_e32 v[22:23], v[6:7], v[18:19]
                                        ; implicit-def: $vgpr18_vgpr19
.LBB66_79:
	s_and_not1_saveexec_b32 s1, s7
	s_cbranch_execz .LBB66_81
; %bb.80:
	v_cvt_f32_u32_e32 v6, v20
	v_dual_sub_nc_u32 v7, 0, v20 :: v_dual_mov_b32 v23, 0
	s_delay_alu instid0(VALU_DEP_2) | instskip(SKIP_1) | instid1(TRANS32_DEP_1)
	v_rcp_iflag_f32_e32 v6, v6
	v_nop
	v_mul_f32_e32 v6, 0x4f7ffffe, v6
	s_delay_alu instid0(VALU_DEP_1) | instskip(NEXT) | instid1(VALU_DEP_1)
	v_cvt_u32_f32_e32 v6, v6
	v_mul_lo_u32 v7, v7, v6
	s_delay_alu instid0(VALU_DEP_1) | instskip(NEXT) | instid1(VALU_DEP_1)
	v_mul_hi_u32 v7, v6, v7
	v_add_nc_u32_e32 v6, v6, v7
	s_delay_alu instid0(VALU_DEP_1) | instskip(NEXT) | instid1(VALU_DEP_1)
	v_mul_hi_u32 v6, v18, v6
	v_mul_lo_u32 v7, v6, v20
	s_delay_alu instid0(VALU_DEP_1) | instskip(NEXT) | instid1(VALU_DEP_1)
	v_dual_sub_nc_u32 v7, v18, v7 :: v_dual_add_nc_u32 v18, 1, v6
	v_sub_nc_u32_e32 v19, v7, v20
	v_cmp_ge_u32_e32 vcc_lo, v7, v20
	s_delay_alu instid0(VALU_DEP_2) | instskip(NEXT) | instid1(VALU_DEP_1)
	v_dual_cndmask_b32 v7, v7, v19 :: v_dual_cndmask_b32 v6, v6, v18
	v_cmp_ge_u32_e32 vcc_lo, v7, v20
	s_delay_alu instid0(VALU_DEP_2) | instskip(NEXT) | instid1(VALU_DEP_1)
	v_add_nc_u32_e32 v18, 1, v6
	v_cndmask_b32_e32 v22, v6, v18, vcc_lo
.LBB66_81:
	s_or_b32 exec_lo, exec_lo, s1
	s_delay_alu instid0(VALU_DEP_1) | instskip(NEXT) | instid1(VALU_DEP_1)
	v_mul_u64_e32 v[6:7], v[22:23], v[12:13]
	v_sub_nc_u64_e32 v[12:13], 0, v[6:7]
	s_delay_alu instid0(VALU_DEP_1)
	v_max_i64 v[6:7], v[6:7], v[12:13]
.LBB66_82:
	s_or_b32 exec_lo, exec_lo, s6
.LBB66_83:
	s_delay_alu instid0(SALU_CYCLE_1) | instskip(NEXT) | instid1(SALU_CYCLE_1)
	s_or_b32 exec_lo, exec_lo, s3
	s_mov_b32 s3, exec_lo
                                        ; implicit-def: $vgpr12_vgpr13
	v_cmpx_gt_i32_e64 s12, v26
	s_cbranch_execz .LBB66_99
; %bb.84:
	s_wait_loadcnt 0x0
	v_sub_nc_u64_e32 v[12:13], 0, v[14:15]
	s_mov_b32 s6, exec_lo
	s_delay_alu instid0(VALU_DEP_1)
	v_max_i64 v[18:19], v[14:15], v[12:13]
	v_cmpx_ne_u64_e32 0, v[16:17]
	s_cbranch_execz .LBB66_92
; %bb.85:
	v_sub_nc_u64_e32 v[12:13], 0, v[16:17]
	s_mov_b32 s7, 0
	s_delay_alu instid0(VALU_DEP_1)
	v_max_i64 v[22:23], v[16:17], v[12:13]
	v_mov_b32_e32 v12, 0
	s_branch .LBB66_87
.LBB66_86:                              ;   in Loop: Header=BB66_87 Depth=1
	s_or_b32 exec_lo, exec_lo, s1
	s_delay_alu instid0(VALU_DEP_1) | instskip(SKIP_2) | instid1(SALU_CYCLE_1)
	v_cmp_eq_u64_e32 vcc_lo, 0, v[22:23]
	v_mov_b64_e32 v[18:19], v[20:21]
	s_or_b32 s7, vcc_lo, s7
	s_and_not1_b32 exec_lo, exec_lo, s7
	s_cbranch_execz .LBB66_91
.LBB66_87:                              ; =>This Inner Loop Header: Depth=1
	s_delay_alu instid0(VALU_DEP_2) | instskip(SKIP_1) | instid1(VALU_DEP_1)
	v_mov_b64_e32 v[20:21], v[22:23]
                                        ; implicit-def: $vgpr22_vgpr23
	s_mov_b32 s1, exec_lo
	v_or_b32_e32 v13, v19, v21
	s_delay_alu instid0(VALU_DEP_1)
	v_cmpx_ne_u64_e32 0, v[12:13]
	s_xor_b32 s8, exec_lo, s1
	s_cbranch_execz .LBB66_89
; %bb.88:                               ;   in Loop: Header=BB66_87 Depth=1
	s_delay_alu instid0(VALU_DEP_3) | instskip(SKIP_3) | instid1(VALU_DEP_3)
	v_cvt_f32_u32_e32 v13, v20
	v_cvt_f32_u32_e32 v22, v21
	v_sub_nc_u64_e32 v[24:25], 0, v[20:21]
	v_dual_mov_b32 v33, v12 :: v_dual_mov_b32 v35, v12
	v_fmac_f32_e32 v13, 0x4f800000, v22
	s_delay_alu instid0(VALU_DEP_1) | instskip(SKIP_1) | instid1(TRANS32_DEP_1)
	v_rcp_f32_e32 v13, v13
	v_nop
	v_mul_f32_e32 v13, 0x5f7ffffc, v13
	s_delay_alu instid0(VALU_DEP_1) | instskip(NEXT) | instid1(VALU_DEP_1)
	v_mul_f32_e32 v22, 0x2f800000, v13
	v_trunc_f32_e32 v23, v22
	s_delay_alu instid0(VALU_DEP_1) | instskip(SKIP_1) | instid1(VALU_DEP_2)
	v_cvt_u32_f32_e32 v29, v23
	v_fmac_f32_e32 v13, 0xcf800000, v23
	v_dual_mov_b32 v23, v12 :: v_dual_mov_b32 v34, v29
	s_delay_alu instid0(VALU_DEP_2) | instskip(NEXT) | instid1(VALU_DEP_1)
	v_cvt_u32_f32_e32 v22, v13
	v_mov_b32_e32 v28, v22
	s_delay_alu instid0(VALU_DEP_1) | instskip(NEXT) | instid1(VALU_DEP_1)
	v_mul_u64_e32 v[30:31], v[24:25], v[28:29]
	v_dual_mov_b32 v32, v31 :: v_dual_mov_b32 v31, v12
	s_delay_alu instid0(VALU_DEP_1) | instskip(NEXT) | instid1(VALU_DEP_2)
	v_mul_u64_e32 v[36:37], v[22:23], v[32:33]
	v_mul_u64_e32 v[38:39], v[34:35], v[30:31]
	;; [unrolled: 1-line block ×3, first 2 shown]
	v_mul_hi_u32 v30, v22, v30
	s_delay_alu instid0(VALU_DEP_1) | instskip(NEXT) | instid1(VALU_DEP_1)
	v_add_nc_u64_e32 v[30:31], v[30:31], v[36:37]
	v_add_co_u32 v13, vcc_lo, v30, v38
	s_delay_alu instid0(VALU_DEP_2) | instskip(SKIP_1) | instid1(VALU_DEP_1)
	v_add_co_ci_u32_e32 v34, vcc_lo, v31, v39, vcc_lo
	v_add_co_ci_u32_e32 v33, vcc_lo, 0, v33, vcc_lo
	v_add_nc_u64_e32 v[30:31], v[34:35], v[32:33]
	s_delay_alu instid0(VALU_DEP_1) | instskip(NEXT) | instid1(VALU_DEP_1)
	v_add_co_u32 v22, vcc_lo, v22, v30
	v_add_co_ci_u32_e64 v28, null, v29, v31, vcc_lo
	v_dual_mov_b32 v31, v12 :: v_dual_mov_b32 v29, v12
	s_delay_alu instid0(VALU_DEP_2) | instskip(NEXT) | instid1(VALU_DEP_1)
	v_mov_b32_e32 v23, v28
	v_mul_u64_e32 v[24:25], v[24:25], v[22:23]
	s_delay_alu instid0(VALU_DEP_1) | instskip(NEXT) | instid1(VALU_DEP_2)
	v_dual_mov_b32 v23, v12 :: v_dual_mov_b32 v30, v25
	v_dual_mov_b32 v34, v24 :: v_dual_mov_b32 v25, v12
	v_mul_hi_u32 v24, v22, v24
	s_delay_alu instid0(VALU_DEP_3) | instskip(NEXT) | instid1(VALU_DEP_3)
	v_mul_u64_e32 v[32:33], v[22:23], v[30:31]
	v_mul_u64_e32 v[34:35], v[28:29], v[34:35]
	;; [unrolled: 1-line block ×3, first 2 shown]
	s_delay_alu instid0(VALU_DEP_3) | instskip(SKIP_1) | instid1(VALU_DEP_2)
	v_add_nc_u64_e32 v[24:25], v[24:25], v[32:33]
	v_mov_b32_e32 v33, v12
	v_add_co_u32 v13, vcc_lo, v24, v34
	s_delay_alu instid0(VALU_DEP_3) | instskip(SKIP_1) | instid1(VALU_DEP_1)
	v_add_co_ci_u32_e32 v32, vcc_lo, v25, v35, vcc_lo
	v_add_co_ci_u32_e32 v31, vcc_lo, 0, v31, vcc_lo
	v_add_nc_u64_e32 v[24:25], v[32:33], v[30:31]
	v_dual_mov_b32 v30, v18 :: v_dual_mov_b32 v31, v12
	s_delay_alu instid0(VALU_DEP_2) | instskip(NEXT) | instid1(VALU_DEP_1)
	v_add_co_u32 v24, vcc_lo, v22, v24
	v_add_co_ci_u32_e64 v22, null, v28, v25, vcc_lo
	v_dual_mov_b32 v28, v19 :: v_dual_mov_b32 v25, v12
	s_delay_alu instid0(VALU_DEP_2) | instskip(NEXT) | instid1(VALU_DEP_2)
	v_mul_u64_e32 v[30:31], v[30:31], v[22:23]
	v_mul_u64_e32 v[22:23], v[28:29], v[22:23]
	s_delay_alu instid0(VALU_DEP_3) | instskip(SKIP_1) | instid1(VALU_DEP_1)
	v_mul_u64_e32 v[32:33], v[28:29], v[24:25]
	v_mul_hi_u32 v24, v18, v24
	v_add_nc_u64_e32 v[24:25], v[24:25], v[30:31]
	s_delay_alu instid0(VALU_DEP_1) | instskip(NEXT) | instid1(VALU_DEP_2)
	v_add_co_u32 v13, vcc_lo, v24, v32
	v_add_co_ci_u32_e32 v28, vcc_lo, v25, v33, vcc_lo
	v_add_co_ci_u32_e32 v23, vcc_lo, 0, v23, vcc_lo
	s_delay_alu instid0(VALU_DEP_1) | instskip(NEXT) | instid1(VALU_DEP_1)
	v_add_nc_u64_e32 v[22:23], v[28:29], v[22:23]
	v_mul_u64_e32 v[22:23], v[20:21], v[22:23]
	s_delay_alu instid0(VALU_DEP_1) | instskip(NEXT) | instid1(VALU_DEP_2)
	v_sub_nc_u32_e32 v13, v19, v23
	v_sub_co_u32 v18, vcc_lo, v18, v22
	s_delay_alu instid0(VALU_DEP_1) | instskip(NEXT) | instid1(VALU_DEP_3)
	v_sub_co_ci_u32_e64 v19, null, v19, v23, vcc_lo
	v_sub_co_ci_u32_e64 v13, null, v13, v21, vcc_lo
	s_delay_alu instid0(VALU_DEP_3) | instskip(SKIP_1) | instid1(VALU_DEP_3)
	v_sub_co_u32 v22, vcc_lo, v18, v20
	v_cmp_ge_u32_e64 s1, v18, v20
	v_subrev_co_ci_u32_e64 v23, null, 0, v13, vcc_lo
	v_sub_co_ci_u32_e64 v13, null, v13, v21, vcc_lo
	s_delay_alu instid0(VALU_DEP_3) | instskip(SKIP_2) | instid1(VALU_DEP_2)
	v_cndmask_b32_e64 v24, 0, -1, s1
	v_cmp_ge_u32_e64 s1, v22, v20
	v_cmp_ge_u32_e32 vcc_lo, v19, v21
	v_cndmask_b32_e64 v25, 0, -1, s1
	v_cmp_ge_u32_e64 s1, v23, v21
	v_cndmask_b32_e64 v28, 0, -1, vcc_lo
	v_cmp_eq_u32_e32 vcc_lo, v23, v21
	s_delay_alu instid0(VALU_DEP_3) | instskip(SKIP_1) | instid1(VALU_DEP_1)
	v_cndmask_b32_e64 v27, 0, -1, s1
	v_cmp_eq_u32_e64 s1, v19, v21
	v_dual_cndmask_b32 v25, v27, v25, vcc_lo :: v_dual_cndmask_b32 v24, v28, v24, s1
	v_sub_co_u32 v27, vcc_lo, v22, v20
	s_delay_alu instid0(VALU_DEP_1) | instskip(NEXT) | instid1(VALU_DEP_3)
	v_subrev_co_ci_u32_e64 v13, null, 0, v13, vcc_lo
	v_cmp_ne_u32_e32 vcc_lo, 0, v25
	s_delay_alu instid0(VALU_DEP_2) | instskip(SKIP_1) | instid1(VALU_DEP_2)
	v_dual_cndmask_b32 v13, v23, v13 :: v_dual_cndmask_b32 v22, v22, v27
	v_cmp_ne_u32_e32 vcc_lo, 0, v24
	v_dual_cndmask_b32 v23, v19, v13 :: v_dual_cndmask_b32 v22, v18, v22
                                        ; implicit-def: $vgpr18_vgpr19
.LBB66_89:                              ;   in Loop: Header=BB66_87 Depth=1
	s_and_not1_saveexec_b32 s1, s8
	s_cbranch_execz .LBB66_86
; %bb.90:                               ;   in Loop: Header=BB66_87 Depth=1
	v_cvt_f32_u32_e32 v13, v20
	v_dual_sub_nc_u32 v19, 0, v20 :: v_dual_mov_b32 v23, v12
	s_delay_alu instid0(VALU_DEP_2) | instskip(SKIP_1) | instid1(TRANS32_DEP_1)
	v_rcp_iflag_f32_e32 v13, v13
	v_nop
	v_mul_f32_e32 v13, 0x4f7ffffe, v13
	s_delay_alu instid0(VALU_DEP_1) | instskip(NEXT) | instid1(VALU_DEP_1)
	v_cvt_u32_f32_e32 v13, v13
	v_mul_lo_u32 v19, v19, v13
	s_delay_alu instid0(VALU_DEP_1) | instskip(NEXT) | instid1(VALU_DEP_1)
	v_mul_hi_u32 v19, v13, v19
	v_add_nc_u32_e32 v13, v13, v19
	s_delay_alu instid0(VALU_DEP_1) | instskip(NEXT) | instid1(VALU_DEP_1)
	v_mul_hi_u32 v13, v18, v13
	v_mul_lo_u32 v13, v13, v20
	s_delay_alu instid0(VALU_DEP_1) | instskip(NEXT) | instid1(VALU_DEP_1)
	v_sub_nc_u32_e32 v13, v18, v13
	v_sub_nc_u32_e32 v18, v13, v20
	v_cmp_ge_u32_e32 vcc_lo, v13, v20
	s_delay_alu instid0(VALU_DEP_2) | instskip(NEXT) | instid1(VALU_DEP_1)
	v_cndmask_b32_e32 v13, v13, v18, vcc_lo
	v_sub_nc_u32_e32 v18, v13, v20
	v_cmp_ge_u32_e32 vcc_lo, v13, v20
	s_delay_alu instid0(VALU_DEP_2)
	v_cndmask_b32_e32 v22, v13, v18, vcc_lo
	s_branch .LBB66_86
.LBB66_91:
	s_or_b32 exec_lo, exec_lo, s7
	v_mov_b64_e32 v[18:19], v[20:21]
.LBB66_92:
	s_or_b32 exec_lo, exec_lo, s6
	v_mov_b64_e32 v[12:13], 0
	s_mov_b32 s6, exec_lo
	s_delay_alu instid0(VALU_DEP_2)
	v_cmpx_ne_u64_e32 0, v[18:19]
	s_cbranch_execz .LBB66_98
; %bb.93:
	v_dual_mov_b32 v12, 0 :: v_dual_bitop2_b32 v13, v17, v19 bitop3:0x54
                                        ; implicit-def: $vgpr20_vgpr21
	s_mov_b32 s1, exec_lo
	s_delay_alu instid0(VALU_DEP_1)
	v_cmpx_ne_u64_e32 0, v[12:13]
	s_xor_b32 s7, exec_lo, s1
	s_cbranch_execz .LBB66_95
; %bb.94:
	v_dual_mov_b32 v23, v12 :: v_dual_ashrrev_i32 v20, 31, v19
	v_dual_mov_b32 v33, v12 :: v_dual_mov_b32 v35, v12
	s_delay_alu instid0(VALU_DEP_2) | instskip(NEXT) | instid1(VALU_DEP_1)
	v_mov_b32_e32 v21, v20
	v_add_nc_u64_e32 v[18:19], v[18:19], v[20:21]
	s_delay_alu instid0(VALU_DEP_1) | instskip(NEXT) | instid1(VALU_DEP_2)
	v_xor_b32_e32 v18, v18, v20
	v_xor_b32_e32 v19, v19, v20
	s_delay_alu instid0(VALU_DEP_2) | instskip(NEXT) | instid1(VALU_DEP_2)
	v_cvt_f32_u32_e32 v13, v18
	v_cvt_f32_u32_e32 v21, v19
	s_delay_alu instid0(VALU_DEP_1) | instskip(NEXT) | instid1(VALU_DEP_1)
	v_fmamk_f32 v13, v21, 0x4f800000, v13
	v_rcp_f32_e32 v13, v13
	v_nop
	s_delay_alu instid0(TRANS32_DEP_1) | instskip(NEXT) | instid1(VALU_DEP_1)
	v_mul_f32_e32 v13, 0x5f7ffffc, v13
	v_mul_f32_e32 v21, 0x2f800000, v13
	s_delay_alu instid0(VALU_DEP_1) | instskip(NEXT) | instid1(VALU_DEP_1)
	v_trunc_f32_e32 v21, v21
	v_fmamk_f32 v13, v21, 0xcf800000, v13
	v_cvt_u32_f32_e32 v29, v21
	s_delay_alu instid0(VALU_DEP_2) | instskip(NEXT) | instid1(VALU_DEP_1)
	v_cvt_u32_f32_e32 v22, v13
	v_dual_mov_b32 v34, v29 :: v_dual_mov_b32 v28, v22
	v_sub_nc_u64_e32 v[24:25], 0, v[18:19]
	s_delay_alu instid0(VALU_DEP_1) | instskip(NEXT) | instid1(VALU_DEP_1)
	v_mul_u64_e32 v[30:31], v[24:25], v[28:29]
	v_dual_mov_b32 v32, v31 :: v_dual_mov_b32 v31, v12
	s_delay_alu instid0(VALU_DEP_1) | instskip(NEXT) | instid1(VALU_DEP_2)
	v_mul_u64_e32 v[36:37], v[22:23], v[32:33]
	v_mul_u64_e32 v[38:39], v[34:35], v[30:31]
	;; [unrolled: 1-line block ×3, first 2 shown]
	v_mul_hi_u32 v30, v22, v30
	s_delay_alu instid0(VALU_DEP_1) | instskip(SKIP_1) | instid1(VALU_DEP_2)
	v_add_nc_u64_e32 v[30:31], v[30:31], v[36:37]
	v_ashrrev_i32_e32 v36, 31, v17
	v_add_co_u32 v13, vcc_lo, v30, v38
	s_delay_alu instid0(VALU_DEP_3) | instskip(SKIP_1) | instid1(VALU_DEP_1)
	v_add_co_ci_u32_e32 v34, vcc_lo, v31, v39, vcc_lo
	v_add_co_ci_u32_e32 v33, vcc_lo, 0, v33, vcc_lo
	v_add_nc_u64_e32 v[30:31], v[34:35], v[32:33]
	s_delay_alu instid0(VALU_DEP_1) | instskip(NEXT) | instid1(VALU_DEP_1)
	v_add_co_u32 v22, vcc_lo, v22, v30
	v_add_co_ci_u32_e64 v28, null, v29, v31, vcc_lo
	v_dual_mov_b32 v29, v12 :: v_dual_mov_b32 v31, v12
	s_delay_alu instid0(VALU_DEP_2) | instskip(NEXT) | instid1(VALU_DEP_1)
	v_mov_b32_e32 v23, v28
	v_mul_u64_e32 v[24:25], v[24:25], v[22:23]
	s_delay_alu instid0(VALU_DEP_1) | instskip(NEXT) | instid1(VALU_DEP_2)
	v_dual_mov_b32 v23, v12 :: v_dual_mov_b32 v30, v25
	v_dual_mov_b32 v34, v24 :: v_dual_mov_b32 v25, v12
	v_mul_hi_u32 v24, v22, v24
	s_delay_alu instid0(VALU_DEP_3) | instskip(NEXT) | instid1(VALU_DEP_3)
	v_mul_u64_e32 v[32:33], v[22:23], v[30:31]
	v_mul_u64_e32 v[34:35], v[28:29], v[34:35]
	;; [unrolled: 1-line block ×3, first 2 shown]
	s_delay_alu instid0(VALU_DEP_3) | instskip(SKIP_1) | instid1(VALU_DEP_2)
	v_add_nc_u64_e32 v[24:25], v[24:25], v[32:33]
	v_dual_mov_b32 v33, v12 :: v_dual_mov_b32 v37, v36
	v_add_co_u32 v13, vcc_lo, v24, v34
	s_delay_alu instid0(VALU_DEP_3) | instskip(SKIP_2) | instid1(VALU_DEP_2)
	v_add_co_ci_u32_e32 v32, vcc_lo, v25, v35, vcc_lo
	v_add_co_ci_u32_e32 v31, vcc_lo, 0, v31, vcc_lo
	v_mov_b32_e32 v13, v12
	v_add_nc_u64_e32 v[24:25], v[32:33], v[30:31]
	v_mov_b32_e32 v31, v12
	v_add_nc_u64_e32 v[16:17], v[16:17], v[36:37]
	s_delay_alu instid0(VALU_DEP_3) | instskip(NEXT) | instid1(VALU_DEP_2)
	v_add_co_u32 v24, vcc_lo, v22, v24
	v_xor_b32_e32 v30, v16, v36
	v_add_co_ci_u32_e64 v22, null, v28, v25, vcc_lo
	s_delay_alu instid0(VALU_DEP_4) | instskip(NEXT) | instid1(VALU_DEP_2)
	v_dual_mov_b32 v25, v12 :: v_dual_bitop2_b32 v28, v17, v36 bitop3:0x14
	v_mul_u64_e32 v[32:33], v[30:31], v[22:23]
	s_delay_alu instid0(VALU_DEP_2) | instskip(SKIP_2) | instid1(VALU_DEP_1)
	v_mul_u64_e32 v[16:17], v[28:29], v[24:25]
	v_mul_u64_e32 v[22:23], v[28:29], v[22:23]
	v_mul_hi_u32 v24, v30, v24
	v_add_nc_u64_e32 v[24:25], v[24:25], v[32:33]
	s_delay_alu instid0(VALU_DEP_1) | instskip(NEXT) | instid1(VALU_DEP_2)
	v_add_co_u32 v12, vcc_lo, v24, v16
	v_add_co_ci_u32_e32 v12, vcc_lo, v25, v17, vcc_lo
	v_add_co_ci_u32_e32 v23, vcc_lo, 0, v23, vcc_lo
	s_delay_alu instid0(VALU_DEP_1) | instskip(NEXT) | instid1(VALU_DEP_1)
	v_add_nc_u64_e32 v[12:13], v[12:13], v[22:23]
	v_mul_u64_e32 v[16:17], v[18:19], v[12:13]
	s_delay_alu instid0(VALU_DEP_1) | instskip(NEXT) | instid1(VALU_DEP_2)
	v_sub_nc_u32_e32 v21, v28, v17
	v_sub_co_u32 v16, vcc_lo, v30, v16
	s_delay_alu instid0(VALU_DEP_1) | instskip(NEXT) | instid1(VALU_DEP_3)
	v_sub_co_ci_u32_e64 v24, null, v28, v17, vcc_lo
	v_sub_co_ci_u32_e64 v21, null, v21, v19, vcc_lo
	s_delay_alu instid0(VALU_DEP_3) | instskip(NEXT) | instid1(VALU_DEP_1)
	v_sub_co_u32 v22, s1, v16, v18
	v_subrev_co_ci_u32_e64 v21, null, 0, v21, s1
	s_delay_alu instid0(VALU_DEP_2) | instskip(SKIP_1) | instid1(VALU_DEP_3)
	v_cmp_ge_u32_e32 vcc_lo, v22, v18
	v_cndmask_b32_e64 v17, 0, -1, vcc_lo
	v_cmp_ge_u32_e32 vcc_lo, v21, v19
	v_cndmask_b32_e64 v22, 0, -1, vcc_lo
	v_cmp_ge_u32_e32 vcc_lo, v16, v18
	v_cndmask_b32_e64 v18, 0, -1, vcc_lo
	v_cmp_ge_u32_e32 vcc_lo, v24, v19
	v_cndmask_b32_e64 v25, 0, -1, vcc_lo
	v_cmp_eq_u32_e32 vcc_lo, v21, v19
	v_cndmask_b32_e32 v21, v22, v17, vcc_lo
	v_cmp_eq_u32_e32 vcc_lo, v24, v19
	v_add_nc_u64_e32 v[16:17], 2, v[12:13]
	v_add_nc_u64_e32 v[22:23], 1, v[12:13]
	v_cndmask_b32_e32 v18, v25, v18, vcc_lo
	v_cmp_ne_u32_e32 vcc_lo, 0, v21
	s_delay_alu instid0(VALU_DEP_2) | instskip(NEXT) | instid1(VALU_DEP_4)
	v_cmp_ne_u32_e64 s1, 0, v18
	v_dual_cndmask_b32 v17, v23, v17 :: v_dual_cndmask_b32 v18, v22, v16
	s_delay_alu instid0(VALU_DEP_1) | instskip(NEXT) | instid1(VALU_DEP_2)
	v_dual_cndmask_b32 v13, v13, v17, s1 :: v_dual_bitop2_b32 v16, v36, v20 bitop3:0x14
	v_cndmask_b32_e64 v12, v12, v18, s1
	s_delay_alu instid0(VALU_DEP_2) | instskip(NEXT) | instid1(VALU_DEP_3)
	v_mov_b32_e32 v17, v16
                                        ; implicit-def: $vgpr18_vgpr19
	v_xor_b32_e32 v13, v13, v16
	s_delay_alu instid0(VALU_DEP_3) | instskip(NEXT) | instid1(VALU_DEP_1)
	v_xor_b32_e32 v12, v12, v16
	v_sub_nc_u64_e32 v[20:21], v[12:13], v[16:17]
                                        ; implicit-def: $vgpr16_vgpr17
.LBB66_95:
	s_and_not1_saveexec_b32 s1, s7
	s_cbranch_execz .LBB66_97
; %bb.96:
	v_cvt_f32_u32_e32 v12, v18
	v_dual_sub_nc_u32 v13, 0, v18 :: v_dual_mov_b32 v21, 0
	s_delay_alu instid0(VALU_DEP_2) | instskip(SKIP_1) | instid1(TRANS32_DEP_1)
	v_rcp_iflag_f32_e32 v12, v12
	v_nop
	v_mul_f32_e32 v12, 0x4f7ffffe, v12
	s_delay_alu instid0(VALU_DEP_1) | instskip(NEXT) | instid1(VALU_DEP_1)
	v_cvt_u32_f32_e32 v12, v12
	v_mul_lo_u32 v13, v13, v12
	s_delay_alu instid0(VALU_DEP_1) | instskip(NEXT) | instid1(VALU_DEP_1)
	v_mul_hi_u32 v13, v12, v13
	v_add_nc_u32_e32 v12, v12, v13
	s_delay_alu instid0(VALU_DEP_1) | instskip(NEXT) | instid1(VALU_DEP_1)
	v_mul_hi_u32 v12, v16, v12
	v_mul_lo_u32 v13, v12, v18
	s_delay_alu instid0(VALU_DEP_1) | instskip(NEXT) | instid1(VALU_DEP_1)
	v_dual_sub_nc_u32 v13, v16, v13 :: v_dual_add_nc_u32 v16, 1, v12
	v_sub_nc_u32_e32 v17, v13, v18
	v_cmp_ge_u32_e32 vcc_lo, v13, v18
	s_delay_alu instid0(VALU_DEP_2) | instskip(NEXT) | instid1(VALU_DEP_1)
	v_dual_cndmask_b32 v13, v13, v17 :: v_dual_cndmask_b32 v12, v12, v16
	v_cmp_ge_u32_e32 vcc_lo, v13, v18
	s_delay_alu instid0(VALU_DEP_2) | instskip(NEXT) | instid1(VALU_DEP_1)
	v_add_nc_u32_e32 v16, 1, v12
	v_cndmask_b32_e32 v20, v12, v16, vcc_lo
.LBB66_97:
	s_or_b32 exec_lo, exec_lo, s1
	s_delay_alu instid0(VALU_DEP_1) | instskip(NEXT) | instid1(VALU_DEP_1)
	v_mul_u64_e32 v[12:13], v[20:21], v[14:15]
	v_sub_nc_u64_e32 v[14:15], 0, v[12:13]
	s_delay_alu instid0(VALU_DEP_1)
	v_max_i64 v[12:13], v[12:13], v[14:15]
.LBB66_98:
	s_or_b32 exec_lo, exec_lo, s6
.LBB66_99:
	s_delay_alu instid0(SALU_CYCLE_1) | instskip(SKIP_2) | instid1(VALU_DEP_1)
	s_or_b32 exec_lo, exec_lo, s3
	s_wait_loadcnt 0x0
	v_or_b32_e32 v14, 0x200, v0
	v_cmp_gt_i32_e32 vcc_lo, s12, v14
                                        ; implicit-def: $vgpr14_vgpr15
	s_and_saveexec_b32 s3, vcc_lo
	s_cbranch_execz .LBB66_115
; %bb.100:
	v_sub_nc_u64_e32 v[14:15], 0, v[8:9]
	s_mov_b32 s6, exec_lo
	s_delay_alu instid0(VALU_DEP_1)
	v_max_i64 v[16:17], v[8:9], v[14:15]
	v_cmpx_ne_u64_e32 0, v[10:11]
	s_cbranch_execz .LBB66_108
; %bb.101:
	v_sub_nc_u64_e32 v[14:15], 0, v[10:11]
	s_mov_b32 s7, 0
	s_delay_alu instid0(VALU_DEP_1)
	v_max_i64 v[20:21], v[10:11], v[14:15]
	v_mov_b32_e32 v14, 0
	s_branch .LBB66_103
.LBB66_102:                             ;   in Loop: Header=BB66_103 Depth=1
	s_or_b32 exec_lo, exec_lo, s1
	s_delay_alu instid0(VALU_DEP_1) | instskip(SKIP_2) | instid1(SALU_CYCLE_1)
	v_cmp_eq_u64_e32 vcc_lo, 0, v[20:21]
	v_mov_b64_e32 v[16:17], v[18:19]
	s_or_b32 s7, vcc_lo, s7
	s_and_not1_b32 exec_lo, exec_lo, s7
	s_cbranch_execz .LBB66_107
.LBB66_103:                             ; =>This Inner Loop Header: Depth=1
	s_delay_alu instid0(VALU_DEP_2) | instskip(SKIP_1) | instid1(VALU_DEP_1)
	v_mov_b64_e32 v[18:19], v[20:21]
                                        ; implicit-def: $vgpr20_vgpr21
	s_mov_b32 s1, exec_lo
	v_or_b32_e32 v15, v17, v19
	s_delay_alu instid0(VALU_DEP_1)
	v_cmpx_ne_u64_e32 0, v[14:15]
	s_xor_b32 s8, exec_lo, s1
	s_cbranch_execz .LBB66_105
; %bb.104:                              ;   in Loop: Header=BB66_103 Depth=1
	s_delay_alu instid0(VALU_DEP_3) | instskip(SKIP_3) | instid1(VALU_DEP_3)
	v_cvt_f32_u32_e32 v15, v18
	v_cvt_f32_u32_e32 v20, v19
	v_sub_nc_u64_e32 v[22:23], 0, v[18:19]
	v_dual_mov_b32 v31, v14 :: v_dual_mov_b32 v33, v14
	v_fmac_f32_e32 v15, 0x4f800000, v20
	s_delay_alu instid0(VALU_DEP_1) | instskip(SKIP_1) | instid1(TRANS32_DEP_1)
	v_rcp_f32_e32 v15, v15
	v_nop
	v_mul_f32_e32 v15, 0x5f7ffffc, v15
	s_delay_alu instid0(VALU_DEP_1) | instskip(NEXT) | instid1(VALU_DEP_1)
	v_mul_f32_e32 v20, 0x2f800000, v15
	v_trunc_f32_e32 v21, v20
	s_delay_alu instid0(VALU_DEP_1) | instskip(SKIP_1) | instid1(VALU_DEP_2)
	v_cvt_u32_f32_e32 v25, v21
	v_fmac_f32_e32 v15, 0xcf800000, v21
	v_dual_mov_b32 v21, v14 :: v_dual_mov_b32 v32, v25
	s_delay_alu instid0(VALU_DEP_2) | instskip(NEXT) | instid1(VALU_DEP_1)
	v_cvt_u32_f32_e32 v20, v15
	v_mov_b32_e32 v24, v20
	s_delay_alu instid0(VALU_DEP_1) | instskip(NEXT) | instid1(VALU_DEP_1)
	v_mul_u64_e32 v[28:29], v[22:23], v[24:25]
	v_dual_mov_b32 v30, v29 :: v_dual_mov_b32 v29, v14
	s_delay_alu instid0(VALU_DEP_1) | instskip(NEXT) | instid1(VALU_DEP_2)
	v_mul_u64_e32 v[34:35], v[20:21], v[30:31]
	v_mul_u64_e32 v[36:37], v[32:33], v[28:29]
	;; [unrolled: 1-line block ×3, first 2 shown]
	v_mul_hi_u32 v28, v20, v28
	s_delay_alu instid0(VALU_DEP_1) | instskip(NEXT) | instid1(VALU_DEP_1)
	v_add_nc_u64_e32 v[28:29], v[28:29], v[34:35]
	v_add_co_u32 v15, vcc_lo, v28, v36
	s_delay_alu instid0(VALU_DEP_2) | instskip(SKIP_1) | instid1(VALU_DEP_1)
	v_add_co_ci_u32_e32 v32, vcc_lo, v29, v37, vcc_lo
	v_add_co_ci_u32_e32 v31, vcc_lo, 0, v31, vcc_lo
	v_add_nc_u64_e32 v[28:29], v[32:33], v[30:31]
	s_delay_alu instid0(VALU_DEP_1) | instskip(NEXT) | instid1(VALU_DEP_1)
	v_add_co_u32 v20, vcc_lo, v20, v28
	v_add_co_ci_u32_e64 v24, null, v25, v29, vcc_lo
	v_dual_mov_b32 v29, v14 :: v_dual_mov_b32 v25, v14
	s_delay_alu instid0(VALU_DEP_2) | instskip(NEXT) | instid1(VALU_DEP_1)
	v_mov_b32_e32 v21, v24
	v_mul_u64_e32 v[22:23], v[22:23], v[20:21]
	s_delay_alu instid0(VALU_DEP_1) | instskip(NEXT) | instid1(VALU_DEP_2)
	v_dual_mov_b32 v21, v14 :: v_dual_mov_b32 v28, v23
	v_dual_mov_b32 v32, v22 :: v_dual_mov_b32 v23, v14
	v_mul_hi_u32 v22, v20, v22
	s_delay_alu instid0(VALU_DEP_3) | instskip(NEXT) | instid1(VALU_DEP_3)
	v_mul_u64_e32 v[30:31], v[20:21], v[28:29]
	v_mul_u64_e32 v[32:33], v[24:25], v[32:33]
	;; [unrolled: 1-line block ×3, first 2 shown]
	s_delay_alu instid0(VALU_DEP_3) | instskip(SKIP_1) | instid1(VALU_DEP_2)
	v_add_nc_u64_e32 v[22:23], v[22:23], v[30:31]
	v_mov_b32_e32 v31, v14
	v_add_co_u32 v15, vcc_lo, v22, v32
	s_delay_alu instid0(VALU_DEP_3) | instskip(SKIP_1) | instid1(VALU_DEP_1)
	v_add_co_ci_u32_e32 v30, vcc_lo, v23, v33, vcc_lo
	v_add_co_ci_u32_e32 v29, vcc_lo, 0, v29, vcc_lo
	v_add_nc_u64_e32 v[22:23], v[30:31], v[28:29]
	v_dual_mov_b32 v28, v16 :: v_dual_mov_b32 v29, v14
	s_delay_alu instid0(VALU_DEP_2) | instskip(NEXT) | instid1(VALU_DEP_1)
	v_add_co_u32 v22, vcc_lo, v20, v22
	v_add_co_ci_u32_e64 v20, null, v24, v23, vcc_lo
	v_dual_mov_b32 v24, v17 :: v_dual_mov_b32 v23, v14
	s_delay_alu instid0(VALU_DEP_2) | instskip(NEXT) | instid1(VALU_DEP_2)
	v_mul_u64_e32 v[28:29], v[28:29], v[20:21]
	v_mul_u64_e32 v[20:21], v[24:25], v[20:21]
	s_delay_alu instid0(VALU_DEP_3) | instskip(SKIP_1) | instid1(VALU_DEP_1)
	v_mul_u64_e32 v[30:31], v[24:25], v[22:23]
	v_mul_hi_u32 v22, v16, v22
	v_add_nc_u64_e32 v[22:23], v[22:23], v[28:29]
	s_delay_alu instid0(VALU_DEP_1) | instskip(NEXT) | instid1(VALU_DEP_2)
	v_add_co_u32 v15, vcc_lo, v22, v30
	v_add_co_ci_u32_e32 v24, vcc_lo, v23, v31, vcc_lo
	v_add_co_ci_u32_e32 v21, vcc_lo, 0, v21, vcc_lo
	s_delay_alu instid0(VALU_DEP_1) | instskip(NEXT) | instid1(VALU_DEP_1)
	v_add_nc_u64_e32 v[20:21], v[24:25], v[20:21]
	v_mul_u64_e32 v[20:21], v[18:19], v[20:21]
	s_delay_alu instid0(VALU_DEP_1) | instskip(NEXT) | instid1(VALU_DEP_2)
	v_sub_nc_u32_e32 v15, v17, v21
	v_sub_co_u32 v16, vcc_lo, v16, v20
	s_delay_alu instid0(VALU_DEP_1) | instskip(NEXT) | instid1(VALU_DEP_3)
	v_sub_co_ci_u32_e64 v17, null, v17, v21, vcc_lo
	v_sub_co_ci_u32_e64 v15, null, v15, v19, vcc_lo
	s_delay_alu instid0(VALU_DEP_3) | instskip(SKIP_1) | instid1(VALU_DEP_3)
	v_sub_co_u32 v20, vcc_lo, v16, v18
	v_cmp_ge_u32_e64 s1, v16, v18
	v_subrev_co_ci_u32_e64 v21, null, 0, v15, vcc_lo
	v_sub_co_ci_u32_e64 v15, null, v15, v19, vcc_lo
	s_delay_alu instid0(VALU_DEP_3) | instskip(SKIP_2) | instid1(VALU_DEP_2)
	v_cndmask_b32_e64 v22, 0, -1, s1
	v_cmp_ge_u32_e64 s1, v20, v18
	v_cmp_ge_u32_e32 vcc_lo, v17, v19
	v_cndmask_b32_e64 v23, 0, -1, s1
	v_cmp_ge_u32_e64 s1, v21, v19
	v_cndmask_b32_e64 v25, 0, -1, vcc_lo
	v_cmp_eq_u32_e32 vcc_lo, v21, v19
	s_delay_alu instid0(VALU_DEP_3) | instskip(SKIP_1) | instid1(VALU_DEP_1)
	v_cndmask_b32_e64 v24, 0, -1, s1
	v_cmp_eq_u32_e64 s1, v17, v19
	v_dual_cndmask_b32 v23, v24, v23, vcc_lo :: v_dual_cndmask_b32 v22, v25, v22, s1
	v_sub_co_u32 v24, vcc_lo, v20, v18
	s_delay_alu instid0(VALU_DEP_1) | instskip(NEXT) | instid1(VALU_DEP_3)
	v_subrev_co_ci_u32_e64 v15, null, 0, v15, vcc_lo
	v_cmp_ne_u32_e32 vcc_lo, 0, v23
	s_delay_alu instid0(VALU_DEP_2) | instskip(SKIP_1) | instid1(VALU_DEP_2)
	v_dual_cndmask_b32 v15, v21, v15 :: v_dual_cndmask_b32 v20, v20, v24
	v_cmp_ne_u32_e32 vcc_lo, 0, v22
	v_dual_cndmask_b32 v21, v17, v15 :: v_dual_cndmask_b32 v20, v16, v20
                                        ; implicit-def: $vgpr16_vgpr17
.LBB66_105:                             ;   in Loop: Header=BB66_103 Depth=1
	s_and_not1_saveexec_b32 s1, s8
	s_cbranch_execz .LBB66_102
; %bb.106:                              ;   in Loop: Header=BB66_103 Depth=1
	v_cvt_f32_u32_e32 v15, v18
	v_dual_sub_nc_u32 v17, 0, v18 :: v_dual_mov_b32 v21, v14
	s_delay_alu instid0(VALU_DEP_2) | instskip(SKIP_1) | instid1(TRANS32_DEP_1)
	v_rcp_iflag_f32_e32 v15, v15
	v_nop
	v_mul_f32_e32 v15, 0x4f7ffffe, v15
	s_delay_alu instid0(VALU_DEP_1) | instskip(NEXT) | instid1(VALU_DEP_1)
	v_cvt_u32_f32_e32 v15, v15
	v_mul_lo_u32 v17, v17, v15
	s_delay_alu instid0(VALU_DEP_1) | instskip(NEXT) | instid1(VALU_DEP_1)
	v_mul_hi_u32 v17, v15, v17
	v_add_nc_u32_e32 v15, v15, v17
	s_delay_alu instid0(VALU_DEP_1) | instskip(NEXT) | instid1(VALU_DEP_1)
	v_mul_hi_u32 v15, v16, v15
	v_mul_lo_u32 v15, v15, v18
	s_delay_alu instid0(VALU_DEP_1) | instskip(NEXT) | instid1(VALU_DEP_1)
	v_sub_nc_u32_e32 v15, v16, v15
	v_sub_nc_u32_e32 v16, v15, v18
	v_cmp_ge_u32_e32 vcc_lo, v15, v18
	s_delay_alu instid0(VALU_DEP_2) | instskip(NEXT) | instid1(VALU_DEP_1)
	v_cndmask_b32_e32 v15, v15, v16, vcc_lo
	v_sub_nc_u32_e32 v16, v15, v18
	v_cmp_ge_u32_e32 vcc_lo, v15, v18
	s_delay_alu instid0(VALU_DEP_2)
	v_cndmask_b32_e32 v20, v15, v16, vcc_lo
	s_branch .LBB66_102
.LBB66_107:
	s_or_b32 exec_lo, exec_lo, s7
	v_mov_b64_e32 v[16:17], v[18:19]
.LBB66_108:
	s_or_b32 exec_lo, exec_lo, s6
	v_mov_b64_e32 v[14:15], 0
	s_mov_b32 s6, exec_lo
	s_delay_alu instid0(VALU_DEP_2)
	v_cmpx_ne_u64_e32 0, v[16:17]
	s_cbranch_execz .LBB66_114
; %bb.109:
	v_dual_mov_b32 v14, 0 :: v_dual_bitop2_b32 v15, v11, v17 bitop3:0x54
                                        ; implicit-def: $vgpr18_vgpr19
	s_mov_b32 s1, exec_lo
	s_delay_alu instid0(VALU_DEP_1)
	v_cmpx_ne_u64_e32 0, v[14:15]
	s_xor_b32 s7, exec_lo, s1
	s_cbranch_execz .LBB66_111
; %bb.110:
	v_dual_mov_b32 v21, v14 :: v_dual_ashrrev_i32 v18, 31, v17
	v_dual_mov_b32 v31, v14 :: v_dual_mov_b32 v33, v14
	s_delay_alu instid0(VALU_DEP_2) | instskip(NEXT) | instid1(VALU_DEP_1)
	v_mov_b32_e32 v19, v18
	v_add_nc_u64_e32 v[16:17], v[16:17], v[18:19]
	s_delay_alu instid0(VALU_DEP_1) | instskip(NEXT) | instid1(VALU_DEP_2)
	v_xor_b32_e32 v16, v16, v18
	v_xor_b32_e32 v17, v17, v18
	s_delay_alu instid0(VALU_DEP_2) | instskip(NEXT) | instid1(VALU_DEP_2)
	v_cvt_f32_u32_e32 v15, v16
	v_cvt_f32_u32_e32 v19, v17
	s_delay_alu instid0(VALU_DEP_1) | instskip(NEXT) | instid1(VALU_DEP_1)
	v_fmamk_f32 v15, v19, 0x4f800000, v15
	v_rcp_f32_e32 v15, v15
	v_nop
	s_delay_alu instid0(TRANS32_DEP_1) | instskip(NEXT) | instid1(VALU_DEP_1)
	v_mul_f32_e32 v15, 0x5f7ffffc, v15
	v_mul_f32_e32 v19, 0x2f800000, v15
	s_delay_alu instid0(VALU_DEP_1) | instskip(NEXT) | instid1(VALU_DEP_1)
	v_trunc_f32_e32 v19, v19
	v_fmamk_f32 v15, v19, 0xcf800000, v15
	v_cvt_u32_f32_e32 v25, v19
	s_delay_alu instid0(VALU_DEP_2) | instskip(NEXT) | instid1(VALU_DEP_1)
	v_cvt_u32_f32_e32 v20, v15
	v_dual_mov_b32 v32, v25 :: v_dual_mov_b32 v24, v20
	v_sub_nc_u64_e32 v[22:23], 0, v[16:17]
	s_delay_alu instid0(VALU_DEP_1) | instskip(NEXT) | instid1(VALU_DEP_1)
	v_mul_u64_e32 v[28:29], v[22:23], v[24:25]
	v_dual_mov_b32 v30, v29 :: v_dual_mov_b32 v29, v14
	s_delay_alu instid0(VALU_DEP_1) | instskip(NEXT) | instid1(VALU_DEP_2)
	v_mul_u64_e32 v[34:35], v[20:21], v[30:31]
	v_mul_u64_e32 v[36:37], v[32:33], v[28:29]
	;; [unrolled: 1-line block ×3, first 2 shown]
	v_mul_hi_u32 v28, v20, v28
	s_delay_alu instid0(VALU_DEP_1) | instskip(SKIP_1) | instid1(VALU_DEP_2)
	v_add_nc_u64_e32 v[28:29], v[28:29], v[34:35]
	v_ashrrev_i32_e32 v34, 31, v11
	v_add_co_u32 v15, vcc_lo, v28, v36
	s_delay_alu instid0(VALU_DEP_3) | instskip(SKIP_1) | instid1(VALU_DEP_1)
	v_add_co_ci_u32_e32 v32, vcc_lo, v29, v37, vcc_lo
	v_add_co_ci_u32_e32 v31, vcc_lo, 0, v31, vcc_lo
	v_add_nc_u64_e32 v[28:29], v[32:33], v[30:31]
	s_delay_alu instid0(VALU_DEP_1) | instskip(NEXT) | instid1(VALU_DEP_1)
	v_add_co_u32 v20, vcc_lo, v20, v28
	v_add_co_ci_u32_e64 v24, null, v25, v29, vcc_lo
	v_dual_mov_b32 v25, v14 :: v_dual_mov_b32 v29, v14
	s_delay_alu instid0(VALU_DEP_2) | instskip(NEXT) | instid1(VALU_DEP_1)
	v_mov_b32_e32 v21, v24
	v_mul_u64_e32 v[22:23], v[22:23], v[20:21]
	s_delay_alu instid0(VALU_DEP_1) | instskip(NEXT) | instid1(VALU_DEP_2)
	v_dual_mov_b32 v21, v14 :: v_dual_mov_b32 v28, v23
	v_dual_mov_b32 v32, v22 :: v_dual_mov_b32 v23, v14
	v_mul_hi_u32 v22, v20, v22
	s_delay_alu instid0(VALU_DEP_3) | instskip(NEXT) | instid1(VALU_DEP_3)
	v_mul_u64_e32 v[30:31], v[20:21], v[28:29]
	v_mul_u64_e32 v[32:33], v[24:25], v[32:33]
	;; [unrolled: 1-line block ×3, first 2 shown]
	s_delay_alu instid0(VALU_DEP_3) | instskip(SKIP_1) | instid1(VALU_DEP_2)
	v_add_nc_u64_e32 v[22:23], v[22:23], v[30:31]
	v_dual_mov_b32 v31, v14 :: v_dual_mov_b32 v35, v34
	v_add_co_u32 v15, vcc_lo, v22, v32
	s_delay_alu instid0(VALU_DEP_3) | instskip(SKIP_2) | instid1(VALU_DEP_2)
	v_add_co_ci_u32_e32 v30, vcc_lo, v23, v33, vcc_lo
	v_add_co_ci_u32_e32 v29, vcc_lo, 0, v29, vcc_lo
	v_mov_b32_e32 v15, v14
	v_add_nc_u64_e32 v[22:23], v[30:31], v[28:29]
	v_mov_b32_e32 v29, v14
	v_add_nc_u64_e32 v[10:11], v[10:11], v[34:35]
	s_delay_alu instid0(VALU_DEP_3) | instskip(NEXT) | instid1(VALU_DEP_1)
	v_add_co_u32 v22, vcc_lo, v20, v22
	v_add_co_ci_u32_e64 v20, null, v24, v23, vcc_lo
	s_delay_alu instid0(VALU_DEP_3) | instskip(NEXT) | instid1(VALU_DEP_4)
	v_dual_mov_b32 v23, v14 :: v_dual_bitop2_b32 v24, v11, v34 bitop3:0x14
	v_xor_b32_e32 v28, v10, v34
	s_delay_alu instid0(VALU_DEP_2) | instskip(NEXT) | instid1(VALU_DEP_2)
	v_mul_u64_e32 v[10:11], v[24:25], v[22:23]
	v_mul_u64_e32 v[30:31], v[28:29], v[20:21]
	;; [unrolled: 1-line block ×3, first 2 shown]
	v_mul_hi_u32 v22, v28, v22
	s_delay_alu instid0(VALU_DEP_1) | instskip(NEXT) | instid1(VALU_DEP_1)
	v_add_nc_u64_e32 v[22:23], v[22:23], v[30:31]
	v_add_co_u32 v10, vcc_lo, v22, v10
	s_delay_alu instid0(VALU_DEP_2) | instskip(SKIP_1) | instid1(VALU_DEP_1)
	v_add_co_ci_u32_e32 v14, vcc_lo, v23, v11, vcc_lo
	v_add_co_ci_u32_e32 v21, vcc_lo, 0, v21, vcc_lo
	v_add_nc_u64_e32 v[10:11], v[14:15], v[20:21]
	s_delay_alu instid0(VALU_DEP_1) | instskip(NEXT) | instid1(VALU_DEP_1)
	v_mul_u64_e32 v[14:15], v[16:17], v[10:11]
	v_sub_nc_u32_e32 v19, v24, v15
	s_delay_alu instid0(VALU_DEP_2) | instskip(NEXT) | instid1(VALU_DEP_1)
	v_sub_co_u32 v14, vcc_lo, v28, v14
	v_sub_co_ci_u32_e64 v22, null, v24, v15, vcc_lo
	s_delay_alu instid0(VALU_DEP_3) | instskip(NEXT) | instid1(VALU_DEP_3)
	v_sub_co_ci_u32_e64 v19, null, v19, v17, vcc_lo
	v_sub_co_u32 v20, s1, v14, v16
	s_delay_alu instid0(VALU_DEP_1) | instskip(NEXT) | instid1(VALU_DEP_2)
	v_subrev_co_ci_u32_e64 v19, null, 0, v19, s1
	v_cmp_ge_u32_e32 vcc_lo, v20, v16
	v_cndmask_b32_e64 v15, 0, -1, vcc_lo
	s_delay_alu instid0(VALU_DEP_3)
	v_cmp_ge_u32_e32 vcc_lo, v19, v17
	v_cndmask_b32_e64 v20, 0, -1, vcc_lo
	v_cmp_ge_u32_e32 vcc_lo, v14, v16
	v_cndmask_b32_e64 v16, 0, -1, vcc_lo
	;; [unrolled: 2-line block ×3, first 2 shown]
	v_cmp_eq_u32_e32 vcc_lo, v19, v17
	v_cndmask_b32_e32 v19, v20, v15, vcc_lo
	v_cmp_eq_u32_e32 vcc_lo, v22, v17
	v_add_nc_u64_e32 v[14:15], 2, v[10:11]
	v_add_nc_u64_e32 v[20:21], 1, v[10:11]
	v_cndmask_b32_e32 v16, v23, v16, vcc_lo
	v_cmp_ne_u32_e32 vcc_lo, 0, v19
	s_delay_alu instid0(VALU_DEP_2) | instskip(NEXT) | instid1(VALU_DEP_4)
	v_cmp_ne_u32_e64 s1, 0, v16
	v_dual_cndmask_b32 v15, v21, v15 :: v_dual_cndmask_b32 v16, v20, v14
	s_delay_alu instid0(VALU_DEP_1) | instskip(NEXT) | instid1(VALU_DEP_2)
	v_dual_cndmask_b32 v11, v11, v15, s1 :: v_dual_bitop2_b32 v14, v34, v18 bitop3:0x14
	v_cndmask_b32_e64 v10, v10, v16, s1
	s_delay_alu instid0(VALU_DEP_2) | instskip(NEXT) | instid1(VALU_DEP_3)
	v_mov_b32_e32 v15, v14
                                        ; implicit-def: $vgpr16_vgpr17
	v_xor_b32_e32 v11, v11, v14
	s_delay_alu instid0(VALU_DEP_3) | instskip(NEXT) | instid1(VALU_DEP_1)
	v_xor_b32_e32 v10, v10, v14
	v_sub_nc_u64_e32 v[18:19], v[10:11], v[14:15]
                                        ; implicit-def: $vgpr10_vgpr11
.LBB66_111:
	s_and_not1_saveexec_b32 s1, s7
	s_cbranch_execz .LBB66_113
; %bb.112:
	v_cvt_f32_u32_e32 v11, v16
	v_dual_mov_b32 v19, 0 :: v_dual_sub_nc_u32 v14, 0, v16
	s_delay_alu instid0(VALU_DEP_2) | instskip(SKIP_1) | instid1(TRANS32_DEP_1)
	v_rcp_iflag_f32_e32 v11, v11
	v_nop
	v_mul_f32_e32 v11, 0x4f7ffffe, v11
	s_delay_alu instid0(VALU_DEP_1) | instskip(NEXT) | instid1(VALU_DEP_1)
	v_cvt_u32_f32_e32 v11, v11
	v_mul_lo_u32 v14, v14, v11
	s_delay_alu instid0(VALU_DEP_1) | instskip(NEXT) | instid1(VALU_DEP_1)
	v_mul_hi_u32 v14, v11, v14
	v_add_nc_u32_e32 v11, v11, v14
	s_delay_alu instid0(VALU_DEP_1) | instskip(NEXT) | instid1(VALU_DEP_1)
	v_mul_hi_u32 v11, v10, v11
	v_mul_lo_u32 v14, v11, v16
	s_delay_alu instid0(VALU_DEP_1) | instskip(NEXT) | instid1(VALU_DEP_1)
	v_dual_sub_nc_u32 v10, v10, v14 :: v_dual_add_nc_u32 v14, 1, v11
	v_sub_nc_u32_e32 v15, v10, v16
	v_cmp_ge_u32_e32 vcc_lo, v10, v16
	s_delay_alu instid0(VALU_DEP_2) | instskip(NEXT) | instid1(VALU_DEP_1)
	v_dual_cndmask_b32 v10, v10, v15 :: v_dual_cndmask_b32 v11, v11, v14
	v_cmp_ge_u32_e32 vcc_lo, v10, v16
	s_delay_alu instid0(VALU_DEP_2) | instskip(NEXT) | instid1(VALU_DEP_1)
	v_add_nc_u32_e32 v14, 1, v11
	v_cndmask_b32_e32 v18, v11, v14, vcc_lo
.LBB66_113:
	s_or_b32 exec_lo, exec_lo, s1
	s_delay_alu instid0(VALU_DEP_1) | instskip(NEXT) | instid1(VALU_DEP_1)
	v_mul_u64_e32 v[8:9], v[18:19], v[8:9]
	v_sub_nc_u64_e32 v[10:11], 0, v[8:9]
	s_delay_alu instid0(VALU_DEP_1)
	v_max_i64 v[14:15], v[8:9], v[10:11]
.LBB66_114:
	s_or_b32 exec_lo, exec_lo, s6
.LBB66_115:
	s_delay_alu instid0(SALU_CYCLE_1) | instskip(SKIP_2) | instid1(VALU_DEP_1)
	s_or_b32 exec_lo, exec_lo, s3
	v_or_b32_e32 v8, 0x300, v0
	s_mov_b32 s3, exec_lo
                                        ; implicit-def: $vgpr10_vgpr11
	v_cmpx_gt_i32_e64 s12, v8
	s_cbranch_execz .LBB66_123
; %bb.116:
	v_sub_nc_u64_e32 v[8:9], 0, v[2:3]
	s_mov_b32 s6, exec_lo
	s_delay_alu instid0(VALU_DEP_1)
	v_max_i64 v[8:9], v[2:3], v[8:9]
	v_cmpx_ne_u64_e32 0, v[4:5]
	s_cbranch_execz .LBB66_128
; %bb.117:
	v_sub_nc_u64_e32 v[10:11], 0, v[4:5]
	s_mov_b32 s7, 0
	s_delay_alu instid0(VALU_DEP_1)
	v_max_i64 v[18:19], v[4:5], v[10:11]
	v_mov_b32_e32 v10, 0
	s_branch .LBB66_119
.LBB66_118:                             ;   in Loop: Header=BB66_119 Depth=1
	s_or_b32 exec_lo, exec_lo, s1
	s_delay_alu instid0(VALU_DEP_1) | instskip(SKIP_2) | instid1(SALU_CYCLE_1)
	v_cmp_eq_u64_e32 vcc_lo, 0, v[18:19]
	v_mov_b64_e32 v[8:9], v[16:17]
	s_or_b32 s7, vcc_lo, s7
	s_and_not1_b32 exec_lo, exec_lo, s7
	s_cbranch_execz .LBB66_127
.LBB66_119:                             ; =>This Inner Loop Header: Depth=1
	s_delay_alu instid0(VALU_DEP_2) | instskip(SKIP_1) | instid1(VALU_DEP_1)
	v_mov_b64_e32 v[16:17], v[18:19]
                                        ; implicit-def: $vgpr18_vgpr19
	s_mov_b32 s1, exec_lo
	v_or_b32_e32 v11, v9, v17
	s_delay_alu instid0(VALU_DEP_1)
	v_cmpx_ne_u64_e32 0, v[10:11]
	s_xor_b32 s8, exec_lo, s1
	s_cbranch_execz .LBB66_121
; %bb.120:                              ;   in Loop: Header=BB66_119 Depth=1
	s_delay_alu instid0(VALU_DEP_3) | instskip(SKIP_3) | instid1(VALU_DEP_3)
	v_cvt_f32_u32_e32 v11, v16
	v_cvt_f32_u32_e32 v18, v17
	v_sub_nc_u64_e32 v[20:21], 0, v[16:17]
	v_dual_mov_b32 v29, v10 :: v_dual_mov_b32 v31, v10
	v_fmac_f32_e32 v11, 0x4f800000, v18
	s_delay_alu instid0(VALU_DEP_1) | instskip(SKIP_1) | instid1(TRANS32_DEP_1)
	v_rcp_f32_e32 v11, v11
	v_nop
	v_mul_f32_e32 v11, 0x5f7ffffc, v11
	s_delay_alu instid0(VALU_DEP_1) | instskip(NEXT) | instid1(VALU_DEP_1)
	v_mul_f32_e32 v18, 0x2f800000, v11
	v_trunc_f32_e32 v19, v18
	s_delay_alu instid0(VALU_DEP_1) | instskip(SKIP_1) | instid1(VALU_DEP_2)
	v_cvt_u32_f32_e32 v23, v19
	v_fmac_f32_e32 v11, 0xcf800000, v19
	v_dual_mov_b32 v19, v10 :: v_dual_mov_b32 v30, v23
	s_delay_alu instid0(VALU_DEP_2) | instskip(NEXT) | instid1(VALU_DEP_1)
	v_cvt_u32_f32_e32 v18, v11
	v_mov_b32_e32 v22, v18
	s_delay_alu instid0(VALU_DEP_1) | instskip(NEXT) | instid1(VALU_DEP_1)
	v_mul_u64_e32 v[24:25], v[20:21], v[22:23]
	v_dual_mov_b32 v28, v25 :: v_dual_mov_b32 v25, v10
	s_delay_alu instid0(VALU_DEP_1) | instskip(NEXT) | instid1(VALU_DEP_2)
	v_mul_u64_e32 v[32:33], v[18:19], v[28:29]
	v_mul_u64_e32 v[34:35], v[30:31], v[24:25]
	;; [unrolled: 1-line block ×3, first 2 shown]
	v_mul_hi_u32 v24, v18, v24
	s_delay_alu instid0(VALU_DEP_1) | instskip(NEXT) | instid1(VALU_DEP_1)
	v_add_nc_u64_e32 v[24:25], v[24:25], v[32:33]
	v_add_co_u32 v11, vcc_lo, v24, v34
	s_delay_alu instid0(VALU_DEP_2) | instskip(SKIP_1) | instid1(VALU_DEP_1)
	v_add_co_ci_u32_e32 v30, vcc_lo, v25, v35, vcc_lo
	v_add_co_ci_u32_e32 v29, vcc_lo, 0, v29, vcc_lo
	v_add_nc_u64_e32 v[24:25], v[30:31], v[28:29]
	s_delay_alu instid0(VALU_DEP_1) | instskip(NEXT) | instid1(VALU_DEP_1)
	v_add_co_u32 v18, vcc_lo, v18, v24
	v_add_co_ci_u32_e64 v22, null, v23, v25, vcc_lo
	v_dual_mov_b32 v25, v10 :: v_dual_mov_b32 v23, v10
	s_delay_alu instid0(VALU_DEP_2) | instskip(NEXT) | instid1(VALU_DEP_1)
	v_mov_b32_e32 v19, v22
	v_mul_u64_e32 v[20:21], v[20:21], v[18:19]
	s_delay_alu instid0(VALU_DEP_1) | instskip(NEXT) | instid1(VALU_DEP_2)
	v_dual_mov_b32 v19, v10 :: v_dual_mov_b32 v24, v21
	v_dual_mov_b32 v30, v20 :: v_dual_mov_b32 v21, v10
	v_mul_hi_u32 v20, v18, v20
	s_delay_alu instid0(VALU_DEP_3) | instskip(NEXT) | instid1(VALU_DEP_3)
	v_mul_u64_e32 v[28:29], v[18:19], v[24:25]
	v_mul_u64_e32 v[30:31], v[22:23], v[30:31]
	;; [unrolled: 1-line block ×3, first 2 shown]
	s_delay_alu instid0(VALU_DEP_3) | instskip(SKIP_1) | instid1(VALU_DEP_2)
	v_add_nc_u64_e32 v[20:21], v[20:21], v[28:29]
	v_mov_b32_e32 v29, v10
	v_add_co_u32 v11, vcc_lo, v20, v30
	s_delay_alu instid0(VALU_DEP_3) | instskip(SKIP_1) | instid1(VALU_DEP_1)
	v_add_co_ci_u32_e32 v28, vcc_lo, v21, v31, vcc_lo
	v_add_co_ci_u32_e32 v25, vcc_lo, 0, v25, vcc_lo
	v_add_nc_u64_e32 v[20:21], v[28:29], v[24:25]
	v_dual_mov_b32 v24, v8 :: v_dual_mov_b32 v25, v10
	s_delay_alu instid0(VALU_DEP_2) | instskip(NEXT) | instid1(VALU_DEP_1)
	v_add_co_u32 v20, vcc_lo, v18, v20
	v_add_co_ci_u32_e64 v18, null, v22, v21, vcc_lo
	v_dual_mov_b32 v22, v9 :: v_dual_mov_b32 v21, v10
	s_delay_alu instid0(VALU_DEP_2) | instskip(NEXT) | instid1(VALU_DEP_2)
	v_mul_u64_e32 v[24:25], v[24:25], v[18:19]
	v_mul_u64_e32 v[18:19], v[22:23], v[18:19]
	s_delay_alu instid0(VALU_DEP_3) | instskip(SKIP_1) | instid1(VALU_DEP_1)
	v_mul_u64_e32 v[28:29], v[22:23], v[20:21]
	v_mul_hi_u32 v20, v8, v20
	v_add_nc_u64_e32 v[20:21], v[20:21], v[24:25]
	s_delay_alu instid0(VALU_DEP_1) | instskip(NEXT) | instid1(VALU_DEP_2)
	v_add_co_u32 v11, vcc_lo, v20, v28
	v_add_co_ci_u32_e32 v22, vcc_lo, v21, v29, vcc_lo
	v_add_co_ci_u32_e32 v19, vcc_lo, 0, v19, vcc_lo
	s_delay_alu instid0(VALU_DEP_1) | instskip(NEXT) | instid1(VALU_DEP_1)
	v_add_nc_u64_e32 v[18:19], v[22:23], v[18:19]
	v_mul_u64_e32 v[18:19], v[16:17], v[18:19]
	s_delay_alu instid0(VALU_DEP_1) | instskip(NEXT) | instid1(VALU_DEP_2)
	v_sub_nc_u32_e32 v11, v9, v19
	v_sub_co_u32 v8, vcc_lo, v8, v18
	s_delay_alu instid0(VALU_DEP_1) | instskip(NEXT) | instid1(VALU_DEP_3)
	v_sub_co_ci_u32_e64 v9, null, v9, v19, vcc_lo
	v_sub_co_ci_u32_e64 v11, null, v11, v17, vcc_lo
	s_delay_alu instid0(VALU_DEP_3) | instskip(SKIP_1) | instid1(VALU_DEP_3)
	v_sub_co_u32 v18, vcc_lo, v8, v16
	v_cmp_ge_u32_e64 s1, v8, v16
	v_subrev_co_ci_u32_e64 v19, null, 0, v11, vcc_lo
	v_sub_co_ci_u32_e64 v11, null, v11, v17, vcc_lo
	s_delay_alu instid0(VALU_DEP_3) | instskip(SKIP_2) | instid1(VALU_DEP_2)
	v_cndmask_b32_e64 v20, 0, -1, s1
	v_cmp_ge_u32_e64 s1, v18, v16
	v_cmp_ge_u32_e32 vcc_lo, v9, v17
	v_cndmask_b32_e64 v21, 0, -1, s1
	v_cmp_ge_u32_e64 s1, v19, v17
	v_cndmask_b32_e64 v23, 0, -1, vcc_lo
	v_cmp_eq_u32_e32 vcc_lo, v19, v17
	s_delay_alu instid0(VALU_DEP_3) | instskip(SKIP_1) | instid1(VALU_DEP_1)
	v_cndmask_b32_e64 v22, 0, -1, s1
	v_cmp_eq_u32_e64 s1, v9, v17
	v_dual_cndmask_b32 v21, v22, v21, vcc_lo :: v_dual_cndmask_b32 v20, v23, v20, s1
	v_sub_co_u32 v22, vcc_lo, v18, v16
	s_delay_alu instid0(VALU_DEP_1) | instskip(NEXT) | instid1(VALU_DEP_3)
	v_subrev_co_ci_u32_e64 v11, null, 0, v11, vcc_lo
	v_cmp_ne_u32_e32 vcc_lo, 0, v21
	s_delay_alu instid0(VALU_DEP_2) | instskip(SKIP_1) | instid1(VALU_DEP_2)
	v_dual_cndmask_b32 v11, v19, v11 :: v_dual_cndmask_b32 v18, v18, v22
	v_cmp_ne_u32_e32 vcc_lo, 0, v20
	v_dual_cndmask_b32 v19, v9, v11 :: v_dual_cndmask_b32 v18, v8, v18
                                        ; implicit-def: $vgpr8_vgpr9
.LBB66_121:                             ;   in Loop: Header=BB66_119 Depth=1
	s_and_not1_saveexec_b32 s1, s8
	s_cbranch_execz .LBB66_118
; %bb.122:                              ;   in Loop: Header=BB66_119 Depth=1
	v_cvt_f32_u32_e32 v9, v16
	v_dual_sub_nc_u32 v11, 0, v16 :: v_dual_mov_b32 v19, v10
	s_delay_alu instid0(VALU_DEP_2) | instskip(SKIP_1) | instid1(TRANS32_DEP_1)
	v_rcp_iflag_f32_e32 v9, v9
	v_nop
	v_mul_f32_e32 v9, 0x4f7ffffe, v9
	s_delay_alu instid0(VALU_DEP_1) | instskip(NEXT) | instid1(VALU_DEP_1)
	v_cvt_u32_f32_e32 v9, v9
	v_mul_lo_u32 v11, v11, v9
	s_delay_alu instid0(VALU_DEP_1) | instskip(NEXT) | instid1(VALU_DEP_1)
	v_mul_hi_u32 v11, v9, v11
	v_add_nc_u32_e32 v9, v9, v11
	s_delay_alu instid0(VALU_DEP_1) | instskip(NEXT) | instid1(VALU_DEP_1)
	v_mul_hi_u32 v9, v8, v9
	v_mul_lo_u32 v9, v9, v16
	s_delay_alu instid0(VALU_DEP_1) | instskip(NEXT) | instid1(VALU_DEP_1)
	v_sub_nc_u32_e32 v8, v8, v9
	v_sub_nc_u32_e32 v9, v8, v16
	v_cmp_ge_u32_e32 vcc_lo, v8, v16
	s_delay_alu instid0(VALU_DEP_2) | instskip(NEXT) | instid1(VALU_DEP_1)
	v_cndmask_b32_e32 v8, v8, v9, vcc_lo
	v_sub_nc_u32_e32 v9, v8, v16
	v_cmp_ge_u32_e32 vcc_lo, v8, v16
	s_delay_alu instid0(VALU_DEP_2)
	v_cndmask_b32_e32 v18, v8, v9, vcc_lo
	s_branch .LBB66_118
.LBB66_123:
	s_or_b32 exec_lo, exec_lo, s3
	s_and_saveexec_b32 s1, s0
	s_delay_alu instid0(SALU_CYCLE_1)
	s_xor_b32 s0, exec_lo, s1
	s_cbranch_execz .LBB66_135
.LBB66_124:
	v_mov_b32_e32 v0, v26
	global_store_b64 v1, v[6:7], s[4:5] scale_offset
	s_wait_xcnt 0x0
	s_or_b32 exec_lo, exec_lo, s0
	s_delay_alu instid0(SALU_CYCLE_1)
	s_mov_b32 s0, exec_lo
	v_cmpx_gt_i32_e64 s12, v0
	s_cbranch_execnz .LBB66_136
.LBB66_125:
	s_or_b32 exec_lo, exec_lo, s0
	s_delay_alu instid0(SALU_CYCLE_1)
	s_mov_b32 s0, exec_lo
	v_cmpx_gt_i32_e64 s12, v0
	s_cbranch_execz .LBB66_137
.LBB66_126:
	v_add_nc_u32_e32 v1, s2, v0
	v_add_nc_u32_e32 v0, 0x100, v0
	global_store_b64 v1, v[14:15], s[4:5] scale_offset
	s_wait_xcnt 0x0
	s_or_b32 exec_lo, exec_lo, s0
	s_delay_alu instid0(SALU_CYCLE_1)
	s_mov_b32 s0, exec_lo
	v_cmpx_gt_i32_e64 s12, v0
	s_cbranch_execnz .LBB66_138
	s_branch .LBB66_139
.LBB66_127:
	s_or_b32 exec_lo, exec_lo, s7
	v_mov_b64_e32 v[8:9], v[16:17]
.LBB66_128:
	s_or_b32 exec_lo, exec_lo, s6
	v_mov_b64_e32 v[10:11], 0
	s_mov_b32 s6, exec_lo
	s_delay_alu instid0(VALU_DEP_2)
	v_cmpx_ne_u64_e32 0, v[8:9]
	s_cbranch_execz .LBB66_134
; %bb.129:
	v_dual_mov_b32 v10, 0 :: v_dual_bitop2_b32 v11, v5, v9 bitop3:0x54
                                        ; implicit-def: $vgpr16_vgpr17
	s_mov_b32 s1, exec_lo
	s_delay_alu instid0(VALU_DEP_1)
	v_cmpx_ne_u64_e32 0, v[10:11]
	s_xor_b32 s7, exec_lo, s1
	s_cbranch_execz .LBB66_131
; %bb.130:
	v_dual_mov_b32 v19, v10 :: v_dual_ashrrev_i32 v16, 31, v9
	v_dual_mov_b32 v29, v10 :: v_dual_mov_b32 v31, v10
	s_delay_alu instid0(VALU_DEP_2) | instskip(NEXT) | instid1(VALU_DEP_1)
	v_mov_b32_e32 v17, v16
	v_add_nc_u64_e32 v[8:9], v[8:9], v[16:17]
	s_delay_alu instid0(VALU_DEP_1) | instskip(NEXT) | instid1(VALU_DEP_2)
	v_xor_b32_e32 v8, v8, v16
	v_xor_b32_e32 v9, v9, v16
	s_delay_alu instid0(VALU_DEP_2) | instskip(NEXT) | instid1(VALU_DEP_2)
	v_cvt_f32_u32_e32 v11, v8
	v_cvt_f32_u32_e32 v17, v9
	s_delay_alu instid0(VALU_DEP_1) | instskip(NEXT) | instid1(VALU_DEP_1)
	v_fmamk_f32 v11, v17, 0x4f800000, v11
	v_rcp_f32_e32 v11, v11
	v_nop
	s_delay_alu instid0(TRANS32_DEP_1) | instskip(NEXT) | instid1(VALU_DEP_1)
	v_mul_f32_e32 v11, 0x5f7ffffc, v11
	v_mul_f32_e32 v17, 0x2f800000, v11
	s_delay_alu instid0(VALU_DEP_1) | instskip(NEXT) | instid1(VALU_DEP_1)
	v_trunc_f32_e32 v17, v17
	v_fmamk_f32 v11, v17, 0xcf800000, v11
	v_cvt_u32_f32_e32 v23, v17
	s_delay_alu instid0(VALU_DEP_2) | instskip(NEXT) | instid1(VALU_DEP_1)
	v_cvt_u32_f32_e32 v18, v11
	v_dual_mov_b32 v30, v23 :: v_dual_mov_b32 v22, v18
	v_sub_nc_u64_e32 v[20:21], 0, v[8:9]
	s_delay_alu instid0(VALU_DEP_1) | instskip(NEXT) | instid1(VALU_DEP_1)
	v_mul_u64_e32 v[24:25], v[20:21], v[22:23]
	v_dual_mov_b32 v28, v25 :: v_dual_mov_b32 v25, v10
	s_delay_alu instid0(VALU_DEP_1) | instskip(NEXT) | instid1(VALU_DEP_2)
	v_mul_u64_e32 v[32:33], v[18:19], v[28:29]
	v_mul_u64_e32 v[34:35], v[30:31], v[24:25]
	;; [unrolled: 1-line block ×3, first 2 shown]
	v_mul_hi_u32 v24, v18, v24
	s_delay_alu instid0(VALU_DEP_1) | instskip(SKIP_1) | instid1(VALU_DEP_2)
	v_add_nc_u64_e32 v[24:25], v[24:25], v[32:33]
	v_ashrrev_i32_e32 v32, 31, v5
	v_add_co_u32 v11, vcc_lo, v24, v34
	s_delay_alu instid0(VALU_DEP_3) | instskip(SKIP_1) | instid1(VALU_DEP_1)
	v_add_co_ci_u32_e32 v30, vcc_lo, v25, v35, vcc_lo
	v_add_co_ci_u32_e32 v29, vcc_lo, 0, v29, vcc_lo
	v_add_nc_u64_e32 v[24:25], v[30:31], v[28:29]
	s_delay_alu instid0(VALU_DEP_1) | instskip(NEXT) | instid1(VALU_DEP_1)
	v_add_co_u32 v18, vcc_lo, v18, v24
	v_add_co_ci_u32_e64 v22, null, v23, v25, vcc_lo
	v_dual_mov_b32 v23, v10 :: v_dual_mov_b32 v25, v10
	s_delay_alu instid0(VALU_DEP_2) | instskip(NEXT) | instid1(VALU_DEP_1)
	v_mov_b32_e32 v19, v22
	v_mul_u64_e32 v[20:21], v[20:21], v[18:19]
	s_delay_alu instid0(VALU_DEP_1) | instskip(NEXT) | instid1(VALU_DEP_2)
	v_dual_mov_b32 v19, v10 :: v_dual_mov_b32 v24, v21
	v_dual_mov_b32 v30, v20 :: v_dual_mov_b32 v21, v10
	v_mul_hi_u32 v20, v18, v20
	s_delay_alu instid0(VALU_DEP_3) | instskip(NEXT) | instid1(VALU_DEP_3)
	v_mul_u64_e32 v[28:29], v[18:19], v[24:25]
	v_mul_u64_e32 v[30:31], v[22:23], v[30:31]
	;; [unrolled: 1-line block ×3, first 2 shown]
	s_delay_alu instid0(VALU_DEP_3) | instskip(SKIP_1) | instid1(VALU_DEP_2)
	v_add_nc_u64_e32 v[20:21], v[20:21], v[28:29]
	v_dual_mov_b32 v29, v10 :: v_dual_mov_b32 v33, v32
	v_add_co_u32 v11, vcc_lo, v20, v30
	s_delay_alu instid0(VALU_DEP_3) | instskip(SKIP_2) | instid1(VALU_DEP_2)
	v_add_co_ci_u32_e32 v28, vcc_lo, v21, v31, vcc_lo
	v_add_co_ci_u32_e32 v25, vcc_lo, 0, v25, vcc_lo
	v_mov_b32_e32 v11, v10
	v_add_nc_u64_e32 v[20:21], v[28:29], v[24:25]
	v_mov_b32_e32 v25, v10
	v_add_nc_u64_e32 v[4:5], v[4:5], v[32:33]
	s_delay_alu instid0(VALU_DEP_3) | instskip(NEXT) | instid1(VALU_DEP_2)
	v_add_co_u32 v20, vcc_lo, v18, v20
	v_xor_b32_e32 v24, v4, v32
	v_add_co_ci_u32_e64 v18, null, v22, v21, vcc_lo
	s_delay_alu instid0(VALU_DEP_4) | instskip(NEXT) | instid1(VALU_DEP_2)
	v_dual_mov_b32 v21, v10 :: v_dual_bitop2_b32 v22, v5, v32 bitop3:0x14
	v_mul_u64_e32 v[28:29], v[24:25], v[18:19]
	s_delay_alu instid0(VALU_DEP_2) | instskip(SKIP_2) | instid1(VALU_DEP_1)
	v_mul_u64_e32 v[4:5], v[22:23], v[20:21]
	v_mul_u64_e32 v[18:19], v[22:23], v[18:19]
	v_mul_hi_u32 v20, v24, v20
	v_add_nc_u64_e32 v[20:21], v[20:21], v[28:29]
	s_delay_alu instid0(VALU_DEP_1) | instskip(NEXT) | instid1(VALU_DEP_2)
	v_add_co_u32 v4, vcc_lo, v20, v4
	v_add_co_ci_u32_e32 v10, vcc_lo, v21, v5, vcc_lo
	v_add_co_ci_u32_e32 v19, vcc_lo, 0, v19, vcc_lo
	s_delay_alu instid0(VALU_DEP_1) | instskip(NEXT) | instid1(VALU_DEP_1)
	v_add_nc_u64_e32 v[4:5], v[10:11], v[18:19]
	v_mul_u64_e32 v[10:11], v[8:9], v[4:5]
	s_delay_alu instid0(VALU_DEP_1) | instskip(NEXT) | instid1(VALU_DEP_2)
	v_sub_nc_u32_e32 v17, v22, v11
	v_sub_co_u32 v10, vcc_lo, v24, v10
	s_delay_alu instid0(VALU_DEP_1) | instskip(NEXT) | instid1(VALU_DEP_3)
	v_sub_co_ci_u32_e64 v20, null, v22, v11, vcc_lo
	v_sub_co_ci_u32_e64 v17, null, v17, v9, vcc_lo
	s_delay_alu instid0(VALU_DEP_3) | instskip(NEXT) | instid1(VALU_DEP_1)
	v_sub_co_u32 v18, s1, v10, v8
	v_subrev_co_ci_u32_e64 v17, null, 0, v17, s1
	s_delay_alu instid0(VALU_DEP_2) | instskip(SKIP_1) | instid1(VALU_DEP_3)
	v_cmp_ge_u32_e32 vcc_lo, v18, v8
	v_cndmask_b32_e64 v11, 0, -1, vcc_lo
	v_cmp_ge_u32_e32 vcc_lo, v17, v9
	v_cndmask_b32_e64 v18, 0, -1, vcc_lo
	;; [unrolled: 2-line block ×4, first 2 shown]
	v_cmp_eq_u32_e32 vcc_lo, v17, v9
	v_cndmask_b32_e32 v17, v18, v11, vcc_lo
	v_cmp_eq_u32_e32 vcc_lo, v20, v9
	v_add_nc_u64_e32 v[10:11], 2, v[4:5]
	v_add_nc_u64_e32 v[18:19], 1, v[4:5]
	v_cndmask_b32_e32 v8, v21, v8, vcc_lo
	v_cmp_ne_u32_e32 vcc_lo, 0, v17
	s_delay_alu instid0(VALU_DEP_2) | instskip(NEXT) | instid1(VALU_DEP_4)
	v_cmp_ne_u32_e64 s1, 0, v8
	v_dual_cndmask_b32 v9, v19, v11 :: v_dual_cndmask_b32 v10, v18, v10
	s_delay_alu instid0(VALU_DEP_1) | instskip(NEXT) | instid1(VALU_DEP_2)
	v_dual_cndmask_b32 v5, v5, v9, s1 :: v_dual_bitop2_b32 v8, v32, v16 bitop3:0x14
	v_cndmask_b32_e64 v4, v4, v10, s1
	s_delay_alu instid0(VALU_DEP_2) | instskip(NEXT) | instid1(VALU_DEP_2)
	v_dual_mov_b32 v9, v8 :: v_dual_bitop2_b32 v5, v5, v8 bitop3:0x14
	v_xor_b32_e32 v4, v4, v8
	s_delay_alu instid0(VALU_DEP_1)
	v_sub_nc_u64_e32 v[16:17], v[4:5], v[8:9]
                                        ; implicit-def: $vgpr8_vgpr9
                                        ; implicit-def: $vgpr4_vgpr5
.LBB66_131:
	s_and_not1_saveexec_b32 s1, s7
	s_cbranch_execz .LBB66_133
; %bb.132:
	v_cvt_f32_u32_e32 v5, v8
	v_dual_sub_nc_u32 v9, 0, v8 :: v_dual_mov_b32 v17, 0
	s_delay_alu instid0(VALU_DEP_2) | instskip(SKIP_1) | instid1(TRANS32_DEP_1)
	v_rcp_iflag_f32_e32 v5, v5
	v_nop
	v_mul_f32_e32 v5, 0x4f7ffffe, v5
	s_delay_alu instid0(VALU_DEP_1) | instskip(NEXT) | instid1(VALU_DEP_1)
	v_cvt_u32_f32_e32 v5, v5
	v_mul_lo_u32 v9, v9, v5
	s_delay_alu instid0(VALU_DEP_1) | instskip(NEXT) | instid1(VALU_DEP_1)
	v_mul_hi_u32 v9, v5, v9
	v_add_nc_u32_e32 v5, v5, v9
	s_delay_alu instid0(VALU_DEP_1) | instskip(NEXT) | instid1(VALU_DEP_1)
	v_mul_hi_u32 v5, v4, v5
	v_mul_lo_u32 v9, v5, v8
	s_delay_alu instid0(VALU_DEP_1) | instskip(NEXT) | instid1(VALU_DEP_1)
	v_sub_nc_u32_e32 v4, v4, v9
	v_dual_add_nc_u32 v9, 1, v5 :: v_dual_sub_nc_u32 v10, v4, v8
	v_cmp_ge_u32_e32 vcc_lo, v4, v8
	s_delay_alu instid0(VALU_DEP_2) | instskip(NEXT) | instid1(VALU_DEP_1)
	v_dual_cndmask_b32 v4, v4, v10 :: v_dual_cndmask_b32 v5, v5, v9
	v_cmp_ge_u32_e32 vcc_lo, v4, v8
	s_delay_alu instid0(VALU_DEP_2) | instskip(NEXT) | instid1(VALU_DEP_1)
	v_add_nc_u32_e32 v9, 1, v5
	v_cndmask_b32_e32 v16, v5, v9, vcc_lo
.LBB66_133:
	s_or_b32 exec_lo, exec_lo, s1
	s_delay_alu instid0(VALU_DEP_1) | instskip(NEXT) | instid1(VALU_DEP_1)
	v_mul_u64_e32 v[2:3], v[16:17], v[2:3]
	v_sub_nc_u64_e32 v[4:5], 0, v[2:3]
	s_delay_alu instid0(VALU_DEP_1)
	v_max_i64 v[10:11], v[2:3], v[4:5]
.LBB66_134:
	s_or_b32 exec_lo, exec_lo, s6
	s_delay_alu instid0(SALU_CYCLE_1) | instskip(SKIP_1) | instid1(SALU_CYCLE_1)
	s_or_b32 exec_lo, exec_lo, s3
	s_and_saveexec_b32 s1, s0
	s_xor_b32 s0, exec_lo, s1
	s_cbranch_execnz .LBB66_124
.LBB66_135:
	s_or_b32 exec_lo, exec_lo, s0
	s_delay_alu instid0(SALU_CYCLE_1)
	s_mov_b32 s0, exec_lo
	v_cmpx_gt_i32_e64 s12, v0
	s_cbranch_execz .LBB66_125
.LBB66_136:
	v_add_nc_u32_e32 v1, s2, v0
	v_add_nc_u32_e32 v0, 0x100, v0
	global_store_b64 v1, v[12:13], s[4:5] scale_offset
	s_wait_xcnt 0x0
	s_or_b32 exec_lo, exec_lo, s0
	s_delay_alu instid0(SALU_CYCLE_1)
	s_mov_b32 s0, exec_lo
	v_cmpx_gt_i32_e64 s12, v0
	s_cbranch_execnz .LBB66_126
.LBB66_137:
	s_or_b32 exec_lo, exec_lo, s0
	s_delay_alu instid0(SALU_CYCLE_1)
	s_mov_b32 s0, exec_lo
	v_cmpx_gt_i32_e64 s12, v0
	s_cbranch_execz .LBB66_139
.LBB66_138:
	v_add_nc_u32_e32 v0, s2, v0
	global_store_b64 v0, v[10:11], s[4:5] scale_offset
.LBB66_139:
	s_endpgm
	.section	.rodata,"a",@progbits
	.p2align	6, 0x0
	.amdhsa_kernel _ZN2at6native29vectorized_elementwise_kernelILi4EZZZNS0_15lcm_kernel_cudaERNS_18TensorIteratorBaseEENKUlvE_clEvENKUlvE2_clEvEUlllE_St5arrayIPcLm3EEEEviT0_T1_
		.amdhsa_group_segment_fixed_size 0
		.amdhsa_private_segment_fixed_size 0
		.amdhsa_kernarg_size 32
		.amdhsa_user_sgpr_count 2
		.amdhsa_user_sgpr_dispatch_ptr 0
		.amdhsa_user_sgpr_queue_ptr 0
		.amdhsa_user_sgpr_kernarg_segment_ptr 1
		.amdhsa_user_sgpr_dispatch_id 0
		.amdhsa_user_sgpr_kernarg_preload_length 0
		.amdhsa_user_sgpr_kernarg_preload_offset 0
		.amdhsa_user_sgpr_private_segment_size 0
		.amdhsa_wavefront_size32 1
		.amdhsa_uses_dynamic_stack 0
		.amdhsa_enable_private_segment 0
		.amdhsa_system_sgpr_workgroup_id_x 1
		.amdhsa_system_sgpr_workgroup_id_y 0
		.amdhsa_system_sgpr_workgroup_id_z 0
		.amdhsa_system_sgpr_workgroup_info 0
		.amdhsa_system_vgpr_workitem_id 0
		.amdhsa_next_free_vgpr 42
		.amdhsa_next_free_sgpr 16
		.amdhsa_named_barrier_count 0
		.amdhsa_reserve_vcc 1
		.amdhsa_float_round_mode_32 0
		.amdhsa_float_round_mode_16_64 0
		.amdhsa_float_denorm_mode_32 3
		.amdhsa_float_denorm_mode_16_64 3
		.amdhsa_fp16_overflow 0
		.amdhsa_memory_ordered 1
		.amdhsa_forward_progress 1
		.amdhsa_inst_pref_size 119
		.amdhsa_round_robin_scheduling 0
		.amdhsa_exception_fp_ieee_invalid_op 0
		.amdhsa_exception_fp_denorm_src 0
		.amdhsa_exception_fp_ieee_div_zero 0
		.amdhsa_exception_fp_ieee_overflow 0
		.amdhsa_exception_fp_ieee_underflow 0
		.amdhsa_exception_fp_ieee_inexact 0
		.amdhsa_exception_int_div_zero 0
	.end_amdhsa_kernel
	.section	.text._ZN2at6native29vectorized_elementwise_kernelILi4EZZZNS0_15lcm_kernel_cudaERNS_18TensorIteratorBaseEENKUlvE_clEvENKUlvE2_clEvEUlllE_St5arrayIPcLm3EEEEviT0_T1_,"axG",@progbits,_ZN2at6native29vectorized_elementwise_kernelILi4EZZZNS0_15lcm_kernel_cudaERNS_18TensorIteratorBaseEENKUlvE_clEvENKUlvE2_clEvEUlllE_St5arrayIPcLm3EEEEviT0_T1_,comdat
.Lfunc_end66:
	.size	_ZN2at6native29vectorized_elementwise_kernelILi4EZZZNS0_15lcm_kernel_cudaERNS_18TensorIteratorBaseEENKUlvE_clEvENKUlvE2_clEvEUlllE_St5arrayIPcLm3EEEEviT0_T1_, .Lfunc_end66-_ZN2at6native29vectorized_elementwise_kernelILi4EZZZNS0_15lcm_kernel_cudaERNS_18TensorIteratorBaseEENKUlvE_clEvENKUlvE2_clEvEUlllE_St5arrayIPcLm3EEEEviT0_T1_
                                        ; -- End function
	.set _ZN2at6native29vectorized_elementwise_kernelILi4EZZZNS0_15lcm_kernel_cudaERNS_18TensorIteratorBaseEENKUlvE_clEvENKUlvE2_clEvEUlllE_St5arrayIPcLm3EEEEviT0_T1_.num_vgpr, 42
	.set _ZN2at6native29vectorized_elementwise_kernelILi4EZZZNS0_15lcm_kernel_cudaERNS_18TensorIteratorBaseEENKUlvE_clEvENKUlvE2_clEvEUlllE_St5arrayIPcLm3EEEEviT0_T1_.num_agpr, 0
	.set _ZN2at6native29vectorized_elementwise_kernelILi4EZZZNS0_15lcm_kernel_cudaERNS_18TensorIteratorBaseEENKUlvE_clEvENKUlvE2_clEvEUlllE_St5arrayIPcLm3EEEEviT0_T1_.numbered_sgpr, 16
	.set _ZN2at6native29vectorized_elementwise_kernelILi4EZZZNS0_15lcm_kernel_cudaERNS_18TensorIteratorBaseEENKUlvE_clEvENKUlvE2_clEvEUlllE_St5arrayIPcLm3EEEEviT0_T1_.num_named_barrier, 0
	.set _ZN2at6native29vectorized_elementwise_kernelILi4EZZZNS0_15lcm_kernel_cudaERNS_18TensorIteratorBaseEENKUlvE_clEvENKUlvE2_clEvEUlllE_St5arrayIPcLm3EEEEviT0_T1_.private_seg_size, 0
	.set _ZN2at6native29vectorized_elementwise_kernelILi4EZZZNS0_15lcm_kernel_cudaERNS_18TensorIteratorBaseEENKUlvE_clEvENKUlvE2_clEvEUlllE_St5arrayIPcLm3EEEEviT0_T1_.uses_vcc, 1
	.set _ZN2at6native29vectorized_elementwise_kernelILi4EZZZNS0_15lcm_kernel_cudaERNS_18TensorIteratorBaseEENKUlvE_clEvENKUlvE2_clEvEUlllE_St5arrayIPcLm3EEEEviT0_T1_.uses_flat_scratch, 0
	.set _ZN2at6native29vectorized_elementwise_kernelILi4EZZZNS0_15lcm_kernel_cudaERNS_18TensorIteratorBaseEENKUlvE_clEvENKUlvE2_clEvEUlllE_St5arrayIPcLm3EEEEviT0_T1_.has_dyn_sized_stack, 0
	.set _ZN2at6native29vectorized_elementwise_kernelILi4EZZZNS0_15lcm_kernel_cudaERNS_18TensorIteratorBaseEENKUlvE_clEvENKUlvE2_clEvEUlllE_St5arrayIPcLm3EEEEviT0_T1_.has_recursion, 0
	.set _ZN2at6native29vectorized_elementwise_kernelILi4EZZZNS0_15lcm_kernel_cudaERNS_18TensorIteratorBaseEENKUlvE_clEvENKUlvE2_clEvEUlllE_St5arrayIPcLm3EEEEviT0_T1_.has_indirect_call, 0
	.section	.AMDGPU.csdata,"",@progbits
; Kernel info:
; codeLenInByte = 15128
; TotalNumSgprs: 18
; NumVgprs: 42
; ScratchSize: 0
; MemoryBound: 1
; FloatMode: 240
; IeeeMode: 1
; LDSByteSize: 0 bytes/workgroup (compile time only)
; SGPRBlocks: 0
; VGPRBlocks: 2
; NumSGPRsForWavesPerEU: 18
; NumVGPRsForWavesPerEU: 42
; NamedBarCnt: 0
; Occupancy: 16
; WaveLimiterHint : 0
; COMPUTE_PGM_RSRC2:SCRATCH_EN: 0
; COMPUTE_PGM_RSRC2:USER_SGPR: 2
; COMPUTE_PGM_RSRC2:TRAP_HANDLER: 0
; COMPUTE_PGM_RSRC2:TGID_X_EN: 1
; COMPUTE_PGM_RSRC2:TGID_Y_EN: 0
; COMPUTE_PGM_RSRC2:TGID_Z_EN: 0
; COMPUTE_PGM_RSRC2:TIDIG_COMP_CNT: 0
	.section	.text._ZN2at6native29vectorized_elementwise_kernelILi2EZZZNS0_15lcm_kernel_cudaERNS_18TensorIteratorBaseEENKUlvE_clEvENKUlvE2_clEvEUlllE_St5arrayIPcLm3EEEEviT0_T1_,"axG",@progbits,_ZN2at6native29vectorized_elementwise_kernelILi2EZZZNS0_15lcm_kernel_cudaERNS_18TensorIteratorBaseEENKUlvE_clEvENKUlvE2_clEvEUlllE_St5arrayIPcLm3EEEEviT0_T1_,comdat
	.globl	_ZN2at6native29vectorized_elementwise_kernelILi2EZZZNS0_15lcm_kernel_cudaERNS_18TensorIteratorBaseEENKUlvE_clEvENKUlvE2_clEvEUlllE_St5arrayIPcLm3EEEEviT0_T1_ ; -- Begin function _ZN2at6native29vectorized_elementwise_kernelILi2EZZZNS0_15lcm_kernel_cudaERNS_18TensorIteratorBaseEENKUlvE_clEvENKUlvE2_clEvEUlllE_St5arrayIPcLm3EEEEviT0_T1_
	.p2align	8
	.type	_ZN2at6native29vectorized_elementwise_kernelILi2EZZZNS0_15lcm_kernel_cudaERNS_18TensorIteratorBaseEENKUlvE_clEvENKUlvE2_clEvEUlllE_St5arrayIPcLm3EEEEviT0_T1_,@function
_ZN2at6native29vectorized_elementwise_kernelILi2EZZZNS0_15lcm_kernel_cudaERNS_18TensorIteratorBaseEENKUlvE_clEvENKUlvE2_clEvEUlllE_St5arrayIPcLm3EEEEviT0_T1_: ; @_ZN2at6native29vectorized_elementwise_kernelILi2EZZZNS0_15lcm_kernel_cudaERNS_18TensorIteratorBaseEENKUlvE_clEvENKUlvE2_clEvEUlllE_St5arrayIPcLm3EEEEviT0_T1_
; %bb.0:
	s_clause 0x2
	s_load_b32 s3, s[0:1], 0x0
	s_load_b128 s[4:7], s[0:1], 0x8
	s_load_b64 s[8:9], s[0:1], 0x18
	s_wait_xcnt 0x0
	s_bfe_u32 s0, ttmp6, 0x4000c
	s_and_b32 s1, ttmp6, 15
	s_add_co_i32 s0, s0, 1
	s_getreg_b32 s2, hwreg(HW_REG_IB_STS2, 6, 4)
	s_mul_i32 s0, ttmp9, s0
	s_delay_alu instid0(SALU_CYCLE_1) | instskip(SKIP_2) | instid1(SALU_CYCLE_1)
	s_add_co_i32 s1, s1, s0
	s_cmp_eq_u32 s2, 0
	s_cselect_b32 s0, ttmp9, s1
	s_lshl_b32 s2, s0, 10
	s_mov_b32 s0, -1
	s_wait_kmcnt 0x0
	s_sub_co_i32 s12, s3, s2
	s_delay_alu instid0(SALU_CYCLE_1)
	s_cmp_gt_i32 s12, 0x3ff
	s_cbranch_scc0 .LBB67_58
; %bb.1:
	s_ashr_i32 s3, s2, 31
	s_delay_alu instid0(SALU_CYCLE_1) | instskip(NEXT) | instid1(SALU_CYCLE_1)
	s_lshl_b64 s[10:11], s[2:3], 3
	s_add_nc_u64 s[0:1], s[8:9], s[10:11]
	s_add_nc_u64 s[14:15], s[6:7], s[10:11]
	s_clause 0x3
	global_load_b128 v[12:15], v0, s[0:1] scale_offset
	global_load_b128 v[16:19], v0, s[14:15] scale_offset
	global_load_b128 v[6:9], v0, s[14:15] offset:4096 scale_offset
	global_load_b128 v[2:5], v0, s[0:1] offset:4096 scale_offset
	s_wait_xcnt 0x0
	s_mov_b32 s1, exec_lo
	s_wait_loadcnt 0x3
	v_sub_nc_u64_e32 v[10:11], 0, v[12:13]
	s_delay_alu instid0(VALU_DEP_1)
	v_max_i64 v[20:21], v[12:13], v[10:11]
	v_mov_b32_e32 v10, 0
	s_wait_loadcnt 0x2
	v_cmpx_ne_u64_e32 0, v[16:17]
	s_cbranch_execz .LBB67_9
; %bb.2:
	v_sub_nc_u64_e32 v[22:23], 0, v[16:17]
	s_mov_b32 s3, 0
	s_delay_alu instid0(VALU_DEP_1)
	v_max_i64 v[24:25], v[16:17], v[22:23]
	s_branch .LBB67_4
.LBB67_3:                               ;   in Loop: Header=BB67_4 Depth=1
	s_or_b32 exec_lo, exec_lo, s0
	s_delay_alu instid0(VALU_DEP_1) | instskip(SKIP_2) | instid1(SALU_CYCLE_1)
	v_cmp_eq_u64_e32 vcc_lo, 0, v[24:25]
	v_mov_b64_e32 v[20:21], v[22:23]
	s_or_b32 s3, vcc_lo, s3
	s_and_not1_b32 exec_lo, exec_lo, s3
	s_cbranch_execz .LBB67_8
.LBB67_4:                               ; =>This Inner Loop Header: Depth=1
	s_delay_alu instid0(VALU_DEP_1) | instskip(SKIP_1) | instid1(VALU_DEP_1)
	v_mov_b64_e32 v[22:23], v[24:25]
                                        ; implicit-def: $vgpr24_vgpr25
	s_mov_b32 s0, exec_lo
	v_or_b32_e32 v11, v21, v23
	s_delay_alu instid0(VALU_DEP_1)
	v_cmpx_ne_u64_e32 0, v[10:11]
	s_xor_b32 s13, exec_lo, s0
	s_cbranch_execz .LBB67_6
; %bb.5:                                ;   in Loop: Header=BB67_4 Depth=1
	s_delay_alu instid0(VALU_DEP_3) | instskip(SKIP_4) | instid1(VALU_DEP_4)
	v_cvt_f32_u32_e32 v1, v22
	v_cvt_f32_u32_e32 v11, v23
	v_sub_nc_u64_e32 v[26:27], 0, v[22:23]
	v_dual_mov_b32 v25, v10 :: v_dual_mov_b32 v33, v10
	v_mov_b32_e32 v35, v10
	v_fmac_f32_e32 v1, 0x4f800000, v11
	s_delay_alu instid0(VALU_DEP_1) | instskip(SKIP_1) | instid1(TRANS32_DEP_1)
	v_rcp_f32_e32 v1, v1
	v_nop
	v_mul_f32_e32 v1, 0x5f7ffffc, v1
	s_delay_alu instid0(VALU_DEP_1) | instskip(NEXT) | instid1(VALU_DEP_1)
	v_mul_f32_e32 v11, 0x2f800000, v1
	v_trunc_f32_e32 v11, v11
	s_delay_alu instid0(VALU_DEP_1) | instskip(SKIP_1) | instid1(VALU_DEP_2)
	v_fmac_f32_e32 v1, 0xcf800000, v11
	v_cvt_u32_f32_e32 v29, v11
	v_cvt_u32_f32_e32 v24, v1
	s_delay_alu instid0(VALU_DEP_1) | instskip(NEXT) | instid1(VALU_DEP_1)
	v_dual_mov_b32 v34, v29 :: v_dual_mov_b32 v28, v24
	v_mul_u64_e32 v[30:31], v[26:27], v[28:29]
	s_delay_alu instid0(VALU_DEP_1) | instskip(NEXT) | instid1(VALU_DEP_1)
	v_dual_mov_b32 v32, v31 :: v_dual_mov_b32 v31, v10
	v_mul_u64_e32 v[36:37], v[24:25], v[32:33]
	s_delay_alu instid0(VALU_DEP_2) | instskip(SKIP_2) | instid1(VALU_DEP_1)
	v_mul_u64_e32 v[38:39], v[34:35], v[30:31]
	v_mul_u64_e32 v[32:33], v[34:35], v[32:33]
	v_mul_hi_u32 v30, v24, v30
	v_add_nc_u64_e32 v[30:31], v[30:31], v[36:37]
	s_delay_alu instid0(VALU_DEP_1) | instskip(NEXT) | instid1(VALU_DEP_2)
	v_add_co_u32 v1, vcc_lo, v30, v38
	v_add_co_ci_u32_e32 v34, vcc_lo, v31, v39, vcc_lo
	v_add_co_ci_u32_e32 v33, vcc_lo, 0, v33, vcc_lo
	s_delay_alu instid0(VALU_DEP_1) | instskip(NEXT) | instid1(VALU_DEP_1)
	v_add_nc_u64_e32 v[30:31], v[34:35], v[32:33]
	v_add_co_u32 v24, vcc_lo, v24, v30
	s_delay_alu instid0(VALU_DEP_1) | instskip(SKIP_1) | instid1(VALU_DEP_2)
	v_add_co_ci_u32_e64 v28, null, v29, v31, vcc_lo
	v_dual_mov_b32 v31, v10 :: v_dual_mov_b32 v29, v10
	v_mov_b32_e32 v25, v28
	s_delay_alu instid0(VALU_DEP_1) | instskip(NEXT) | instid1(VALU_DEP_1)
	v_mul_u64_e32 v[26:27], v[26:27], v[24:25]
	v_dual_mov_b32 v25, v10 :: v_dual_mov_b32 v30, v27
	s_delay_alu instid0(VALU_DEP_2) | instskip(SKIP_1) | instid1(VALU_DEP_3)
	v_dual_mov_b32 v34, v26 :: v_dual_mov_b32 v27, v10
	v_mul_hi_u32 v26, v24, v26
	v_mul_u64_e32 v[32:33], v[24:25], v[30:31]
	s_delay_alu instid0(VALU_DEP_3) | instskip(SKIP_1) | instid1(VALU_DEP_3)
	v_mul_u64_e32 v[34:35], v[28:29], v[34:35]
	v_mul_u64_e32 v[30:31], v[28:29], v[30:31]
	v_add_nc_u64_e32 v[26:27], v[26:27], v[32:33]
	v_mov_b32_e32 v33, v10
	s_delay_alu instid0(VALU_DEP_2) | instskip(NEXT) | instid1(VALU_DEP_3)
	v_add_co_u32 v1, vcc_lo, v26, v34
	v_add_co_ci_u32_e32 v32, vcc_lo, v27, v35, vcc_lo
	v_add_co_ci_u32_e32 v31, vcc_lo, 0, v31, vcc_lo
	s_delay_alu instid0(VALU_DEP_1) | instskip(SKIP_1) | instid1(VALU_DEP_2)
	v_add_nc_u64_e32 v[26:27], v[32:33], v[30:31]
	v_dual_mov_b32 v30, v20 :: v_dual_mov_b32 v31, v10
	v_add_co_u32 v26, vcc_lo, v24, v26
	s_delay_alu instid0(VALU_DEP_1) | instskip(SKIP_1) | instid1(VALU_DEP_2)
	v_add_co_ci_u32_e64 v24, null, v28, v27, vcc_lo
	v_dual_mov_b32 v28, v21 :: v_dual_mov_b32 v27, v10
	v_mul_u64_e32 v[30:31], v[30:31], v[24:25]
	s_delay_alu instid0(VALU_DEP_2) | instskip(NEXT) | instid1(VALU_DEP_3)
	v_mul_u64_e32 v[24:25], v[28:29], v[24:25]
	v_mul_u64_e32 v[32:33], v[28:29], v[26:27]
	v_mul_hi_u32 v26, v20, v26
	s_delay_alu instid0(VALU_DEP_1) | instskip(NEXT) | instid1(VALU_DEP_1)
	v_add_nc_u64_e32 v[26:27], v[26:27], v[30:31]
	v_add_co_u32 v1, vcc_lo, v26, v32
	s_delay_alu instid0(VALU_DEP_2) | instskip(SKIP_1) | instid1(VALU_DEP_1)
	v_add_co_ci_u32_e32 v28, vcc_lo, v27, v33, vcc_lo
	v_add_co_ci_u32_e32 v25, vcc_lo, 0, v25, vcc_lo
	v_add_nc_u64_e32 v[24:25], v[28:29], v[24:25]
	s_delay_alu instid0(VALU_DEP_1) | instskip(NEXT) | instid1(VALU_DEP_1)
	v_mul_u64_e32 v[24:25], v[22:23], v[24:25]
	v_sub_nc_u32_e32 v1, v21, v25
	s_delay_alu instid0(VALU_DEP_2) | instskip(NEXT) | instid1(VALU_DEP_1)
	v_sub_co_u32 v11, vcc_lo, v20, v24
	v_sub_co_ci_u32_e64 v20, null, v21, v25, vcc_lo
	s_delay_alu instid0(VALU_DEP_3) | instskip(NEXT) | instid1(VALU_DEP_3)
	v_sub_co_ci_u32_e64 v1, null, v1, v23, vcc_lo
	v_sub_co_u32 v21, vcc_lo, v11, v22
	v_cmp_ge_u32_e64 s0, v11, v22
	s_delay_alu instid0(VALU_DEP_3) | instskip(SKIP_1) | instid1(VALU_DEP_3)
	v_subrev_co_ci_u32_e64 v24, null, 0, v1, vcc_lo
	v_sub_co_ci_u32_e64 v1, null, v1, v23, vcc_lo
	v_cndmask_b32_e64 v25, 0, -1, s0
	v_cmp_ge_u32_e64 s0, v21, v22
	v_cmp_ge_u32_e32 vcc_lo, v20, v23
	s_delay_alu instid0(VALU_DEP_2) | instskip(SKIP_3) | instid1(VALU_DEP_3)
	v_cndmask_b32_e64 v26, 0, -1, s0
	v_cmp_ge_u32_e64 s0, v24, v23
	v_cndmask_b32_e64 v28, 0, -1, vcc_lo
	v_cmp_eq_u32_e32 vcc_lo, v24, v23
	v_cndmask_b32_e64 v27, 0, -1, s0
	v_cmp_eq_u32_e64 s0, v20, v23
	s_delay_alu instid0(VALU_DEP_1) | instskip(SKIP_1) | instid1(VALU_DEP_1)
	v_dual_cndmask_b32 v26, v27, v26, vcc_lo :: v_dual_cndmask_b32 v25, v28, v25, s0
	v_sub_co_u32 v27, vcc_lo, v21, v22
	v_subrev_co_ci_u32_e64 v1, null, 0, v1, vcc_lo
	s_delay_alu instid0(VALU_DEP_3) | instskip(NEXT) | instid1(VALU_DEP_2)
	v_cmp_ne_u32_e32 vcc_lo, 0, v26
	v_dual_cndmask_b32 v1, v24, v1, vcc_lo :: v_dual_cndmask_b32 v21, v21, v27, vcc_lo
	v_cmp_ne_u32_e32 vcc_lo, 0, v25
	s_delay_alu instid0(VALU_DEP_2) | instskip(NEXT) | instid1(VALU_DEP_3)
	v_cndmask_b32_e32 v25, v20, v1, vcc_lo
	v_cndmask_b32_e32 v24, v11, v21, vcc_lo
                                        ; implicit-def: $vgpr20_vgpr21
.LBB67_6:                               ;   in Loop: Header=BB67_4 Depth=1
	s_and_not1_saveexec_b32 s0, s13
	s_cbranch_execz .LBB67_3
; %bb.7:                                ;   in Loop: Header=BB67_4 Depth=1
	v_cvt_f32_u32_e32 v1, v22
	v_dual_sub_nc_u32 v11, 0, v22 :: v_dual_mov_b32 v25, v10
	s_delay_alu instid0(VALU_DEP_2) | instskip(SKIP_1) | instid1(TRANS32_DEP_1)
	v_rcp_iflag_f32_e32 v1, v1
	v_nop
	v_mul_f32_e32 v1, 0x4f7ffffe, v1
	s_delay_alu instid0(VALU_DEP_1) | instskip(NEXT) | instid1(VALU_DEP_1)
	v_cvt_u32_f32_e32 v1, v1
	v_mul_lo_u32 v11, v11, v1
	s_delay_alu instid0(VALU_DEP_1) | instskip(NEXT) | instid1(VALU_DEP_1)
	v_mul_hi_u32 v11, v1, v11
	v_add_nc_u32_e32 v1, v1, v11
	s_delay_alu instid0(VALU_DEP_1) | instskip(NEXT) | instid1(VALU_DEP_1)
	v_mul_hi_u32 v1, v20, v1
	v_mul_lo_u32 v1, v1, v22
	s_delay_alu instid0(VALU_DEP_1) | instskip(NEXT) | instid1(VALU_DEP_1)
	v_sub_nc_u32_e32 v1, v20, v1
	v_sub_nc_u32_e32 v11, v1, v22
	v_cmp_ge_u32_e32 vcc_lo, v1, v22
	s_delay_alu instid0(VALU_DEP_2) | instskip(NEXT) | instid1(VALU_DEP_1)
	v_cndmask_b32_e32 v1, v1, v11, vcc_lo
	v_sub_nc_u32_e32 v11, v1, v22
	v_cmp_ge_u32_e32 vcc_lo, v1, v22
	s_delay_alu instid0(VALU_DEP_2)
	v_cndmask_b32_e32 v24, v1, v11, vcc_lo
	s_branch .LBB67_3
.LBB67_8:
	s_or_b32 exec_lo, exec_lo, s3
	v_mov_b64_e32 v[20:21], v[22:23]
.LBB67_9:
	s_or_b32 exec_lo, exec_lo, s1
	v_mov_b64_e32 v[10:11], 0
	s_mov_b32 s1, exec_lo
	s_delay_alu instid0(VALU_DEP_2)
	v_cmpx_ne_u64_e32 0, v[20:21]
	s_cbranch_execz .LBB67_15
; %bb.10:
	v_dual_mov_b32 v10, 0 :: v_dual_bitop2_b32 v11, v17, v21 bitop3:0x54
                                        ; implicit-def: $vgpr22_vgpr23
	s_mov_b32 s0, exec_lo
	s_delay_alu instid0(VALU_DEP_1)
	v_cmpx_ne_u64_e32 0, v[10:11]
	s_xor_b32 s3, exec_lo, s0
	s_cbranch_execz .LBB67_12
; %bb.11:
	v_dual_mov_b32 v25, v10 :: v_dual_ashrrev_i32 v22, 31, v21
	v_dual_mov_b32 v33, v10 :: v_dual_mov_b32 v35, v10
	s_delay_alu instid0(VALU_DEP_2) | instskip(NEXT) | instid1(VALU_DEP_1)
	v_mov_b32_e32 v23, v22
	v_add_nc_u64_e32 v[20:21], v[20:21], v[22:23]
	s_delay_alu instid0(VALU_DEP_1) | instskip(NEXT) | instid1(VALU_DEP_2)
	v_xor_b32_e32 v20, v20, v22
	v_xor_b32_e32 v21, v21, v22
	s_delay_alu instid0(VALU_DEP_2) | instskip(NEXT) | instid1(VALU_DEP_2)
	v_cvt_f32_u32_e32 v1, v20
	v_cvt_f32_u32_e32 v11, v21
	s_delay_alu instid0(VALU_DEP_1) | instskip(NEXT) | instid1(VALU_DEP_1)
	v_fmamk_f32 v1, v11, 0x4f800000, v1
	v_rcp_f32_e32 v1, v1
	v_nop
	s_delay_alu instid0(TRANS32_DEP_1) | instskip(NEXT) | instid1(VALU_DEP_1)
	v_mul_f32_e32 v1, 0x5f7ffffc, v1
	v_mul_f32_e32 v11, 0x2f800000, v1
	s_delay_alu instid0(VALU_DEP_1) | instskip(NEXT) | instid1(VALU_DEP_1)
	v_trunc_f32_e32 v11, v11
	v_fmamk_f32 v1, v11, 0xcf800000, v1
	v_cvt_u32_f32_e32 v29, v11
	s_delay_alu instid0(VALU_DEP_2) | instskip(NEXT) | instid1(VALU_DEP_1)
	v_cvt_u32_f32_e32 v24, v1
	v_dual_mov_b32 v34, v29 :: v_dual_mov_b32 v28, v24
	v_sub_nc_u64_e32 v[26:27], 0, v[20:21]
	s_delay_alu instid0(VALU_DEP_1) | instskip(NEXT) | instid1(VALU_DEP_1)
	v_mul_u64_e32 v[30:31], v[26:27], v[28:29]
	v_dual_mov_b32 v32, v31 :: v_dual_mov_b32 v31, v10
	s_delay_alu instid0(VALU_DEP_1) | instskip(NEXT) | instid1(VALU_DEP_2)
	v_mul_u64_e32 v[36:37], v[24:25], v[32:33]
	v_mul_u64_e32 v[38:39], v[34:35], v[30:31]
	;; [unrolled: 1-line block ×3, first 2 shown]
	v_mul_hi_u32 v30, v24, v30
	s_delay_alu instid0(VALU_DEP_1) | instskip(SKIP_1) | instid1(VALU_DEP_2)
	v_add_nc_u64_e32 v[30:31], v[30:31], v[36:37]
	v_ashrrev_i32_e32 v36, 31, v17
	v_add_co_u32 v1, vcc_lo, v30, v38
	s_delay_alu instid0(VALU_DEP_3) | instskip(SKIP_1) | instid1(VALU_DEP_1)
	v_add_co_ci_u32_e32 v34, vcc_lo, v31, v39, vcc_lo
	v_add_co_ci_u32_e32 v33, vcc_lo, 0, v33, vcc_lo
	v_add_nc_u64_e32 v[30:31], v[34:35], v[32:33]
	s_delay_alu instid0(VALU_DEP_1) | instskip(NEXT) | instid1(VALU_DEP_1)
	v_add_co_u32 v24, vcc_lo, v24, v30
	v_add_co_ci_u32_e64 v28, null, v29, v31, vcc_lo
	v_dual_mov_b32 v29, v10 :: v_dual_mov_b32 v31, v10
	s_delay_alu instid0(VALU_DEP_2) | instskip(NEXT) | instid1(VALU_DEP_1)
	v_mov_b32_e32 v25, v28
	v_mul_u64_e32 v[26:27], v[26:27], v[24:25]
	s_delay_alu instid0(VALU_DEP_1) | instskip(NEXT) | instid1(VALU_DEP_2)
	v_dual_mov_b32 v25, v10 :: v_dual_mov_b32 v30, v27
	v_dual_mov_b32 v34, v26 :: v_dual_mov_b32 v27, v10
	v_mul_hi_u32 v26, v24, v26
	s_delay_alu instid0(VALU_DEP_3) | instskip(NEXT) | instid1(VALU_DEP_3)
	v_mul_u64_e32 v[32:33], v[24:25], v[30:31]
	v_mul_u64_e32 v[34:35], v[28:29], v[34:35]
	;; [unrolled: 1-line block ×3, first 2 shown]
	s_delay_alu instid0(VALU_DEP_3) | instskip(SKIP_1) | instid1(VALU_DEP_2)
	v_add_nc_u64_e32 v[26:27], v[26:27], v[32:33]
	v_dual_mov_b32 v33, v10 :: v_dual_mov_b32 v37, v36
	v_add_co_u32 v1, vcc_lo, v26, v34
	s_delay_alu instid0(VALU_DEP_3) | instskip(SKIP_1) | instid1(VALU_DEP_4)
	v_add_co_ci_u32_e32 v32, vcc_lo, v27, v35, vcc_lo
	v_add_co_ci_u32_e32 v31, vcc_lo, 0, v31, vcc_lo
	v_add_nc_u64_e32 v[26:27], v[16:17], v[36:37]
	s_delay_alu instid0(VALU_DEP_2) | instskip(NEXT) | instid1(VALU_DEP_2)
	v_add_nc_u64_e32 v[30:31], v[32:33], v[30:31]
	v_xor_b32_e32 v32, v26, v36
	s_delay_alu instid0(VALU_DEP_2) | instskip(NEXT) | instid1(VALU_DEP_1)
	v_add_co_u32 v30, vcc_lo, v24, v30
	v_add_co_ci_u32_e64 v24, null, v28, v31, vcc_lo
	v_dual_mov_b32 v31, v10 :: v_dual_bitop2_b32 v28, v27, v36 bitop3:0x14
	v_mov_b32_e32 v11, v10
	s_delay_alu instid0(VALU_DEP_3) | instskip(NEXT) | instid1(VALU_DEP_3)
	v_mul_u64_e32 v[34:35], v[32:33], v[24:25]
	v_mul_u64_e32 v[26:27], v[28:29], v[30:31]
	;; [unrolled: 1-line block ×3, first 2 shown]
	v_mul_hi_u32 v30, v32, v30
	s_delay_alu instid0(VALU_DEP_1) | instskip(NEXT) | instid1(VALU_DEP_1)
	v_add_nc_u64_e32 v[30:31], v[30:31], v[34:35]
	v_add_co_u32 v1, vcc_lo, v30, v26
	s_delay_alu instid0(VALU_DEP_2) | instskip(SKIP_1) | instid1(VALU_DEP_1)
	v_add_co_ci_u32_e32 v10, vcc_lo, v31, v27, vcc_lo
	v_add_co_ci_u32_e32 v25, vcc_lo, 0, v25, vcc_lo
	v_add_nc_u64_e32 v[10:11], v[10:11], v[24:25]
	s_delay_alu instid0(VALU_DEP_1) | instskip(SKIP_1) | instid1(VALU_DEP_2)
	v_mul_u64_e32 v[24:25], v[20:21], v[10:11]
	v_add_nc_u64_e32 v[26:27], 1, v[10:11]
	v_sub_nc_u32_e32 v1, v28, v25
	s_delay_alu instid0(VALU_DEP_3) | instskip(NEXT) | instid1(VALU_DEP_1)
	v_sub_co_u32 v17, vcc_lo, v32, v24
	v_sub_co_ci_u32_e64 v28, null, v28, v25, vcc_lo
	s_delay_alu instid0(VALU_DEP_3) | instskip(NEXT) | instid1(VALU_DEP_3)
	v_sub_co_ci_u32_e64 v1, null, v1, v21, vcc_lo
	v_sub_co_u32 v23, s0, v17, v20
	s_delay_alu instid0(VALU_DEP_1) | instskip(NEXT) | instid1(VALU_DEP_2)
	v_subrev_co_ci_u32_e64 v1, null, 0, v1, s0
	v_cmp_ge_u32_e32 vcc_lo, v23, v20
	v_cndmask_b32_e64 v23, 0, -1, vcc_lo
	s_delay_alu instid0(VALU_DEP_3)
	v_cmp_ge_u32_e32 vcc_lo, v1, v21
	v_cndmask_b32_e64 v24, 0, -1, vcc_lo
	v_cmp_ge_u32_e32 vcc_lo, v17, v20
	v_cndmask_b32_e64 v17, 0, -1, vcc_lo
	;; [unrolled: 2-line block ×3, first 2 shown]
	v_cmp_eq_u32_e32 vcc_lo, v1, v21
	v_cndmask_b32_e32 v1, v24, v23, vcc_lo
	v_cmp_eq_u32_e32 vcc_lo, v28, v21
	v_add_nc_u64_e32 v[24:25], 2, v[10:11]
	v_cndmask_b32_e32 v17, v20, v17, vcc_lo
	s_delay_alu instid0(VALU_DEP_4) | instskip(NEXT) | instid1(VALU_DEP_3)
	v_cmp_ne_u32_e32 vcc_lo, 0, v1
	v_dual_cndmask_b32 v1, v27, v25, vcc_lo :: v_dual_bitop2_b32 v20, v36, v22 bitop3:0x14
	s_delay_alu instid0(VALU_DEP_1) | instskip(NEXT) | instid1(VALU_DEP_4)
	v_mov_b32_e32 v21, v20
	v_cmp_ne_u32_e64 s0, 0, v17
	v_cndmask_b32_e32 v17, v26, v24, vcc_lo
	s_delay_alu instid0(VALU_DEP_1) | instskip(NEXT) | instid1(VALU_DEP_1)
	v_cndmask_b32_e64 v10, v10, v17, s0
	v_dual_cndmask_b32 v1, v11, v1, s0 :: v_dual_bitop2_b32 v10, v10, v20 bitop3:0x14
	s_delay_alu instid0(VALU_DEP_1) | instskip(NEXT) | instid1(VALU_DEP_1)
	v_xor_b32_e32 v11, v1, v20
	v_sub_nc_u64_e32 v[22:23], v[10:11], v[20:21]
                                        ; implicit-def: $vgpr20_vgpr21
.LBB67_12:
	s_and_not1_saveexec_b32 s0, s3
	s_cbranch_execz .LBB67_14
; %bb.13:
	v_cvt_f32_u32_e32 v1, v20
	v_dual_mov_b32 v23, 0 :: v_dual_sub_nc_u32 v10, 0, v20
	s_delay_alu instid0(VALU_DEP_2) | instskip(SKIP_1) | instid1(TRANS32_DEP_1)
	v_rcp_iflag_f32_e32 v1, v1
	v_nop
	v_mul_f32_e32 v1, 0x4f7ffffe, v1
	s_delay_alu instid0(VALU_DEP_1) | instskip(NEXT) | instid1(VALU_DEP_1)
	v_cvt_u32_f32_e32 v1, v1
	v_mul_lo_u32 v10, v10, v1
	s_delay_alu instid0(VALU_DEP_1) | instskip(NEXT) | instid1(VALU_DEP_1)
	v_mul_hi_u32 v10, v1, v10
	v_add_nc_u32_e32 v1, v1, v10
	s_delay_alu instid0(VALU_DEP_1) | instskip(NEXT) | instid1(VALU_DEP_1)
	v_mul_hi_u32 v1, v16, v1
	v_mul_lo_u32 v10, v1, v20
	s_delay_alu instid0(VALU_DEP_1) | instskip(NEXT) | instid1(VALU_DEP_1)
	v_dual_sub_nc_u32 v10, v16, v10 :: v_dual_add_nc_u32 v11, 1, v1
	v_sub_nc_u32_e32 v16, v10, v20
	v_cmp_ge_u32_e32 vcc_lo, v10, v20
	s_delay_alu instid0(VALU_DEP_2) | instskip(NEXT) | instid1(VALU_DEP_1)
	v_dual_cndmask_b32 v10, v10, v16 :: v_dual_cndmask_b32 v1, v1, v11
	v_cmp_ge_u32_e32 vcc_lo, v10, v20
	s_delay_alu instid0(VALU_DEP_2) | instskip(NEXT) | instid1(VALU_DEP_1)
	v_add_nc_u32_e32 v11, 1, v1
	v_cndmask_b32_e32 v22, v1, v11, vcc_lo
.LBB67_14:
	s_or_b32 exec_lo, exec_lo, s0
	s_delay_alu instid0(VALU_DEP_1) | instskip(NEXT) | instid1(VALU_DEP_1)
	v_mul_u64_e32 v[10:11], v[22:23], v[12:13]
	v_sub_nc_u64_e32 v[12:13], 0, v[10:11]
	s_delay_alu instid0(VALU_DEP_1)
	v_max_i64 v[10:11], v[10:11], v[12:13]
.LBB67_15:
	s_or_b32 exec_lo, exec_lo, s1
	v_sub_nc_u64_e32 v[12:13], 0, v[14:15]
	s_mov_b32 s1, exec_lo
	s_delay_alu instid0(VALU_DEP_1)
	v_max_i64 v[16:17], v[14:15], v[12:13]
	v_cmpx_ne_u64_e32 0, v[18:19]
	s_cbranch_execz .LBB67_23
; %bb.16:
	v_sub_nc_u64_e32 v[12:13], 0, v[18:19]
	s_mov_b32 s3, 0
	s_delay_alu instid0(VALU_DEP_1)
	v_max_i64 v[22:23], v[18:19], v[12:13]
	v_mov_b32_e32 v12, 0
	s_branch .LBB67_18
.LBB67_17:                              ;   in Loop: Header=BB67_18 Depth=1
	s_or_b32 exec_lo, exec_lo, s0
	s_delay_alu instid0(VALU_DEP_1) | instskip(SKIP_2) | instid1(SALU_CYCLE_1)
	v_cmp_eq_u64_e32 vcc_lo, 0, v[22:23]
	v_mov_b64_e32 v[16:17], v[20:21]
	s_or_b32 s3, vcc_lo, s3
	s_and_not1_b32 exec_lo, exec_lo, s3
	s_cbranch_execz .LBB67_22
.LBB67_18:                              ; =>This Inner Loop Header: Depth=1
	s_delay_alu instid0(VALU_DEP_2) | instskip(SKIP_1) | instid1(VALU_DEP_1)
	v_mov_b64_e32 v[20:21], v[22:23]
                                        ; implicit-def: $vgpr22_vgpr23
	s_mov_b32 s0, exec_lo
	v_or_b32_e32 v13, v17, v21
	s_delay_alu instid0(VALU_DEP_1)
	v_cmpx_ne_u64_e32 0, v[12:13]
	s_xor_b32 s13, exec_lo, s0
	s_cbranch_execz .LBB67_20
; %bb.19:                               ;   in Loop: Header=BB67_18 Depth=1
	s_delay_alu instid0(VALU_DEP_3) | instskip(SKIP_4) | instid1(VALU_DEP_4)
	v_cvt_f32_u32_e32 v1, v20
	v_cvt_f32_u32_e32 v13, v21
	v_sub_nc_u64_e32 v[24:25], 0, v[20:21]
	v_dual_mov_b32 v23, v12 :: v_dual_mov_b32 v31, v12
	v_mov_b32_e32 v33, v12
	v_fmac_f32_e32 v1, 0x4f800000, v13
	s_delay_alu instid0(VALU_DEP_1) | instskip(SKIP_1) | instid1(TRANS32_DEP_1)
	v_rcp_f32_e32 v1, v1
	v_nop
	v_mul_f32_e32 v1, 0x5f7ffffc, v1
	s_delay_alu instid0(VALU_DEP_1) | instskip(NEXT) | instid1(VALU_DEP_1)
	v_mul_f32_e32 v13, 0x2f800000, v1
	v_trunc_f32_e32 v13, v13
	s_delay_alu instid0(VALU_DEP_1) | instskip(SKIP_1) | instid1(VALU_DEP_2)
	v_fmac_f32_e32 v1, 0xcf800000, v13
	v_cvt_u32_f32_e32 v27, v13
	v_cvt_u32_f32_e32 v22, v1
	s_delay_alu instid0(VALU_DEP_1) | instskip(NEXT) | instid1(VALU_DEP_1)
	v_dual_mov_b32 v32, v27 :: v_dual_mov_b32 v26, v22
	v_mul_u64_e32 v[28:29], v[24:25], v[26:27]
	s_delay_alu instid0(VALU_DEP_1) | instskip(NEXT) | instid1(VALU_DEP_1)
	v_dual_mov_b32 v30, v29 :: v_dual_mov_b32 v29, v12
	v_mul_u64_e32 v[34:35], v[22:23], v[30:31]
	s_delay_alu instid0(VALU_DEP_2) | instskip(SKIP_2) | instid1(VALU_DEP_1)
	v_mul_u64_e32 v[36:37], v[32:33], v[28:29]
	v_mul_u64_e32 v[30:31], v[32:33], v[30:31]
	v_mul_hi_u32 v28, v22, v28
	v_add_nc_u64_e32 v[28:29], v[28:29], v[34:35]
	s_delay_alu instid0(VALU_DEP_1) | instskip(NEXT) | instid1(VALU_DEP_2)
	v_add_co_u32 v1, vcc_lo, v28, v36
	v_add_co_ci_u32_e32 v32, vcc_lo, v29, v37, vcc_lo
	v_add_co_ci_u32_e32 v31, vcc_lo, 0, v31, vcc_lo
	s_delay_alu instid0(VALU_DEP_1) | instskip(NEXT) | instid1(VALU_DEP_1)
	v_add_nc_u64_e32 v[28:29], v[32:33], v[30:31]
	v_add_co_u32 v22, vcc_lo, v22, v28
	s_delay_alu instid0(VALU_DEP_1) | instskip(SKIP_1) | instid1(VALU_DEP_2)
	v_add_co_ci_u32_e64 v26, null, v27, v29, vcc_lo
	v_dual_mov_b32 v29, v12 :: v_dual_mov_b32 v27, v12
	v_mov_b32_e32 v23, v26
	s_delay_alu instid0(VALU_DEP_1) | instskip(NEXT) | instid1(VALU_DEP_1)
	v_mul_u64_e32 v[24:25], v[24:25], v[22:23]
	v_dual_mov_b32 v23, v12 :: v_dual_mov_b32 v28, v25
	s_delay_alu instid0(VALU_DEP_2) | instskip(SKIP_1) | instid1(VALU_DEP_3)
	v_dual_mov_b32 v32, v24 :: v_dual_mov_b32 v25, v12
	v_mul_hi_u32 v24, v22, v24
	v_mul_u64_e32 v[30:31], v[22:23], v[28:29]
	s_delay_alu instid0(VALU_DEP_3) | instskip(SKIP_1) | instid1(VALU_DEP_3)
	v_mul_u64_e32 v[32:33], v[26:27], v[32:33]
	v_mul_u64_e32 v[28:29], v[26:27], v[28:29]
	v_add_nc_u64_e32 v[24:25], v[24:25], v[30:31]
	v_mov_b32_e32 v31, v12
	s_delay_alu instid0(VALU_DEP_2) | instskip(NEXT) | instid1(VALU_DEP_3)
	v_add_co_u32 v1, vcc_lo, v24, v32
	v_add_co_ci_u32_e32 v30, vcc_lo, v25, v33, vcc_lo
	v_add_co_ci_u32_e32 v29, vcc_lo, 0, v29, vcc_lo
	s_delay_alu instid0(VALU_DEP_1) | instskip(SKIP_1) | instid1(VALU_DEP_2)
	v_add_nc_u64_e32 v[24:25], v[30:31], v[28:29]
	v_dual_mov_b32 v28, v16 :: v_dual_mov_b32 v29, v12
	v_add_co_u32 v24, vcc_lo, v22, v24
	s_delay_alu instid0(VALU_DEP_1) | instskip(SKIP_1) | instid1(VALU_DEP_2)
	v_add_co_ci_u32_e64 v22, null, v26, v25, vcc_lo
	v_dual_mov_b32 v26, v17 :: v_dual_mov_b32 v25, v12
	v_mul_u64_e32 v[28:29], v[28:29], v[22:23]
	s_delay_alu instid0(VALU_DEP_2) | instskip(NEXT) | instid1(VALU_DEP_3)
	v_mul_u64_e32 v[22:23], v[26:27], v[22:23]
	v_mul_u64_e32 v[30:31], v[26:27], v[24:25]
	v_mul_hi_u32 v24, v16, v24
	s_delay_alu instid0(VALU_DEP_1) | instskip(NEXT) | instid1(VALU_DEP_1)
	v_add_nc_u64_e32 v[24:25], v[24:25], v[28:29]
	v_add_co_u32 v1, vcc_lo, v24, v30
	s_delay_alu instid0(VALU_DEP_2) | instskip(SKIP_1) | instid1(VALU_DEP_1)
	v_add_co_ci_u32_e32 v26, vcc_lo, v25, v31, vcc_lo
	v_add_co_ci_u32_e32 v23, vcc_lo, 0, v23, vcc_lo
	v_add_nc_u64_e32 v[22:23], v[26:27], v[22:23]
	s_delay_alu instid0(VALU_DEP_1) | instskip(NEXT) | instid1(VALU_DEP_1)
	v_mul_u64_e32 v[22:23], v[20:21], v[22:23]
	v_sub_nc_u32_e32 v1, v17, v23
	s_delay_alu instid0(VALU_DEP_2) | instskip(NEXT) | instid1(VALU_DEP_1)
	v_sub_co_u32 v13, vcc_lo, v16, v22
	v_sub_co_ci_u32_e64 v16, null, v17, v23, vcc_lo
	s_delay_alu instid0(VALU_DEP_3) | instskip(NEXT) | instid1(VALU_DEP_3)
	v_sub_co_ci_u32_e64 v1, null, v1, v21, vcc_lo
	v_sub_co_u32 v17, vcc_lo, v13, v20
	v_cmp_ge_u32_e64 s0, v13, v20
	s_delay_alu instid0(VALU_DEP_3) | instskip(SKIP_1) | instid1(VALU_DEP_3)
	v_subrev_co_ci_u32_e64 v22, null, 0, v1, vcc_lo
	v_sub_co_ci_u32_e64 v1, null, v1, v21, vcc_lo
	v_cndmask_b32_e64 v23, 0, -1, s0
	v_cmp_ge_u32_e64 s0, v17, v20
	v_cmp_ge_u32_e32 vcc_lo, v16, v21
	s_delay_alu instid0(VALU_DEP_2) | instskip(SKIP_3) | instid1(VALU_DEP_3)
	v_cndmask_b32_e64 v24, 0, -1, s0
	v_cmp_ge_u32_e64 s0, v22, v21
	v_cndmask_b32_e64 v26, 0, -1, vcc_lo
	v_cmp_eq_u32_e32 vcc_lo, v22, v21
	v_cndmask_b32_e64 v25, 0, -1, s0
	v_cmp_eq_u32_e64 s0, v16, v21
	s_delay_alu instid0(VALU_DEP_1) | instskip(SKIP_1) | instid1(VALU_DEP_1)
	v_dual_cndmask_b32 v24, v25, v24, vcc_lo :: v_dual_cndmask_b32 v23, v26, v23, s0
	v_sub_co_u32 v25, vcc_lo, v17, v20
	v_subrev_co_ci_u32_e64 v1, null, 0, v1, vcc_lo
	s_delay_alu instid0(VALU_DEP_3) | instskip(NEXT) | instid1(VALU_DEP_2)
	v_cmp_ne_u32_e32 vcc_lo, 0, v24
	v_cndmask_b32_e32 v1, v22, v1, vcc_lo
	s_delay_alu instid0(VALU_DEP_4) | instskip(SKIP_1) | instid1(VALU_DEP_3)
	v_cndmask_b32_e32 v17, v17, v25, vcc_lo
	v_cmp_ne_u32_e32 vcc_lo, 0, v23
	v_cndmask_b32_e32 v23, v16, v1, vcc_lo
	s_delay_alu instid0(VALU_DEP_3)
	v_cndmask_b32_e32 v22, v13, v17, vcc_lo
                                        ; implicit-def: $vgpr16_vgpr17
.LBB67_20:                              ;   in Loop: Header=BB67_18 Depth=1
	s_and_not1_saveexec_b32 s0, s13
	s_cbranch_execz .LBB67_17
; %bb.21:                               ;   in Loop: Header=BB67_18 Depth=1
	v_cvt_f32_u32_e32 v1, v20
	v_dual_sub_nc_u32 v13, 0, v20 :: v_dual_mov_b32 v23, v12
	s_delay_alu instid0(VALU_DEP_2) | instskip(SKIP_1) | instid1(TRANS32_DEP_1)
	v_rcp_iflag_f32_e32 v1, v1
	v_nop
	v_mul_f32_e32 v1, 0x4f7ffffe, v1
	s_delay_alu instid0(VALU_DEP_1) | instskip(NEXT) | instid1(VALU_DEP_1)
	v_cvt_u32_f32_e32 v1, v1
	v_mul_lo_u32 v13, v13, v1
	s_delay_alu instid0(VALU_DEP_1) | instskip(NEXT) | instid1(VALU_DEP_1)
	v_mul_hi_u32 v13, v1, v13
	v_add_nc_u32_e32 v1, v1, v13
	s_delay_alu instid0(VALU_DEP_1) | instskip(NEXT) | instid1(VALU_DEP_1)
	v_mul_hi_u32 v1, v16, v1
	v_mul_lo_u32 v1, v1, v20
	s_delay_alu instid0(VALU_DEP_1) | instskip(NEXT) | instid1(VALU_DEP_1)
	v_sub_nc_u32_e32 v1, v16, v1
	v_sub_nc_u32_e32 v13, v1, v20
	v_cmp_ge_u32_e32 vcc_lo, v1, v20
	s_delay_alu instid0(VALU_DEP_2) | instskip(NEXT) | instid1(VALU_DEP_1)
	v_cndmask_b32_e32 v1, v1, v13, vcc_lo
	v_sub_nc_u32_e32 v13, v1, v20
	v_cmp_ge_u32_e32 vcc_lo, v1, v20
	s_delay_alu instid0(VALU_DEP_2)
	v_cndmask_b32_e32 v22, v1, v13, vcc_lo
	s_branch .LBB67_17
.LBB67_22:
	s_or_b32 exec_lo, exec_lo, s3
	v_mov_b64_e32 v[16:17], v[20:21]
.LBB67_23:
	s_or_b32 exec_lo, exec_lo, s1
	v_mov_b64_e32 v[12:13], 0
	s_mov_b32 s1, exec_lo
	s_delay_alu instid0(VALU_DEP_2)
	v_cmpx_ne_u64_e32 0, v[16:17]
	s_cbranch_execz .LBB67_29
; %bb.24:
	v_dual_mov_b32 v12, 0 :: v_dual_bitop2_b32 v13, v19, v17 bitop3:0x54
                                        ; implicit-def: $vgpr20_vgpr21
	s_mov_b32 s0, exec_lo
	s_delay_alu instid0(VALU_DEP_1)
	v_cmpx_ne_u64_e32 0, v[12:13]
	s_xor_b32 s3, exec_lo, s0
	s_cbranch_execz .LBB67_26
; %bb.25:
	v_dual_mov_b32 v23, v12 :: v_dual_ashrrev_i32 v20, 31, v17
	v_dual_mov_b32 v31, v12 :: v_dual_mov_b32 v33, v12
	s_delay_alu instid0(VALU_DEP_2) | instskip(NEXT) | instid1(VALU_DEP_1)
	v_mov_b32_e32 v21, v20
	v_add_nc_u64_e32 v[16:17], v[16:17], v[20:21]
	s_delay_alu instid0(VALU_DEP_1) | instskip(NEXT) | instid1(VALU_DEP_2)
	v_xor_b32_e32 v16, v16, v20
	v_xor_b32_e32 v17, v17, v20
	s_delay_alu instid0(VALU_DEP_2) | instskip(NEXT) | instid1(VALU_DEP_2)
	v_cvt_f32_u32_e32 v1, v16
	v_cvt_f32_u32_e32 v13, v17
	s_delay_alu instid0(VALU_DEP_1) | instskip(NEXT) | instid1(VALU_DEP_1)
	v_fmamk_f32 v1, v13, 0x4f800000, v1
	v_rcp_f32_e32 v1, v1
	v_nop
	s_delay_alu instid0(TRANS32_DEP_1) | instskip(NEXT) | instid1(VALU_DEP_1)
	v_mul_f32_e32 v1, 0x5f7ffffc, v1
	v_mul_f32_e32 v13, 0x2f800000, v1
	s_delay_alu instid0(VALU_DEP_1) | instskip(NEXT) | instid1(VALU_DEP_1)
	v_trunc_f32_e32 v13, v13
	v_fmamk_f32 v1, v13, 0xcf800000, v1
	v_cvt_u32_f32_e32 v27, v13
	v_mov_b32_e32 v13, v12
	s_delay_alu instid0(VALU_DEP_3) | instskip(NEXT) | instid1(VALU_DEP_1)
	v_cvt_u32_f32_e32 v22, v1
	v_dual_mov_b32 v32, v27 :: v_dual_mov_b32 v26, v22
	v_sub_nc_u64_e32 v[24:25], 0, v[16:17]
	s_delay_alu instid0(VALU_DEP_1) | instskip(NEXT) | instid1(VALU_DEP_1)
	v_mul_u64_e32 v[28:29], v[24:25], v[26:27]
	v_dual_mov_b32 v30, v29 :: v_dual_mov_b32 v29, v12
	s_delay_alu instid0(VALU_DEP_1) | instskip(NEXT) | instid1(VALU_DEP_2)
	v_mul_u64_e32 v[34:35], v[22:23], v[30:31]
	v_mul_u64_e32 v[36:37], v[32:33], v[28:29]
	v_mul_u64_e32 v[30:31], v[32:33], v[30:31]
	v_mul_hi_u32 v28, v22, v28
	s_delay_alu instid0(VALU_DEP_1) | instskip(SKIP_1) | instid1(VALU_DEP_2)
	v_add_nc_u64_e32 v[28:29], v[28:29], v[34:35]
	v_ashrrev_i32_e32 v34, 31, v19
	v_add_co_u32 v1, vcc_lo, v28, v36
	s_delay_alu instid0(VALU_DEP_3) | instskip(SKIP_1) | instid1(VALU_DEP_1)
	v_add_co_ci_u32_e32 v32, vcc_lo, v29, v37, vcc_lo
	v_add_co_ci_u32_e32 v31, vcc_lo, 0, v31, vcc_lo
	v_add_nc_u64_e32 v[28:29], v[32:33], v[30:31]
	s_delay_alu instid0(VALU_DEP_1) | instskip(NEXT) | instid1(VALU_DEP_1)
	v_add_co_u32 v22, vcc_lo, v22, v28
	v_add_co_ci_u32_e64 v26, null, v27, v29, vcc_lo
	v_dual_mov_b32 v29, v12 :: v_dual_mov_b32 v27, v12
	s_delay_alu instid0(VALU_DEP_2) | instskip(NEXT) | instid1(VALU_DEP_1)
	v_mov_b32_e32 v23, v26
	v_mul_u64_e32 v[24:25], v[24:25], v[22:23]
	s_delay_alu instid0(VALU_DEP_1) | instskip(NEXT) | instid1(VALU_DEP_2)
	v_dual_mov_b32 v23, v12 :: v_dual_mov_b32 v28, v25
	v_dual_mov_b32 v32, v24 :: v_dual_mov_b32 v25, v12
	v_mul_hi_u32 v24, v22, v24
	s_delay_alu instid0(VALU_DEP_3) | instskip(NEXT) | instid1(VALU_DEP_3)
	v_mul_u64_e32 v[30:31], v[22:23], v[28:29]
	v_mul_u64_e32 v[32:33], v[26:27], v[32:33]
	;; [unrolled: 1-line block ×3, first 2 shown]
	s_delay_alu instid0(VALU_DEP_3) | instskip(SKIP_1) | instid1(VALU_DEP_2)
	v_add_nc_u64_e32 v[24:25], v[24:25], v[30:31]
	v_dual_mov_b32 v31, v12 :: v_dual_mov_b32 v35, v34
	v_add_co_u32 v1, vcc_lo, v24, v32
	s_delay_alu instid0(VALU_DEP_3) | instskip(SKIP_1) | instid1(VALU_DEP_1)
	v_add_co_ci_u32_e32 v30, vcc_lo, v25, v33, vcc_lo
	v_add_co_ci_u32_e32 v29, vcc_lo, 0, v29, vcc_lo
	v_add_nc_u64_e32 v[24:25], v[30:31], v[28:29]
	v_mov_b32_e32 v29, v12
	v_add_nc_u64_e32 v[18:19], v[18:19], v[34:35]
	s_delay_alu instid0(VALU_DEP_3) | instskip(NEXT) | instid1(VALU_DEP_2)
	v_add_co_u32 v24, vcc_lo, v22, v24
	v_xor_b32_e32 v28, v18, v34
	v_add_co_ci_u32_e64 v22, null, v26, v25, vcc_lo
	s_delay_alu instid0(VALU_DEP_4) | instskip(NEXT) | instid1(VALU_DEP_2)
	v_dual_mov_b32 v25, v12 :: v_dual_bitop2_b32 v26, v19, v34 bitop3:0x14
	v_mul_u64_e32 v[30:31], v[28:29], v[22:23]
	s_delay_alu instid0(VALU_DEP_2) | instskip(SKIP_2) | instid1(VALU_DEP_1)
	v_mul_u64_e32 v[18:19], v[26:27], v[24:25]
	v_mul_u64_e32 v[22:23], v[26:27], v[22:23]
	v_mul_hi_u32 v24, v28, v24
	v_add_nc_u64_e32 v[24:25], v[24:25], v[30:31]
	s_delay_alu instid0(VALU_DEP_1) | instskip(NEXT) | instid1(VALU_DEP_2)
	v_add_co_u32 v1, vcc_lo, v24, v18
	v_add_co_ci_u32_e32 v12, vcc_lo, v25, v19, vcc_lo
	v_add_co_ci_u32_e32 v23, vcc_lo, 0, v23, vcc_lo
	s_delay_alu instid0(VALU_DEP_1) | instskip(NEXT) | instid1(VALU_DEP_1)
	v_add_nc_u64_e32 v[12:13], v[12:13], v[22:23]
	v_mul_u64_e32 v[18:19], v[16:17], v[12:13]
	v_add_nc_u64_e32 v[22:23], 1, v[12:13]
	s_delay_alu instid0(VALU_DEP_2) | instskip(NEXT) | instid1(VALU_DEP_3)
	v_sub_nc_u32_e32 v1, v26, v19
	v_sub_co_u32 v18, vcc_lo, v28, v18
	s_delay_alu instid0(VALU_DEP_1) | instskip(NEXT) | instid1(VALU_DEP_3)
	v_sub_co_ci_u32_e64 v24, null, v26, v19, vcc_lo
	v_sub_co_ci_u32_e64 v1, null, v1, v17, vcc_lo
	s_delay_alu instid0(VALU_DEP_3) | instskip(NEXT) | instid1(VALU_DEP_1)
	v_sub_co_u32 v21, s0, v18, v16
	v_subrev_co_ci_u32_e64 v1, null, 0, v1, s0
	s_delay_alu instid0(VALU_DEP_2) | instskip(SKIP_1) | instid1(VALU_DEP_3)
	v_cmp_ge_u32_e32 vcc_lo, v21, v16
	v_cndmask_b32_e64 v19, 0, -1, vcc_lo
	v_cmp_ge_u32_e32 vcc_lo, v1, v17
	v_cndmask_b32_e64 v21, 0, -1, vcc_lo
	;; [unrolled: 2-line block ×4, first 2 shown]
	v_cmp_eq_u32_e32 vcc_lo, v1, v17
	v_cndmask_b32_e32 v1, v21, v19, vcc_lo
	v_cmp_eq_u32_e32 vcc_lo, v24, v17
	v_add_nc_u64_e32 v[18:19], 2, v[12:13]
	v_cndmask_b32_e32 v16, v25, v16, vcc_lo
	s_delay_alu instid0(VALU_DEP_4) | instskip(NEXT) | instid1(VALU_DEP_2)
	v_cmp_ne_u32_e32 vcc_lo, 0, v1
	v_cmp_ne_u32_e64 s0, 0, v16
	s_delay_alu instid0(VALU_DEP_4) | instskip(SKIP_1) | instid1(VALU_DEP_2)
	v_dual_cndmask_b32 v1, v23, v19, vcc_lo :: v_dual_bitop2_b32 v16, v34, v20 bitop3:0x14
	v_cndmask_b32_e32 v17, v22, v18, vcc_lo
                                        ; implicit-def: $vgpr18_vgpr19
	v_cndmask_b32_e64 v1, v13, v1, s0
	s_delay_alu instid0(VALU_DEP_2) | instskip(NEXT) | instid1(VALU_DEP_2)
	v_cndmask_b32_e64 v12, v12, v17, s0
	v_dual_mov_b32 v17, v16 :: v_dual_bitop2_b32 v13, v1, v16 bitop3:0x14
	s_delay_alu instid0(VALU_DEP_2) | instskip(NEXT) | instid1(VALU_DEP_1)
	v_xor_b32_e32 v12, v12, v16
	v_sub_nc_u64_e32 v[20:21], v[12:13], v[16:17]
                                        ; implicit-def: $vgpr16_vgpr17
.LBB67_26:
	s_and_not1_saveexec_b32 s0, s3
	s_cbranch_execz .LBB67_28
; %bb.27:
	v_cvt_f32_u32_e32 v1, v16
	v_dual_mov_b32 v21, 0 :: v_dual_sub_nc_u32 v12, 0, v16
	s_delay_alu instid0(VALU_DEP_2) | instskip(SKIP_1) | instid1(TRANS32_DEP_1)
	v_rcp_iflag_f32_e32 v1, v1
	v_nop
	v_mul_f32_e32 v1, 0x4f7ffffe, v1
	s_delay_alu instid0(VALU_DEP_1) | instskip(NEXT) | instid1(VALU_DEP_1)
	v_cvt_u32_f32_e32 v1, v1
	v_mul_lo_u32 v12, v12, v1
	s_delay_alu instid0(VALU_DEP_1) | instskip(NEXT) | instid1(VALU_DEP_1)
	v_mul_hi_u32 v12, v1, v12
	v_add_nc_u32_e32 v1, v1, v12
	s_delay_alu instid0(VALU_DEP_1) | instskip(NEXT) | instid1(VALU_DEP_1)
	v_mul_hi_u32 v1, v18, v1
	v_mul_lo_u32 v12, v1, v16
	s_delay_alu instid0(VALU_DEP_1) | instskip(NEXT) | instid1(VALU_DEP_1)
	v_dual_sub_nc_u32 v12, v18, v12 :: v_dual_add_nc_u32 v13, 1, v1
	v_sub_nc_u32_e32 v17, v12, v16
	v_cmp_ge_u32_e32 vcc_lo, v12, v16
	s_delay_alu instid0(VALU_DEP_2) | instskip(NEXT) | instid1(VALU_DEP_4)
	v_cndmask_b32_e32 v12, v12, v17, vcc_lo
	v_cndmask_b32_e32 v1, v1, v13, vcc_lo
	s_delay_alu instid0(VALU_DEP_2) | instskip(NEXT) | instid1(VALU_DEP_2)
	v_cmp_ge_u32_e32 vcc_lo, v12, v16
	v_add_nc_u32_e32 v13, 1, v1
	s_delay_alu instid0(VALU_DEP_1)
	v_cndmask_b32_e32 v20, v1, v13, vcc_lo
.LBB67_28:
	s_or_b32 exec_lo, exec_lo, s0
	s_delay_alu instid0(VALU_DEP_1) | instskip(NEXT) | instid1(VALU_DEP_1)
	v_mul_u64_e32 v[12:13], v[20:21], v[14:15]
	v_sub_nc_u64_e32 v[14:15], 0, v[12:13]
	s_delay_alu instid0(VALU_DEP_1)
	v_max_i64 v[12:13], v[12:13], v[14:15]
.LBB67_29:
	s_or_b32 exec_lo, exec_lo, s1
	s_wait_loadcnt 0x0
	v_sub_nc_u64_e32 v[14:15], 0, v[2:3]
	s_mov_b32 s1, exec_lo
	s_delay_alu instid0(VALU_DEP_1)
	v_max_i64 v[16:17], v[2:3], v[14:15]
	v_cmpx_ne_u64_e32 0, v[6:7]
	s_cbranch_execz .LBB67_37
; %bb.30:
	v_sub_nc_u64_e32 v[14:15], 0, v[6:7]
	s_mov_b32 s3, 0
	s_delay_alu instid0(VALU_DEP_1)
	v_max_i64 v[20:21], v[6:7], v[14:15]
	v_mov_b32_e32 v14, 0
	s_branch .LBB67_32
.LBB67_31:                              ;   in Loop: Header=BB67_32 Depth=1
	s_or_b32 exec_lo, exec_lo, s0
	s_delay_alu instid0(VALU_DEP_1) | instskip(SKIP_2) | instid1(SALU_CYCLE_1)
	v_cmp_eq_u64_e32 vcc_lo, 0, v[20:21]
	v_mov_b64_e32 v[16:17], v[18:19]
	s_or_b32 s3, vcc_lo, s3
	s_and_not1_b32 exec_lo, exec_lo, s3
	s_cbranch_execz .LBB67_36
.LBB67_32:                              ; =>This Inner Loop Header: Depth=1
	s_delay_alu instid0(VALU_DEP_2) | instskip(SKIP_1) | instid1(VALU_DEP_1)
	v_mov_b64_e32 v[18:19], v[20:21]
                                        ; implicit-def: $vgpr20_vgpr21
	s_mov_b32 s0, exec_lo
	v_or_b32_e32 v15, v17, v19
	s_delay_alu instid0(VALU_DEP_1)
	v_cmpx_ne_u64_e32 0, v[14:15]
	s_xor_b32 s13, exec_lo, s0
	s_cbranch_execz .LBB67_34
; %bb.33:                               ;   in Loop: Header=BB67_32 Depth=1
	s_delay_alu instid0(VALU_DEP_3) | instskip(SKIP_4) | instid1(VALU_DEP_4)
	v_cvt_f32_u32_e32 v1, v18
	v_cvt_f32_u32_e32 v15, v19
	v_sub_nc_u64_e32 v[22:23], 0, v[18:19]
	v_dual_mov_b32 v21, v14 :: v_dual_mov_b32 v29, v14
	v_mov_b32_e32 v31, v14
	v_fmac_f32_e32 v1, 0x4f800000, v15
	s_delay_alu instid0(VALU_DEP_1) | instskip(SKIP_1) | instid1(TRANS32_DEP_1)
	v_rcp_f32_e32 v1, v1
	v_nop
	v_mul_f32_e32 v1, 0x5f7ffffc, v1
	s_delay_alu instid0(VALU_DEP_1) | instskip(NEXT) | instid1(VALU_DEP_1)
	v_mul_f32_e32 v15, 0x2f800000, v1
	v_trunc_f32_e32 v15, v15
	s_delay_alu instid0(VALU_DEP_1) | instskip(SKIP_1) | instid1(VALU_DEP_2)
	v_fmac_f32_e32 v1, 0xcf800000, v15
	v_cvt_u32_f32_e32 v25, v15
	v_cvt_u32_f32_e32 v20, v1
	s_delay_alu instid0(VALU_DEP_1) | instskip(NEXT) | instid1(VALU_DEP_1)
	v_dual_mov_b32 v30, v25 :: v_dual_mov_b32 v24, v20
	v_mul_u64_e32 v[26:27], v[22:23], v[24:25]
	s_delay_alu instid0(VALU_DEP_1) | instskip(NEXT) | instid1(VALU_DEP_1)
	v_dual_mov_b32 v28, v27 :: v_dual_mov_b32 v27, v14
	v_mul_u64_e32 v[32:33], v[20:21], v[28:29]
	s_delay_alu instid0(VALU_DEP_2) | instskip(SKIP_2) | instid1(VALU_DEP_1)
	v_mul_u64_e32 v[34:35], v[30:31], v[26:27]
	v_mul_u64_e32 v[28:29], v[30:31], v[28:29]
	v_mul_hi_u32 v26, v20, v26
	v_add_nc_u64_e32 v[26:27], v[26:27], v[32:33]
	s_delay_alu instid0(VALU_DEP_1) | instskip(NEXT) | instid1(VALU_DEP_2)
	v_add_co_u32 v1, vcc_lo, v26, v34
	v_add_co_ci_u32_e32 v30, vcc_lo, v27, v35, vcc_lo
	v_add_co_ci_u32_e32 v29, vcc_lo, 0, v29, vcc_lo
	s_delay_alu instid0(VALU_DEP_1) | instskip(NEXT) | instid1(VALU_DEP_1)
	v_add_nc_u64_e32 v[26:27], v[30:31], v[28:29]
	v_add_co_u32 v20, vcc_lo, v20, v26
	s_delay_alu instid0(VALU_DEP_1) | instskip(SKIP_1) | instid1(VALU_DEP_2)
	v_add_co_ci_u32_e64 v24, null, v25, v27, vcc_lo
	v_dual_mov_b32 v27, v14 :: v_dual_mov_b32 v25, v14
	v_mov_b32_e32 v21, v24
	s_delay_alu instid0(VALU_DEP_1) | instskip(NEXT) | instid1(VALU_DEP_1)
	v_mul_u64_e32 v[22:23], v[22:23], v[20:21]
	v_dual_mov_b32 v21, v14 :: v_dual_mov_b32 v26, v23
	s_delay_alu instid0(VALU_DEP_2) | instskip(SKIP_1) | instid1(VALU_DEP_3)
	v_dual_mov_b32 v30, v22 :: v_dual_mov_b32 v23, v14
	v_mul_hi_u32 v22, v20, v22
	v_mul_u64_e32 v[28:29], v[20:21], v[26:27]
	s_delay_alu instid0(VALU_DEP_3) | instskip(SKIP_1) | instid1(VALU_DEP_3)
	v_mul_u64_e32 v[30:31], v[24:25], v[30:31]
	v_mul_u64_e32 v[26:27], v[24:25], v[26:27]
	v_add_nc_u64_e32 v[22:23], v[22:23], v[28:29]
	v_mov_b32_e32 v29, v14
	s_delay_alu instid0(VALU_DEP_2) | instskip(NEXT) | instid1(VALU_DEP_3)
	v_add_co_u32 v1, vcc_lo, v22, v30
	v_add_co_ci_u32_e32 v28, vcc_lo, v23, v31, vcc_lo
	v_add_co_ci_u32_e32 v27, vcc_lo, 0, v27, vcc_lo
	s_delay_alu instid0(VALU_DEP_1) | instskip(SKIP_1) | instid1(VALU_DEP_2)
	v_add_nc_u64_e32 v[22:23], v[28:29], v[26:27]
	v_dual_mov_b32 v26, v16 :: v_dual_mov_b32 v27, v14
	v_add_co_u32 v22, vcc_lo, v20, v22
	s_delay_alu instid0(VALU_DEP_1) | instskip(SKIP_1) | instid1(VALU_DEP_2)
	v_add_co_ci_u32_e64 v20, null, v24, v23, vcc_lo
	v_dual_mov_b32 v24, v17 :: v_dual_mov_b32 v23, v14
	v_mul_u64_e32 v[26:27], v[26:27], v[20:21]
	s_delay_alu instid0(VALU_DEP_2) | instskip(NEXT) | instid1(VALU_DEP_3)
	v_mul_u64_e32 v[20:21], v[24:25], v[20:21]
	v_mul_u64_e32 v[28:29], v[24:25], v[22:23]
	v_mul_hi_u32 v22, v16, v22
	s_delay_alu instid0(VALU_DEP_1) | instskip(NEXT) | instid1(VALU_DEP_1)
	v_add_nc_u64_e32 v[22:23], v[22:23], v[26:27]
	v_add_co_u32 v1, vcc_lo, v22, v28
	s_delay_alu instid0(VALU_DEP_2) | instskip(SKIP_1) | instid1(VALU_DEP_1)
	v_add_co_ci_u32_e32 v24, vcc_lo, v23, v29, vcc_lo
	v_add_co_ci_u32_e32 v21, vcc_lo, 0, v21, vcc_lo
	v_add_nc_u64_e32 v[20:21], v[24:25], v[20:21]
	s_delay_alu instid0(VALU_DEP_1) | instskip(NEXT) | instid1(VALU_DEP_1)
	v_mul_u64_e32 v[20:21], v[18:19], v[20:21]
	v_sub_nc_u32_e32 v1, v17, v21
	s_delay_alu instid0(VALU_DEP_2) | instskip(NEXT) | instid1(VALU_DEP_1)
	v_sub_co_u32 v15, vcc_lo, v16, v20
	v_sub_co_ci_u32_e64 v16, null, v17, v21, vcc_lo
	s_delay_alu instid0(VALU_DEP_3) | instskip(NEXT) | instid1(VALU_DEP_3)
	v_sub_co_ci_u32_e64 v1, null, v1, v19, vcc_lo
	v_sub_co_u32 v17, vcc_lo, v15, v18
	v_cmp_ge_u32_e64 s0, v15, v18
	s_delay_alu instid0(VALU_DEP_3) | instskip(SKIP_1) | instid1(VALU_DEP_3)
	v_subrev_co_ci_u32_e64 v20, null, 0, v1, vcc_lo
	v_sub_co_ci_u32_e64 v1, null, v1, v19, vcc_lo
	v_cndmask_b32_e64 v21, 0, -1, s0
	v_cmp_ge_u32_e64 s0, v17, v18
	v_cmp_ge_u32_e32 vcc_lo, v16, v19
	s_delay_alu instid0(VALU_DEP_2) | instskip(SKIP_3) | instid1(VALU_DEP_3)
	v_cndmask_b32_e64 v22, 0, -1, s0
	v_cmp_ge_u32_e64 s0, v20, v19
	v_cndmask_b32_e64 v24, 0, -1, vcc_lo
	v_cmp_eq_u32_e32 vcc_lo, v20, v19
	v_cndmask_b32_e64 v23, 0, -1, s0
	v_cmp_eq_u32_e64 s0, v16, v19
	s_delay_alu instid0(VALU_DEP_1) | instskip(SKIP_1) | instid1(VALU_DEP_1)
	v_dual_cndmask_b32 v22, v23, v22, vcc_lo :: v_dual_cndmask_b32 v21, v24, v21, s0
	v_sub_co_u32 v23, vcc_lo, v17, v18
	v_subrev_co_ci_u32_e64 v1, null, 0, v1, vcc_lo
	s_delay_alu instid0(VALU_DEP_3) | instskip(NEXT) | instid1(VALU_DEP_2)
	v_cmp_ne_u32_e32 vcc_lo, 0, v22
	v_dual_cndmask_b32 v1, v20, v1, vcc_lo :: v_dual_cndmask_b32 v17, v17, v23, vcc_lo
	v_cmp_ne_u32_e32 vcc_lo, 0, v21
	s_delay_alu instid0(VALU_DEP_2) | instskip(NEXT) | instid1(VALU_DEP_3)
	v_cndmask_b32_e32 v21, v16, v1, vcc_lo
	v_cndmask_b32_e32 v20, v15, v17, vcc_lo
                                        ; implicit-def: $vgpr16_vgpr17
.LBB67_34:                              ;   in Loop: Header=BB67_32 Depth=1
	s_and_not1_saveexec_b32 s0, s13
	s_cbranch_execz .LBB67_31
; %bb.35:                               ;   in Loop: Header=BB67_32 Depth=1
	v_cvt_f32_u32_e32 v1, v18
	v_dual_sub_nc_u32 v15, 0, v18 :: v_dual_mov_b32 v21, v14
	s_delay_alu instid0(VALU_DEP_2) | instskip(SKIP_1) | instid1(TRANS32_DEP_1)
	v_rcp_iflag_f32_e32 v1, v1
	v_nop
	v_mul_f32_e32 v1, 0x4f7ffffe, v1
	s_delay_alu instid0(VALU_DEP_1) | instskip(NEXT) | instid1(VALU_DEP_1)
	v_cvt_u32_f32_e32 v1, v1
	v_mul_lo_u32 v15, v15, v1
	s_delay_alu instid0(VALU_DEP_1) | instskip(NEXT) | instid1(VALU_DEP_1)
	v_mul_hi_u32 v15, v1, v15
	v_add_nc_u32_e32 v1, v1, v15
	s_delay_alu instid0(VALU_DEP_1) | instskip(NEXT) | instid1(VALU_DEP_1)
	v_mul_hi_u32 v1, v16, v1
	v_mul_lo_u32 v1, v1, v18
	s_delay_alu instid0(VALU_DEP_1) | instskip(NEXT) | instid1(VALU_DEP_1)
	v_sub_nc_u32_e32 v1, v16, v1
	v_sub_nc_u32_e32 v15, v1, v18
	v_cmp_ge_u32_e32 vcc_lo, v1, v18
	s_delay_alu instid0(VALU_DEP_2) | instskip(NEXT) | instid1(VALU_DEP_1)
	v_cndmask_b32_e32 v1, v1, v15, vcc_lo
	v_sub_nc_u32_e32 v15, v1, v18
	v_cmp_ge_u32_e32 vcc_lo, v1, v18
	s_delay_alu instid0(VALU_DEP_2)
	v_cndmask_b32_e32 v20, v1, v15, vcc_lo
	s_branch .LBB67_31
.LBB67_36:
	s_or_b32 exec_lo, exec_lo, s3
	v_mov_b64_e32 v[16:17], v[18:19]
.LBB67_37:
	s_or_b32 exec_lo, exec_lo, s1
	v_mov_b64_e32 v[14:15], 0
	s_mov_b32 s1, exec_lo
	s_delay_alu instid0(VALU_DEP_2)
	v_cmpx_ne_u64_e32 0, v[16:17]
	s_cbranch_execz .LBB67_43
; %bb.38:
	v_dual_mov_b32 v14, 0 :: v_dual_bitop2_b32 v15, v7, v17 bitop3:0x54
                                        ; implicit-def: $vgpr18_vgpr19
	s_mov_b32 s0, exec_lo
	s_delay_alu instid0(VALU_DEP_1)
	v_cmpx_ne_u64_e32 0, v[14:15]
	s_xor_b32 s3, exec_lo, s0
	s_cbranch_execz .LBB67_40
; %bb.39:
	v_dual_mov_b32 v21, v14 :: v_dual_ashrrev_i32 v18, 31, v17
	v_dual_mov_b32 v29, v14 :: v_dual_mov_b32 v31, v14
	s_delay_alu instid0(VALU_DEP_2) | instskip(NEXT) | instid1(VALU_DEP_1)
	v_mov_b32_e32 v19, v18
	v_add_nc_u64_e32 v[16:17], v[16:17], v[18:19]
	s_delay_alu instid0(VALU_DEP_1) | instskip(NEXT) | instid1(VALU_DEP_2)
	v_xor_b32_e32 v16, v16, v18
	v_xor_b32_e32 v17, v17, v18
	s_delay_alu instid0(VALU_DEP_2) | instskip(NEXT) | instid1(VALU_DEP_2)
	v_cvt_f32_u32_e32 v1, v16
	v_cvt_f32_u32_e32 v15, v17
	s_delay_alu instid0(VALU_DEP_1) | instskip(NEXT) | instid1(VALU_DEP_1)
	v_fmamk_f32 v1, v15, 0x4f800000, v1
	v_rcp_f32_e32 v1, v1
	v_nop
	s_delay_alu instid0(TRANS32_DEP_1) | instskip(NEXT) | instid1(VALU_DEP_1)
	v_mul_f32_e32 v1, 0x5f7ffffc, v1
	v_mul_f32_e32 v15, 0x2f800000, v1
	s_delay_alu instid0(VALU_DEP_1) | instskip(NEXT) | instid1(VALU_DEP_1)
	v_trunc_f32_e32 v15, v15
	v_fmamk_f32 v1, v15, 0xcf800000, v1
	v_cvt_u32_f32_e32 v25, v15
	s_delay_alu instid0(VALU_DEP_2) | instskip(NEXT) | instid1(VALU_DEP_1)
	v_cvt_u32_f32_e32 v20, v1
	v_dual_mov_b32 v30, v25 :: v_dual_mov_b32 v24, v20
	v_sub_nc_u64_e32 v[22:23], 0, v[16:17]
	s_delay_alu instid0(VALU_DEP_1) | instskip(NEXT) | instid1(VALU_DEP_1)
	v_mul_u64_e32 v[26:27], v[22:23], v[24:25]
	v_dual_mov_b32 v28, v27 :: v_dual_mov_b32 v27, v14
	s_delay_alu instid0(VALU_DEP_1) | instskip(NEXT) | instid1(VALU_DEP_2)
	v_mul_u64_e32 v[32:33], v[20:21], v[28:29]
	v_mul_u64_e32 v[34:35], v[30:31], v[26:27]
	;; [unrolled: 1-line block ×3, first 2 shown]
	v_mul_hi_u32 v26, v20, v26
	s_delay_alu instid0(VALU_DEP_1) | instskip(SKIP_1) | instid1(VALU_DEP_2)
	v_add_nc_u64_e32 v[26:27], v[26:27], v[32:33]
	v_ashrrev_i32_e32 v32, 31, v7
	v_add_co_u32 v1, vcc_lo, v26, v34
	s_delay_alu instid0(VALU_DEP_3) | instskip(SKIP_1) | instid1(VALU_DEP_1)
	v_add_co_ci_u32_e32 v30, vcc_lo, v27, v35, vcc_lo
	v_add_co_ci_u32_e32 v29, vcc_lo, 0, v29, vcc_lo
	v_add_nc_u64_e32 v[26:27], v[30:31], v[28:29]
	s_delay_alu instid0(VALU_DEP_1) | instskip(NEXT) | instid1(VALU_DEP_1)
	v_add_co_u32 v20, vcc_lo, v20, v26
	v_add_co_ci_u32_e64 v24, null, v25, v27, vcc_lo
	v_dual_mov_b32 v25, v14 :: v_dual_mov_b32 v27, v14
	s_delay_alu instid0(VALU_DEP_2) | instskip(NEXT) | instid1(VALU_DEP_1)
	v_mov_b32_e32 v21, v24
	v_mul_u64_e32 v[22:23], v[22:23], v[20:21]
	s_delay_alu instid0(VALU_DEP_1) | instskip(NEXT) | instid1(VALU_DEP_2)
	v_dual_mov_b32 v21, v14 :: v_dual_mov_b32 v26, v23
	v_dual_mov_b32 v30, v22 :: v_dual_mov_b32 v23, v14
	v_mul_hi_u32 v22, v20, v22
	s_delay_alu instid0(VALU_DEP_3) | instskip(NEXT) | instid1(VALU_DEP_3)
	v_mul_u64_e32 v[28:29], v[20:21], v[26:27]
	v_mul_u64_e32 v[30:31], v[24:25], v[30:31]
	;; [unrolled: 1-line block ×3, first 2 shown]
	s_delay_alu instid0(VALU_DEP_3) | instskip(SKIP_1) | instid1(VALU_DEP_2)
	v_add_nc_u64_e32 v[22:23], v[22:23], v[28:29]
	v_dual_mov_b32 v29, v14 :: v_dual_mov_b32 v33, v32
	v_add_co_u32 v1, vcc_lo, v22, v30
	s_delay_alu instid0(VALU_DEP_3) | instskip(SKIP_1) | instid1(VALU_DEP_4)
	v_add_co_ci_u32_e32 v28, vcc_lo, v23, v31, vcc_lo
	v_add_co_ci_u32_e32 v27, vcc_lo, 0, v27, vcc_lo
	v_add_nc_u64_e32 v[22:23], v[6:7], v[32:33]
	s_delay_alu instid0(VALU_DEP_2) | instskip(NEXT) | instid1(VALU_DEP_2)
	v_add_nc_u64_e32 v[26:27], v[28:29], v[26:27]
	v_xor_b32_e32 v28, v22, v32
	s_delay_alu instid0(VALU_DEP_2) | instskip(NEXT) | instid1(VALU_DEP_1)
	v_add_co_u32 v26, vcc_lo, v20, v26
	v_add_co_ci_u32_e64 v20, null, v24, v27, vcc_lo
	v_dual_mov_b32 v27, v14 :: v_dual_bitop2_b32 v24, v23, v32 bitop3:0x14
	v_mov_b32_e32 v15, v14
	s_delay_alu instid0(VALU_DEP_3) | instskip(NEXT) | instid1(VALU_DEP_3)
	v_mul_u64_e32 v[30:31], v[28:29], v[20:21]
	v_mul_u64_e32 v[22:23], v[24:25], v[26:27]
	;; [unrolled: 1-line block ×3, first 2 shown]
	v_mul_hi_u32 v26, v28, v26
	s_delay_alu instid0(VALU_DEP_1) | instskip(NEXT) | instid1(VALU_DEP_1)
	v_add_nc_u64_e32 v[26:27], v[26:27], v[30:31]
	v_add_co_u32 v1, vcc_lo, v26, v22
	s_delay_alu instid0(VALU_DEP_2) | instskip(SKIP_1) | instid1(VALU_DEP_1)
	v_add_co_ci_u32_e32 v14, vcc_lo, v27, v23, vcc_lo
	v_add_co_ci_u32_e32 v21, vcc_lo, 0, v21, vcc_lo
	v_add_nc_u64_e32 v[14:15], v[14:15], v[20:21]
	s_delay_alu instid0(VALU_DEP_1) | instskip(SKIP_1) | instid1(VALU_DEP_2)
	v_mul_u64_e32 v[20:21], v[16:17], v[14:15]
	v_add_nc_u64_e32 v[22:23], 1, v[14:15]
	v_sub_nc_u32_e32 v1, v24, v21
	s_delay_alu instid0(VALU_DEP_3) | instskip(NEXT) | instid1(VALU_DEP_1)
	v_sub_co_u32 v7, vcc_lo, v28, v20
	v_sub_co_ci_u32_e64 v24, null, v24, v21, vcc_lo
	s_delay_alu instid0(VALU_DEP_3) | instskip(NEXT) | instid1(VALU_DEP_3)
	v_sub_co_ci_u32_e64 v1, null, v1, v17, vcc_lo
	v_sub_co_u32 v19, s0, v7, v16
	s_delay_alu instid0(VALU_DEP_1) | instskip(NEXT) | instid1(VALU_DEP_2)
	v_subrev_co_ci_u32_e64 v1, null, 0, v1, s0
	v_cmp_ge_u32_e32 vcc_lo, v19, v16
	v_cndmask_b32_e64 v19, 0, -1, vcc_lo
	s_delay_alu instid0(VALU_DEP_3)
	v_cmp_ge_u32_e32 vcc_lo, v1, v17
	v_cndmask_b32_e64 v20, 0, -1, vcc_lo
	v_cmp_ge_u32_e32 vcc_lo, v7, v16
	v_cndmask_b32_e64 v7, 0, -1, vcc_lo
	;; [unrolled: 2-line block ×3, first 2 shown]
	v_cmp_eq_u32_e32 vcc_lo, v1, v17
	v_cndmask_b32_e32 v1, v20, v19, vcc_lo
	v_cmp_eq_u32_e32 vcc_lo, v24, v17
	v_add_nc_u64_e32 v[20:21], 2, v[14:15]
	v_cndmask_b32_e32 v7, v16, v7, vcc_lo
	s_delay_alu instid0(VALU_DEP_4) | instskip(NEXT) | instid1(VALU_DEP_3)
	v_cmp_ne_u32_e32 vcc_lo, 0, v1
	v_cndmask_b32_e32 v1, v23, v21, vcc_lo
	s_delay_alu instid0(VALU_DEP_3) | instskip(SKIP_1) | instid1(VALU_DEP_1)
	v_cmp_ne_u32_e64 s0, 0, v7
	v_dual_cndmask_b32 v7, v22, v20, vcc_lo :: v_dual_bitop2_b32 v16, v32, v18 bitop3:0x14
	v_dual_cndmask_b32 v1, v15, v1, s0 :: v_dual_cndmask_b32 v7, v14, v7, s0
	s_delay_alu instid0(VALU_DEP_1) | instskip(NEXT) | instid1(VALU_DEP_2)
	v_dual_mov_b32 v17, v16 :: v_dual_bitop2_b32 v15, v1, v16 bitop3:0x14
	v_xor_b32_e32 v14, v7, v16
	s_delay_alu instid0(VALU_DEP_1)
	v_sub_nc_u64_e32 v[18:19], v[14:15], v[16:17]
                                        ; implicit-def: $vgpr16_vgpr17
.LBB67_40:
	s_and_not1_saveexec_b32 s0, s3
	s_cbranch_execz .LBB67_42
; %bb.41:
	v_cvt_f32_u32_e32 v1, v16
	v_dual_sub_nc_u32 v7, 0, v16 :: v_dual_mov_b32 v19, 0
	s_delay_alu instid0(VALU_DEP_2) | instskip(SKIP_1) | instid1(TRANS32_DEP_1)
	v_rcp_iflag_f32_e32 v1, v1
	v_nop
	v_mul_f32_e32 v1, 0x4f7ffffe, v1
	s_delay_alu instid0(VALU_DEP_1) | instskip(NEXT) | instid1(VALU_DEP_1)
	v_cvt_u32_f32_e32 v1, v1
	v_mul_lo_u32 v7, v7, v1
	s_delay_alu instid0(VALU_DEP_1) | instskip(NEXT) | instid1(VALU_DEP_1)
	v_mul_hi_u32 v7, v1, v7
	v_add_nc_u32_e32 v1, v1, v7
	s_delay_alu instid0(VALU_DEP_1) | instskip(NEXT) | instid1(VALU_DEP_1)
	v_mul_hi_u32 v1, v6, v1
	v_mul_lo_u32 v7, v1, v16
	s_delay_alu instid0(VALU_DEP_1) | instskip(NEXT) | instid1(VALU_DEP_1)
	v_dual_sub_nc_u32 v6, v6, v7 :: v_dual_add_nc_u32 v7, 1, v1
	v_sub_nc_u32_e32 v14, v6, v16
	v_cmp_ge_u32_e32 vcc_lo, v6, v16
	s_delay_alu instid0(VALU_DEP_2) | instskip(NEXT) | instid1(VALU_DEP_1)
	v_dual_cndmask_b32 v6, v6, v14 :: v_dual_cndmask_b32 v1, v1, v7
	v_cmp_ge_u32_e32 vcc_lo, v6, v16
	s_delay_alu instid0(VALU_DEP_2) | instskip(NEXT) | instid1(VALU_DEP_1)
	v_add_nc_u32_e32 v7, 1, v1
	v_cndmask_b32_e32 v18, v1, v7, vcc_lo
.LBB67_42:
	s_or_b32 exec_lo, exec_lo, s0
	s_delay_alu instid0(VALU_DEP_1) | instskip(NEXT) | instid1(VALU_DEP_1)
	v_mul_u64_e32 v[2:3], v[18:19], v[2:3]
	v_sub_nc_u64_e32 v[6:7], 0, v[2:3]
	s_delay_alu instid0(VALU_DEP_1)
	v_max_i64 v[14:15], v[2:3], v[6:7]
.LBB67_43:
	s_or_b32 exec_lo, exec_lo, s1
	v_sub_nc_u64_e32 v[2:3], 0, v[4:5]
	s_mov_b32 s1, exec_lo
	s_delay_alu instid0(VALU_DEP_1)
	v_max_i64 v[2:3], v[4:5], v[2:3]
	v_cmpx_ne_u64_e32 0, v[8:9]
	s_cbranch_execz .LBB67_51
; %bb.44:
	v_sub_nc_u64_e32 v[6:7], 0, v[8:9]
	s_mov_b32 s3, 0
	s_delay_alu instid0(VALU_DEP_1)
	v_max_i64 v[18:19], v[8:9], v[6:7]
	v_mov_b32_e32 v6, 0
	s_branch .LBB67_46
.LBB67_45:                              ;   in Loop: Header=BB67_46 Depth=1
	s_or_b32 exec_lo, exec_lo, s0
	s_delay_alu instid0(VALU_DEP_1) | instskip(SKIP_2) | instid1(SALU_CYCLE_1)
	v_cmp_eq_u64_e32 vcc_lo, 0, v[18:19]
	v_mov_b64_e32 v[2:3], v[16:17]
	s_or_b32 s3, vcc_lo, s3
	s_and_not1_b32 exec_lo, exec_lo, s3
	s_cbranch_execz .LBB67_50
.LBB67_46:                              ; =>This Inner Loop Header: Depth=1
	s_delay_alu instid0(VALU_DEP_2) | instskip(SKIP_1) | instid1(VALU_DEP_1)
	v_mov_b64_e32 v[16:17], v[18:19]
                                        ; implicit-def: $vgpr18_vgpr19
	s_mov_b32 s0, exec_lo
	v_or_b32_e32 v7, v3, v17
	s_delay_alu instid0(VALU_DEP_1)
	v_cmpx_ne_u64_e32 0, v[6:7]
	s_xor_b32 s13, exec_lo, s0
	s_cbranch_execz .LBB67_48
; %bb.47:                               ;   in Loop: Header=BB67_46 Depth=1
	s_delay_alu instid0(VALU_DEP_3) | instskip(SKIP_4) | instid1(VALU_DEP_4)
	v_cvt_f32_u32_e32 v1, v16
	v_cvt_f32_u32_e32 v7, v17
	v_sub_nc_u64_e32 v[20:21], 0, v[16:17]
	v_dual_mov_b32 v19, v6 :: v_dual_mov_b32 v27, v6
	v_mov_b32_e32 v29, v6
	v_fmac_f32_e32 v1, 0x4f800000, v7
	s_delay_alu instid0(VALU_DEP_1) | instskip(SKIP_1) | instid1(TRANS32_DEP_1)
	v_rcp_f32_e32 v1, v1
	v_nop
	v_mul_f32_e32 v1, 0x5f7ffffc, v1
	s_delay_alu instid0(VALU_DEP_1) | instskip(NEXT) | instid1(VALU_DEP_1)
	v_mul_f32_e32 v7, 0x2f800000, v1
	v_trunc_f32_e32 v7, v7
	s_delay_alu instid0(VALU_DEP_1) | instskip(SKIP_1) | instid1(VALU_DEP_2)
	v_fmac_f32_e32 v1, 0xcf800000, v7
	v_cvt_u32_f32_e32 v23, v7
	v_cvt_u32_f32_e32 v18, v1
	s_delay_alu instid0(VALU_DEP_1) | instskip(NEXT) | instid1(VALU_DEP_1)
	v_dual_mov_b32 v28, v23 :: v_dual_mov_b32 v22, v18
	v_mul_u64_e32 v[24:25], v[20:21], v[22:23]
	s_delay_alu instid0(VALU_DEP_1) | instskip(NEXT) | instid1(VALU_DEP_1)
	v_dual_mov_b32 v26, v25 :: v_dual_mov_b32 v25, v6
	v_mul_u64_e32 v[30:31], v[18:19], v[26:27]
	s_delay_alu instid0(VALU_DEP_2) | instskip(SKIP_2) | instid1(VALU_DEP_1)
	v_mul_u64_e32 v[32:33], v[28:29], v[24:25]
	v_mul_u64_e32 v[26:27], v[28:29], v[26:27]
	v_mul_hi_u32 v24, v18, v24
	v_add_nc_u64_e32 v[24:25], v[24:25], v[30:31]
	s_delay_alu instid0(VALU_DEP_1) | instskip(NEXT) | instid1(VALU_DEP_2)
	v_add_co_u32 v1, vcc_lo, v24, v32
	v_add_co_ci_u32_e32 v28, vcc_lo, v25, v33, vcc_lo
	v_add_co_ci_u32_e32 v27, vcc_lo, 0, v27, vcc_lo
	s_delay_alu instid0(VALU_DEP_1) | instskip(NEXT) | instid1(VALU_DEP_1)
	v_add_nc_u64_e32 v[24:25], v[28:29], v[26:27]
	v_add_co_u32 v18, vcc_lo, v18, v24
	s_delay_alu instid0(VALU_DEP_1) | instskip(SKIP_1) | instid1(VALU_DEP_2)
	v_add_co_ci_u32_e64 v22, null, v23, v25, vcc_lo
	v_dual_mov_b32 v25, v6 :: v_dual_mov_b32 v23, v6
	v_mov_b32_e32 v19, v22
	s_delay_alu instid0(VALU_DEP_1) | instskip(NEXT) | instid1(VALU_DEP_1)
	v_mul_u64_e32 v[20:21], v[20:21], v[18:19]
	v_dual_mov_b32 v19, v6 :: v_dual_mov_b32 v24, v21
	s_delay_alu instid0(VALU_DEP_2) | instskip(SKIP_1) | instid1(VALU_DEP_3)
	v_dual_mov_b32 v28, v20 :: v_dual_mov_b32 v21, v6
	v_mul_hi_u32 v20, v18, v20
	v_mul_u64_e32 v[26:27], v[18:19], v[24:25]
	s_delay_alu instid0(VALU_DEP_3) | instskip(SKIP_1) | instid1(VALU_DEP_3)
	v_mul_u64_e32 v[28:29], v[22:23], v[28:29]
	v_mul_u64_e32 v[24:25], v[22:23], v[24:25]
	v_add_nc_u64_e32 v[20:21], v[20:21], v[26:27]
	v_mov_b32_e32 v27, v6
	s_delay_alu instid0(VALU_DEP_2) | instskip(NEXT) | instid1(VALU_DEP_3)
	v_add_co_u32 v1, vcc_lo, v20, v28
	v_add_co_ci_u32_e32 v26, vcc_lo, v21, v29, vcc_lo
	v_add_co_ci_u32_e32 v25, vcc_lo, 0, v25, vcc_lo
	s_delay_alu instid0(VALU_DEP_1) | instskip(SKIP_1) | instid1(VALU_DEP_2)
	v_add_nc_u64_e32 v[20:21], v[26:27], v[24:25]
	v_dual_mov_b32 v24, v2 :: v_dual_mov_b32 v25, v6
	v_add_co_u32 v20, vcc_lo, v18, v20
	s_delay_alu instid0(VALU_DEP_1) | instskip(SKIP_1) | instid1(VALU_DEP_2)
	v_add_co_ci_u32_e64 v18, null, v22, v21, vcc_lo
	v_dual_mov_b32 v22, v3 :: v_dual_mov_b32 v21, v6
	v_mul_u64_e32 v[24:25], v[24:25], v[18:19]
	s_delay_alu instid0(VALU_DEP_2) | instskip(NEXT) | instid1(VALU_DEP_3)
	v_mul_u64_e32 v[18:19], v[22:23], v[18:19]
	v_mul_u64_e32 v[26:27], v[22:23], v[20:21]
	v_mul_hi_u32 v20, v2, v20
	s_delay_alu instid0(VALU_DEP_1) | instskip(NEXT) | instid1(VALU_DEP_1)
	v_add_nc_u64_e32 v[20:21], v[20:21], v[24:25]
	v_add_co_u32 v1, vcc_lo, v20, v26
	s_delay_alu instid0(VALU_DEP_2) | instskip(SKIP_1) | instid1(VALU_DEP_1)
	v_add_co_ci_u32_e32 v22, vcc_lo, v21, v27, vcc_lo
	v_add_co_ci_u32_e32 v19, vcc_lo, 0, v19, vcc_lo
	v_add_nc_u64_e32 v[18:19], v[22:23], v[18:19]
	s_delay_alu instid0(VALU_DEP_1) | instskip(NEXT) | instid1(VALU_DEP_1)
	v_mul_u64_e32 v[18:19], v[16:17], v[18:19]
	v_sub_nc_u32_e32 v1, v3, v19
	s_delay_alu instid0(VALU_DEP_2) | instskip(NEXT) | instid1(VALU_DEP_1)
	v_sub_co_u32 v2, vcc_lo, v2, v18
	v_sub_co_ci_u32_e64 v3, null, v3, v19, vcc_lo
	s_delay_alu instid0(VALU_DEP_3) | instskip(NEXT) | instid1(VALU_DEP_3)
	v_sub_co_ci_u32_e64 v1, null, v1, v17, vcc_lo
	v_sub_co_u32 v7, vcc_lo, v2, v16
	v_cmp_ge_u32_e64 s0, v2, v16
	s_delay_alu instid0(VALU_DEP_3) | instskip(SKIP_1) | instid1(VALU_DEP_3)
	v_subrev_co_ci_u32_e64 v18, null, 0, v1, vcc_lo
	v_sub_co_ci_u32_e64 v1, null, v1, v17, vcc_lo
	v_cndmask_b32_e64 v19, 0, -1, s0
	v_cmp_ge_u32_e64 s0, v7, v16
	v_cmp_ge_u32_e32 vcc_lo, v3, v17
	s_delay_alu instid0(VALU_DEP_2) | instskip(SKIP_3) | instid1(VALU_DEP_3)
	v_cndmask_b32_e64 v20, 0, -1, s0
	v_cmp_ge_u32_e64 s0, v18, v17
	v_cndmask_b32_e64 v22, 0, -1, vcc_lo
	v_cmp_eq_u32_e32 vcc_lo, v18, v17
	v_cndmask_b32_e64 v21, 0, -1, s0
	v_cmp_eq_u32_e64 s0, v3, v17
	s_delay_alu instid0(VALU_DEP_1) | instskip(SKIP_1) | instid1(VALU_DEP_1)
	v_dual_cndmask_b32 v20, v21, v20, vcc_lo :: v_dual_cndmask_b32 v19, v22, v19, s0
	v_sub_co_u32 v21, vcc_lo, v7, v16
	v_subrev_co_ci_u32_e64 v1, null, 0, v1, vcc_lo
	s_delay_alu instid0(VALU_DEP_3) | instskip(NEXT) | instid1(VALU_DEP_2)
	v_cmp_ne_u32_e32 vcc_lo, 0, v20
	v_cndmask_b32_e32 v1, v18, v1, vcc_lo
	s_delay_alu instid0(VALU_DEP_4) | instskip(SKIP_1) | instid1(VALU_DEP_2)
	v_cndmask_b32_e32 v7, v7, v21, vcc_lo
	v_cmp_ne_u32_e32 vcc_lo, 0, v19
	v_dual_cndmask_b32 v19, v3, v1 :: v_dual_cndmask_b32 v18, v2, v7
                                        ; implicit-def: $vgpr2_vgpr3
.LBB67_48:                              ;   in Loop: Header=BB67_46 Depth=1
	s_and_not1_saveexec_b32 s0, s13
	s_cbranch_execz .LBB67_45
; %bb.49:                               ;   in Loop: Header=BB67_46 Depth=1
	v_cvt_f32_u32_e32 v1, v16
	v_dual_sub_nc_u32 v3, 0, v16 :: v_dual_mov_b32 v19, v6
	s_delay_alu instid0(VALU_DEP_2) | instskip(SKIP_1) | instid1(TRANS32_DEP_1)
	v_rcp_iflag_f32_e32 v1, v1
	v_nop
	v_mul_f32_e32 v1, 0x4f7ffffe, v1
	s_delay_alu instid0(VALU_DEP_1) | instskip(NEXT) | instid1(VALU_DEP_1)
	v_cvt_u32_f32_e32 v1, v1
	v_mul_lo_u32 v3, v3, v1
	s_delay_alu instid0(VALU_DEP_1) | instskip(NEXT) | instid1(VALU_DEP_1)
	v_mul_hi_u32 v3, v1, v3
	v_add_nc_u32_e32 v1, v1, v3
	s_delay_alu instid0(VALU_DEP_1) | instskip(NEXT) | instid1(VALU_DEP_1)
	v_mul_hi_u32 v1, v2, v1
	v_mul_lo_u32 v1, v1, v16
	s_delay_alu instid0(VALU_DEP_1) | instskip(NEXT) | instid1(VALU_DEP_1)
	v_sub_nc_u32_e32 v1, v2, v1
	v_sub_nc_u32_e32 v2, v1, v16
	v_cmp_ge_u32_e32 vcc_lo, v1, v16
	s_delay_alu instid0(VALU_DEP_2) | instskip(NEXT) | instid1(VALU_DEP_1)
	v_cndmask_b32_e32 v1, v1, v2, vcc_lo
	v_sub_nc_u32_e32 v2, v1, v16
	v_cmp_ge_u32_e32 vcc_lo, v1, v16
	s_delay_alu instid0(VALU_DEP_2)
	v_cndmask_b32_e32 v18, v1, v2, vcc_lo
	s_branch .LBB67_45
.LBB67_50:
	s_or_b32 exec_lo, exec_lo, s3
	v_mov_b64_e32 v[2:3], v[16:17]
.LBB67_51:
	s_or_b32 exec_lo, exec_lo, s1
	v_mov_b64_e32 v[16:17], 0
	s_mov_b32 s1, exec_lo
	s_delay_alu instid0(VALU_DEP_2)
	v_cmpx_ne_u64_e32 0, v[2:3]
	s_cbranch_execz .LBB67_57
; %bb.52:
	v_dual_mov_b32 v6, 0 :: v_dual_bitop2_b32 v7, v9, v3 bitop3:0x54
                                        ; implicit-def: $vgpr16_vgpr17
	s_mov_b32 s0, exec_lo
	s_delay_alu instid0(VALU_DEP_1)
	v_cmpx_ne_u64_e32 0, v[6:7]
	s_xor_b32 s3, exec_lo, s0
	s_cbranch_execz .LBB67_54
; %bb.53:
	v_dual_mov_b32 v19, v6 :: v_dual_ashrrev_i32 v16, 31, v3
	v_dual_mov_b32 v27, v6 :: v_dual_mov_b32 v29, v6
	s_delay_alu instid0(VALU_DEP_2) | instskip(NEXT) | instid1(VALU_DEP_1)
	v_mov_b32_e32 v17, v16
	v_add_nc_u64_e32 v[2:3], v[2:3], v[16:17]
	s_delay_alu instid0(VALU_DEP_1) | instskip(NEXT) | instid1(VALU_DEP_2)
	v_xor_b32_e32 v2, v2, v16
	v_xor_b32_e32 v3, v3, v16
	s_delay_alu instid0(VALU_DEP_2) | instskip(NEXT) | instid1(VALU_DEP_2)
	v_cvt_f32_u32_e32 v1, v2
	v_cvt_f32_u32_e32 v7, v3
	s_delay_alu instid0(VALU_DEP_1) | instskip(NEXT) | instid1(VALU_DEP_1)
	v_fmamk_f32 v1, v7, 0x4f800000, v1
	v_rcp_f32_e32 v1, v1
	v_nop
	s_delay_alu instid0(TRANS32_DEP_1) | instskip(NEXT) | instid1(VALU_DEP_1)
	v_mul_f32_e32 v1, 0x5f7ffffc, v1
	v_mul_f32_e32 v7, 0x2f800000, v1
	s_delay_alu instid0(VALU_DEP_1) | instskip(NEXT) | instid1(VALU_DEP_1)
	v_trunc_f32_e32 v7, v7
	v_fmamk_f32 v1, v7, 0xcf800000, v1
	v_cvt_u32_f32_e32 v23, v7
	v_mov_b32_e32 v7, v6
	s_delay_alu instid0(VALU_DEP_3) | instskip(NEXT) | instid1(VALU_DEP_1)
	v_cvt_u32_f32_e32 v18, v1
	v_dual_mov_b32 v28, v23 :: v_dual_mov_b32 v22, v18
	v_sub_nc_u64_e32 v[20:21], 0, v[2:3]
	s_delay_alu instid0(VALU_DEP_1) | instskip(NEXT) | instid1(VALU_DEP_1)
	v_mul_u64_e32 v[24:25], v[20:21], v[22:23]
	v_dual_mov_b32 v26, v25 :: v_dual_mov_b32 v25, v6
	s_delay_alu instid0(VALU_DEP_1) | instskip(NEXT) | instid1(VALU_DEP_2)
	v_mul_u64_e32 v[30:31], v[18:19], v[26:27]
	v_mul_u64_e32 v[32:33], v[28:29], v[24:25]
	;; [unrolled: 1-line block ×3, first 2 shown]
	v_mul_hi_u32 v24, v18, v24
	s_delay_alu instid0(VALU_DEP_1) | instskip(SKIP_1) | instid1(VALU_DEP_2)
	v_add_nc_u64_e32 v[24:25], v[24:25], v[30:31]
	v_ashrrev_i32_e32 v30, 31, v9
	v_add_co_u32 v1, vcc_lo, v24, v32
	s_delay_alu instid0(VALU_DEP_3) | instskip(SKIP_1) | instid1(VALU_DEP_1)
	v_add_co_ci_u32_e32 v28, vcc_lo, v25, v33, vcc_lo
	v_add_co_ci_u32_e32 v27, vcc_lo, 0, v27, vcc_lo
	v_add_nc_u64_e32 v[24:25], v[28:29], v[26:27]
	s_delay_alu instid0(VALU_DEP_1) | instskip(NEXT) | instid1(VALU_DEP_1)
	v_add_co_u32 v18, vcc_lo, v18, v24
	v_add_co_ci_u32_e64 v22, null, v23, v25, vcc_lo
	v_dual_mov_b32 v25, v6 :: v_dual_mov_b32 v23, v6
	s_delay_alu instid0(VALU_DEP_2) | instskip(NEXT) | instid1(VALU_DEP_1)
	v_mov_b32_e32 v19, v22
	v_mul_u64_e32 v[20:21], v[20:21], v[18:19]
	s_delay_alu instid0(VALU_DEP_1) | instskip(NEXT) | instid1(VALU_DEP_2)
	v_dual_mov_b32 v19, v6 :: v_dual_mov_b32 v24, v21
	v_dual_mov_b32 v28, v20 :: v_dual_mov_b32 v21, v6
	v_mul_hi_u32 v20, v18, v20
	s_delay_alu instid0(VALU_DEP_3) | instskip(NEXT) | instid1(VALU_DEP_3)
	v_mul_u64_e32 v[26:27], v[18:19], v[24:25]
	v_mul_u64_e32 v[28:29], v[22:23], v[28:29]
	;; [unrolled: 1-line block ×3, first 2 shown]
	s_delay_alu instid0(VALU_DEP_3) | instskip(SKIP_1) | instid1(VALU_DEP_2)
	v_add_nc_u64_e32 v[20:21], v[20:21], v[26:27]
	v_dual_mov_b32 v27, v6 :: v_dual_mov_b32 v31, v30
	v_add_co_u32 v1, vcc_lo, v20, v28
	s_delay_alu instid0(VALU_DEP_3) | instskip(SKIP_1) | instid1(VALU_DEP_1)
	v_add_co_ci_u32_e32 v26, vcc_lo, v21, v29, vcc_lo
	v_add_co_ci_u32_e32 v25, vcc_lo, 0, v25, vcc_lo
	v_add_nc_u64_e32 v[20:21], v[26:27], v[24:25]
	v_mov_b32_e32 v25, v6
	v_add_nc_u64_e32 v[8:9], v[8:9], v[30:31]
	s_delay_alu instid0(VALU_DEP_3) | instskip(NEXT) | instid1(VALU_DEP_2)
	v_add_co_u32 v20, vcc_lo, v18, v20
	v_xor_b32_e32 v24, v8, v30
	v_add_co_ci_u32_e64 v18, null, v22, v21, vcc_lo
	s_delay_alu instid0(VALU_DEP_4) | instskip(NEXT) | instid1(VALU_DEP_2)
	v_dual_mov_b32 v21, v6 :: v_dual_bitop2_b32 v22, v9, v30 bitop3:0x14
	v_mul_u64_e32 v[26:27], v[24:25], v[18:19]
	s_delay_alu instid0(VALU_DEP_2) | instskip(SKIP_2) | instid1(VALU_DEP_1)
	v_mul_u64_e32 v[8:9], v[22:23], v[20:21]
	v_mul_u64_e32 v[18:19], v[22:23], v[18:19]
	v_mul_hi_u32 v20, v24, v20
	v_add_nc_u64_e32 v[20:21], v[20:21], v[26:27]
	s_delay_alu instid0(VALU_DEP_1) | instskip(NEXT) | instid1(VALU_DEP_2)
	v_add_co_u32 v1, vcc_lo, v20, v8
	v_add_co_ci_u32_e32 v6, vcc_lo, v21, v9, vcc_lo
	v_add_co_ci_u32_e32 v19, vcc_lo, 0, v19, vcc_lo
	s_delay_alu instid0(VALU_DEP_1) | instskip(NEXT) | instid1(VALU_DEP_1)
	v_add_nc_u64_e32 v[6:7], v[6:7], v[18:19]
	v_mul_u64_e32 v[8:9], v[2:3], v[6:7]
	v_add_nc_u64_e32 v[18:19], 1, v[6:7]
	s_delay_alu instid0(VALU_DEP_2) | instskip(NEXT) | instid1(VALU_DEP_3)
	v_sub_nc_u32_e32 v1, v22, v9
	v_sub_co_u32 v8, vcc_lo, v24, v8
	s_delay_alu instid0(VALU_DEP_1) | instskip(NEXT) | instid1(VALU_DEP_3)
	v_sub_co_ci_u32_e64 v20, null, v22, v9, vcc_lo
	v_sub_co_ci_u32_e64 v1, null, v1, v3, vcc_lo
	s_delay_alu instid0(VALU_DEP_3) | instskip(NEXT) | instid1(VALU_DEP_1)
	v_sub_co_u32 v17, s0, v8, v2
	v_subrev_co_ci_u32_e64 v1, null, 0, v1, s0
	s_delay_alu instid0(VALU_DEP_2) | instskip(SKIP_1) | instid1(VALU_DEP_3)
	v_cmp_ge_u32_e32 vcc_lo, v17, v2
	v_cndmask_b32_e64 v9, 0, -1, vcc_lo
	v_cmp_ge_u32_e32 vcc_lo, v1, v3
	v_cndmask_b32_e64 v17, 0, -1, vcc_lo
	;; [unrolled: 2-line block ×4, first 2 shown]
	v_cmp_eq_u32_e32 vcc_lo, v1, v3
	v_cndmask_b32_e32 v1, v17, v9, vcc_lo
	v_cmp_eq_u32_e32 vcc_lo, v20, v3
	v_add_nc_u64_e32 v[8:9], 2, v[6:7]
	v_cndmask_b32_e32 v2, v21, v2, vcc_lo
	s_delay_alu instid0(VALU_DEP_4) | instskip(NEXT) | instid1(VALU_DEP_2)
	v_cmp_ne_u32_e32 vcc_lo, 0, v1
	v_cmp_ne_u32_e64 s0, 0, v2
	s_delay_alu instid0(VALU_DEP_4) | instskip(SKIP_1) | instid1(VALU_DEP_1)
	v_dual_cndmask_b32 v1, v19, v9, vcc_lo :: v_dual_bitop2_b32 v2, v30, v16 bitop3:0x14
	v_cndmask_b32_e32 v3, v18, v8, vcc_lo
                                        ; implicit-def: $vgpr8_vgpr9
	v_dual_cndmask_b32 v1, v7, v1, s0 :: v_dual_cndmask_b32 v6, v6, v3, s0
	s_delay_alu instid0(VALU_DEP_1) | instskip(NEXT) | instid1(VALU_DEP_2)
	v_dual_mov_b32 v3, v2 :: v_dual_bitop2_b32 v7, v1, v2 bitop3:0x14
	v_xor_b32_e32 v6, v6, v2
	s_delay_alu instid0(VALU_DEP_1)
	v_sub_nc_u64_e32 v[16:17], v[6:7], v[2:3]
                                        ; implicit-def: $vgpr2_vgpr3
.LBB67_54:
	s_and_not1_saveexec_b32 s0, s3
	s_cbranch_execz .LBB67_56
; %bb.55:
	v_cvt_f32_u32_e32 v1, v2
	v_dual_sub_nc_u32 v3, 0, v2 :: v_dual_mov_b32 v17, 0
	s_delay_alu instid0(VALU_DEP_2) | instskip(SKIP_1) | instid1(TRANS32_DEP_1)
	v_rcp_iflag_f32_e32 v1, v1
	v_nop
	v_mul_f32_e32 v1, 0x4f7ffffe, v1
	s_delay_alu instid0(VALU_DEP_1) | instskip(NEXT) | instid1(VALU_DEP_1)
	v_cvt_u32_f32_e32 v1, v1
	v_mul_lo_u32 v3, v3, v1
	s_delay_alu instid0(VALU_DEP_1) | instskip(NEXT) | instid1(VALU_DEP_1)
	v_mul_hi_u32 v3, v1, v3
	v_add_nc_u32_e32 v1, v1, v3
	s_delay_alu instid0(VALU_DEP_1) | instskip(NEXT) | instid1(VALU_DEP_1)
	v_mul_hi_u32 v1, v8, v1
	v_mul_lo_u32 v3, v1, v2
	s_delay_alu instid0(VALU_DEP_1) | instskip(NEXT) | instid1(VALU_DEP_1)
	v_dual_add_nc_u32 v6, 1, v1 :: v_dual_sub_nc_u32 v3, v8, v3
	v_cmp_ge_u32_e32 vcc_lo, v3, v2
	s_delay_alu instid0(VALU_DEP_2) | instskip(NEXT) | instid1(VALU_DEP_1)
	v_cndmask_b32_e32 v1, v1, v6, vcc_lo
	v_dual_sub_nc_u32 v7, v3, v2 :: v_dual_add_nc_u32 v6, 1, v1
	s_delay_alu instid0(VALU_DEP_1) | instskip(NEXT) | instid1(VALU_DEP_1)
	v_cndmask_b32_e32 v3, v3, v7, vcc_lo
	v_cmp_ge_u32_e32 vcc_lo, v3, v2
	s_delay_alu instid0(VALU_DEP_3)
	v_cndmask_b32_e32 v16, v1, v6, vcc_lo
.LBB67_56:
	s_or_b32 exec_lo, exec_lo, s0
	s_delay_alu instid0(VALU_DEP_1) | instskip(NEXT) | instid1(VALU_DEP_1)
	v_mul_u64_e32 v[2:3], v[16:17], v[4:5]
	v_sub_nc_u64_e32 v[4:5], 0, v[2:3]
	s_delay_alu instid0(VALU_DEP_1)
	v_max_i64 v[16:17], v[2:3], v[4:5]
.LBB67_57:
	s_or_b32 exec_lo, exec_lo, s1
	s_add_nc_u64 s[10:11], s[4:5], s[10:11]
	s_mov_b32 s0, 0
	s_clause 0x1
	global_store_b128 v0, v[10:13], s[10:11] scale_offset
	global_store_b128 v0, v[14:17], s[10:11] offset:4096 scale_offset
.LBB67_58:
	s_and_b32 vcc_lo, exec_lo, s0
	s_cbranch_vccz .LBB67_139
; %bb.59:
	s_wait_xcnt 0x0
	v_mov_b64_e32 v[16:17], 0
	v_mov_b64_e32 v[18:19], 0
	;; [unrolled: 1-line block ×3, first 2 shown]
	v_cmp_gt_i32_e64 s0, s12, v0
	v_dual_mov_b32 v6, v0 :: v_dual_bitop2_b32 v1, s2, v0 bitop3:0x54
	v_or_b32_e32 v26, 0x100, v0
	s_and_saveexec_b32 s1, s0
	s_cbranch_execz .LBB67_61
; %bb.60:
	s_clause 0x1
	global_load_b64 v[18:19], v1, s[6:7] scale_offset
	global_load_b64 v[12:13], v1, s[8:9] scale_offset
	v_or_b32_e32 v6, 0x100, v0
.LBB67_61:
	s_wait_xcnt 0x0
	s_or_b32 exec_lo, exec_lo, s1
	v_mov_b64_e32 v[14:15], 0
	s_mov_b32 s1, exec_lo
	v_cmpx_gt_i32_e64 s12, v6
	s_cbranch_execz .LBB67_63
; %bb.62:
	v_add_nc_u32_e32 v2, s2, v6
	v_add_nc_u32_e32 v6, 0x100, v6
	s_clause 0x1
	global_load_b64 v[16:17], v2, s[6:7] scale_offset
	global_load_b64 v[14:15], v2, s[8:9] scale_offset
.LBB67_63:
	s_wait_xcnt 0x0
	s_or_b32 exec_lo, exec_lo, s1
	v_mov_b64_e32 v[4:5], 0
	v_mov_b64_e32 v[10:11], 0
	;; [unrolled: 1-line block ×3, first 2 shown]
	s_mov_b32 s1, exec_lo
	v_cmpx_gt_i32_e64 s12, v6
	s_cbranch_execz .LBB67_65
; %bb.64:
	v_add_nc_u32_e32 v2, s2, v6
	v_add_nc_u32_e32 v6, 0x100, v6
	s_clause 0x1
	global_load_b64 v[10:11], v2, s[6:7] scale_offset
	global_load_b64 v[8:9], v2, s[8:9] scale_offset
.LBB67_65:
	s_wait_xcnt 0x0
	s_or_b32 exec_lo, exec_lo, s1
	v_mov_b64_e32 v[2:3], 0
	s_mov_b32 s1, exec_lo
	v_cmpx_gt_i32_e64 s12, v6
	s_cbranch_execz .LBB67_67
; %bb.66:
	v_add_nc_u32_e32 v6, s2, v6
	s_clause 0x1
	global_load_b64 v[4:5], v6, s[6:7] scale_offset
	global_load_b64 v[2:3], v6, s[8:9] scale_offset
	s_wait_xcnt 0x0
	s_or_b32 exec_lo, exec_lo, s1
                                        ; implicit-def: $vgpr6_vgpr7
	s_and_saveexec_b32 s3, s0
	s_cbranch_execz .LBB67_83
	s_branch .LBB67_68
.LBB67_67:
	s_or_b32 exec_lo, exec_lo, s1
                                        ; implicit-def: $vgpr6_vgpr7
	s_and_saveexec_b32 s3, s0
	s_cbranch_execz .LBB67_83
.LBB67_68:
	s_wait_loadcnt 0x0
	v_sub_nc_u64_e32 v[6:7], 0, v[12:13]
	s_mov_b32 s6, exec_lo
	s_delay_alu instid0(VALU_DEP_1)
	v_max_i64 v[20:21], v[12:13], v[6:7]
	v_cmpx_ne_u64_e32 0, v[18:19]
	s_cbranch_execz .LBB67_76
; %bb.69:
	v_sub_nc_u64_e32 v[6:7], 0, v[18:19]
	s_mov_b32 s7, 0
	s_delay_alu instid0(VALU_DEP_1)
	v_max_i64 v[24:25], v[18:19], v[6:7]
	v_mov_b32_e32 v6, 0
	s_branch .LBB67_71
.LBB67_70:                              ;   in Loop: Header=BB67_71 Depth=1
	s_or_b32 exec_lo, exec_lo, s1
	s_delay_alu instid0(VALU_DEP_1) | instskip(SKIP_2) | instid1(SALU_CYCLE_1)
	v_cmp_eq_u64_e32 vcc_lo, 0, v[24:25]
	v_mov_b64_e32 v[20:21], v[22:23]
	s_or_b32 s7, vcc_lo, s7
	s_and_not1_b32 exec_lo, exec_lo, s7
	s_cbranch_execz .LBB67_75
.LBB67_71:                              ; =>This Inner Loop Header: Depth=1
	s_delay_alu instid0(VALU_DEP_2) | instskip(SKIP_1) | instid1(VALU_DEP_1)
	v_mov_b64_e32 v[22:23], v[24:25]
                                        ; implicit-def: $vgpr24_vgpr25
	s_mov_b32 s1, exec_lo
	v_or_b32_e32 v7, v21, v23
	s_delay_alu instid0(VALU_DEP_1)
	v_cmpx_ne_u64_e32 0, v[6:7]
	s_xor_b32 s8, exec_lo, s1
	s_cbranch_execz .LBB67_73
; %bb.72:                               ;   in Loop: Header=BB67_71 Depth=1
	s_delay_alu instid0(VALU_DEP_3) | instskip(SKIP_3) | instid1(VALU_DEP_3)
	v_cvt_f32_u32_e32 v7, v22
	v_cvt_f32_u32_e32 v24, v23
	v_sub_nc_u64_e32 v[28:29], 0, v[22:23]
	v_dual_mov_b32 v35, v6 :: v_dual_mov_b32 v37, v6
	v_fmac_f32_e32 v7, 0x4f800000, v24
	s_delay_alu instid0(VALU_DEP_1) | instskip(SKIP_1) | instid1(TRANS32_DEP_1)
	v_rcp_f32_e32 v7, v7
	v_nop
	v_mul_f32_e32 v7, 0x5f7ffffc, v7
	s_delay_alu instid0(VALU_DEP_1) | instskip(NEXT) | instid1(VALU_DEP_1)
	v_mul_f32_e32 v24, 0x2f800000, v7
	v_trunc_f32_e32 v25, v24
	s_delay_alu instid0(VALU_DEP_1) | instskip(SKIP_1) | instid1(VALU_DEP_2)
	v_cvt_u32_f32_e32 v31, v25
	v_fmac_f32_e32 v7, 0xcf800000, v25
	v_dual_mov_b32 v25, v6 :: v_dual_mov_b32 v36, v31
	s_delay_alu instid0(VALU_DEP_2) | instskip(NEXT) | instid1(VALU_DEP_1)
	v_cvt_u32_f32_e32 v24, v7
	v_mov_b32_e32 v30, v24
	s_delay_alu instid0(VALU_DEP_1) | instskip(NEXT) | instid1(VALU_DEP_1)
	v_mul_u64_e32 v[32:33], v[28:29], v[30:31]
	v_dual_mov_b32 v34, v33 :: v_dual_mov_b32 v33, v6
	s_delay_alu instid0(VALU_DEP_1) | instskip(NEXT) | instid1(VALU_DEP_2)
	v_mul_u64_e32 v[38:39], v[24:25], v[34:35]
	v_mul_u64_e32 v[40:41], v[36:37], v[32:33]
	;; [unrolled: 1-line block ×3, first 2 shown]
	v_mul_hi_u32 v32, v24, v32
	s_delay_alu instid0(VALU_DEP_1) | instskip(NEXT) | instid1(VALU_DEP_1)
	v_add_nc_u64_e32 v[32:33], v[32:33], v[38:39]
	v_add_co_u32 v7, vcc_lo, v32, v40
	s_delay_alu instid0(VALU_DEP_2) | instskip(SKIP_1) | instid1(VALU_DEP_1)
	v_add_co_ci_u32_e32 v36, vcc_lo, v33, v41, vcc_lo
	v_add_co_ci_u32_e32 v35, vcc_lo, 0, v35, vcc_lo
	v_add_nc_u64_e32 v[32:33], v[36:37], v[34:35]
	s_delay_alu instid0(VALU_DEP_1) | instskip(NEXT) | instid1(VALU_DEP_1)
	v_add_co_u32 v24, vcc_lo, v24, v32
	v_add_co_ci_u32_e64 v30, null, v31, v33, vcc_lo
	v_dual_mov_b32 v33, v6 :: v_dual_mov_b32 v31, v6
	s_delay_alu instid0(VALU_DEP_2) | instskip(NEXT) | instid1(VALU_DEP_1)
	v_mov_b32_e32 v25, v30
	v_mul_u64_e32 v[28:29], v[28:29], v[24:25]
	s_delay_alu instid0(VALU_DEP_1) | instskip(NEXT) | instid1(VALU_DEP_2)
	v_dual_mov_b32 v25, v6 :: v_dual_mov_b32 v32, v29
	v_dual_mov_b32 v36, v28 :: v_dual_mov_b32 v29, v6
	v_mul_hi_u32 v28, v24, v28
	s_delay_alu instid0(VALU_DEP_3) | instskip(NEXT) | instid1(VALU_DEP_3)
	v_mul_u64_e32 v[34:35], v[24:25], v[32:33]
	v_mul_u64_e32 v[36:37], v[30:31], v[36:37]
	;; [unrolled: 1-line block ×3, first 2 shown]
	s_delay_alu instid0(VALU_DEP_3) | instskip(SKIP_1) | instid1(VALU_DEP_2)
	v_add_nc_u64_e32 v[28:29], v[28:29], v[34:35]
	v_mov_b32_e32 v35, v6
	v_add_co_u32 v7, vcc_lo, v28, v36
	s_delay_alu instid0(VALU_DEP_3) | instskip(SKIP_1) | instid1(VALU_DEP_1)
	v_add_co_ci_u32_e32 v34, vcc_lo, v29, v37, vcc_lo
	v_add_co_ci_u32_e32 v33, vcc_lo, 0, v33, vcc_lo
	v_add_nc_u64_e32 v[28:29], v[34:35], v[32:33]
	v_dual_mov_b32 v32, v20 :: v_dual_mov_b32 v33, v6
	s_delay_alu instid0(VALU_DEP_2) | instskip(NEXT) | instid1(VALU_DEP_1)
	v_add_co_u32 v28, vcc_lo, v24, v28
	v_add_co_ci_u32_e64 v24, null, v30, v29, vcc_lo
	v_dual_mov_b32 v30, v21 :: v_dual_mov_b32 v29, v6
	s_delay_alu instid0(VALU_DEP_2) | instskip(NEXT) | instid1(VALU_DEP_2)
	v_mul_u64_e32 v[32:33], v[32:33], v[24:25]
	v_mul_u64_e32 v[24:25], v[30:31], v[24:25]
	s_delay_alu instid0(VALU_DEP_3) | instskip(SKIP_1) | instid1(VALU_DEP_1)
	v_mul_u64_e32 v[34:35], v[30:31], v[28:29]
	v_mul_hi_u32 v28, v20, v28
	v_add_nc_u64_e32 v[28:29], v[28:29], v[32:33]
	s_delay_alu instid0(VALU_DEP_1) | instskip(NEXT) | instid1(VALU_DEP_2)
	v_add_co_u32 v7, vcc_lo, v28, v34
	v_add_co_ci_u32_e32 v30, vcc_lo, v29, v35, vcc_lo
	v_add_co_ci_u32_e32 v25, vcc_lo, 0, v25, vcc_lo
	s_delay_alu instid0(VALU_DEP_1) | instskip(NEXT) | instid1(VALU_DEP_1)
	v_add_nc_u64_e32 v[24:25], v[30:31], v[24:25]
	v_mul_u64_e32 v[24:25], v[22:23], v[24:25]
	s_delay_alu instid0(VALU_DEP_1) | instskip(NEXT) | instid1(VALU_DEP_2)
	v_sub_nc_u32_e32 v7, v21, v25
	v_sub_co_u32 v20, vcc_lo, v20, v24
	s_delay_alu instid0(VALU_DEP_1) | instskip(NEXT) | instid1(VALU_DEP_3)
	v_sub_co_ci_u32_e64 v21, null, v21, v25, vcc_lo
	v_sub_co_ci_u32_e64 v7, null, v7, v23, vcc_lo
	s_delay_alu instid0(VALU_DEP_3) | instskip(SKIP_1) | instid1(VALU_DEP_3)
	v_sub_co_u32 v24, vcc_lo, v20, v22
	v_cmp_ge_u32_e64 s1, v20, v22
	v_subrev_co_ci_u32_e64 v25, null, 0, v7, vcc_lo
	v_sub_co_ci_u32_e64 v7, null, v7, v23, vcc_lo
	s_delay_alu instid0(VALU_DEP_3) | instskip(SKIP_2) | instid1(VALU_DEP_2)
	v_cndmask_b32_e64 v27, 0, -1, s1
	v_cmp_ge_u32_e64 s1, v24, v22
	v_cmp_ge_u32_e32 vcc_lo, v21, v23
	v_cndmask_b32_e64 v28, 0, -1, s1
	v_cmp_ge_u32_e64 s1, v25, v23
	v_cndmask_b32_e64 v30, 0, -1, vcc_lo
	v_cmp_eq_u32_e32 vcc_lo, v25, v23
	s_delay_alu instid0(VALU_DEP_3) | instskip(SKIP_1) | instid1(VALU_DEP_1)
	v_cndmask_b32_e64 v29, 0, -1, s1
	v_cmp_eq_u32_e64 s1, v21, v23
	v_dual_cndmask_b32 v28, v29, v28, vcc_lo :: v_dual_cndmask_b32 v27, v30, v27, s1
	v_sub_co_u32 v29, vcc_lo, v24, v22
	s_delay_alu instid0(VALU_DEP_1) | instskip(NEXT) | instid1(VALU_DEP_3)
	v_subrev_co_ci_u32_e64 v7, null, 0, v7, vcc_lo
	v_cmp_ne_u32_e32 vcc_lo, 0, v28
	s_delay_alu instid0(VALU_DEP_2) | instskip(SKIP_1) | instid1(VALU_DEP_2)
	v_dual_cndmask_b32 v7, v25, v7 :: v_dual_cndmask_b32 v24, v24, v29
	v_cmp_ne_u32_e32 vcc_lo, 0, v27
	v_dual_cndmask_b32 v25, v21, v7 :: v_dual_cndmask_b32 v24, v20, v24
                                        ; implicit-def: $vgpr20_vgpr21
.LBB67_73:                              ;   in Loop: Header=BB67_71 Depth=1
	s_and_not1_saveexec_b32 s1, s8
	s_cbranch_execz .LBB67_70
; %bb.74:                               ;   in Loop: Header=BB67_71 Depth=1
	v_cvt_f32_u32_e32 v7, v22
	v_dual_sub_nc_u32 v21, 0, v22 :: v_dual_mov_b32 v25, v6
	s_delay_alu instid0(VALU_DEP_2) | instskip(SKIP_1) | instid1(TRANS32_DEP_1)
	v_rcp_iflag_f32_e32 v7, v7
	v_nop
	v_mul_f32_e32 v7, 0x4f7ffffe, v7
	s_delay_alu instid0(VALU_DEP_1) | instskip(NEXT) | instid1(VALU_DEP_1)
	v_cvt_u32_f32_e32 v7, v7
	v_mul_lo_u32 v21, v21, v7
	s_delay_alu instid0(VALU_DEP_1) | instskip(NEXT) | instid1(VALU_DEP_1)
	v_mul_hi_u32 v21, v7, v21
	v_add_nc_u32_e32 v7, v7, v21
	s_delay_alu instid0(VALU_DEP_1) | instskip(NEXT) | instid1(VALU_DEP_1)
	v_mul_hi_u32 v7, v20, v7
	v_mul_lo_u32 v7, v7, v22
	s_delay_alu instid0(VALU_DEP_1) | instskip(NEXT) | instid1(VALU_DEP_1)
	v_sub_nc_u32_e32 v7, v20, v7
	v_sub_nc_u32_e32 v20, v7, v22
	v_cmp_ge_u32_e32 vcc_lo, v7, v22
	s_delay_alu instid0(VALU_DEP_2) | instskip(NEXT) | instid1(VALU_DEP_1)
	v_cndmask_b32_e32 v7, v7, v20, vcc_lo
	v_sub_nc_u32_e32 v20, v7, v22
	v_cmp_ge_u32_e32 vcc_lo, v7, v22
	s_delay_alu instid0(VALU_DEP_2)
	v_cndmask_b32_e32 v24, v7, v20, vcc_lo
	s_branch .LBB67_70
.LBB67_75:
	s_or_b32 exec_lo, exec_lo, s7
	v_mov_b64_e32 v[20:21], v[22:23]
.LBB67_76:
	s_or_b32 exec_lo, exec_lo, s6
	v_mov_b64_e32 v[6:7], 0
	s_mov_b32 s6, exec_lo
	s_delay_alu instid0(VALU_DEP_2)
	v_cmpx_ne_u64_e32 0, v[20:21]
	s_cbranch_execz .LBB67_82
; %bb.77:
	v_dual_mov_b32 v6, 0 :: v_dual_bitop2_b32 v7, v19, v21 bitop3:0x54
                                        ; implicit-def: $vgpr22_vgpr23
	s_mov_b32 s1, exec_lo
	s_delay_alu instid0(VALU_DEP_1)
	v_cmpx_ne_u64_e32 0, v[6:7]
	s_xor_b32 s7, exec_lo, s1
	s_cbranch_execz .LBB67_79
; %bb.78:
	v_dual_mov_b32 v25, v6 :: v_dual_ashrrev_i32 v22, 31, v21
	v_dual_mov_b32 v35, v6 :: v_dual_mov_b32 v37, v6
	s_delay_alu instid0(VALU_DEP_2) | instskip(NEXT) | instid1(VALU_DEP_1)
	v_mov_b32_e32 v23, v22
	v_add_nc_u64_e32 v[20:21], v[20:21], v[22:23]
	s_delay_alu instid0(VALU_DEP_1) | instskip(NEXT) | instid1(VALU_DEP_2)
	v_xor_b32_e32 v20, v20, v22
	v_xor_b32_e32 v21, v21, v22
	s_delay_alu instid0(VALU_DEP_2) | instskip(NEXT) | instid1(VALU_DEP_2)
	v_cvt_f32_u32_e32 v7, v20
	v_cvt_f32_u32_e32 v23, v21
	s_delay_alu instid0(VALU_DEP_1) | instskip(NEXT) | instid1(VALU_DEP_1)
	v_fmamk_f32 v7, v23, 0x4f800000, v7
	v_rcp_f32_e32 v7, v7
	v_nop
	s_delay_alu instid0(TRANS32_DEP_1) | instskip(NEXT) | instid1(VALU_DEP_1)
	v_mul_f32_e32 v7, 0x5f7ffffc, v7
	v_mul_f32_e32 v23, 0x2f800000, v7
	s_delay_alu instid0(VALU_DEP_1) | instskip(NEXT) | instid1(VALU_DEP_1)
	v_trunc_f32_e32 v23, v23
	v_fmamk_f32 v7, v23, 0xcf800000, v7
	v_cvt_u32_f32_e32 v31, v23
	s_delay_alu instid0(VALU_DEP_2) | instskip(NEXT) | instid1(VALU_DEP_1)
	v_cvt_u32_f32_e32 v24, v7
	v_dual_mov_b32 v36, v31 :: v_dual_mov_b32 v30, v24
	v_sub_nc_u64_e32 v[28:29], 0, v[20:21]
	s_delay_alu instid0(VALU_DEP_1) | instskip(NEXT) | instid1(VALU_DEP_1)
	v_mul_u64_e32 v[32:33], v[28:29], v[30:31]
	v_dual_mov_b32 v34, v33 :: v_dual_mov_b32 v33, v6
	s_delay_alu instid0(VALU_DEP_1) | instskip(NEXT) | instid1(VALU_DEP_2)
	v_mul_u64_e32 v[38:39], v[24:25], v[34:35]
	v_mul_u64_e32 v[40:41], v[36:37], v[32:33]
	;; [unrolled: 1-line block ×3, first 2 shown]
	v_mul_hi_u32 v32, v24, v32
	s_delay_alu instid0(VALU_DEP_1) | instskip(SKIP_1) | instid1(VALU_DEP_2)
	v_add_nc_u64_e32 v[32:33], v[32:33], v[38:39]
	v_ashrrev_i32_e32 v38, 31, v19
	v_add_co_u32 v7, vcc_lo, v32, v40
	s_delay_alu instid0(VALU_DEP_3) | instskip(SKIP_1) | instid1(VALU_DEP_1)
	v_add_co_ci_u32_e32 v36, vcc_lo, v33, v41, vcc_lo
	v_add_co_ci_u32_e32 v35, vcc_lo, 0, v35, vcc_lo
	v_add_nc_u64_e32 v[32:33], v[36:37], v[34:35]
	s_delay_alu instid0(VALU_DEP_1) | instskip(NEXT) | instid1(VALU_DEP_1)
	v_add_co_u32 v24, vcc_lo, v24, v32
	v_add_co_ci_u32_e64 v30, null, v31, v33, vcc_lo
	v_dual_mov_b32 v33, v6 :: v_dual_mov_b32 v31, v6
	s_delay_alu instid0(VALU_DEP_2) | instskip(NEXT) | instid1(VALU_DEP_1)
	v_mov_b32_e32 v25, v30
	v_mul_u64_e32 v[28:29], v[28:29], v[24:25]
	s_delay_alu instid0(VALU_DEP_1) | instskip(NEXT) | instid1(VALU_DEP_2)
	v_dual_mov_b32 v25, v6 :: v_dual_mov_b32 v32, v29
	v_dual_mov_b32 v36, v28 :: v_dual_mov_b32 v29, v6
	v_mul_hi_u32 v28, v24, v28
	s_delay_alu instid0(VALU_DEP_3) | instskip(NEXT) | instid1(VALU_DEP_3)
	v_mul_u64_e32 v[34:35], v[24:25], v[32:33]
	v_mul_u64_e32 v[36:37], v[30:31], v[36:37]
	;; [unrolled: 1-line block ×3, first 2 shown]
	s_delay_alu instid0(VALU_DEP_3) | instskip(SKIP_1) | instid1(VALU_DEP_2)
	v_add_nc_u64_e32 v[28:29], v[28:29], v[34:35]
	v_dual_mov_b32 v35, v6 :: v_dual_mov_b32 v39, v38
	v_add_co_u32 v7, vcc_lo, v28, v36
	s_delay_alu instid0(VALU_DEP_3) | instskip(SKIP_2) | instid1(VALU_DEP_2)
	v_add_co_ci_u32_e32 v34, vcc_lo, v29, v37, vcc_lo
	v_add_co_ci_u32_e32 v33, vcc_lo, 0, v33, vcc_lo
	v_mov_b32_e32 v7, v6
	v_add_nc_u64_e32 v[28:29], v[34:35], v[32:33]
	v_mov_b32_e32 v33, v6
	v_add_nc_u64_e32 v[18:19], v[18:19], v[38:39]
	s_delay_alu instid0(VALU_DEP_3) | instskip(NEXT) | instid1(VALU_DEP_2)
	v_add_co_u32 v28, vcc_lo, v24, v28
	v_xor_b32_e32 v32, v18, v38
	v_add_co_ci_u32_e64 v24, null, v30, v29, vcc_lo
	s_delay_alu instid0(VALU_DEP_4) | instskip(NEXT) | instid1(VALU_DEP_2)
	v_dual_mov_b32 v29, v6 :: v_dual_bitop2_b32 v30, v19, v38 bitop3:0x14
	v_mul_u64_e32 v[34:35], v[32:33], v[24:25]
	s_delay_alu instid0(VALU_DEP_2) | instskip(SKIP_2) | instid1(VALU_DEP_1)
	v_mul_u64_e32 v[18:19], v[30:31], v[28:29]
	v_mul_u64_e32 v[24:25], v[30:31], v[24:25]
	v_mul_hi_u32 v28, v32, v28
	v_add_nc_u64_e32 v[28:29], v[28:29], v[34:35]
	s_delay_alu instid0(VALU_DEP_1) | instskip(NEXT) | instid1(VALU_DEP_2)
	v_add_co_u32 v6, vcc_lo, v28, v18
	v_add_co_ci_u32_e32 v6, vcc_lo, v29, v19, vcc_lo
	v_add_co_ci_u32_e32 v25, vcc_lo, 0, v25, vcc_lo
	s_delay_alu instid0(VALU_DEP_1) | instskip(NEXT) | instid1(VALU_DEP_1)
	v_add_nc_u64_e32 v[6:7], v[6:7], v[24:25]
	v_mul_u64_e32 v[18:19], v[20:21], v[6:7]
	s_delay_alu instid0(VALU_DEP_1) | instskip(NEXT) | instid1(VALU_DEP_2)
	v_sub_nc_u32_e32 v23, v30, v19
	v_sub_co_u32 v18, vcc_lo, v32, v18
	s_delay_alu instid0(VALU_DEP_1) | instskip(NEXT) | instid1(VALU_DEP_3)
	v_sub_co_ci_u32_e64 v27, null, v30, v19, vcc_lo
	v_sub_co_ci_u32_e64 v23, null, v23, v21, vcc_lo
	s_delay_alu instid0(VALU_DEP_3) | instskip(NEXT) | instid1(VALU_DEP_1)
	v_sub_co_u32 v24, s1, v18, v20
	v_subrev_co_ci_u32_e64 v23, null, 0, v23, s1
	s_delay_alu instid0(VALU_DEP_2) | instskip(SKIP_1) | instid1(VALU_DEP_3)
	v_cmp_ge_u32_e32 vcc_lo, v24, v20
	v_cndmask_b32_e64 v19, 0, -1, vcc_lo
	v_cmp_ge_u32_e32 vcc_lo, v23, v21
	v_cndmask_b32_e64 v24, 0, -1, vcc_lo
	;; [unrolled: 2-line block ×4, first 2 shown]
	v_cmp_eq_u32_e32 vcc_lo, v23, v21
	v_cndmask_b32_e32 v23, v24, v19, vcc_lo
	v_cmp_eq_u32_e32 vcc_lo, v27, v21
	v_add_nc_u64_e32 v[18:19], 2, v[6:7]
	v_add_nc_u64_e32 v[24:25], 1, v[6:7]
	v_cndmask_b32_e32 v20, v28, v20, vcc_lo
	v_cmp_ne_u32_e32 vcc_lo, 0, v23
	s_delay_alu instid0(VALU_DEP_2) | instskip(NEXT) | instid1(VALU_DEP_4)
	v_cmp_ne_u32_e64 s1, 0, v20
	v_dual_cndmask_b32 v19, v25, v19 :: v_dual_cndmask_b32 v20, v24, v18
	s_delay_alu instid0(VALU_DEP_1) | instskip(NEXT) | instid1(VALU_DEP_2)
	v_dual_cndmask_b32 v7, v7, v19, s1 :: v_dual_bitop2_b32 v18, v38, v22 bitop3:0x14
	v_cndmask_b32_e64 v6, v6, v20, s1
	s_delay_alu instid0(VALU_DEP_2) | instskip(NEXT) | instid1(VALU_DEP_3)
	v_mov_b32_e32 v19, v18
                                        ; implicit-def: $vgpr20_vgpr21
	v_xor_b32_e32 v7, v7, v18
	s_delay_alu instid0(VALU_DEP_3) | instskip(NEXT) | instid1(VALU_DEP_1)
	v_xor_b32_e32 v6, v6, v18
	v_sub_nc_u64_e32 v[22:23], v[6:7], v[18:19]
                                        ; implicit-def: $vgpr18_vgpr19
.LBB67_79:
	s_and_not1_saveexec_b32 s1, s7
	s_cbranch_execz .LBB67_81
; %bb.80:
	v_cvt_f32_u32_e32 v6, v20
	v_dual_sub_nc_u32 v7, 0, v20 :: v_dual_mov_b32 v23, 0
	s_delay_alu instid0(VALU_DEP_2) | instskip(SKIP_1) | instid1(TRANS32_DEP_1)
	v_rcp_iflag_f32_e32 v6, v6
	v_nop
	v_mul_f32_e32 v6, 0x4f7ffffe, v6
	s_delay_alu instid0(VALU_DEP_1) | instskip(NEXT) | instid1(VALU_DEP_1)
	v_cvt_u32_f32_e32 v6, v6
	v_mul_lo_u32 v7, v7, v6
	s_delay_alu instid0(VALU_DEP_1) | instskip(NEXT) | instid1(VALU_DEP_1)
	v_mul_hi_u32 v7, v6, v7
	v_add_nc_u32_e32 v6, v6, v7
	s_delay_alu instid0(VALU_DEP_1) | instskip(NEXT) | instid1(VALU_DEP_1)
	v_mul_hi_u32 v6, v18, v6
	v_mul_lo_u32 v7, v6, v20
	s_delay_alu instid0(VALU_DEP_1) | instskip(NEXT) | instid1(VALU_DEP_1)
	v_dual_sub_nc_u32 v7, v18, v7 :: v_dual_add_nc_u32 v18, 1, v6
	v_sub_nc_u32_e32 v19, v7, v20
	v_cmp_ge_u32_e32 vcc_lo, v7, v20
	s_delay_alu instid0(VALU_DEP_2) | instskip(NEXT) | instid1(VALU_DEP_1)
	v_dual_cndmask_b32 v7, v7, v19 :: v_dual_cndmask_b32 v6, v6, v18
	v_cmp_ge_u32_e32 vcc_lo, v7, v20
	s_delay_alu instid0(VALU_DEP_2) | instskip(NEXT) | instid1(VALU_DEP_1)
	v_add_nc_u32_e32 v18, 1, v6
	v_cndmask_b32_e32 v22, v6, v18, vcc_lo
.LBB67_81:
	s_or_b32 exec_lo, exec_lo, s1
	s_delay_alu instid0(VALU_DEP_1) | instskip(NEXT) | instid1(VALU_DEP_1)
	v_mul_u64_e32 v[6:7], v[22:23], v[12:13]
	v_sub_nc_u64_e32 v[12:13], 0, v[6:7]
	s_delay_alu instid0(VALU_DEP_1)
	v_max_i64 v[6:7], v[6:7], v[12:13]
.LBB67_82:
	s_or_b32 exec_lo, exec_lo, s6
.LBB67_83:
	s_delay_alu instid0(SALU_CYCLE_1) | instskip(NEXT) | instid1(SALU_CYCLE_1)
	s_or_b32 exec_lo, exec_lo, s3
	s_mov_b32 s3, exec_lo
                                        ; implicit-def: $vgpr12_vgpr13
	v_cmpx_gt_i32_e64 s12, v26
	s_cbranch_execz .LBB67_99
; %bb.84:
	s_wait_loadcnt 0x0
	v_sub_nc_u64_e32 v[12:13], 0, v[14:15]
	s_mov_b32 s6, exec_lo
	s_delay_alu instid0(VALU_DEP_1)
	v_max_i64 v[18:19], v[14:15], v[12:13]
	v_cmpx_ne_u64_e32 0, v[16:17]
	s_cbranch_execz .LBB67_92
; %bb.85:
	v_sub_nc_u64_e32 v[12:13], 0, v[16:17]
	s_mov_b32 s7, 0
	s_delay_alu instid0(VALU_DEP_1)
	v_max_i64 v[22:23], v[16:17], v[12:13]
	v_mov_b32_e32 v12, 0
	s_branch .LBB67_87
.LBB67_86:                              ;   in Loop: Header=BB67_87 Depth=1
	s_or_b32 exec_lo, exec_lo, s1
	s_delay_alu instid0(VALU_DEP_1) | instskip(SKIP_2) | instid1(SALU_CYCLE_1)
	v_cmp_eq_u64_e32 vcc_lo, 0, v[22:23]
	v_mov_b64_e32 v[18:19], v[20:21]
	s_or_b32 s7, vcc_lo, s7
	s_and_not1_b32 exec_lo, exec_lo, s7
	s_cbranch_execz .LBB67_91
.LBB67_87:                              ; =>This Inner Loop Header: Depth=1
	s_delay_alu instid0(VALU_DEP_2) | instskip(SKIP_1) | instid1(VALU_DEP_1)
	v_mov_b64_e32 v[20:21], v[22:23]
                                        ; implicit-def: $vgpr22_vgpr23
	s_mov_b32 s1, exec_lo
	v_or_b32_e32 v13, v19, v21
	s_delay_alu instid0(VALU_DEP_1)
	v_cmpx_ne_u64_e32 0, v[12:13]
	s_xor_b32 s8, exec_lo, s1
	s_cbranch_execz .LBB67_89
; %bb.88:                               ;   in Loop: Header=BB67_87 Depth=1
	s_delay_alu instid0(VALU_DEP_3) | instskip(SKIP_3) | instid1(VALU_DEP_3)
	v_cvt_f32_u32_e32 v13, v20
	v_cvt_f32_u32_e32 v22, v21
	v_sub_nc_u64_e32 v[24:25], 0, v[20:21]
	v_dual_mov_b32 v33, v12 :: v_dual_mov_b32 v35, v12
	v_fmac_f32_e32 v13, 0x4f800000, v22
	s_delay_alu instid0(VALU_DEP_1) | instskip(SKIP_1) | instid1(TRANS32_DEP_1)
	v_rcp_f32_e32 v13, v13
	v_nop
	v_mul_f32_e32 v13, 0x5f7ffffc, v13
	s_delay_alu instid0(VALU_DEP_1) | instskip(NEXT) | instid1(VALU_DEP_1)
	v_mul_f32_e32 v22, 0x2f800000, v13
	v_trunc_f32_e32 v23, v22
	s_delay_alu instid0(VALU_DEP_1) | instskip(SKIP_1) | instid1(VALU_DEP_2)
	v_cvt_u32_f32_e32 v29, v23
	v_fmac_f32_e32 v13, 0xcf800000, v23
	v_dual_mov_b32 v23, v12 :: v_dual_mov_b32 v34, v29
	s_delay_alu instid0(VALU_DEP_2) | instskip(NEXT) | instid1(VALU_DEP_1)
	v_cvt_u32_f32_e32 v22, v13
	v_mov_b32_e32 v28, v22
	s_delay_alu instid0(VALU_DEP_1) | instskip(NEXT) | instid1(VALU_DEP_1)
	v_mul_u64_e32 v[30:31], v[24:25], v[28:29]
	v_dual_mov_b32 v32, v31 :: v_dual_mov_b32 v31, v12
	s_delay_alu instid0(VALU_DEP_1) | instskip(NEXT) | instid1(VALU_DEP_2)
	v_mul_u64_e32 v[36:37], v[22:23], v[32:33]
	v_mul_u64_e32 v[38:39], v[34:35], v[30:31]
	;; [unrolled: 1-line block ×3, first 2 shown]
	v_mul_hi_u32 v30, v22, v30
	s_delay_alu instid0(VALU_DEP_1) | instskip(NEXT) | instid1(VALU_DEP_1)
	v_add_nc_u64_e32 v[30:31], v[30:31], v[36:37]
	v_add_co_u32 v13, vcc_lo, v30, v38
	s_delay_alu instid0(VALU_DEP_2) | instskip(SKIP_1) | instid1(VALU_DEP_1)
	v_add_co_ci_u32_e32 v34, vcc_lo, v31, v39, vcc_lo
	v_add_co_ci_u32_e32 v33, vcc_lo, 0, v33, vcc_lo
	v_add_nc_u64_e32 v[30:31], v[34:35], v[32:33]
	s_delay_alu instid0(VALU_DEP_1) | instskip(NEXT) | instid1(VALU_DEP_1)
	v_add_co_u32 v22, vcc_lo, v22, v30
	v_add_co_ci_u32_e64 v28, null, v29, v31, vcc_lo
	v_dual_mov_b32 v31, v12 :: v_dual_mov_b32 v29, v12
	s_delay_alu instid0(VALU_DEP_2) | instskip(NEXT) | instid1(VALU_DEP_1)
	v_mov_b32_e32 v23, v28
	v_mul_u64_e32 v[24:25], v[24:25], v[22:23]
	s_delay_alu instid0(VALU_DEP_1) | instskip(NEXT) | instid1(VALU_DEP_2)
	v_dual_mov_b32 v23, v12 :: v_dual_mov_b32 v30, v25
	v_dual_mov_b32 v34, v24 :: v_dual_mov_b32 v25, v12
	v_mul_hi_u32 v24, v22, v24
	s_delay_alu instid0(VALU_DEP_3) | instskip(NEXT) | instid1(VALU_DEP_3)
	v_mul_u64_e32 v[32:33], v[22:23], v[30:31]
	v_mul_u64_e32 v[34:35], v[28:29], v[34:35]
	;; [unrolled: 1-line block ×3, first 2 shown]
	s_delay_alu instid0(VALU_DEP_3) | instskip(SKIP_1) | instid1(VALU_DEP_2)
	v_add_nc_u64_e32 v[24:25], v[24:25], v[32:33]
	v_mov_b32_e32 v33, v12
	v_add_co_u32 v13, vcc_lo, v24, v34
	s_delay_alu instid0(VALU_DEP_3) | instskip(SKIP_1) | instid1(VALU_DEP_1)
	v_add_co_ci_u32_e32 v32, vcc_lo, v25, v35, vcc_lo
	v_add_co_ci_u32_e32 v31, vcc_lo, 0, v31, vcc_lo
	v_add_nc_u64_e32 v[24:25], v[32:33], v[30:31]
	v_dual_mov_b32 v30, v18 :: v_dual_mov_b32 v31, v12
	s_delay_alu instid0(VALU_DEP_2) | instskip(NEXT) | instid1(VALU_DEP_1)
	v_add_co_u32 v24, vcc_lo, v22, v24
	v_add_co_ci_u32_e64 v22, null, v28, v25, vcc_lo
	v_dual_mov_b32 v28, v19 :: v_dual_mov_b32 v25, v12
	s_delay_alu instid0(VALU_DEP_2) | instskip(NEXT) | instid1(VALU_DEP_2)
	v_mul_u64_e32 v[30:31], v[30:31], v[22:23]
	v_mul_u64_e32 v[22:23], v[28:29], v[22:23]
	s_delay_alu instid0(VALU_DEP_3) | instskip(SKIP_1) | instid1(VALU_DEP_1)
	v_mul_u64_e32 v[32:33], v[28:29], v[24:25]
	v_mul_hi_u32 v24, v18, v24
	v_add_nc_u64_e32 v[24:25], v[24:25], v[30:31]
	s_delay_alu instid0(VALU_DEP_1) | instskip(NEXT) | instid1(VALU_DEP_2)
	v_add_co_u32 v13, vcc_lo, v24, v32
	v_add_co_ci_u32_e32 v28, vcc_lo, v25, v33, vcc_lo
	v_add_co_ci_u32_e32 v23, vcc_lo, 0, v23, vcc_lo
	s_delay_alu instid0(VALU_DEP_1) | instskip(NEXT) | instid1(VALU_DEP_1)
	v_add_nc_u64_e32 v[22:23], v[28:29], v[22:23]
	v_mul_u64_e32 v[22:23], v[20:21], v[22:23]
	s_delay_alu instid0(VALU_DEP_1) | instskip(NEXT) | instid1(VALU_DEP_2)
	v_sub_nc_u32_e32 v13, v19, v23
	v_sub_co_u32 v18, vcc_lo, v18, v22
	s_delay_alu instid0(VALU_DEP_1) | instskip(NEXT) | instid1(VALU_DEP_3)
	v_sub_co_ci_u32_e64 v19, null, v19, v23, vcc_lo
	v_sub_co_ci_u32_e64 v13, null, v13, v21, vcc_lo
	s_delay_alu instid0(VALU_DEP_3) | instskip(SKIP_1) | instid1(VALU_DEP_3)
	v_sub_co_u32 v22, vcc_lo, v18, v20
	v_cmp_ge_u32_e64 s1, v18, v20
	v_subrev_co_ci_u32_e64 v23, null, 0, v13, vcc_lo
	v_sub_co_ci_u32_e64 v13, null, v13, v21, vcc_lo
	s_delay_alu instid0(VALU_DEP_3) | instskip(SKIP_2) | instid1(VALU_DEP_2)
	v_cndmask_b32_e64 v24, 0, -1, s1
	v_cmp_ge_u32_e64 s1, v22, v20
	v_cmp_ge_u32_e32 vcc_lo, v19, v21
	v_cndmask_b32_e64 v25, 0, -1, s1
	v_cmp_ge_u32_e64 s1, v23, v21
	v_cndmask_b32_e64 v28, 0, -1, vcc_lo
	v_cmp_eq_u32_e32 vcc_lo, v23, v21
	s_delay_alu instid0(VALU_DEP_3) | instskip(SKIP_1) | instid1(VALU_DEP_1)
	v_cndmask_b32_e64 v27, 0, -1, s1
	v_cmp_eq_u32_e64 s1, v19, v21
	v_dual_cndmask_b32 v25, v27, v25, vcc_lo :: v_dual_cndmask_b32 v24, v28, v24, s1
	v_sub_co_u32 v27, vcc_lo, v22, v20
	s_delay_alu instid0(VALU_DEP_1) | instskip(NEXT) | instid1(VALU_DEP_3)
	v_subrev_co_ci_u32_e64 v13, null, 0, v13, vcc_lo
	v_cmp_ne_u32_e32 vcc_lo, 0, v25
	s_delay_alu instid0(VALU_DEP_2) | instskip(SKIP_1) | instid1(VALU_DEP_2)
	v_dual_cndmask_b32 v13, v23, v13 :: v_dual_cndmask_b32 v22, v22, v27
	v_cmp_ne_u32_e32 vcc_lo, 0, v24
	v_dual_cndmask_b32 v23, v19, v13 :: v_dual_cndmask_b32 v22, v18, v22
                                        ; implicit-def: $vgpr18_vgpr19
.LBB67_89:                              ;   in Loop: Header=BB67_87 Depth=1
	s_and_not1_saveexec_b32 s1, s8
	s_cbranch_execz .LBB67_86
; %bb.90:                               ;   in Loop: Header=BB67_87 Depth=1
	v_cvt_f32_u32_e32 v13, v20
	v_dual_sub_nc_u32 v19, 0, v20 :: v_dual_mov_b32 v23, v12
	s_delay_alu instid0(VALU_DEP_2) | instskip(SKIP_1) | instid1(TRANS32_DEP_1)
	v_rcp_iflag_f32_e32 v13, v13
	v_nop
	v_mul_f32_e32 v13, 0x4f7ffffe, v13
	s_delay_alu instid0(VALU_DEP_1) | instskip(NEXT) | instid1(VALU_DEP_1)
	v_cvt_u32_f32_e32 v13, v13
	v_mul_lo_u32 v19, v19, v13
	s_delay_alu instid0(VALU_DEP_1) | instskip(NEXT) | instid1(VALU_DEP_1)
	v_mul_hi_u32 v19, v13, v19
	v_add_nc_u32_e32 v13, v13, v19
	s_delay_alu instid0(VALU_DEP_1) | instskip(NEXT) | instid1(VALU_DEP_1)
	v_mul_hi_u32 v13, v18, v13
	v_mul_lo_u32 v13, v13, v20
	s_delay_alu instid0(VALU_DEP_1) | instskip(NEXT) | instid1(VALU_DEP_1)
	v_sub_nc_u32_e32 v13, v18, v13
	v_sub_nc_u32_e32 v18, v13, v20
	v_cmp_ge_u32_e32 vcc_lo, v13, v20
	s_delay_alu instid0(VALU_DEP_2) | instskip(NEXT) | instid1(VALU_DEP_1)
	v_cndmask_b32_e32 v13, v13, v18, vcc_lo
	v_sub_nc_u32_e32 v18, v13, v20
	v_cmp_ge_u32_e32 vcc_lo, v13, v20
	s_delay_alu instid0(VALU_DEP_2)
	v_cndmask_b32_e32 v22, v13, v18, vcc_lo
	s_branch .LBB67_86
.LBB67_91:
	s_or_b32 exec_lo, exec_lo, s7
	v_mov_b64_e32 v[18:19], v[20:21]
.LBB67_92:
	s_or_b32 exec_lo, exec_lo, s6
	v_mov_b64_e32 v[12:13], 0
	s_mov_b32 s6, exec_lo
	s_delay_alu instid0(VALU_DEP_2)
	v_cmpx_ne_u64_e32 0, v[18:19]
	s_cbranch_execz .LBB67_98
; %bb.93:
	v_dual_mov_b32 v12, 0 :: v_dual_bitop2_b32 v13, v17, v19 bitop3:0x54
                                        ; implicit-def: $vgpr20_vgpr21
	s_mov_b32 s1, exec_lo
	s_delay_alu instid0(VALU_DEP_1)
	v_cmpx_ne_u64_e32 0, v[12:13]
	s_xor_b32 s7, exec_lo, s1
	s_cbranch_execz .LBB67_95
; %bb.94:
	v_dual_mov_b32 v23, v12 :: v_dual_ashrrev_i32 v20, 31, v19
	v_dual_mov_b32 v33, v12 :: v_dual_mov_b32 v35, v12
	s_delay_alu instid0(VALU_DEP_2) | instskip(NEXT) | instid1(VALU_DEP_1)
	v_mov_b32_e32 v21, v20
	v_add_nc_u64_e32 v[18:19], v[18:19], v[20:21]
	s_delay_alu instid0(VALU_DEP_1) | instskip(NEXT) | instid1(VALU_DEP_2)
	v_xor_b32_e32 v18, v18, v20
	v_xor_b32_e32 v19, v19, v20
	s_delay_alu instid0(VALU_DEP_2) | instskip(NEXT) | instid1(VALU_DEP_2)
	v_cvt_f32_u32_e32 v13, v18
	v_cvt_f32_u32_e32 v21, v19
	s_delay_alu instid0(VALU_DEP_1) | instskip(NEXT) | instid1(VALU_DEP_1)
	v_fmamk_f32 v13, v21, 0x4f800000, v13
	v_rcp_f32_e32 v13, v13
	v_nop
	s_delay_alu instid0(TRANS32_DEP_1) | instskip(NEXT) | instid1(VALU_DEP_1)
	v_mul_f32_e32 v13, 0x5f7ffffc, v13
	v_mul_f32_e32 v21, 0x2f800000, v13
	s_delay_alu instid0(VALU_DEP_1) | instskip(NEXT) | instid1(VALU_DEP_1)
	v_trunc_f32_e32 v21, v21
	v_fmamk_f32 v13, v21, 0xcf800000, v13
	v_cvt_u32_f32_e32 v29, v21
	s_delay_alu instid0(VALU_DEP_2) | instskip(NEXT) | instid1(VALU_DEP_1)
	v_cvt_u32_f32_e32 v22, v13
	v_dual_mov_b32 v34, v29 :: v_dual_mov_b32 v28, v22
	v_sub_nc_u64_e32 v[24:25], 0, v[18:19]
	s_delay_alu instid0(VALU_DEP_1) | instskip(NEXT) | instid1(VALU_DEP_1)
	v_mul_u64_e32 v[30:31], v[24:25], v[28:29]
	v_dual_mov_b32 v32, v31 :: v_dual_mov_b32 v31, v12
	s_delay_alu instid0(VALU_DEP_1) | instskip(NEXT) | instid1(VALU_DEP_2)
	v_mul_u64_e32 v[36:37], v[22:23], v[32:33]
	v_mul_u64_e32 v[38:39], v[34:35], v[30:31]
	;; [unrolled: 1-line block ×3, first 2 shown]
	v_mul_hi_u32 v30, v22, v30
	s_delay_alu instid0(VALU_DEP_1) | instskip(SKIP_1) | instid1(VALU_DEP_2)
	v_add_nc_u64_e32 v[30:31], v[30:31], v[36:37]
	v_ashrrev_i32_e32 v36, 31, v17
	v_add_co_u32 v13, vcc_lo, v30, v38
	s_delay_alu instid0(VALU_DEP_3) | instskip(SKIP_1) | instid1(VALU_DEP_1)
	v_add_co_ci_u32_e32 v34, vcc_lo, v31, v39, vcc_lo
	v_add_co_ci_u32_e32 v33, vcc_lo, 0, v33, vcc_lo
	v_add_nc_u64_e32 v[30:31], v[34:35], v[32:33]
	s_delay_alu instid0(VALU_DEP_1) | instskip(NEXT) | instid1(VALU_DEP_1)
	v_add_co_u32 v22, vcc_lo, v22, v30
	v_add_co_ci_u32_e64 v28, null, v29, v31, vcc_lo
	v_dual_mov_b32 v29, v12 :: v_dual_mov_b32 v31, v12
	s_delay_alu instid0(VALU_DEP_2) | instskip(NEXT) | instid1(VALU_DEP_1)
	v_mov_b32_e32 v23, v28
	v_mul_u64_e32 v[24:25], v[24:25], v[22:23]
	s_delay_alu instid0(VALU_DEP_1) | instskip(NEXT) | instid1(VALU_DEP_2)
	v_dual_mov_b32 v23, v12 :: v_dual_mov_b32 v30, v25
	v_dual_mov_b32 v34, v24 :: v_dual_mov_b32 v25, v12
	v_mul_hi_u32 v24, v22, v24
	s_delay_alu instid0(VALU_DEP_3) | instskip(NEXT) | instid1(VALU_DEP_3)
	v_mul_u64_e32 v[32:33], v[22:23], v[30:31]
	v_mul_u64_e32 v[34:35], v[28:29], v[34:35]
	;; [unrolled: 1-line block ×3, first 2 shown]
	s_delay_alu instid0(VALU_DEP_3) | instskip(SKIP_1) | instid1(VALU_DEP_2)
	v_add_nc_u64_e32 v[24:25], v[24:25], v[32:33]
	v_dual_mov_b32 v33, v12 :: v_dual_mov_b32 v37, v36
	v_add_co_u32 v13, vcc_lo, v24, v34
	s_delay_alu instid0(VALU_DEP_3) | instskip(SKIP_2) | instid1(VALU_DEP_2)
	v_add_co_ci_u32_e32 v32, vcc_lo, v25, v35, vcc_lo
	v_add_co_ci_u32_e32 v31, vcc_lo, 0, v31, vcc_lo
	v_mov_b32_e32 v13, v12
	v_add_nc_u64_e32 v[24:25], v[32:33], v[30:31]
	v_mov_b32_e32 v31, v12
	v_add_nc_u64_e32 v[16:17], v[16:17], v[36:37]
	s_delay_alu instid0(VALU_DEP_3) | instskip(NEXT) | instid1(VALU_DEP_2)
	v_add_co_u32 v24, vcc_lo, v22, v24
	v_xor_b32_e32 v30, v16, v36
	v_add_co_ci_u32_e64 v22, null, v28, v25, vcc_lo
	s_delay_alu instid0(VALU_DEP_4) | instskip(NEXT) | instid1(VALU_DEP_2)
	v_dual_mov_b32 v25, v12 :: v_dual_bitop2_b32 v28, v17, v36 bitop3:0x14
	v_mul_u64_e32 v[32:33], v[30:31], v[22:23]
	s_delay_alu instid0(VALU_DEP_2) | instskip(SKIP_2) | instid1(VALU_DEP_1)
	v_mul_u64_e32 v[16:17], v[28:29], v[24:25]
	v_mul_u64_e32 v[22:23], v[28:29], v[22:23]
	v_mul_hi_u32 v24, v30, v24
	v_add_nc_u64_e32 v[24:25], v[24:25], v[32:33]
	s_delay_alu instid0(VALU_DEP_1) | instskip(NEXT) | instid1(VALU_DEP_2)
	v_add_co_u32 v12, vcc_lo, v24, v16
	v_add_co_ci_u32_e32 v12, vcc_lo, v25, v17, vcc_lo
	v_add_co_ci_u32_e32 v23, vcc_lo, 0, v23, vcc_lo
	s_delay_alu instid0(VALU_DEP_1) | instskip(NEXT) | instid1(VALU_DEP_1)
	v_add_nc_u64_e32 v[12:13], v[12:13], v[22:23]
	v_mul_u64_e32 v[16:17], v[18:19], v[12:13]
	s_delay_alu instid0(VALU_DEP_1) | instskip(NEXT) | instid1(VALU_DEP_2)
	v_sub_nc_u32_e32 v21, v28, v17
	v_sub_co_u32 v16, vcc_lo, v30, v16
	s_delay_alu instid0(VALU_DEP_1) | instskip(NEXT) | instid1(VALU_DEP_3)
	v_sub_co_ci_u32_e64 v24, null, v28, v17, vcc_lo
	v_sub_co_ci_u32_e64 v21, null, v21, v19, vcc_lo
	s_delay_alu instid0(VALU_DEP_3) | instskip(NEXT) | instid1(VALU_DEP_1)
	v_sub_co_u32 v22, s1, v16, v18
	v_subrev_co_ci_u32_e64 v21, null, 0, v21, s1
	s_delay_alu instid0(VALU_DEP_2) | instskip(SKIP_1) | instid1(VALU_DEP_3)
	v_cmp_ge_u32_e32 vcc_lo, v22, v18
	v_cndmask_b32_e64 v17, 0, -1, vcc_lo
	v_cmp_ge_u32_e32 vcc_lo, v21, v19
	v_cndmask_b32_e64 v22, 0, -1, vcc_lo
	;; [unrolled: 2-line block ×4, first 2 shown]
	v_cmp_eq_u32_e32 vcc_lo, v21, v19
	v_cndmask_b32_e32 v21, v22, v17, vcc_lo
	v_cmp_eq_u32_e32 vcc_lo, v24, v19
	v_add_nc_u64_e32 v[16:17], 2, v[12:13]
	v_add_nc_u64_e32 v[22:23], 1, v[12:13]
	v_cndmask_b32_e32 v18, v25, v18, vcc_lo
	v_cmp_ne_u32_e32 vcc_lo, 0, v21
	s_delay_alu instid0(VALU_DEP_2) | instskip(NEXT) | instid1(VALU_DEP_4)
	v_cmp_ne_u32_e64 s1, 0, v18
	v_dual_cndmask_b32 v17, v23, v17 :: v_dual_cndmask_b32 v18, v22, v16
	s_delay_alu instid0(VALU_DEP_1) | instskip(NEXT) | instid1(VALU_DEP_2)
	v_dual_cndmask_b32 v13, v13, v17, s1 :: v_dual_bitop2_b32 v16, v36, v20 bitop3:0x14
	v_cndmask_b32_e64 v12, v12, v18, s1
	s_delay_alu instid0(VALU_DEP_2) | instskip(NEXT) | instid1(VALU_DEP_3)
	v_mov_b32_e32 v17, v16
                                        ; implicit-def: $vgpr18_vgpr19
	v_xor_b32_e32 v13, v13, v16
	s_delay_alu instid0(VALU_DEP_3) | instskip(NEXT) | instid1(VALU_DEP_1)
	v_xor_b32_e32 v12, v12, v16
	v_sub_nc_u64_e32 v[20:21], v[12:13], v[16:17]
                                        ; implicit-def: $vgpr16_vgpr17
.LBB67_95:
	s_and_not1_saveexec_b32 s1, s7
	s_cbranch_execz .LBB67_97
; %bb.96:
	v_cvt_f32_u32_e32 v12, v18
	v_dual_sub_nc_u32 v13, 0, v18 :: v_dual_mov_b32 v21, 0
	s_delay_alu instid0(VALU_DEP_2) | instskip(SKIP_1) | instid1(TRANS32_DEP_1)
	v_rcp_iflag_f32_e32 v12, v12
	v_nop
	v_mul_f32_e32 v12, 0x4f7ffffe, v12
	s_delay_alu instid0(VALU_DEP_1) | instskip(NEXT) | instid1(VALU_DEP_1)
	v_cvt_u32_f32_e32 v12, v12
	v_mul_lo_u32 v13, v13, v12
	s_delay_alu instid0(VALU_DEP_1) | instskip(NEXT) | instid1(VALU_DEP_1)
	v_mul_hi_u32 v13, v12, v13
	v_add_nc_u32_e32 v12, v12, v13
	s_delay_alu instid0(VALU_DEP_1) | instskip(NEXT) | instid1(VALU_DEP_1)
	v_mul_hi_u32 v12, v16, v12
	v_mul_lo_u32 v13, v12, v18
	s_delay_alu instid0(VALU_DEP_1) | instskip(NEXT) | instid1(VALU_DEP_1)
	v_dual_sub_nc_u32 v13, v16, v13 :: v_dual_add_nc_u32 v16, 1, v12
	v_sub_nc_u32_e32 v17, v13, v18
	v_cmp_ge_u32_e32 vcc_lo, v13, v18
	s_delay_alu instid0(VALU_DEP_2) | instskip(NEXT) | instid1(VALU_DEP_1)
	v_dual_cndmask_b32 v13, v13, v17 :: v_dual_cndmask_b32 v12, v12, v16
	v_cmp_ge_u32_e32 vcc_lo, v13, v18
	s_delay_alu instid0(VALU_DEP_2) | instskip(NEXT) | instid1(VALU_DEP_1)
	v_add_nc_u32_e32 v16, 1, v12
	v_cndmask_b32_e32 v20, v12, v16, vcc_lo
.LBB67_97:
	s_or_b32 exec_lo, exec_lo, s1
	s_delay_alu instid0(VALU_DEP_1) | instskip(NEXT) | instid1(VALU_DEP_1)
	v_mul_u64_e32 v[12:13], v[20:21], v[14:15]
	v_sub_nc_u64_e32 v[14:15], 0, v[12:13]
	s_delay_alu instid0(VALU_DEP_1)
	v_max_i64 v[12:13], v[12:13], v[14:15]
.LBB67_98:
	s_or_b32 exec_lo, exec_lo, s6
.LBB67_99:
	s_delay_alu instid0(SALU_CYCLE_1) | instskip(SKIP_2) | instid1(VALU_DEP_1)
	s_or_b32 exec_lo, exec_lo, s3
	s_wait_loadcnt 0x0
	v_or_b32_e32 v14, 0x200, v0
	v_cmp_gt_i32_e32 vcc_lo, s12, v14
                                        ; implicit-def: $vgpr14_vgpr15
	s_and_saveexec_b32 s3, vcc_lo
	s_cbranch_execz .LBB67_115
; %bb.100:
	v_sub_nc_u64_e32 v[14:15], 0, v[8:9]
	s_mov_b32 s6, exec_lo
	s_delay_alu instid0(VALU_DEP_1)
	v_max_i64 v[16:17], v[8:9], v[14:15]
	v_cmpx_ne_u64_e32 0, v[10:11]
	s_cbranch_execz .LBB67_108
; %bb.101:
	v_sub_nc_u64_e32 v[14:15], 0, v[10:11]
	s_mov_b32 s7, 0
	s_delay_alu instid0(VALU_DEP_1)
	v_max_i64 v[20:21], v[10:11], v[14:15]
	v_mov_b32_e32 v14, 0
	s_branch .LBB67_103
.LBB67_102:                             ;   in Loop: Header=BB67_103 Depth=1
	s_or_b32 exec_lo, exec_lo, s1
	s_delay_alu instid0(VALU_DEP_1) | instskip(SKIP_2) | instid1(SALU_CYCLE_1)
	v_cmp_eq_u64_e32 vcc_lo, 0, v[20:21]
	v_mov_b64_e32 v[16:17], v[18:19]
	s_or_b32 s7, vcc_lo, s7
	s_and_not1_b32 exec_lo, exec_lo, s7
	s_cbranch_execz .LBB67_107
.LBB67_103:                             ; =>This Inner Loop Header: Depth=1
	s_delay_alu instid0(VALU_DEP_2) | instskip(SKIP_1) | instid1(VALU_DEP_1)
	v_mov_b64_e32 v[18:19], v[20:21]
                                        ; implicit-def: $vgpr20_vgpr21
	s_mov_b32 s1, exec_lo
	v_or_b32_e32 v15, v17, v19
	s_delay_alu instid0(VALU_DEP_1)
	v_cmpx_ne_u64_e32 0, v[14:15]
	s_xor_b32 s8, exec_lo, s1
	s_cbranch_execz .LBB67_105
; %bb.104:                              ;   in Loop: Header=BB67_103 Depth=1
	s_delay_alu instid0(VALU_DEP_3) | instskip(SKIP_3) | instid1(VALU_DEP_3)
	v_cvt_f32_u32_e32 v15, v18
	v_cvt_f32_u32_e32 v20, v19
	v_sub_nc_u64_e32 v[22:23], 0, v[18:19]
	v_dual_mov_b32 v31, v14 :: v_dual_mov_b32 v33, v14
	v_fmac_f32_e32 v15, 0x4f800000, v20
	s_delay_alu instid0(VALU_DEP_1) | instskip(SKIP_1) | instid1(TRANS32_DEP_1)
	v_rcp_f32_e32 v15, v15
	v_nop
	v_mul_f32_e32 v15, 0x5f7ffffc, v15
	s_delay_alu instid0(VALU_DEP_1) | instskip(NEXT) | instid1(VALU_DEP_1)
	v_mul_f32_e32 v20, 0x2f800000, v15
	v_trunc_f32_e32 v21, v20
	s_delay_alu instid0(VALU_DEP_1) | instskip(SKIP_1) | instid1(VALU_DEP_2)
	v_cvt_u32_f32_e32 v25, v21
	v_fmac_f32_e32 v15, 0xcf800000, v21
	v_dual_mov_b32 v21, v14 :: v_dual_mov_b32 v32, v25
	s_delay_alu instid0(VALU_DEP_2) | instskip(NEXT) | instid1(VALU_DEP_1)
	v_cvt_u32_f32_e32 v20, v15
	v_mov_b32_e32 v24, v20
	s_delay_alu instid0(VALU_DEP_1) | instskip(NEXT) | instid1(VALU_DEP_1)
	v_mul_u64_e32 v[28:29], v[22:23], v[24:25]
	v_dual_mov_b32 v30, v29 :: v_dual_mov_b32 v29, v14
	s_delay_alu instid0(VALU_DEP_1) | instskip(NEXT) | instid1(VALU_DEP_2)
	v_mul_u64_e32 v[34:35], v[20:21], v[30:31]
	v_mul_u64_e32 v[36:37], v[32:33], v[28:29]
	;; [unrolled: 1-line block ×3, first 2 shown]
	v_mul_hi_u32 v28, v20, v28
	s_delay_alu instid0(VALU_DEP_1) | instskip(NEXT) | instid1(VALU_DEP_1)
	v_add_nc_u64_e32 v[28:29], v[28:29], v[34:35]
	v_add_co_u32 v15, vcc_lo, v28, v36
	s_delay_alu instid0(VALU_DEP_2) | instskip(SKIP_1) | instid1(VALU_DEP_1)
	v_add_co_ci_u32_e32 v32, vcc_lo, v29, v37, vcc_lo
	v_add_co_ci_u32_e32 v31, vcc_lo, 0, v31, vcc_lo
	v_add_nc_u64_e32 v[28:29], v[32:33], v[30:31]
	s_delay_alu instid0(VALU_DEP_1) | instskip(NEXT) | instid1(VALU_DEP_1)
	v_add_co_u32 v20, vcc_lo, v20, v28
	v_add_co_ci_u32_e64 v24, null, v25, v29, vcc_lo
	v_dual_mov_b32 v29, v14 :: v_dual_mov_b32 v25, v14
	s_delay_alu instid0(VALU_DEP_2) | instskip(NEXT) | instid1(VALU_DEP_1)
	v_mov_b32_e32 v21, v24
	v_mul_u64_e32 v[22:23], v[22:23], v[20:21]
	s_delay_alu instid0(VALU_DEP_1) | instskip(NEXT) | instid1(VALU_DEP_2)
	v_dual_mov_b32 v21, v14 :: v_dual_mov_b32 v28, v23
	v_dual_mov_b32 v32, v22 :: v_dual_mov_b32 v23, v14
	v_mul_hi_u32 v22, v20, v22
	s_delay_alu instid0(VALU_DEP_3) | instskip(NEXT) | instid1(VALU_DEP_3)
	v_mul_u64_e32 v[30:31], v[20:21], v[28:29]
	v_mul_u64_e32 v[32:33], v[24:25], v[32:33]
	;; [unrolled: 1-line block ×3, first 2 shown]
	s_delay_alu instid0(VALU_DEP_3) | instskip(SKIP_1) | instid1(VALU_DEP_2)
	v_add_nc_u64_e32 v[22:23], v[22:23], v[30:31]
	v_mov_b32_e32 v31, v14
	v_add_co_u32 v15, vcc_lo, v22, v32
	s_delay_alu instid0(VALU_DEP_3) | instskip(SKIP_1) | instid1(VALU_DEP_1)
	v_add_co_ci_u32_e32 v30, vcc_lo, v23, v33, vcc_lo
	v_add_co_ci_u32_e32 v29, vcc_lo, 0, v29, vcc_lo
	v_add_nc_u64_e32 v[22:23], v[30:31], v[28:29]
	v_dual_mov_b32 v28, v16 :: v_dual_mov_b32 v29, v14
	s_delay_alu instid0(VALU_DEP_2) | instskip(NEXT) | instid1(VALU_DEP_1)
	v_add_co_u32 v22, vcc_lo, v20, v22
	v_add_co_ci_u32_e64 v20, null, v24, v23, vcc_lo
	v_dual_mov_b32 v24, v17 :: v_dual_mov_b32 v23, v14
	s_delay_alu instid0(VALU_DEP_2) | instskip(NEXT) | instid1(VALU_DEP_2)
	v_mul_u64_e32 v[28:29], v[28:29], v[20:21]
	v_mul_u64_e32 v[20:21], v[24:25], v[20:21]
	s_delay_alu instid0(VALU_DEP_3) | instskip(SKIP_1) | instid1(VALU_DEP_1)
	v_mul_u64_e32 v[30:31], v[24:25], v[22:23]
	v_mul_hi_u32 v22, v16, v22
	v_add_nc_u64_e32 v[22:23], v[22:23], v[28:29]
	s_delay_alu instid0(VALU_DEP_1) | instskip(NEXT) | instid1(VALU_DEP_2)
	v_add_co_u32 v15, vcc_lo, v22, v30
	v_add_co_ci_u32_e32 v24, vcc_lo, v23, v31, vcc_lo
	v_add_co_ci_u32_e32 v21, vcc_lo, 0, v21, vcc_lo
	s_delay_alu instid0(VALU_DEP_1) | instskip(NEXT) | instid1(VALU_DEP_1)
	v_add_nc_u64_e32 v[20:21], v[24:25], v[20:21]
	v_mul_u64_e32 v[20:21], v[18:19], v[20:21]
	s_delay_alu instid0(VALU_DEP_1) | instskip(NEXT) | instid1(VALU_DEP_2)
	v_sub_nc_u32_e32 v15, v17, v21
	v_sub_co_u32 v16, vcc_lo, v16, v20
	s_delay_alu instid0(VALU_DEP_1) | instskip(NEXT) | instid1(VALU_DEP_3)
	v_sub_co_ci_u32_e64 v17, null, v17, v21, vcc_lo
	v_sub_co_ci_u32_e64 v15, null, v15, v19, vcc_lo
	s_delay_alu instid0(VALU_DEP_3) | instskip(SKIP_1) | instid1(VALU_DEP_3)
	v_sub_co_u32 v20, vcc_lo, v16, v18
	v_cmp_ge_u32_e64 s1, v16, v18
	v_subrev_co_ci_u32_e64 v21, null, 0, v15, vcc_lo
	v_sub_co_ci_u32_e64 v15, null, v15, v19, vcc_lo
	s_delay_alu instid0(VALU_DEP_3) | instskip(SKIP_2) | instid1(VALU_DEP_2)
	v_cndmask_b32_e64 v22, 0, -1, s1
	v_cmp_ge_u32_e64 s1, v20, v18
	v_cmp_ge_u32_e32 vcc_lo, v17, v19
	v_cndmask_b32_e64 v23, 0, -1, s1
	v_cmp_ge_u32_e64 s1, v21, v19
	v_cndmask_b32_e64 v25, 0, -1, vcc_lo
	v_cmp_eq_u32_e32 vcc_lo, v21, v19
	s_delay_alu instid0(VALU_DEP_3) | instskip(SKIP_1) | instid1(VALU_DEP_1)
	v_cndmask_b32_e64 v24, 0, -1, s1
	v_cmp_eq_u32_e64 s1, v17, v19
	v_dual_cndmask_b32 v23, v24, v23, vcc_lo :: v_dual_cndmask_b32 v22, v25, v22, s1
	v_sub_co_u32 v24, vcc_lo, v20, v18
	s_delay_alu instid0(VALU_DEP_1) | instskip(NEXT) | instid1(VALU_DEP_3)
	v_subrev_co_ci_u32_e64 v15, null, 0, v15, vcc_lo
	v_cmp_ne_u32_e32 vcc_lo, 0, v23
	s_delay_alu instid0(VALU_DEP_2) | instskip(SKIP_1) | instid1(VALU_DEP_2)
	v_dual_cndmask_b32 v15, v21, v15 :: v_dual_cndmask_b32 v20, v20, v24
	v_cmp_ne_u32_e32 vcc_lo, 0, v22
	v_dual_cndmask_b32 v21, v17, v15 :: v_dual_cndmask_b32 v20, v16, v20
                                        ; implicit-def: $vgpr16_vgpr17
.LBB67_105:                             ;   in Loop: Header=BB67_103 Depth=1
	s_and_not1_saveexec_b32 s1, s8
	s_cbranch_execz .LBB67_102
; %bb.106:                              ;   in Loop: Header=BB67_103 Depth=1
	v_cvt_f32_u32_e32 v15, v18
	v_dual_sub_nc_u32 v17, 0, v18 :: v_dual_mov_b32 v21, v14
	s_delay_alu instid0(VALU_DEP_2) | instskip(SKIP_1) | instid1(TRANS32_DEP_1)
	v_rcp_iflag_f32_e32 v15, v15
	v_nop
	v_mul_f32_e32 v15, 0x4f7ffffe, v15
	s_delay_alu instid0(VALU_DEP_1) | instskip(NEXT) | instid1(VALU_DEP_1)
	v_cvt_u32_f32_e32 v15, v15
	v_mul_lo_u32 v17, v17, v15
	s_delay_alu instid0(VALU_DEP_1) | instskip(NEXT) | instid1(VALU_DEP_1)
	v_mul_hi_u32 v17, v15, v17
	v_add_nc_u32_e32 v15, v15, v17
	s_delay_alu instid0(VALU_DEP_1) | instskip(NEXT) | instid1(VALU_DEP_1)
	v_mul_hi_u32 v15, v16, v15
	v_mul_lo_u32 v15, v15, v18
	s_delay_alu instid0(VALU_DEP_1) | instskip(NEXT) | instid1(VALU_DEP_1)
	v_sub_nc_u32_e32 v15, v16, v15
	v_sub_nc_u32_e32 v16, v15, v18
	v_cmp_ge_u32_e32 vcc_lo, v15, v18
	s_delay_alu instid0(VALU_DEP_2) | instskip(NEXT) | instid1(VALU_DEP_1)
	v_cndmask_b32_e32 v15, v15, v16, vcc_lo
	v_sub_nc_u32_e32 v16, v15, v18
	v_cmp_ge_u32_e32 vcc_lo, v15, v18
	s_delay_alu instid0(VALU_DEP_2)
	v_cndmask_b32_e32 v20, v15, v16, vcc_lo
	s_branch .LBB67_102
.LBB67_107:
	s_or_b32 exec_lo, exec_lo, s7
	v_mov_b64_e32 v[16:17], v[18:19]
.LBB67_108:
	s_or_b32 exec_lo, exec_lo, s6
	v_mov_b64_e32 v[14:15], 0
	s_mov_b32 s6, exec_lo
	s_delay_alu instid0(VALU_DEP_2)
	v_cmpx_ne_u64_e32 0, v[16:17]
	s_cbranch_execz .LBB67_114
; %bb.109:
	v_dual_mov_b32 v14, 0 :: v_dual_bitop2_b32 v15, v11, v17 bitop3:0x54
                                        ; implicit-def: $vgpr18_vgpr19
	s_mov_b32 s1, exec_lo
	s_delay_alu instid0(VALU_DEP_1)
	v_cmpx_ne_u64_e32 0, v[14:15]
	s_xor_b32 s7, exec_lo, s1
	s_cbranch_execz .LBB67_111
; %bb.110:
	v_dual_mov_b32 v21, v14 :: v_dual_ashrrev_i32 v18, 31, v17
	v_dual_mov_b32 v31, v14 :: v_dual_mov_b32 v33, v14
	s_delay_alu instid0(VALU_DEP_2) | instskip(NEXT) | instid1(VALU_DEP_1)
	v_mov_b32_e32 v19, v18
	v_add_nc_u64_e32 v[16:17], v[16:17], v[18:19]
	s_delay_alu instid0(VALU_DEP_1) | instskip(NEXT) | instid1(VALU_DEP_2)
	v_xor_b32_e32 v16, v16, v18
	v_xor_b32_e32 v17, v17, v18
	s_delay_alu instid0(VALU_DEP_2) | instskip(NEXT) | instid1(VALU_DEP_2)
	v_cvt_f32_u32_e32 v15, v16
	v_cvt_f32_u32_e32 v19, v17
	s_delay_alu instid0(VALU_DEP_1) | instskip(NEXT) | instid1(VALU_DEP_1)
	v_fmamk_f32 v15, v19, 0x4f800000, v15
	v_rcp_f32_e32 v15, v15
	v_nop
	s_delay_alu instid0(TRANS32_DEP_1) | instskip(NEXT) | instid1(VALU_DEP_1)
	v_mul_f32_e32 v15, 0x5f7ffffc, v15
	v_mul_f32_e32 v19, 0x2f800000, v15
	s_delay_alu instid0(VALU_DEP_1) | instskip(NEXT) | instid1(VALU_DEP_1)
	v_trunc_f32_e32 v19, v19
	v_fmamk_f32 v15, v19, 0xcf800000, v15
	v_cvt_u32_f32_e32 v25, v19
	s_delay_alu instid0(VALU_DEP_2) | instskip(NEXT) | instid1(VALU_DEP_1)
	v_cvt_u32_f32_e32 v20, v15
	v_dual_mov_b32 v32, v25 :: v_dual_mov_b32 v24, v20
	v_sub_nc_u64_e32 v[22:23], 0, v[16:17]
	s_delay_alu instid0(VALU_DEP_1) | instskip(NEXT) | instid1(VALU_DEP_1)
	v_mul_u64_e32 v[28:29], v[22:23], v[24:25]
	v_dual_mov_b32 v30, v29 :: v_dual_mov_b32 v29, v14
	s_delay_alu instid0(VALU_DEP_1) | instskip(NEXT) | instid1(VALU_DEP_2)
	v_mul_u64_e32 v[34:35], v[20:21], v[30:31]
	v_mul_u64_e32 v[36:37], v[32:33], v[28:29]
	;; [unrolled: 1-line block ×3, first 2 shown]
	v_mul_hi_u32 v28, v20, v28
	s_delay_alu instid0(VALU_DEP_1) | instskip(SKIP_1) | instid1(VALU_DEP_2)
	v_add_nc_u64_e32 v[28:29], v[28:29], v[34:35]
	v_ashrrev_i32_e32 v34, 31, v11
	v_add_co_u32 v15, vcc_lo, v28, v36
	s_delay_alu instid0(VALU_DEP_3) | instskip(SKIP_1) | instid1(VALU_DEP_1)
	v_add_co_ci_u32_e32 v32, vcc_lo, v29, v37, vcc_lo
	v_add_co_ci_u32_e32 v31, vcc_lo, 0, v31, vcc_lo
	v_add_nc_u64_e32 v[28:29], v[32:33], v[30:31]
	s_delay_alu instid0(VALU_DEP_1) | instskip(NEXT) | instid1(VALU_DEP_1)
	v_add_co_u32 v20, vcc_lo, v20, v28
	v_add_co_ci_u32_e64 v24, null, v25, v29, vcc_lo
	v_dual_mov_b32 v25, v14 :: v_dual_mov_b32 v29, v14
	s_delay_alu instid0(VALU_DEP_2) | instskip(NEXT) | instid1(VALU_DEP_1)
	v_mov_b32_e32 v21, v24
	v_mul_u64_e32 v[22:23], v[22:23], v[20:21]
	s_delay_alu instid0(VALU_DEP_1) | instskip(NEXT) | instid1(VALU_DEP_2)
	v_dual_mov_b32 v21, v14 :: v_dual_mov_b32 v28, v23
	v_dual_mov_b32 v32, v22 :: v_dual_mov_b32 v23, v14
	v_mul_hi_u32 v22, v20, v22
	s_delay_alu instid0(VALU_DEP_3) | instskip(NEXT) | instid1(VALU_DEP_3)
	v_mul_u64_e32 v[30:31], v[20:21], v[28:29]
	v_mul_u64_e32 v[32:33], v[24:25], v[32:33]
	v_mul_u64_e32 v[28:29], v[24:25], v[28:29]
	s_delay_alu instid0(VALU_DEP_3) | instskip(SKIP_1) | instid1(VALU_DEP_2)
	v_add_nc_u64_e32 v[22:23], v[22:23], v[30:31]
	v_dual_mov_b32 v31, v14 :: v_dual_mov_b32 v35, v34
	v_add_co_u32 v15, vcc_lo, v22, v32
	s_delay_alu instid0(VALU_DEP_3) | instskip(SKIP_2) | instid1(VALU_DEP_2)
	v_add_co_ci_u32_e32 v30, vcc_lo, v23, v33, vcc_lo
	v_add_co_ci_u32_e32 v29, vcc_lo, 0, v29, vcc_lo
	v_mov_b32_e32 v15, v14
	v_add_nc_u64_e32 v[22:23], v[30:31], v[28:29]
	v_mov_b32_e32 v29, v14
	v_add_nc_u64_e32 v[10:11], v[10:11], v[34:35]
	s_delay_alu instid0(VALU_DEP_3) | instskip(NEXT) | instid1(VALU_DEP_1)
	v_add_co_u32 v22, vcc_lo, v20, v22
	v_add_co_ci_u32_e64 v20, null, v24, v23, vcc_lo
	s_delay_alu instid0(VALU_DEP_3) | instskip(NEXT) | instid1(VALU_DEP_4)
	v_dual_mov_b32 v23, v14 :: v_dual_bitop2_b32 v24, v11, v34 bitop3:0x14
	v_xor_b32_e32 v28, v10, v34
	s_delay_alu instid0(VALU_DEP_2) | instskip(NEXT) | instid1(VALU_DEP_2)
	v_mul_u64_e32 v[10:11], v[24:25], v[22:23]
	v_mul_u64_e32 v[30:31], v[28:29], v[20:21]
	;; [unrolled: 1-line block ×3, first 2 shown]
	v_mul_hi_u32 v22, v28, v22
	s_delay_alu instid0(VALU_DEP_1) | instskip(NEXT) | instid1(VALU_DEP_1)
	v_add_nc_u64_e32 v[22:23], v[22:23], v[30:31]
	v_add_co_u32 v10, vcc_lo, v22, v10
	s_delay_alu instid0(VALU_DEP_2) | instskip(SKIP_1) | instid1(VALU_DEP_1)
	v_add_co_ci_u32_e32 v14, vcc_lo, v23, v11, vcc_lo
	v_add_co_ci_u32_e32 v21, vcc_lo, 0, v21, vcc_lo
	v_add_nc_u64_e32 v[10:11], v[14:15], v[20:21]
	s_delay_alu instid0(VALU_DEP_1) | instskip(NEXT) | instid1(VALU_DEP_1)
	v_mul_u64_e32 v[14:15], v[16:17], v[10:11]
	v_sub_nc_u32_e32 v19, v24, v15
	s_delay_alu instid0(VALU_DEP_2) | instskip(NEXT) | instid1(VALU_DEP_1)
	v_sub_co_u32 v14, vcc_lo, v28, v14
	v_sub_co_ci_u32_e64 v22, null, v24, v15, vcc_lo
	s_delay_alu instid0(VALU_DEP_3) | instskip(NEXT) | instid1(VALU_DEP_3)
	v_sub_co_ci_u32_e64 v19, null, v19, v17, vcc_lo
	v_sub_co_u32 v20, s1, v14, v16
	s_delay_alu instid0(VALU_DEP_1) | instskip(NEXT) | instid1(VALU_DEP_2)
	v_subrev_co_ci_u32_e64 v19, null, 0, v19, s1
	v_cmp_ge_u32_e32 vcc_lo, v20, v16
	v_cndmask_b32_e64 v15, 0, -1, vcc_lo
	s_delay_alu instid0(VALU_DEP_3)
	v_cmp_ge_u32_e32 vcc_lo, v19, v17
	v_cndmask_b32_e64 v20, 0, -1, vcc_lo
	v_cmp_ge_u32_e32 vcc_lo, v14, v16
	v_cndmask_b32_e64 v16, 0, -1, vcc_lo
	;; [unrolled: 2-line block ×3, first 2 shown]
	v_cmp_eq_u32_e32 vcc_lo, v19, v17
	v_cndmask_b32_e32 v19, v20, v15, vcc_lo
	v_cmp_eq_u32_e32 vcc_lo, v22, v17
	v_add_nc_u64_e32 v[14:15], 2, v[10:11]
	v_add_nc_u64_e32 v[20:21], 1, v[10:11]
	v_cndmask_b32_e32 v16, v23, v16, vcc_lo
	v_cmp_ne_u32_e32 vcc_lo, 0, v19
	s_delay_alu instid0(VALU_DEP_2) | instskip(NEXT) | instid1(VALU_DEP_4)
	v_cmp_ne_u32_e64 s1, 0, v16
	v_dual_cndmask_b32 v15, v21, v15 :: v_dual_cndmask_b32 v16, v20, v14
	s_delay_alu instid0(VALU_DEP_1) | instskip(NEXT) | instid1(VALU_DEP_2)
	v_dual_cndmask_b32 v11, v11, v15, s1 :: v_dual_bitop2_b32 v14, v34, v18 bitop3:0x14
	v_cndmask_b32_e64 v10, v10, v16, s1
	s_delay_alu instid0(VALU_DEP_2) | instskip(NEXT) | instid1(VALU_DEP_3)
	v_mov_b32_e32 v15, v14
                                        ; implicit-def: $vgpr16_vgpr17
	v_xor_b32_e32 v11, v11, v14
	s_delay_alu instid0(VALU_DEP_3) | instskip(NEXT) | instid1(VALU_DEP_1)
	v_xor_b32_e32 v10, v10, v14
	v_sub_nc_u64_e32 v[18:19], v[10:11], v[14:15]
                                        ; implicit-def: $vgpr10_vgpr11
.LBB67_111:
	s_and_not1_saveexec_b32 s1, s7
	s_cbranch_execz .LBB67_113
; %bb.112:
	v_cvt_f32_u32_e32 v11, v16
	v_dual_mov_b32 v19, 0 :: v_dual_sub_nc_u32 v14, 0, v16
	s_delay_alu instid0(VALU_DEP_2) | instskip(SKIP_1) | instid1(TRANS32_DEP_1)
	v_rcp_iflag_f32_e32 v11, v11
	v_nop
	v_mul_f32_e32 v11, 0x4f7ffffe, v11
	s_delay_alu instid0(VALU_DEP_1) | instskip(NEXT) | instid1(VALU_DEP_1)
	v_cvt_u32_f32_e32 v11, v11
	v_mul_lo_u32 v14, v14, v11
	s_delay_alu instid0(VALU_DEP_1) | instskip(NEXT) | instid1(VALU_DEP_1)
	v_mul_hi_u32 v14, v11, v14
	v_add_nc_u32_e32 v11, v11, v14
	s_delay_alu instid0(VALU_DEP_1) | instskip(NEXT) | instid1(VALU_DEP_1)
	v_mul_hi_u32 v11, v10, v11
	v_mul_lo_u32 v14, v11, v16
	s_delay_alu instid0(VALU_DEP_1) | instskip(NEXT) | instid1(VALU_DEP_1)
	v_dual_sub_nc_u32 v10, v10, v14 :: v_dual_add_nc_u32 v14, 1, v11
	v_sub_nc_u32_e32 v15, v10, v16
	v_cmp_ge_u32_e32 vcc_lo, v10, v16
	s_delay_alu instid0(VALU_DEP_2) | instskip(NEXT) | instid1(VALU_DEP_1)
	v_dual_cndmask_b32 v10, v10, v15 :: v_dual_cndmask_b32 v11, v11, v14
	v_cmp_ge_u32_e32 vcc_lo, v10, v16
	s_delay_alu instid0(VALU_DEP_2) | instskip(NEXT) | instid1(VALU_DEP_1)
	v_add_nc_u32_e32 v14, 1, v11
	v_cndmask_b32_e32 v18, v11, v14, vcc_lo
.LBB67_113:
	s_or_b32 exec_lo, exec_lo, s1
	s_delay_alu instid0(VALU_DEP_1) | instskip(NEXT) | instid1(VALU_DEP_1)
	v_mul_u64_e32 v[8:9], v[18:19], v[8:9]
	v_sub_nc_u64_e32 v[10:11], 0, v[8:9]
	s_delay_alu instid0(VALU_DEP_1)
	v_max_i64 v[14:15], v[8:9], v[10:11]
.LBB67_114:
	s_or_b32 exec_lo, exec_lo, s6
.LBB67_115:
	s_delay_alu instid0(SALU_CYCLE_1) | instskip(SKIP_2) | instid1(VALU_DEP_1)
	s_or_b32 exec_lo, exec_lo, s3
	v_or_b32_e32 v8, 0x300, v0
	s_mov_b32 s3, exec_lo
                                        ; implicit-def: $vgpr10_vgpr11
	v_cmpx_gt_i32_e64 s12, v8
	s_cbranch_execz .LBB67_123
; %bb.116:
	v_sub_nc_u64_e32 v[8:9], 0, v[2:3]
	s_mov_b32 s6, exec_lo
	s_delay_alu instid0(VALU_DEP_1)
	v_max_i64 v[8:9], v[2:3], v[8:9]
	v_cmpx_ne_u64_e32 0, v[4:5]
	s_cbranch_execz .LBB67_128
; %bb.117:
	v_sub_nc_u64_e32 v[10:11], 0, v[4:5]
	s_mov_b32 s7, 0
	s_delay_alu instid0(VALU_DEP_1)
	v_max_i64 v[18:19], v[4:5], v[10:11]
	v_mov_b32_e32 v10, 0
	s_branch .LBB67_119
.LBB67_118:                             ;   in Loop: Header=BB67_119 Depth=1
	s_or_b32 exec_lo, exec_lo, s1
	s_delay_alu instid0(VALU_DEP_1) | instskip(SKIP_2) | instid1(SALU_CYCLE_1)
	v_cmp_eq_u64_e32 vcc_lo, 0, v[18:19]
	v_mov_b64_e32 v[8:9], v[16:17]
	s_or_b32 s7, vcc_lo, s7
	s_and_not1_b32 exec_lo, exec_lo, s7
	s_cbranch_execz .LBB67_127
.LBB67_119:                             ; =>This Inner Loop Header: Depth=1
	s_delay_alu instid0(VALU_DEP_2) | instskip(SKIP_1) | instid1(VALU_DEP_1)
	v_mov_b64_e32 v[16:17], v[18:19]
                                        ; implicit-def: $vgpr18_vgpr19
	s_mov_b32 s1, exec_lo
	v_or_b32_e32 v11, v9, v17
	s_delay_alu instid0(VALU_DEP_1)
	v_cmpx_ne_u64_e32 0, v[10:11]
	s_xor_b32 s8, exec_lo, s1
	s_cbranch_execz .LBB67_121
; %bb.120:                              ;   in Loop: Header=BB67_119 Depth=1
	s_delay_alu instid0(VALU_DEP_3) | instskip(SKIP_3) | instid1(VALU_DEP_3)
	v_cvt_f32_u32_e32 v11, v16
	v_cvt_f32_u32_e32 v18, v17
	v_sub_nc_u64_e32 v[20:21], 0, v[16:17]
	v_dual_mov_b32 v29, v10 :: v_dual_mov_b32 v31, v10
	v_fmac_f32_e32 v11, 0x4f800000, v18
	s_delay_alu instid0(VALU_DEP_1) | instskip(SKIP_1) | instid1(TRANS32_DEP_1)
	v_rcp_f32_e32 v11, v11
	v_nop
	v_mul_f32_e32 v11, 0x5f7ffffc, v11
	s_delay_alu instid0(VALU_DEP_1) | instskip(NEXT) | instid1(VALU_DEP_1)
	v_mul_f32_e32 v18, 0x2f800000, v11
	v_trunc_f32_e32 v19, v18
	s_delay_alu instid0(VALU_DEP_1) | instskip(SKIP_1) | instid1(VALU_DEP_2)
	v_cvt_u32_f32_e32 v23, v19
	v_fmac_f32_e32 v11, 0xcf800000, v19
	v_dual_mov_b32 v19, v10 :: v_dual_mov_b32 v30, v23
	s_delay_alu instid0(VALU_DEP_2) | instskip(NEXT) | instid1(VALU_DEP_1)
	v_cvt_u32_f32_e32 v18, v11
	v_mov_b32_e32 v22, v18
	s_delay_alu instid0(VALU_DEP_1) | instskip(NEXT) | instid1(VALU_DEP_1)
	v_mul_u64_e32 v[24:25], v[20:21], v[22:23]
	v_dual_mov_b32 v28, v25 :: v_dual_mov_b32 v25, v10
	s_delay_alu instid0(VALU_DEP_1) | instskip(NEXT) | instid1(VALU_DEP_2)
	v_mul_u64_e32 v[32:33], v[18:19], v[28:29]
	v_mul_u64_e32 v[34:35], v[30:31], v[24:25]
	;; [unrolled: 1-line block ×3, first 2 shown]
	v_mul_hi_u32 v24, v18, v24
	s_delay_alu instid0(VALU_DEP_1) | instskip(NEXT) | instid1(VALU_DEP_1)
	v_add_nc_u64_e32 v[24:25], v[24:25], v[32:33]
	v_add_co_u32 v11, vcc_lo, v24, v34
	s_delay_alu instid0(VALU_DEP_2) | instskip(SKIP_1) | instid1(VALU_DEP_1)
	v_add_co_ci_u32_e32 v30, vcc_lo, v25, v35, vcc_lo
	v_add_co_ci_u32_e32 v29, vcc_lo, 0, v29, vcc_lo
	v_add_nc_u64_e32 v[24:25], v[30:31], v[28:29]
	s_delay_alu instid0(VALU_DEP_1) | instskip(NEXT) | instid1(VALU_DEP_1)
	v_add_co_u32 v18, vcc_lo, v18, v24
	v_add_co_ci_u32_e64 v22, null, v23, v25, vcc_lo
	v_dual_mov_b32 v25, v10 :: v_dual_mov_b32 v23, v10
	s_delay_alu instid0(VALU_DEP_2) | instskip(NEXT) | instid1(VALU_DEP_1)
	v_mov_b32_e32 v19, v22
	v_mul_u64_e32 v[20:21], v[20:21], v[18:19]
	s_delay_alu instid0(VALU_DEP_1) | instskip(NEXT) | instid1(VALU_DEP_2)
	v_dual_mov_b32 v19, v10 :: v_dual_mov_b32 v24, v21
	v_dual_mov_b32 v30, v20 :: v_dual_mov_b32 v21, v10
	v_mul_hi_u32 v20, v18, v20
	s_delay_alu instid0(VALU_DEP_3) | instskip(NEXT) | instid1(VALU_DEP_3)
	v_mul_u64_e32 v[28:29], v[18:19], v[24:25]
	v_mul_u64_e32 v[30:31], v[22:23], v[30:31]
	;; [unrolled: 1-line block ×3, first 2 shown]
	s_delay_alu instid0(VALU_DEP_3) | instskip(SKIP_1) | instid1(VALU_DEP_2)
	v_add_nc_u64_e32 v[20:21], v[20:21], v[28:29]
	v_mov_b32_e32 v29, v10
	v_add_co_u32 v11, vcc_lo, v20, v30
	s_delay_alu instid0(VALU_DEP_3) | instskip(SKIP_1) | instid1(VALU_DEP_1)
	v_add_co_ci_u32_e32 v28, vcc_lo, v21, v31, vcc_lo
	v_add_co_ci_u32_e32 v25, vcc_lo, 0, v25, vcc_lo
	v_add_nc_u64_e32 v[20:21], v[28:29], v[24:25]
	v_dual_mov_b32 v24, v8 :: v_dual_mov_b32 v25, v10
	s_delay_alu instid0(VALU_DEP_2) | instskip(NEXT) | instid1(VALU_DEP_1)
	v_add_co_u32 v20, vcc_lo, v18, v20
	v_add_co_ci_u32_e64 v18, null, v22, v21, vcc_lo
	v_dual_mov_b32 v22, v9 :: v_dual_mov_b32 v21, v10
	s_delay_alu instid0(VALU_DEP_2) | instskip(NEXT) | instid1(VALU_DEP_2)
	v_mul_u64_e32 v[24:25], v[24:25], v[18:19]
	v_mul_u64_e32 v[18:19], v[22:23], v[18:19]
	s_delay_alu instid0(VALU_DEP_3) | instskip(SKIP_1) | instid1(VALU_DEP_1)
	v_mul_u64_e32 v[28:29], v[22:23], v[20:21]
	v_mul_hi_u32 v20, v8, v20
	v_add_nc_u64_e32 v[20:21], v[20:21], v[24:25]
	s_delay_alu instid0(VALU_DEP_1) | instskip(NEXT) | instid1(VALU_DEP_2)
	v_add_co_u32 v11, vcc_lo, v20, v28
	v_add_co_ci_u32_e32 v22, vcc_lo, v21, v29, vcc_lo
	v_add_co_ci_u32_e32 v19, vcc_lo, 0, v19, vcc_lo
	s_delay_alu instid0(VALU_DEP_1) | instskip(NEXT) | instid1(VALU_DEP_1)
	v_add_nc_u64_e32 v[18:19], v[22:23], v[18:19]
	v_mul_u64_e32 v[18:19], v[16:17], v[18:19]
	s_delay_alu instid0(VALU_DEP_1) | instskip(NEXT) | instid1(VALU_DEP_2)
	v_sub_nc_u32_e32 v11, v9, v19
	v_sub_co_u32 v8, vcc_lo, v8, v18
	s_delay_alu instid0(VALU_DEP_1) | instskip(NEXT) | instid1(VALU_DEP_3)
	v_sub_co_ci_u32_e64 v9, null, v9, v19, vcc_lo
	v_sub_co_ci_u32_e64 v11, null, v11, v17, vcc_lo
	s_delay_alu instid0(VALU_DEP_3) | instskip(SKIP_1) | instid1(VALU_DEP_3)
	v_sub_co_u32 v18, vcc_lo, v8, v16
	v_cmp_ge_u32_e64 s1, v8, v16
	v_subrev_co_ci_u32_e64 v19, null, 0, v11, vcc_lo
	v_sub_co_ci_u32_e64 v11, null, v11, v17, vcc_lo
	s_delay_alu instid0(VALU_DEP_3) | instskip(SKIP_2) | instid1(VALU_DEP_2)
	v_cndmask_b32_e64 v20, 0, -1, s1
	v_cmp_ge_u32_e64 s1, v18, v16
	v_cmp_ge_u32_e32 vcc_lo, v9, v17
	v_cndmask_b32_e64 v21, 0, -1, s1
	v_cmp_ge_u32_e64 s1, v19, v17
	v_cndmask_b32_e64 v23, 0, -1, vcc_lo
	v_cmp_eq_u32_e32 vcc_lo, v19, v17
	s_delay_alu instid0(VALU_DEP_3) | instskip(SKIP_1) | instid1(VALU_DEP_1)
	v_cndmask_b32_e64 v22, 0, -1, s1
	v_cmp_eq_u32_e64 s1, v9, v17
	v_dual_cndmask_b32 v21, v22, v21, vcc_lo :: v_dual_cndmask_b32 v20, v23, v20, s1
	v_sub_co_u32 v22, vcc_lo, v18, v16
	s_delay_alu instid0(VALU_DEP_1) | instskip(NEXT) | instid1(VALU_DEP_3)
	v_subrev_co_ci_u32_e64 v11, null, 0, v11, vcc_lo
	v_cmp_ne_u32_e32 vcc_lo, 0, v21
	s_delay_alu instid0(VALU_DEP_2) | instskip(SKIP_1) | instid1(VALU_DEP_2)
	v_dual_cndmask_b32 v11, v19, v11 :: v_dual_cndmask_b32 v18, v18, v22
	v_cmp_ne_u32_e32 vcc_lo, 0, v20
	v_dual_cndmask_b32 v19, v9, v11 :: v_dual_cndmask_b32 v18, v8, v18
                                        ; implicit-def: $vgpr8_vgpr9
.LBB67_121:                             ;   in Loop: Header=BB67_119 Depth=1
	s_and_not1_saveexec_b32 s1, s8
	s_cbranch_execz .LBB67_118
; %bb.122:                              ;   in Loop: Header=BB67_119 Depth=1
	v_cvt_f32_u32_e32 v9, v16
	v_dual_sub_nc_u32 v11, 0, v16 :: v_dual_mov_b32 v19, v10
	s_delay_alu instid0(VALU_DEP_2) | instskip(SKIP_1) | instid1(TRANS32_DEP_1)
	v_rcp_iflag_f32_e32 v9, v9
	v_nop
	v_mul_f32_e32 v9, 0x4f7ffffe, v9
	s_delay_alu instid0(VALU_DEP_1) | instskip(NEXT) | instid1(VALU_DEP_1)
	v_cvt_u32_f32_e32 v9, v9
	v_mul_lo_u32 v11, v11, v9
	s_delay_alu instid0(VALU_DEP_1) | instskip(NEXT) | instid1(VALU_DEP_1)
	v_mul_hi_u32 v11, v9, v11
	v_add_nc_u32_e32 v9, v9, v11
	s_delay_alu instid0(VALU_DEP_1) | instskip(NEXT) | instid1(VALU_DEP_1)
	v_mul_hi_u32 v9, v8, v9
	v_mul_lo_u32 v9, v9, v16
	s_delay_alu instid0(VALU_DEP_1) | instskip(NEXT) | instid1(VALU_DEP_1)
	v_sub_nc_u32_e32 v8, v8, v9
	v_sub_nc_u32_e32 v9, v8, v16
	v_cmp_ge_u32_e32 vcc_lo, v8, v16
	s_delay_alu instid0(VALU_DEP_2) | instskip(NEXT) | instid1(VALU_DEP_1)
	v_cndmask_b32_e32 v8, v8, v9, vcc_lo
	v_sub_nc_u32_e32 v9, v8, v16
	v_cmp_ge_u32_e32 vcc_lo, v8, v16
	s_delay_alu instid0(VALU_DEP_2)
	v_cndmask_b32_e32 v18, v8, v9, vcc_lo
	s_branch .LBB67_118
.LBB67_123:
	s_or_b32 exec_lo, exec_lo, s3
	s_and_saveexec_b32 s1, s0
	s_delay_alu instid0(SALU_CYCLE_1)
	s_xor_b32 s0, exec_lo, s1
	s_cbranch_execz .LBB67_135
.LBB67_124:
	v_mov_b32_e32 v0, v26
	global_store_b64 v1, v[6:7], s[4:5] scale_offset
	s_wait_xcnt 0x0
	s_or_b32 exec_lo, exec_lo, s0
	s_delay_alu instid0(SALU_CYCLE_1)
	s_mov_b32 s0, exec_lo
	v_cmpx_gt_i32_e64 s12, v0
	s_cbranch_execnz .LBB67_136
.LBB67_125:
	s_or_b32 exec_lo, exec_lo, s0
	s_delay_alu instid0(SALU_CYCLE_1)
	s_mov_b32 s0, exec_lo
	v_cmpx_gt_i32_e64 s12, v0
	s_cbranch_execz .LBB67_137
.LBB67_126:
	v_add_nc_u32_e32 v1, s2, v0
	v_add_nc_u32_e32 v0, 0x100, v0
	global_store_b64 v1, v[14:15], s[4:5] scale_offset
	s_wait_xcnt 0x0
	s_or_b32 exec_lo, exec_lo, s0
	s_delay_alu instid0(SALU_CYCLE_1)
	s_mov_b32 s0, exec_lo
	v_cmpx_gt_i32_e64 s12, v0
	s_cbranch_execnz .LBB67_138
	s_branch .LBB67_139
.LBB67_127:
	s_or_b32 exec_lo, exec_lo, s7
	v_mov_b64_e32 v[8:9], v[16:17]
.LBB67_128:
	s_or_b32 exec_lo, exec_lo, s6
	v_mov_b64_e32 v[10:11], 0
	s_mov_b32 s6, exec_lo
	s_delay_alu instid0(VALU_DEP_2)
	v_cmpx_ne_u64_e32 0, v[8:9]
	s_cbranch_execz .LBB67_134
; %bb.129:
	v_dual_mov_b32 v10, 0 :: v_dual_bitop2_b32 v11, v5, v9 bitop3:0x54
                                        ; implicit-def: $vgpr16_vgpr17
	s_mov_b32 s1, exec_lo
	s_delay_alu instid0(VALU_DEP_1)
	v_cmpx_ne_u64_e32 0, v[10:11]
	s_xor_b32 s7, exec_lo, s1
	s_cbranch_execz .LBB67_131
; %bb.130:
	v_dual_mov_b32 v19, v10 :: v_dual_ashrrev_i32 v16, 31, v9
	v_dual_mov_b32 v29, v10 :: v_dual_mov_b32 v31, v10
	s_delay_alu instid0(VALU_DEP_2) | instskip(NEXT) | instid1(VALU_DEP_1)
	v_mov_b32_e32 v17, v16
	v_add_nc_u64_e32 v[8:9], v[8:9], v[16:17]
	s_delay_alu instid0(VALU_DEP_1) | instskip(NEXT) | instid1(VALU_DEP_2)
	v_xor_b32_e32 v8, v8, v16
	v_xor_b32_e32 v9, v9, v16
	s_delay_alu instid0(VALU_DEP_2) | instskip(NEXT) | instid1(VALU_DEP_2)
	v_cvt_f32_u32_e32 v11, v8
	v_cvt_f32_u32_e32 v17, v9
	s_delay_alu instid0(VALU_DEP_1) | instskip(NEXT) | instid1(VALU_DEP_1)
	v_fmamk_f32 v11, v17, 0x4f800000, v11
	v_rcp_f32_e32 v11, v11
	v_nop
	s_delay_alu instid0(TRANS32_DEP_1) | instskip(NEXT) | instid1(VALU_DEP_1)
	v_mul_f32_e32 v11, 0x5f7ffffc, v11
	v_mul_f32_e32 v17, 0x2f800000, v11
	s_delay_alu instid0(VALU_DEP_1) | instskip(NEXT) | instid1(VALU_DEP_1)
	v_trunc_f32_e32 v17, v17
	v_fmamk_f32 v11, v17, 0xcf800000, v11
	v_cvt_u32_f32_e32 v23, v17
	s_delay_alu instid0(VALU_DEP_2) | instskip(NEXT) | instid1(VALU_DEP_1)
	v_cvt_u32_f32_e32 v18, v11
	v_dual_mov_b32 v30, v23 :: v_dual_mov_b32 v22, v18
	v_sub_nc_u64_e32 v[20:21], 0, v[8:9]
	s_delay_alu instid0(VALU_DEP_1) | instskip(NEXT) | instid1(VALU_DEP_1)
	v_mul_u64_e32 v[24:25], v[20:21], v[22:23]
	v_dual_mov_b32 v28, v25 :: v_dual_mov_b32 v25, v10
	s_delay_alu instid0(VALU_DEP_1) | instskip(NEXT) | instid1(VALU_DEP_2)
	v_mul_u64_e32 v[32:33], v[18:19], v[28:29]
	v_mul_u64_e32 v[34:35], v[30:31], v[24:25]
	v_mul_u64_e32 v[28:29], v[30:31], v[28:29]
	v_mul_hi_u32 v24, v18, v24
	s_delay_alu instid0(VALU_DEP_1) | instskip(SKIP_1) | instid1(VALU_DEP_2)
	v_add_nc_u64_e32 v[24:25], v[24:25], v[32:33]
	v_ashrrev_i32_e32 v32, 31, v5
	v_add_co_u32 v11, vcc_lo, v24, v34
	s_delay_alu instid0(VALU_DEP_3) | instskip(SKIP_1) | instid1(VALU_DEP_1)
	v_add_co_ci_u32_e32 v30, vcc_lo, v25, v35, vcc_lo
	v_add_co_ci_u32_e32 v29, vcc_lo, 0, v29, vcc_lo
	v_add_nc_u64_e32 v[24:25], v[30:31], v[28:29]
	s_delay_alu instid0(VALU_DEP_1) | instskip(NEXT) | instid1(VALU_DEP_1)
	v_add_co_u32 v18, vcc_lo, v18, v24
	v_add_co_ci_u32_e64 v22, null, v23, v25, vcc_lo
	v_dual_mov_b32 v23, v10 :: v_dual_mov_b32 v25, v10
	s_delay_alu instid0(VALU_DEP_2) | instskip(NEXT) | instid1(VALU_DEP_1)
	v_mov_b32_e32 v19, v22
	v_mul_u64_e32 v[20:21], v[20:21], v[18:19]
	s_delay_alu instid0(VALU_DEP_1) | instskip(NEXT) | instid1(VALU_DEP_2)
	v_dual_mov_b32 v19, v10 :: v_dual_mov_b32 v24, v21
	v_dual_mov_b32 v30, v20 :: v_dual_mov_b32 v21, v10
	v_mul_hi_u32 v20, v18, v20
	s_delay_alu instid0(VALU_DEP_3) | instskip(NEXT) | instid1(VALU_DEP_3)
	v_mul_u64_e32 v[28:29], v[18:19], v[24:25]
	v_mul_u64_e32 v[30:31], v[22:23], v[30:31]
	;; [unrolled: 1-line block ×3, first 2 shown]
	s_delay_alu instid0(VALU_DEP_3) | instskip(SKIP_1) | instid1(VALU_DEP_2)
	v_add_nc_u64_e32 v[20:21], v[20:21], v[28:29]
	v_dual_mov_b32 v29, v10 :: v_dual_mov_b32 v33, v32
	v_add_co_u32 v11, vcc_lo, v20, v30
	s_delay_alu instid0(VALU_DEP_3) | instskip(SKIP_2) | instid1(VALU_DEP_2)
	v_add_co_ci_u32_e32 v28, vcc_lo, v21, v31, vcc_lo
	v_add_co_ci_u32_e32 v25, vcc_lo, 0, v25, vcc_lo
	v_mov_b32_e32 v11, v10
	v_add_nc_u64_e32 v[20:21], v[28:29], v[24:25]
	v_mov_b32_e32 v25, v10
	v_add_nc_u64_e32 v[4:5], v[4:5], v[32:33]
	s_delay_alu instid0(VALU_DEP_3) | instskip(NEXT) | instid1(VALU_DEP_2)
	v_add_co_u32 v20, vcc_lo, v18, v20
	v_xor_b32_e32 v24, v4, v32
	v_add_co_ci_u32_e64 v18, null, v22, v21, vcc_lo
	s_delay_alu instid0(VALU_DEP_4) | instskip(NEXT) | instid1(VALU_DEP_2)
	v_dual_mov_b32 v21, v10 :: v_dual_bitop2_b32 v22, v5, v32 bitop3:0x14
	v_mul_u64_e32 v[28:29], v[24:25], v[18:19]
	s_delay_alu instid0(VALU_DEP_2) | instskip(SKIP_2) | instid1(VALU_DEP_1)
	v_mul_u64_e32 v[4:5], v[22:23], v[20:21]
	v_mul_u64_e32 v[18:19], v[22:23], v[18:19]
	v_mul_hi_u32 v20, v24, v20
	v_add_nc_u64_e32 v[20:21], v[20:21], v[28:29]
	s_delay_alu instid0(VALU_DEP_1) | instskip(NEXT) | instid1(VALU_DEP_2)
	v_add_co_u32 v4, vcc_lo, v20, v4
	v_add_co_ci_u32_e32 v10, vcc_lo, v21, v5, vcc_lo
	v_add_co_ci_u32_e32 v19, vcc_lo, 0, v19, vcc_lo
	s_delay_alu instid0(VALU_DEP_1) | instskip(NEXT) | instid1(VALU_DEP_1)
	v_add_nc_u64_e32 v[4:5], v[10:11], v[18:19]
	v_mul_u64_e32 v[10:11], v[8:9], v[4:5]
	s_delay_alu instid0(VALU_DEP_1) | instskip(NEXT) | instid1(VALU_DEP_2)
	v_sub_nc_u32_e32 v17, v22, v11
	v_sub_co_u32 v10, vcc_lo, v24, v10
	s_delay_alu instid0(VALU_DEP_1) | instskip(NEXT) | instid1(VALU_DEP_3)
	v_sub_co_ci_u32_e64 v20, null, v22, v11, vcc_lo
	v_sub_co_ci_u32_e64 v17, null, v17, v9, vcc_lo
	s_delay_alu instid0(VALU_DEP_3) | instskip(NEXT) | instid1(VALU_DEP_1)
	v_sub_co_u32 v18, s1, v10, v8
	v_subrev_co_ci_u32_e64 v17, null, 0, v17, s1
	s_delay_alu instid0(VALU_DEP_2) | instskip(SKIP_1) | instid1(VALU_DEP_3)
	v_cmp_ge_u32_e32 vcc_lo, v18, v8
	v_cndmask_b32_e64 v11, 0, -1, vcc_lo
	v_cmp_ge_u32_e32 vcc_lo, v17, v9
	v_cndmask_b32_e64 v18, 0, -1, vcc_lo
	v_cmp_ge_u32_e32 vcc_lo, v10, v8
	v_cndmask_b32_e64 v8, 0, -1, vcc_lo
	v_cmp_ge_u32_e32 vcc_lo, v20, v9
	v_cndmask_b32_e64 v21, 0, -1, vcc_lo
	v_cmp_eq_u32_e32 vcc_lo, v17, v9
	v_cndmask_b32_e32 v17, v18, v11, vcc_lo
	v_cmp_eq_u32_e32 vcc_lo, v20, v9
	v_add_nc_u64_e32 v[10:11], 2, v[4:5]
	v_add_nc_u64_e32 v[18:19], 1, v[4:5]
	v_cndmask_b32_e32 v8, v21, v8, vcc_lo
	v_cmp_ne_u32_e32 vcc_lo, 0, v17
	s_delay_alu instid0(VALU_DEP_2) | instskip(NEXT) | instid1(VALU_DEP_4)
	v_cmp_ne_u32_e64 s1, 0, v8
	v_dual_cndmask_b32 v9, v19, v11 :: v_dual_cndmask_b32 v10, v18, v10
	s_delay_alu instid0(VALU_DEP_1) | instskip(NEXT) | instid1(VALU_DEP_2)
	v_dual_cndmask_b32 v5, v5, v9, s1 :: v_dual_bitop2_b32 v8, v32, v16 bitop3:0x14
	v_cndmask_b32_e64 v4, v4, v10, s1
	s_delay_alu instid0(VALU_DEP_2) | instskip(NEXT) | instid1(VALU_DEP_2)
	v_dual_mov_b32 v9, v8 :: v_dual_bitop2_b32 v5, v5, v8 bitop3:0x14
	v_xor_b32_e32 v4, v4, v8
	s_delay_alu instid0(VALU_DEP_1)
	v_sub_nc_u64_e32 v[16:17], v[4:5], v[8:9]
                                        ; implicit-def: $vgpr8_vgpr9
                                        ; implicit-def: $vgpr4_vgpr5
.LBB67_131:
	s_and_not1_saveexec_b32 s1, s7
	s_cbranch_execz .LBB67_133
; %bb.132:
	v_cvt_f32_u32_e32 v5, v8
	v_dual_sub_nc_u32 v9, 0, v8 :: v_dual_mov_b32 v17, 0
	s_delay_alu instid0(VALU_DEP_2) | instskip(SKIP_1) | instid1(TRANS32_DEP_1)
	v_rcp_iflag_f32_e32 v5, v5
	v_nop
	v_mul_f32_e32 v5, 0x4f7ffffe, v5
	s_delay_alu instid0(VALU_DEP_1) | instskip(NEXT) | instid1(VALU_DEP_1)
	v_cvt_u32_f32_e32 v5, v5
	v_mul_lo_u32 v9, v9, v5
	s_delay_alu instid0(VALU_DEP_1) | instskip(NEXT) | instid1(VALU_DEP_1)
	v_mul_hi_u32 v9, v5, v9
	v_add_nc_u32_e32 v5, v5, v9
	s_delay_alu instid0(VALU_DEP_1) | instskip(NEXT) | instid1(VALU_DEP_1)
	v_mul_hi_u32 v5, v4, v5
	v_mul_lo_u32 v9, v5, v8
	s_delay_alu instid0(VALU_DEP_1) | instskip(NEXT) | instid1(VALU_DEP_1)
	v_sub_nc_u32_e32 v4, v4, v9
	v_dual_add_nc_u32 v9, 1, v5 :: v_dual_sub_nc_u32 v10, v4, v8
	v_cmp_ge_u32_e32 vcc_lo, v4, v8
	s_delay_alu instid0(VALU_DEP_2) | instskip(NEXT) | instid1(VALU_DEP_1)
	v_dual_cndmask_b32 v4, v4, v10 :: v_dual_cndmask_b32 v5, v5, v9
	v_cmp_ge_u32_e32 vcc_lo, v4, v8
	s_delay_alu instid0(VALU_DEP_2) | instskip(NEXT) | instid1(VALU_DEP_1)
	v_add_nc_u32_e32 v9, 1, v5
	v_cndmask_b32_e32 v16, v5, v9, vcc_lo
.LBB67_133:
	s_or_b32 exec_lo, exec_lo, s1
	s_delay_alu instid0(VALU_DEP_1) | instskip(NEXT) | instid1(VALU_DEP_1)
	v_mul_u64_e32 v[2:3], v[16:17], v[2:3]
	v_sub_nc_u64_e32 v[4:5], 0, v[2:3]
	s_delay_alu instid0(VALU_DEP_1)
	v_max_i64 v[10:11], v[2:3], v[4:5]
.LBB67_134:
	s_or_b32 exec_lo, exec_lo, s6
	s_delay_alu instid0(SALU_CYCLE_1) | instskip(SKIP_1) | instid1(SALU_CYCLE_1)
	s_or_b32 exec_lo, exec_lo, s3
	s_and_saveexec_b32 s1, s0
	s_xor_b32 s0, exec_lo, s1
	s_cbranch_execnz .LBB67_124
.LBB67_135:
	s_or_b32 exec_lo, exec_lo, s0
	s_delay_alu instid0(SALU_CYCLE_1)
	s_mov_b32 s0, exec_lo
	v_cmpx_gt_i32_e64 s12, v0
	s_cbranch_execz .LBB67_125
.LBB67_136:
	v_add_nc_u32_e32 v1, s2, v0
	v_add_nc_u32_e32 v0, 0x100, v0
	global_store_b64 v1, v[12:13], s[4:5] scale_offset
	s_wait_xcnt 0x0
	s_or_b32 exec_lo, exec_lo, s0
	s_delay_alu instid0(SALU_CYCLE_1)
	s_mov_b32 s0, exec_lo
	v_cmpx_gt_i32_e64 s12, v0
	s_cbranch_execnz .LBB67_126
.LBB67_137:
	s_or_b32 exec_lo, exec_lo, s0
	s_delay_alu instid0(SALU_CYCLE_1)
	s_mov_b32 s0, exec_lo
	v_cmpx_gt_i32_e64 s12, v0
	s_cbranch_execz .LBB67_139
.LBB67_138:
	v_add_nc_u32_e32 v0, s2, v0
	global_store_b64 v0, v[10:11], s[4:5] scale_offset
.LBB67_139:
	s_endpgm
	.section	.rodata,"a",@progbits
	.p2align	6, 0x0
	.amdhsa_kernel _ZN2at6native29vectorized_elementwise_kernelILi2EZZZNS0_15lcm_kernel_cudaERNS_18TensorIteratorBaseEENKUlvE_clEvENKUlvE2_clEvEUlllE_St5arrayIPcLm3EEEEviT0_T1_
		.amdhsa_group_segment_fixed_size 0
		.amdhsa_private_segment_fixed_size 0
		.amdhsa_kernarg_size 32
		.amdhsa_user_sgpr_count 2
		.amdhsa_user_sgpr_dispatch_ptr 0
		.amdhsa_user_sgpr_queue_ptr 0
		.amdhsa_user_sgpr_kernarg_segment_ptr 1
		.amdhsa_user_sgpr_dispatch_id 0
		.amdhsa_user_sgpr_kernarg_preload_length 0
		.amdhsa_user_sgpr_kernarg_preload_offset 0
		.amdhsa_user_sgpr_private_segment_size 0
		.amdhsa_wavefront_size32 1
		.amdhsa_uses_dynamic_stack 0
		.amdhsa_enable_private_segment 0
		.amdhsa_system_sgpr_workgroup_id_x 1
		.amdhsa_system_sgpr_workgroup_id_y 0
		.amdhsa_system_sgpr_workgroup_id_z 0
		.amdhsa_system_sgpr_workgroup_info 0
		.amdhsa_system_vgpr_workitem_id 0
		.amdhsa_next_free_vgpr 42
		.amdhsa_next_free_sgpr 16
		.amdhsa_named_barrier_count 0
		.amdhsa_reserve_vcc 1
		.amdhsa_float_round_mode_32 0
		.amdhsa_float_round_mode_16_64 0
		.amdhsa_float_denorm_mode_32 3
		.amdhsa_float_denorm_mode_16_64 3
		.amdhsa_fp16_overflow 0
		.amdhsa_memory_ordered 1
		.amdhsa_forward_progress 1
		.amdhsa_inst_pref_size 119
		.amdhsa_round_robin_scheduling 0
		.amdhsa_exception_fp_ieee_invalid_op 0
		.amdhsa_exception_fp_denorm_src 0
		.amdhsa_exception_fp_ieee_div_zero 0
		.amdhsa_exception_fp_ieee_overflow 0
		.amdhsa_exception_fp_ieee_underflow 0
		.amdhsa_exception_fp_ieee_inexact 0
		.amdhsa_exception_int_div_zero 0
	.end_amdhsa_kernel
	.section	.text._ZN2at6native29vectorized_elementwise_kernelILi2EZZZNS0_15lcm_kernel_cudaERNS_18TensorIteratorBaseEENKUlvE_clEvENKUlvE2_clEvEUlllE_St5arrayIPcLm3EEEEviT0_T1_,"axG",@progbits,_ZN2at6native29vectorized_elementwise_kernelILi2EZZZNS0_15lcm_kernel_cudaERNS_18TensorIteratorBaseEENKUlvE_clEvENKUlvE2_clEvEUlllE_St5arrayIPcLm3EEEEviT0_T1_,comdat
.Lfunc_end67:
	.size	_ZN2at6native29vectorized_elementwise_kernelILi2EZZZNS0_15lcm_kernel_cudaERNS_18TensorIteratorBaseEENKUlvE_clEvENKUlvE2_clEvEUlllE_St5arrayIPcLm3EEEEviT0_T1_, .Lfunc_end67-_ZN2at6native29vectorized_elementwise_kernelILi2EZZZNS0_15lcm_kernel_cudaERNS_18TensorIteratorBaseEENKUlvE_clEvENKUlvE2_clEvEUlllE_St5arrayIPcLm3EEEEviT0_T1_
                                        ; -- End function
	.set _ZN2at6native29vectorized_elementwise_kernelILi2EZZZNS0_15lcm_kernel_cudaERNS_18TensorIteratorBaseEENKUlvE_clEvENKUlvE2_clEvEUlllE_St5arrayIPcLm3EEEEviT0_T1_.num_vgpr, 42
	.set _ZN2at6native29vectorized_elementwise_kernelILi2EZZZNS0_15lcm_kernel_cudaERNS_18TensorIteratorBaseEENKUlvE_clEvENKUlvE2_clEvEUlllE_St5arrayIPcLm3EEEEviT0_T1_.num_agpr, 0
	.set _ZN2at6native29vectorized_elementwise_kernelILi2EZZZNS0_15lcm_kernel_cudaERNS_18TensorIteratorBaseEENKUlvE_clEvENKUlvE2_clEvEUlllE_St5arrayIPcLm3EEEEviT0_T1_.numbered_sgpr, 16
	.set _ZN2at6native29vectorized_elementwise_kernelILi2EZZZNS0_15lcm_kernel_cudaERNS_18TensorIteratorBaseEENKUlvE_clEvENKUlvE2_clEvEUlllE_St5arrayIPcLm3EEEEviT0_T1_.num_named_barrier, 0
	.set _ZN2at6native29vectorized_elementwise_kernelILi2EZZZNS0_15lcm_kernel_cudaERNS_18TensorIteratorBaseEENKUlvE_clEvENKUlvE2_clEvEUlllE_St5arrayIPcLm3EEEEviT0_T1_.private_seg_size, 0
	.set _ZN2at6native29vectorized_elementwise_kernelILi2EZZZNS0_15lcm_kernel_cudaERNS_18TensorIteratorBaseEENKUlvE_clEvENKUlvE2_clEvEUlllE_St5arrayIPcLm3EEEEviT0_T1_.uses_vcc, 1
	.set _ZN2at6native29vectorized_elementwise_kernelILi2EZZZNS0_15lcm_kernel_cudaERNS_18TensorIteratorBaseEENKUlvE_clEvENKUlvE2_clEvEUlllE_St5arrayIPcLm3EEEEviT0_T1_.uses_flat_scratch, 0
	.set _ZN2at6native29vectorized_elementwise_kernelILi2EZZZNS0_15lcm_kernel_cudaERNS_18TensorIteratorBaseEENKUlvE_clEvENKUlvE2_clEvEUlllE_St5arrayIPcLm3EEEEviT0_T1_.has_dyn_sized_stack, 0
	.set _ZN2at6native29vectorized_elementwise_kernelILi2EZZZNS0_15lcm_kernel_cudaERNS_18TensorIteratorBaseEENKUlvE_clEvENKUlvE2_clEvEUlllE_St5arrayIPcLm3EEEEviT0_T1_.has_recursion, 0
	.set _ZN2at6native29vectorized_elementwise_kernelILi2EZZZNS0_15lcm_kernel_cudaERNS_18TensorIteratorBaseEENKUlvE_clEvENKUlvE2_clEvEUlllE_St5arrayIPcLm3EEEEviT0_T1_.has_indirect_call, 0
	.section	.AMDGPU.csdata,"",@progbits
; Kernel info:
; codeLenInByte = 15172
; TotalNumSgprs: 18
; NumVgprs: 42
; ScratchSize: 0
; MemoryBound: 0
; FloatMode: 240
; IeeeMode: 1
; LDSByteSize: 0 bytes/workgroup (compile time only)
; SGPRBlocks: 0
; VGPRBlocks: 2
; NumSGPRsForWavesPerEU: 18
; NumVGPRsForWavesPerEU: 42
; NamedBarCnt: 0
; Occupancy: 16
; WaveLimiterHint : 1
; COMPUTE_PGM_RSRC2:SCRATCH_EN: 0
; COMPUTE_PGM_RSRC2:USER_SGPR: 2
; COMPUTE_PGM_RSRC2:TRAP_HANDLER: 0
; COMPUTE_PGM_RSRC2:TGID_X_EN: 1
; COMPUTE_PGM_RSRC2:TGID_Y_EN: 0
; COMPUTE_PGM_RSRC2:TGID_Z_EN: 0
; COMPUTE_PGM_RSRC2:TIDIG_COMP_CNT: 0
	.section	.text._ZN2at6native27unrolled_elementwise_kernelIZZZNS0_15lcm_kernel_cudaERNS_18TensorIteratorBaseEENKUlvE_clEvENKUlvE2_clEvEUlllE_St5arrayIPcLm3EELi4E23TrivialOffsetCalculatorILi2EjESA_ILi1EjENS0_6memory15LoadWithoutCastENSD_16StoreWithoutCastEEEviT_T0_T2_T3_T4_T5_,"axG",@progbits,_ZN2at6native27unrolled_elementwise_kernelIZZZNS0_15lcm_kernel_cudaERNS_18TensorIteratorBaseEENKUlvE_clEvENKUlvE2_clEvEUlllE_St5arrayIPcLm3EELi4E23TrivialOffsetCalculatorILi2EjESA_ILi1EjENS0_6memory15LoadWithoutCastENSD_16StoreWithoutCastEEEviT_T0_T2_T3_T4_T5_,comdat
	.globl	_ZN2at6native27unrolled_elementwise_kernelIZZZNS0_15lcm_kernel_cudaERNS_18TensorIteratorBaseEENKUlvE_clEvENKUlvE2_clEvEUlllE_St5arrayIPcLm3EELi4E23TrivialOffsetCalculatorILi2EjESA_ILi1EjENS0_6memory15LoadWithoutCastENSD_16StoreWithoutCastEEEviT_T0_T2_T3_T4_T5_ ; -- Begin function _ZN2at6native27unrolled_elementwise_kernelIZZZNS0_15lcm_kernel_cudaERNS_18TensorIteratorBaseEENKUlvE_clEvENKUlvE2_clEvEUlllE_St5arrayIPcLm3EELi4E23TrivialOffsetCalculatorILi2EjESA_ILi1EjENS0_6memory15LoadWithoutCastENSD_16StoreWithoutCastEEEviT_T0_T2_T3_T4_T5_
	.p2align	8
	.type	_ZN2at6native27unrolled_elementwise_kernelIZZZNS0_15lcm_kernel_cudaERNS_18TensorIteratorBaseEENKUlvE_clEvENKUlvE2_clEvEUlllE_St5arrayIPcLm3EELi4E23TrivialOffsetCalculatorILi2EjESA_ILi1EjENS0_6memory15LoadWithoutCastENSD_16StoreWithoutCastEEEviT_T0_T2_T3_T4_T5_,@function
_ZN2at6native27unrolled_elementwise_kernelIZZZNS0_15lcm_kernel_cudaERNS_18TensorIteratorBaseEENKUlvE_clEvENKUlvE2_clEvEUlllE_St5arrayIPcLm3EELi4E23TrivialOffsetCalculatorILi2EjESA_ILi1EjENS0_6memory15LoadWithoutCastENSD_16StoreWithoutCastEEEviT_T0_T2_T3_T4_T5_: ; @_ZN2at6native27unrolled_elementwise_kernelIZZZNS0_15lcm_kernel_cudaERNS_18TensorIteratorBaseEENKUlvE_clEvENKUlvE2_clEvEUlllE_St5arrayIPcLm3EELi4E23TrivialOffsetCalculatorILi2EjESA_ILi1EjENS0_6memory15LoadWithoutCastENSD_16StoreWithoutCastEEEviT_T0_T2_T3_T4_T5_
; %bb.0:
	s_load_b32 s9, s[0:1], 0x0
	s_bfe_u32 s10, ttmp6, 0x4000c
	s_clause 0x1
	s_load_b128 s[4:7], s[0:1], 0x8
	s_load_b64 s[2:3], s[0:1], 0x18
	s_add_co_i32 s10, s10, 1
	s_and_b32 s8, ttmp6, 15
	s_wait_xcnt 0x0
	s_mul_i32 s1, ttmp9, s10
	s_getreg_b32 s0, hwreg(HW_REG_IB_STS2, 6, 4)
	s_add_co_i32 s8, s8, s1
	s_cmp_eq_u32 s0, 0
	v_mov_b64_e32 v[16:17], 0
	s_cselect_b32 s0, ttmp9, s8
	v_mov_b64_e32 v[18:19], 0
	s_lshl_b32 s8, s0, 10
	v_mov_b64_e32 v[12:13], 0
	v_or_b32_e32 v1, 0x100, v0
	v_dual_mov_b32 v6, v0 :: v_dual_bitop2_b32 v26, s8, v0 bitop3:0x54
	s_wait_kmcnt 0x0
	s_sub_co_i32 s9, s9, s8
	s_delay_alu instid0(SALU_CYCLE_1)
	v_cmp_gt_i32_e64 s0, s9, v0
	s_and_saveexec_b32 s1, s0
	s_cbranch_execz .LBB68_2
; %bb.1:
	s_clause 0x1
	global_load_b64 v[18:19], v26, s[6:7] scale_offset
	global_load_b64 v[12:13], v26, s[2:3] scale_offset
	v_or_b32_e32 v6, 0x100, v0
.LBB68_2:
	s_wait_xcnt 0x0
	s_or_b32 exec_lo, exec_lo, s1
	v_mov_b64_e32 v[14:15], 0
	s_mov_b32 s1, exec_lo
	v_cmpx_gt_i32_e64 s9, v6
	s_cbranch_execz .LBB68_4
; %bb.3:
	v_add_nc_u32_e32 v2, s8, v6
	v_add_nc_u32_e32 v6, 0x100, v6
	s_clause 0x1
	global_load_b64 v[16:17], v2, s[6:7] scale_offset
	global_load_b64 v[14:15], v2, s[2:3] scale_offset
.LBB68_4:
	s_wait_xcnt 0x0
	s_or_b32 exec_lo, exec_lo, s1
	v_mov_b64_e32 v[4:5], 0
	v_mov_b64_e32 v[10:11], 0
	;; [unrolled: 1-line block ×3, first 2 shown]
	s_mov_b32 s1, exec_lo
	v_cmpx_gt_i32_e64 s9, v6
	s_cbranch_execz .LBB68_6
; %bb.5:
	v_add_nc_u32_e32 v2, s8, v6
	v_add_nc_u32_e32 v6, 0x100, v6
	s_clause 0x1
	global_load_b64 v[10:11], v2, s[6:7] scale_offset
	global_load_b64 v[8:9], v2, s[2:3] scale_offset
.LBB68_6:
	s_wait_xcnt 0x0
	s_or_b32 exec_lo, exec_lo, s1
	v_mov_b64_e32 v[2:3], 0
	s_mov_b32 s1, exec_lo
	v_cmpx_gt_i32_e64 s9, v6
	s_cbranch_execz .LBB68_8
; %bb.7:
	v_add_nc_u32_e32 v6, s8, v6
	s_clause 0x1
	global_load_b64 v[4:5], v6, s[6:7] scale_offset
	global_load_b64 v[2:3], v6, s[2:3] scale_offset
	s_wait_xcnt 0x0
	s_or_b32 exec_lo, exec_lo, s1
                                        ; implicit-def: $vgpr6_vgpr7
	s_and_saveexec_b32 s2, s0
	s_cbranch_execz .LBB68_24
	s_branch .LBB68_9
.LBB68_8:
	s_or_b32 exec_lo, exec_lo, s1
                                        ; implicit-def: $vgpr6_vgpr7
	s_and_saveexec_b32 s2, s0
	s_cbranch_execz .LBB68_24
.LBB68_9:
	s_wait_loadcnt 0x0
	v_sub_nc_u64_e32 v[6:7], 0, v[12:13]
	s_mov_b32 s3, exec_lo
	s_delay_alu instid0(VALU_DEP_1)
	v_max_i64 v[20:21], v[12:13], v[6:7]
	v_cmpx_ne_u64_e32 0, v[18:19]
	s_cbranch_execz .LBB68_17
; %bb.10:
	v_sub_nc_u64_e32 v[6:7], 0, v[18:19]
	s_mov_b32 s6, 0
	s_delay_alu instid0(VALU_DEP_1)
	v_max_i64 v[24:25], v[18:19], v[6:7]
	v_mov_b32_e32 v6, 0
	s_branch .LBB68_12
.LBB68_11:                              ;   in Loop: Header=BB68_12 Depth=1
	s_or_b32 exec_lo, exec_lo, s1
	s_delay_alu instid0(VALU_DEP_1) | instskip(SKIP_2) | instid1(SALU_CYCLE_1)
	v_cmp_eq_u64_e32 vcc_lo, 0, v[24:25]
	v_mov_b64_e32 v[20:21], v[22:23]
	s_or_b32 s6, vcc_lo, s6
	s_and_not1_b32 exec_lo, exec_lo, s6
	s_cbranch_execz .LBB68_16
.LBB68_12:                              ; =>This Inner Loop Header: Depth=1
	s_delay_alu instid0(VALU_DEP_2) | instskip(SKIP_1) | instid1(VALU_DEP_1)
	v_mov_b64_e32 v[22:23], v[24:25]
                                        ; implicit-def: $vgpr24_vgpr25
	s_mov_b32 s1, exec_lo
	v_or_b32_e32 v7, v21, v23
	s_delay_alu instid0(VALU_DEP_1)
	v_cmpx_ne_u64_e32 0, v[6:7]
	s_xor_b32 s7, exec_lo, s1
	s_cbranch_execz .LBB68_14
; %bb.13:                               ;   in Loop: Header=BB68_12 Depth=1
	s_delay_alu instid0(VALU_DEP_3) | instskip(SKIP_3) | instid1(VALU_DEP_3)
	v_cvt_f32_u32_e32 v7, v22
	v_cvt_f32_u32_e32 v24, v23
	v_sub_nc_u64_e32 v[28:29], 0, v[22:23]
	v_dual_mov_b32 v35, v6 :: v_dual_mov_b32 v37, v6
	v_fmac_f32_e32 v7, 0x4f800000, v24
	s_delay_alu instid0(VALU_DEP_1) | instskip(SKIP_1) | instid1(TRANS32_DEP_1)
	v_rcp_f32_e32 v7, v7
	v_nop
	v_mul_f32_e32 v7, 0x5f7ffffc, v7
	s_delay_alu instid0(VALU_DEP_1) | instskip(NEXT) | instid1(VALU_DEP_1)
	v_mul_f32_e32 v24, 0x2f800000, v7
	v_trunc_f32_e32 v25, v24
	s_delay_alu instid0(VALU_DEP_1) | instskip(SKIP_1) | instid1(VALU_DEP_2)
	v_cvt_u32_f32_e32 v31, v25
	v_fmac_f32_e32 v7, 0xcf800000, v25
	v_dual_mov_b32 v25, v6 :: v_dual_mov_b32 v36, v31
	s_delay_alu instid0(VALU_DEP_2) | instskip(NEXT) | instid1(VALU_DEP_1)
	v_cvt_u32_f32_e32 v24, v7
	v_mov_b32_e32 v30, v24
	s_delay_alu instid0(VALU_DEP_1) | instskip(NEXT) | instid1(VALU_DEP_1)
	v_mul_u64_e32 v[32:33], v[28:29], v[30:31]
	v_dual_mov_b32 v34, v33 :: v_dual_mov_b32 v33, v6
	s_delay_alu instid0(VALU_DEP_1) | instskip(NEXT) | instid1(VALU_DEP_2)
	v_mul_u64_e32 v[38:39], v[24:25], v[34:35]
	v_mul_u64_e32 v[40:41], v[36:37], v[32:33]
	;; [unrolled: 1-line block ×3, first 2 shown]
	v_mul_hi_u32 v32, v24, v32
	s_delay_alu instid0(VALU_DEP_1) | instskip(NEXT) | instid1(VALU_DEP_1)
	v_add_nc_u64_e32 v[32:33], v[32:33], v[38:39]
	v_add_co_u32 v7, vcc_lo, v32, v40
	s_delay_alu instid0(VALU_DEP_2) | instskip(SKIP_1) | instid1(VALU_DEP_1)
	v_add_co_ci_u32_e32 v36, vcc_lo, v33, v41, vcc_lo
	v_add_co_ci_u32_e32 v35, vcc_lo, 0, v35, vcc_lo
	v_add_nc_u64_e32 v[32:33], v[36:37], v[34:35]
	s_delay_alu instid0(VALU_DEP_1) | instskip(NEXT) | instid1(VALU_DEP_1)
	v_add_co_u32 v24, vcc_lo, v24, v32
	v_add_co_ci_u32_e64 v30, null, v31, v33, vcc_lo
	v_dual_mov_b32 v33, v6 :: v_dual_mov_b32 v31, v6
	s_delay_alu instid0(VALU_DEP_2) | instskip(NEXT) | instid1(VALU_DEP_1)
	v_mov_b32_e32 v25, v30
	v_mul_u64_e32 v[28:29], v[28:29], v[24:25]
	s_delay_alu instid0(VALU_DEP_1) | instskip(NEXT) | instid1(VALU_DEP_2)
	v_dual_mov_b32 v25, v6 :: v_dual_mov_b32 v32, v29
	v_dual_mov_b32 v36, v28 :: v_dual_mov_b32 v29, v6
	v_mul_hi_u32 v28, v24, v28
	s_delay_alu instid0(VALU_DEP_3) | instskip(NEXT) | instid1(VALU_DEP_3)
	v_mul_u64_e32 v[34:35], v[24:25], v[32:33]
	v_mul_u64_e32 v[36:37], v[30:31], v[36:37]
	;; [unrolled: 1-line block ×3, first 2 shown]
	s_delay_alu instid0(VALU_DEP_3) | instskip(SKIP_1) | instid1(VALU_DEP_2)
	v_add_nc_u64_e32 v[28:29], v[28:29], v[34:35]
	v_mov_b32_e32 v35, v6
	v_add_co_u32 v7, vcc_lo, v28, v36
	s_delay_alu instid0(VALU_DEP_3) | instskip(SKIP_1) | instid1(VALU_DEP_1)
	v_add_co_ci_u32_e32 v34, vcc_lo, v29, v37, vcc_lo
	v_add_co_ci_u32_e32 v33, vcc_lo, 0, v33, vcc_lo
	v_add_nc_u64_e32 v[28:29], v[34:35], v[32:33]
	v_dual_mov_b32 v32, v20 :: v_dual_mov_b32 v33, v6
	s_delay_alu instid0(VALU_DEP_2) | instskip(NEXT) | instid1(VALU_DEP_1)
	v_add_co_u32 v28, vcc_lo, v24, v28
	v_add_co_ci_u32_e64 v24, null, v30, v29, vcc_lo
	v_dual_mov_b32 v30, v21 :: v_dual_mov_b32 v29, v6
	s_delay_alu instid0(VALU_DEP_2) | instskip(NEXT) | instid1(VALU_DEP_2)
	v_mul_u64_e32 v[32:33], v[32:33], v[24:25]
	v_mul_u64_e32 v[24:25], v[30:31], v[24:25]
	s_delay_alu instid0(VALU_DEP_3) | instskip(SKIP_1) | instid1(VALU_DEP_1)
	v_mul_u64_e32 v[34:35], v[30:31], v[28:29]
	v_mul_hi_u32 v28, v20, v28
	v_add_nc_u64_e32 v[28:29], v[28:29], v[32:33]
	s_delay_alu instid0(VALU_DEP_1) | instskip(NEXT) | instid1(VALU_DEP_2)
	v_add_co_u32 v7, vcc_lo, v28, v34
	v_add_co_ci_u32_e32 v30, vcc_lo, v29, v35, vcc_lo
	v_add_co_ci_u32_e32 v25, vcc_lo, 0, v25, vcc_lo
	s_delay_alu instid0(VALU_DEP_1) | instskip(NEXT) | instid1(VALU_DEP_1)
	v_add_nc_u64_e32 v[24:25], v[30:31], v[24:25]
	v_mul_u64_e32 v[24:25], v[22:23], v[24:25]
	s_delay_alu instid0(VALU_DEP_1) | instskip(NEXT) | instid1(VALU_DEP_2)
	v_sub_nc_u32_e32 v7, v21, v25
	v_sub_co_u32 v20, vcc_lo, v20, v24
	s_delay_alu instid0(VALU_DEP_1) | instskip(NEXT) | instid1(VALU_DEP_3)
	v_sub_co_ci_u32_e64 v21, null, v21, v25, vcc_lo
	v_sub_co_ci_u32_e64 v7, null, v7, v23, vcc_lo
	s_delay_alu instid0(VALU_DEP_3) | instskip(SKIP_1) | instid1(VALU_DEP_3)
	v_sub_co_u32 v24, vcc_lo, v20, v22
	v_cmp_ge_u32_e64 s1, v20, v22
	v_subrev_co_ci_u32_e64 v25, null, 0, v7, vcc_lo
	v_sub_co_ci_u32_e64 v7, null, v7, v23, vcc_lo
	s_delay_alu instid0(VALU_DEP_3) | instskip(SKIP_2) | instid1(VALU_DEP_2)
	v_cndmask_b32_e64 v27, 0, -1, s1
	v_cmp_ge_u32_e64 s1, v24, v22
	v_cmp_ge_u32_e32 vcc_lo, v21, v23
	v_cndmask_b32_e64 v28, 0, -1, s1
	v_cmp_ge_u32_e64 s1, v25, v23
	v_cndmask_b32_e64 v30, 0, -1, vcc_lo
	v_cmp_eq_u32_e32 vcc_lo, v25, v23
	s_delay_alu instid0(VALU_DEP_3) | instskip(SKIP_1) | instid1(VALU_DEP_1)
	v_cndmask_b32_e64 v29, 0, -1, s1
	v_cmp_eq_u32_e64 s1, v21, v23
	v_dual_cndmask_b32 v28, v29, v28, vcc_lo :: v_dual_cndmask_b32 v27, v30, v27, s1
	v_sub_co_u32 v29, vcc_lo, v24, v22
	s_delay_alu instid0(VALU_DEP_1) | instskip(NEXT) | instid1(VALU_DEP_3)
	v_subrev_co_ci_u32_e64 v7, null, 0, v7, vcc_lo
	v_cmp_ne_u32_e32 vcc_lo, 0, v28
	s_delay_alu instid0(VALU_DEP_2) | instskip(SKIP_1) | instid1(VALU_DEP_2)
	v_dual_cndmask_b32 v7, v25, v7 :: v_dual_cndmask_b32 v24, v24, v29
	v_cmp_ne_u32_e32 vcc_lo, 0, v27
	v_dual_cndmask_b32 v25, v21, v7 :: v_dual_cndmask_b32 v24, v20, v24
                                        ; implicit-def: $vgpr20_vgpr21
.LBB68_14:                              ;   in Loop: Header=BB68_12 Depth=1
	s_and_not1_saveexec_b32 s1, s7
	s_cbranch_execz .LBB68_11
; %bb.15:                               ;   in Loop: Header=BB68_12 Depth=1
	v_cvt_f32_u32_e32 v7, v22
	v_dual_sub_nc_u32 v21, 0, v22 :: v_dual_mov_b32 v25, v6
	s_delay_alu instid0(VALU_DEP_2) | instskip(SKIP_1) | instid1(TRANS32_DEP_1)
	v_rcp_iflag_f32_e32 v7, v7
	v_nop
	v_mul_f32_e32 v7, 0x4f7ffffe, v7
	s_delay_alu instid0(VALU_DEP_1) | instskip(NEXT) | instid1(VALU_DEP_1)
	v_cvt_u32_f32_e32 v7, v7
	v_mul_lo_u32 v21, v21, v7
	s_delay_alu instid0(VALU_DEP_1) | instskip(NEXT) | instid1(VALU_DEP_1)
	v_mul_hi_u32 v21, v7, v21
	v_add_nc_u32_e32 v7, v7, v21
	s_delay_alu instid0(VALU_DEP_1) | instskip(NEXT) | instid1(VALU_DEP_1)
	v_mul_hi_u32 v7, v20, v7
	v_mul_lo_u32 v7, v7, v22
	s_delay_alu instid0(VALU_DEP_1) | instskip(NEXT) | instid1(VALU_DEP_1)
	v_sub_nc_u32_e32 v7, v20, v7
	v_sub_nc_u32_e32 v20, v7, v22
	v_cmp_ge_u32_e32 vcc_lo, v7, v22
	s_delay_alu instid0(VALU_DEP_2) | instskip(NEXT) | instid1(VALU_DEP_1)
	v_cndmask_b32_e32 v7, v7, v20, vcc_lo
	v_sub_nc_u32_e32 v20, v7, v22
	v_cmp_ge_u32_e32 vcc_lo, v7, v22
	s_delay_alu instid0(VALU_DEP_2)
	v_cndmask_b32_e32 v24, v7, v20, vcc_lo
	s_branch .LBB68_11
.LBB68_16:
	s_or_b32 exec_lo, exec_lo, s6
	v_mov_b64_e32 v[20:21], v[22:23]
.LBB68_17:
	s_or_b32 exec_lo, exec_lo, s3
	v_mov_b64_e32 v[6:7], 0
	s_mov_b32 s3, exec_lo
	s_delay_alu instid0(VALU_DEP_2)
	v_cmpx_ne_u64_e32 0, v[20:21]
	s_cbranch_execz .LBB68_23
; %bb.18:
	v_dual_mov_b32 v6, 0 :: v_dual_bitop2_b32 v7, v19, v21 bitop3:0x54
                                        ; implicit-def: $vgpr22_vgpr23
	s_mov_b32 s1, exec_lo
	s_delay_alu instid0(VALU_DEP_1)
	v_cmpx_ne_u64_e32 0, v[6:7]
	s_xor_b32 s6, exec_lo, s1
	s_cbranch_execz .LBB68_20
; %bb.19:
	v_dual_mov_b32 v25, v6 :: v_dual_ashrrev_i32 v22, 31, v21
	v_dual_mov_b32 v35, v6 :: v_dual_mov_b32 v37, v6
	s_delay_alu instid0(VALU_DEP_2) | instskip(NEXT) | instid1(VALU_DEP_1)
	v_mov_b32_e32 v23, v22
	v_add_nc_u64_e32 v[20:21], v[20:21], v[22:23]
	s_delay_alu instid0(VALU_DEP_1) | instskip(NEXT) | instid1(VALU_DEP_2)
	v_xor_b32_e32 v20, v20, v22
	v_xor_b32_e32 v21, v21, v22
	s_delay_alu instid0(VALU_DEP_2) | instskip(NEXT) | instid1(VALU_DEP_2)
	v_cvt_f32_u32_e32 v7, v20
	v_cvt_f32_u32_e32 v23, v21
	s_delay_alu instid0(VALU_DEP_1) | instskip(NEXT) | instid1(VALU_DEP_1)
	v_fmamk_f32 v7, v23, 0x4f800000, v7
	v_rcp_f32_e32 v7, v7
	v_nop
	s_delay_alu instid0(TRANS32_DEP_1) | instskip(NEXT) | instid1(VALU_DEP_1)
	v_mul_f32_e32 v7, 0x5f7ffffc, v7
	v_mul_f32_e32 v23, 0x2f800000, v7
	s_delay_alu instid0(VALU_DEP_1) | instskip(NEXT) | instid1(VALU_DEP_1)
	v_trunc_f32_e32 v23, v23
	v_fmamk_f32 v7, v23, 0xcf800000, v7
	v_cvt_u32_f32_e32 v31, v23
	s_delay_alu instid0(VALU_DEP_2) | instskip(NEXT) | instid1(VALU_DEP_1)
	v_cvt_u32_f32_e32 v24, v7
	v_dual_mov_b32 v36, v31 :: v_dual_mov_b32 v30, v24
	v_sub_nc_u64_e32 v[28:29], 0, v[20:21]
	s_delay_alu instid0(VALU_DEP_1) | instskip(NEXT) | instid1(VALU_DEP_1)
	v_mul_u64_e32 v[32:33], v[28:29], v[30:31]
	v_dual_mov_b32 v34, v33 :: v_dual_mov_b32 v33, v6
	s_delay_alu instid0(VALU_DEP_1) | instskip(NEXT) | instid1(VALU_DEP_2)
	v_mul_u64_e32 v[38:39], v[24:25], v[34:35]
	v_mul_u64_e32 v[40:41], v[36:37], v[32:33]
	;; [unrolled: 1-line block ×3, first 2 shown]
	v_mul_hi_u32 v32, v24, v32
	s_delay_alu instid0(VALU_DEP_1) | instskip(SKIP_1) | instid1(VALU_DEP_2)
	v_add_nc_u64_e32 v[32:33], v[32:33], v[38:39]
	v_ashrrev_i32_e32 v38, 31, v19
	v_add_co_u32 v7, vcc_lo, v32, v40
	s_delay_alu instid0(VALU_DEP_3) | instskip(SKIP_1) | instid1(VALU_DEP_1)
	v_add_co_ci_u32_e32 v36, vcc_lo, v33, v41, vcc_lo
	v_add_co_ci_u32_e32 v35, vcc_lo, 0, v35, vcc_lo
	v_add_nc_u64_e32 v[32:33], v[36:37], v[34:35]
	s_delay_alu instid0(VALU_DEP_1) | instskip(NEXT) | instid1(VALU_DEP_1)
	v_add_co_u32 v24, vcc_lo, v24, v32
	v_add_co_ci_u32_e64 v30, null, v31, v33, vcc_lo
	v_dual_mov_b32 v33, v6 :: v_dual_mov_b32 v31, v6
	s_delay_alu instid0(VALU_DEP_2) | instskip(NEXT) | instid1(VALU_DEP_1)
	v_mov_b32_e32 v25, v30
	v_mul_u64_e32 v[28:29], v[28:29], v[24:25]
	s_delay_alu instid0(VALU_DEP_1) | instskip(NEXT) | instid1(VALU_DEP_2)
	v_dual_mov_b32 v25, v6 :: v_dual_mov_b32 v32, v29
	v_dual_mov_b32 v36, v28 :: v_dual_mov_b32 v29, v6
	v_mul_hi_u32 v28, v24, v28
	s_delay_alu instid0(VALU_DEP_3) | instskip(NEXT) | instid1(VALU_DEP_3)
	v_mul_u64_e32 v[34:35], v[24:25], v[32:33]
	v_mul_u64_e32 v[36:37], v[30:31], v[36:37]
	v_mul_u64_e32 v[32:33], v[30:31], v[32:33]
	s_delay_alu instid0(VALU_DEP_3) | instskip(SKIP_1) | instid1(VALU_DEP_2)
	v_add_nc_u64_e32 v[28:29], v[28:29], v[34:35]
	v_dual_mov_b32 v35, v6 :: v_dual_mov_b32 v39, v38
	v_add_co_u32 v7, vcc_lo, v28, v36
	s_delay_alu instid0(VALU_DEP_3) | instskip(SKIP_2) | instid1(VALU_DEP_2)
	v_add_co_ci_u32_e32 v34, vcc_lo, v29, v37, vcc_lo
	v_add_co_ci_u32_e32 v33, vcc_lo, 0, v33, vcc_lo
	v_mov_b32_e32 v7, v6
	v_add_nc_u64_e32 v[28:29], v[34:35], v[32:33]
	v_mov_b32_e32 v33, v6
	v_add_nc_u64_e32 v[18:19], v[18:19], v[38:39]
	s_delay_alu instid0(VALU_DEP_3) | instskip(NEXT) | instid1(VALU_DEP_2)
	v_add_co_u32 v28, vcc_lo, v24, v28
	v_xor_b32_e32 v32, v18, v38
	v_add_co_ci_u32_e64 v24, null, v30, v29, vcc_lo
	s_delay_alu instid0(VALU_DEP_4) | instskip(NEXT) | instid1(VALU_DEP_2)
	v_dual_mov_b32 v29, v6 :: v_dual_bitop2_b32 v30, v19, v38 bitop3:0x14
	v_mul_u64_e32 v[34:35], v[32:33], v[24:25]
	s_delay_alu instid0(VALU_DEP_2) | instskip(SKIP_2) | instid1(VALU_DEP_1)
	v_mul_u64_e32 v[18:19], v[30:31], v[28:29]
	v_mul_u64_e32 v[24:25], v[30:31], v[24:25]
	v_mul_hi_u32 v28, v32, v28
	v_add_nc_u64_e32 v[28:29], v[28:29], v[34:35]
	s_delay_alu instid0(VALU_DEP_1) | instskip(NEXT) | instid1(VALU_DEP_2)
	v_add_co_u32 v6, vcc_lo, v28, v18
	v_add_co_ci_u32_e32 v6, vcc_lo, v29, v19, vcc_lo
	v_add_co_ci_u32_e32 v25, vcc_lo, 0, v25, vcc_lo
	s_delay_alu instid0(VALU_DEP_1) | instskip(NEXT) | instid1(VALU_DEP_1)
	v_add_nc_u64_e32 v[6:7], v[6:7], v[24:25]
	v_mul_u64_e32 v[18:19], v[20:21], v[6:7]
	s_delay_alu instid0(VALU_DEP_1) | instskip(NEXT) | instid1(VALU_DEP_2)
	v_sub_nc_u32_e32 v23, v30, v19
	v_sub_co_u32 v18, vcc_lo, v32, v18
	s_delay_alu instid0(VALU_DEP_1) | instskip(NEXT) | instid1(VALU_DEP_3)
	v_sub_co_ci_u32_e64 v27, null, v30, v19, vcc_lo
	v_sub_co_ci_u32_e64 v23, null, v23, v21, vcc_lo
	s_delay_alu instid0(VALU_DEP_3) | instskip(NEXT) | instid1(VALU_DEP_1)
	v_sub_co_u32 v24, s1, v18, v20
	v_subrev_co_ci_u32_e64 v23, null, 0, v23, s1
	s_delay_alu instid0(VALU_DEP_2) | instskip(SKIP_1) | instid1(VALU_DEP_3)
	v_cmp_ge_u32_e32 vcc_lo, v24, v20
	v_cndmask_b32_e64 v19, 0, -1, vcc_lo
	v_cmp_ge_u32_e32 vcc_lo, v23, v21
	v_cndmask_b32_e64 v24, 0, -1, vcc_lo
	;; [unrolled: 2-line block ×4, first 2 shown]
	v_cmp_eq_u32_e32 vcc_lo, v23, v21
	v_cndmask_b32_e32 v23, v24, v19, vcc_lo
	v_cmp_eq_u32_e32 vcc_lo, v27, v21
	v_add_nc_u64_e32 v[18:19], 2, v[6:7]
	v_add_nc_u64_e32 v[24:25], 1, v[6:7]
	v_cndmask_b32_e32 v20, v28, v20, vcc_lo
	v_cmp_ne_u32_e32 vcc_lo, 0, v23
	s_delay_alu instid0(VALU_DEP_2) | instskip(NEXT) | instid1(VALU_DEP_4)
	v_cmp_ne_u32_e64 s1, 0, v20
	v_dual_cndmask_b32 v19, v25, v19 :: v_dual_cndmask_b32 v20, v24, v18
	s_delay_alu instid0(VALU_DEP_1) | instskip(NEXT) | instid1(VALU_DEP_2)
	v_dual_cndmask_b32 v7, v7, v19, s1 :: v_dual_bitop2_b32 v18, v38, v22 bitop3:0x14
	v_cndmask_b32_e64 v6, v6, v20, s1
	s_delay_alu instid0(VALU_DEP_2) | instskip(NEXT) | instid1(VALU_DEP_3)
	v_mov_b32_e32 v19, v18
                                        ; implicit-def: $vgpr20_vgpr21
	v_xor_b32_e32 v7, v7, v18
	s_delay_alu instid0(VALU_DEP_3) | instskip(NEXT) | instid1(VALU_DEP_1)
	v_xor_b32_e32 v6, v6, v18
	v_sub_nc_u64_e32 v[22:23], v[6:7], v[18:19]
                                        ; implicit-def: $vgpr18_vgpr19
.LBB68_20:
	s_and_not1_saveexec_b32 s1, s6
	s_cbranch_execz .LBB68_22
; %bb.21:
	v_cvt_f32_u32_e32 v6, v20
	v_dual_sub_nc_u32 v7, 0, v20 :: v_dual_mov_b32 v23, 0
	s_delay_alu instid0(VALU_DEP_2) | instskip(SKIP_1) | instid1(TRANS32_DEP_1)
	v_rcp_iflag_f32_e32 v6, v6
	v_nop
	v_mul_f32_e32 v6, 0x4f7ffffe, v6
	s_delay_alu instid0(VALU_DEP_1) | instskip(NEXT) | instid1(VALU_DEP_1)
	v_cvt_u32_f32_e32 v6, v6
	v_mul_lo_u32 v7, v7, v6
	s_delay_alu instid0(VALU_DEP_1) | instskip(NEXT) | instid1(VALU_DEP_1)
	v_mul_hi_u32 v7, v6, v7
	v_add_nc_u32_e32 v6, v6, v7
	s_delay_alu instid0(VALU_DEP_1) | instskip(NEXT) | instid1(VALU_DEP_1)
	v_mul_hi_u32 v6, v18, v6
	v_mul_lo_u32 v7, v6, v20
	s_delay_alu instid0(VALU_DEP_1) | instskip(NEXT) | instid1(VALU_DEP_1)
	v_dual_sub_nc_u32 v7, v18, v7 :: v_dual_add_nc_u32 v18, 1, v6
	v_sub_nc_u32_e32 v19, v7, v20
	v_cmp_ge_u32_e32 vcc_lo, v7, v20
	s_delay_alu instid0(VALU_DEP_2) | instskip(NEXT) | instid1(VALU_DEP_1)
	v_dual_cndmask_b32 v7, v7, v19 :: v_dual_cndmask_b32 v6, v6, v18
	v_cmp_ge_u32_e32 vcc_lo, v7, v20
	s_delay_alu instid0(VALU_DEP_2) | instskip(NEXT) | instid1(VALU_DEP_1)
	v_add_nc_u32_e32 v18, 1, v6
	v_cndmask_b32_e32 v22, v6, v18, vcc_lo
.LBB68_22:
	s_or_b32 exec_lo, exec_lo, s1
	s_delay_alu instid0(VALU_DEP_1) | instskip(NEXT) | instid1(VALU_DEP_1)
	v_mul_u64_e32 v[6:7], v[22:23], v[12:13]
	v_sub_nc_u64_e32 v[12:13], 0, v[6:7]
	s_delay_alu instid0(VALU_DEP_1)
	v_max_i64 v[6:7], v[6:7], v[12:13]
.LBB68_23:
	s_or_b32 exec_lo, exec_lo, s3
.LBB68_24:
	s_delay_alu instid0(SALU_CYCLE_1) | instskip(NEXT) | instid1(SALU_CYCLE_1)
	s_or_b32 exec_lo, exec_lo, s2
	s_mov_b32 s2, exec_lo
                                        ; implicit-def: $vgpr12_vgpr13
	v_cmpx_gt_i32_e64 s9, v1
	s_cbranch_execz .LBB68_40
; %bb.25:
	s_wait_loadcnt 0x0
	v_sub_nc_u64_e32 v[12:13], 0, v[14:15]
	s_mov_b32 s3, exec_lo
	s_delay_alu instid0(VALU_DEP_1)
	v_max_i64 v[18:19], v[14:15], v[12:13]
	v_cmpx_ne_u64_e32 0, v[16:17]
	s_cbranch_execz .LBB68_33
; %bb.26:
	v_sub_nc_u64_e32 v[12:13], 0, v[16:17]
	s_mov_b32 s6, 0
	s_delay_alu instid0(VALU_DEP_1)
	v_max_i64 v[22:23], v[16:17], v[12:13]
	v_mov_b32_e32 v12, 0
	s_branch .LBB68_28
.LBB68_27:                              ;   in Loop: Header=BB68_28 Depth=1
	s_or_b32 exec_lo, exec_lo, s1
	s_delay_alu instid0(VALU_DEP_1) | instskip(SKIP_2) | instid1(SALU_CYCLE_1)
	v_cmp_eq_u64_e32 vcc_lo, 0, v[22:23]
	v_mov_b64_e32 v[18:19], v[20:21]
	s_or_b32 s6, vcc_lo, s6
	s_and_not1_b32 exec_lo, exec_lo, s6
	s_cbranch_execz .LBB68_32
.LBB68_28:                              ; =>This Inner Loop Header: Depth=1
	s_delay_alu instid0(VALU_DEP_2) | instskip(SKIP_1) | instid1(VALU_DEP_1)
	v_mov_b64_e32 v[20:21], v[22:23]
                                        ; implicit-def: $vgpr22_vgpr23
	s_mov_b32 s1, exec_lo
	v_or_b32_e32 v13, v19, v21
	s_delay_alu instid0(VALU_DEP_1)
	v_cmpx_ne_u64_e32 0, v[12:13]
	s_xor_b32 s7, exec_lo, s1
	s_cbranch_execz .LBB68_30
; %bb.29:                               ;   in Loop: Header=BB68_28 Depth=1
	s_delay_alu instid0(VALU_DEP_3) | instskip(SKIP_3) | instid1(VALU_DEP_3)
	v_cvt_f32_u32_e32 v13, v20
	v_cvt_f32_u32_e32 v22, v21
	v_sub_nc_u64_e32 v[24:25], 0, v[20:21]
	v_dual_mov_b32 v33, v12 :: v_dual_mov_b32 v35, v12
	v_fmac_f32_e32 v13, 0x4f800000, v22
	s_delay_alu instid0(VALU_DEP_1) | instskip(SKIP_1) | instid1(TRANS32_DEP_1)
	v_rcp_f32_e32 v13, v13
	v_nop
	v_mul_f32_e32 v13, 0x5f7ffffc, v13
	s_delay_alu instid0(VALU_DEP_1) | instskip(NEXT) | instid1(VALU_DEP_1)
	v_mul_f32_e32 v22, 0x2f800000, v13
	v_trunc_f32_e32 v23, v22
	s_delay_alu instid0(VALU_DEP_1) | instskip(SKIP_1) | instid1(VALU_DEP_2)
	v_cvt_u32_f32_e32 v29, v23
	v_fmac_f32_e32 v13, 0xcf800000, v23
	v_dual_mov_b32 v23, v12 :: v_dual_mov_b32 v34, v29
	s_delay_alu instid0(VALU_DEP_2) | instskip(NEXT) | instid1(VALU_DEP_1)
	v_cvt_u32_f32_e32 v22, v13
	v_mov_b32_e32 v28, v22
	s_delay_alu instid0(VALU_DEP_1) | instskip(NEXT) | instid1(VALU_DEP_1)
	v_mul_u64_e32 v[30:31], v[24:25], v[28:29]
	v_dual_mov_b32 v32, v31 :: v_dual_mov_b32 v31, v12
	s_delay_alu instid0(VALU_DEP_1) | instskip(NEXT) | instid1(VALU_DEP_2)
	v_mul_u64_e32 v[36:37], v[22:23], v[32:33]
	v_mul_u64_e32 v[38:39], v[34:35], v[30:31]
	;; [unrolled: 1-line block ×3, first 2 shown]
	v_mul_hi_u32 v30, v22, v30
	s_delay_alu instid0(VALU_DEP_1) | instskip(NEXT) | instid1(VALU_DEP_1)
	v_add_nc_u64_e32 v[30:31], v[30:31], v[36:37]
	v_add_co_u32 v13, vcc_lo, v30, v38
	s_delay_alu instid0(VALU_DEP_2) | instskip(SKIP_1) | instid1(VALU_DEP_1)
	v_add_co_ci_u32_e32 v34, vcc_lo, v31, v39, vcc_lo
	v_add_co_ci_u32_e32 v33, vcc_lo, 0, v33, vcc_lo
	v_add_nc_u64_e32 v[30:31], v[34:35], v[32:33]
	s_delay_alu instid0(VALU_DEP_1) | instskip(NEXT) | instid1(VALU_DEP_1)
	v_add_co_u32 v22, vcc_lo, v22, v30
	v_add_co_ci_u32_e64 v28, null, v29, v31, vcc_lo
	v_dual_mov_b32 v31, v12 :: v_dual_mov_b32 v29, v12
	s_delay_alu instid0(VALU_DEP_2) | instskip(NEXT) | instid1(VALU_DEP_1)
	v_mov_b32_e32 v23, v28
	v_mul_u64_e32 v[24:25], v[24:25], v[22:23]
	s_delay_alu instid0(VALU_DEP_1) | instskip(NEXT) | instid1(VALU_DEP_2)
	v_dual_mov_b32 v23, v12 :: v_dual_mov_b32 v30, v25
	v_dual_mov_b32 v34, v24 :: v_dual_mov_b32 v25, v12
	v_mul_hi_u32 v24, v22, v24
	s_delay_alu instid0(VALU_DEP_3) | instskip(NEXT) | instid1(VALU_DEP_3)
	v_mul_u64_e32 v[32:33], v[22:23], v[30:31]
	v_mul_u64_e32 v[34:35], v[28:29], v[34:35]
	;; [unrolled: 1-line block ×3, first 2 shown]
	s_delay_alu instid0(VALU_DEP_3) | instskip(SKIP_1) | instid1(VALU_DEP_2)
	v_add_nc_u64_e32 v[24:25], v[24:25], v[32:33]
	v_mov_b32_e32 v33, v12
	v_add_co_u32 v13, vcc_lo, v24, v34
	s_delay_alu instid0(VALU_DEP_3) | instskip(SKIP_1) | instid1(VALU_DEP_1)
	v_add_co_ci_u32_e32 v32, vcc_lo, v25, v35, vcc_lo
	v_add_co_ci_u32_e32 v31, vcc_lo, 0, v31, vcc_lo
	v_add_nc_u64_e32 v[24:25], v[32:33], v[30:31]
	v_dual_mov_b32 v30, v18 :: v_dual_mov_b32 v31, v12
	s_delay_alu instid0(VALU_DEP_2) | instskip(NEXT) | instid1(VALU_DEP_1)
	v_add_co_u32 v24, vcc_lo, v22, v24
	v_add_co_ci_u32_e64 v22, null, v28, v25, vcc_lo
	v_dual_mov_b32 v28, v19 :: v_dual_mov_b32 v25, v12
	s_delay_alu instid0(VALU_DEP_2) | instskip(NEXT) | instid1(VALU_DEP_2)
	v_mul_u64_e32 v[30:31], v[30:31], v[22:23]
	v_mul_u64_e32 v[22:23], v[28:29], v[22:23]
	s_delay_alu instid0(VALU_DEP_3) | instskip(SKIP_1) | instid1(VALU_DEP_1)
	v_mul_u64_e32 v[32:33], v[28:29], v[24:25]
	v_mul_hi_u32 v24, v18, v24
	v_add_nc_u64_e32 v[24:25], v[24:25], v[30:31]
	s_delay_alu instid0(VALU_DEP_1) | instskip(NEXT) | instid1(VALU_DEP_2)
	v_add_co_u32 v13, vcc_lo, v24, v32
	v_add_co_ci_u32_e32 v28, vcc_lo, v25, v33, vcc_lo
	v_add_co_ci_u32_e32 v23, vcc_lo, 0, v23, vcc_lo
	s_delay_alu instid0(VALU_DEP_1) | instskip(NEXT) | instid1(VALU_DEP_1)
	v_add_nc_u64_e32 v[22:23], v[28:29], v[22:23]
	v_mul_u64_e32 v[22:23], v[20:21], v[22:23]
	s_delay_alu instid0(VALU_DEP_1) | instskip(NEXT) | instid1(VALU_DEP_2)
	v_sub_nc_u32_e32 v13, v19, v23
	v_sub_co_u32 v18, vcc_lo, v18, v22
	s_delay_alu instid0(VALU_DEP_1) | instskip(NEXT) | instid1(VALU_DEP_3)
	v_sub_co_ci_u32_e64 v19, null, v19, v23, vcc_lo
	v_sub_co_ci_u32_e64 v13, null, v13, v21, vcc_lo
	s_delay_alu instid0(VALU_DEP_3) | instskip(SKIP_1) | instid1(VALU_DEP_3)
	v_sub_co_u32 v22, vcc_lo, v18, v20
	v_cmp_ge_u32_e64 s1, v18, v20
	v_subrev_co_ci_u32_e64 v23, null, 0, v13, vcc_lo
	v_sub_co_ci_u32_e64 v13, null, v13, v21, vcc_lo
	s_delay_alu instid0(VALU_DEP_3) | instskip(SKIP_2) | instid1(VALU_DEP_2)
	v_cndmask_b32_e64 v24, 0, -1, s1
	v_cmp_ge_u32_e64 s1, v22, v20
	v_cmp_ge_u32_e32 vcc_lo, v19, v21
	v_cndmask_b32_e64 v25, 0, -1, s1
	v_cmp_ge_u32_e64 s1, v23, v21
	v_cndmask_b32_e64 v28, 0, -1, vcc_lo
	v_cmp_eq_u32_e32 vcc_lo, v23, v21
	s_delay_alu instid0(VALU_DEP_3) | instskip(SKIP_1) | instid1(VALU_DEP_1)
	v_cndmask_b32_e64 v27, 0, -1, s1
	v_cmp_eq_u32_e64 s1, v19, v21
	v_dual_cndmask_b32 v25, v27, v25, vcc_lo :: v_dual_cndmask_b32 v24, v28, v24, s1
	v_sub_co_u32 v27, vcc_lo, v22, v20
	s_delay_alu instid0(VALU_DEP_1) | instskip(NEXT) | instid1(VALU_DEP_3)
	v_subrev_co_ci_u32_e64 v13, null, 0, v13, vcc_lo
	v_cmp_ne_u32_e32 vcc_lo, 0, v25
	s_delay_alu instid0(VALU_DEP_2) | instskip(SKIP_1) | instid1(VALU_DEP_2)
	v_dual_cndmask_b32 v13, v23, v13 :: v_dual_cndmask_b32 v22, v22, v27
	v_cmp_ne_u32_e32 vcc_lo, 0, v24
	v_dual_cndmask_b32 v23, v19, v13 :: v_dual_cndmask_b32 v22, v18, v22
                                        ; implicit-def: $vgpr18_vgpr19
.LBB68_30:                              ;   in Loop: Header=BB68_28 Depth=1
	s_and_not1_saveexec_b32 s1, s7
	s_cbranch_execz .LBB68_27
; %bb.31:                               ;   in Loop: Header=BB68_28 Depth=1
	v_cvt_f32_u32_e32 v13, v20
	v_dual_sub_nc_u32 v19, 0, v20 :: v_dual_mov_b32 v23, v12
	s_delay_alu instid0(VALU_DEP_2) | instskip(SKIP_1) | instid1(TRANS32_DEP_1)
	v_rcp_iflag_f32_e32 v13, v13
	v_nop
	v_mul_f32_e32 v13, 0x4f7ffffe, v13
	s_delay_alu instid0(VALU_DEP_1) | instskip(NEXT) | instid1(VALU_DEP_1)
	v_cvt_u32_f32_e32 v13, v13
	v_mul_lo_u32 v19, v19, v13
	s_delay_alu instid0(VALU_DEP_1) | instskip(NEXT) | instid1(VALU_DEP_1)
	v_mul_hi_u32 v19, v13, v19
	v_add_nc_u32_e32 v13, v13, v19
	s_delay_alu instid0(VALU_DEP_1) | instskip(NEXT) | instid1(VALU_DEP_1)
	v_mul_hi_u32 v13, v18, v13
	v_mul_lo_u32 v13, v13, v20
	s_delay_alu instid0(VALU_DEP_1) | instskip(NEXT) | instid1(VALU_DEP_1)
	v_sub_nc_u32_e32 v13, v18, v13
	v_sub_nc_u32_e32 v18, v13, v20
	v_cmp_ge_u32_e32 vcc_lo, v13, v20
	s_delay_alu instid0(VALU_DEP_2) | instskip(NEXT) | instid1(VALU_DEP_1)
	v_cndmask_b32_e32 v13, v13, v18, vcc_lo
	v_sub_nc_u32_e32 v18, v13, v20
	v_cmp_ge_u32_e32 vcc_lo, v13, v20
	s_delay_alu instid0(VALU_DEP_2)
	v_cndmask_b32_e32 v22, v13, v18, vcc_lo
	s_branch .LBB68_27
.LBB68_32:
	s_or_b32 exec_lo, exec_lo, s6
	v_mov_b64_e32 v[18:19], v[20:21]
.LBB68_33:
	s_or_b32 exec_lo, exec_lo, s3
	v_mov_b64_e32 v[12:13], 0
	s_mov_b32 s3, exec_lo
	s_delay_alu instid0(VALU_DEP_2)
	v_cmpx_ne_u64_e32 0, v[18:19]
	s_cbranch_execz .LBB68_39
; %bb.34:
	v_dual_mov_b32 v12, 0 :: v_dual_bitop2_b32 v13, v17, v19 bitop3:0x54
                                        ; implicit-def: $vgpr20_vgpr21
	s_mov_b32 s1, exec_lo
	s_delay_alu instid0(VALU_DEP_1)
	v_cmpx_ne_u64_e32 0, v[12:13]
	s_xor_b32 s6, exec_lo, s1
	s_cbranch_execz .LBB68_36
; %bb.35:
	v_dual_mov_b32 v23, v12 :: v_dual_ashrrev_i32 v20, 31, v19
	v_dual_mov_b32 v33, v12 :: v_dual_mov_b32 v35, v12
	s_delay_alu instid0(VALU_DEP_2) | instskip(NEXT) | instid1(VALU_DEP_1)
	v_mov_b32_e32 v21, v20
	v_add_nc_u64_e32 v[18:19], v[18:19], v[20:21]
	s_delay_alu instid0(VALU_DEP_1) | instskip(NEXT) | instid1(VALU_DEP_2)
	v_xor_b32_e32 v18, v18, v20
	v_xor_b32_e32 v19, v19, v20
	s_delay_alu instid0(VALU_DEP_2) | instskip(NEXT) | instid1(VALU_DEP_2)
	v_cvt_f32_u32_e32 v13, v18
	v_cvt_f32_u32_e32 v21, v19
	s_delay_alu instid0(VALU_DEP_1) | instskip(NEXT) | instid1(VALU_DEP_1)
	v_fmamk_f32 v13, v21, 0x4f800000, v13
	v_rcp_f32_e32 v13, v13
	v_nop
	s_delay_alu instid0(TRANS32_DEP_1) | instskip(NEXT) | instid1(VALU_DEP_1)
	v_mul_f32_e32 v13, 0x5f7ffffc, v13
	v_mul_f32_e32 v21, 0x2f800000, v13
	s_delay_alu instid0(VALU_DEP_1) | instskip(NEXT) | instid1(VALU_DEP_1)
	v_trunc_f32_e32 v21, v21
	v_fmamk_f32 v13, v21, 0xcf800000, v13
	v_cvt_u32_f32_e32 v29, v21
	s_delay_alu instid0(VALU_DEP_2) | instskip(NEXT) | instid1(VALU_DEP_1)
	v_cvt_u32_f32_e32 v22, v13
	v_dual_mov_b32 v34, v29 :: v_dual_mov_b32 v28, v22
	v_sub_nc_u64_e32 v[24:25], 0, v[18:19]
	s_delay_alu instid0(VALU_DEP_1) | instskip(NEXT) | instid1(VALU_DEP_1)
	v_mul_u64_e32 v[30:31], v[24:25], v[28:29]
	v_dual_mov_b32 v32, v31 :: v_dual_mov_b32 v31, v12
	s_delay_alu instid0(VALU_DEP_1) | instskip(NEXT) | instid1(VALU_DEP_2)
	v_mul_u64_e32 v[36:37], v[22:23], v[32:33]
	v_mul_u64_e32 v[38:39], v[34:35], v[30:31]
	;; [unrolled: 1-line block ×3, first 2 shown]
	v_mul_hi_u32 v30, v22, v30
	s_delay_alu instid0(VALU_DEP_1) | instskip(SKIP_1) | instid1(VALU_DEP_2)
	v_add_nc_u64_e32 v[30:31], v[30:31], v[36:37]
	v_ashrrev_i32_e32 v36, 31, v17
	v_add_co_u32 v13, vcc_lo, v30, v38
	s_delay_alu instid0(VALU_DEP_3) | instskip(SKIP_1) | instid1(VALU_DEP_1)
	v_add_co_ci_u32_e32 v34, vcc_lo, v31, v39, vcc_lo
	v_add_co_ci_u32_e32 v33, vcc_lo, 0, v33, vcc_lo
	v_add_nc_u64_e32 v[30:31], v[34:35], v[32:33]
	s_delay_alu instid0(VALU_DEP_1) | instskip(NEXT) | instid1(VALU_DEP_1)
	v_add_co_u32 v22, vcc_lo, v22, v30
	v_add_co_ci_u32_e64 v28, null, v29, v31, vcc_lo
	v_dual_mov_b32 v29, v12 :: v_dual_mov_b32 v31, v12
	s_delay_alu instid0(VALU_DEP_2) | instskip(NEXT) | instid1(VALU_DEP_1)
	v_mov_b32_e32 v23, v28
	v_mul_u64_e32 v[24:25], v[24:25], v[22:23]
	s_delay_alu instid0(VALU_DEP_1) | instskip(NEXT) | instid1(VALU_DEP_2)
	v_dual_mov_b32 v23, v12 :: v_dual_mov_b32 v30, v25
	v_dual_mov_b32 v34, v24 :: v_dual_mov_b32 v25, v12
	v_mul_hi_u32 v24, v22, v24
	s_delay_alu instid0(VALU_DEP_3) | instskip(NEXT) | instid1(VALU_DEP_3)
	v_mul_u64_e32 v[32:33], v[22:23], v[30:31]
	v_mul_u64_e32 v[34:35], v[28:29], v[34:35]
	;; [unrolled: 1-line block ×3, first 2 shown]
	s_delay_alu instid0(VALU_DEP_3) | instskip(SKIP_1) | instid1(VALU_DEP_2)
	v_add_nc_u64_e32 v[24:25], v[24:25], v[32:33]
	v_dual_mov_b32 v33, v12 :: v_dual_mov_b32 v37, v36
	v_add_co_u32 v13, vcc_lo, v24, v34
	s_delay_alu instid0(VALU_DEP_3) | instskip(SKIP_2) | instid1(VALU_DEP_2)
	v_add_co_ci_u32_e32 v32, vcc_lo, v25, v35, vcc_lo
	v_add_co_ci_u32_e32 v31, vcc_lo, 0, v31, vcc_lo
	v_mov_b32_e32 v13, v12
	v_add_nc_u64_e32 v[24:25], v[32:33], v[30:31]
	v_mov_b32_e32 v31, v12
	v_add_nc_u64_e32 v[16:17], v[16:17], v[36:37]
	s_delay_alu instid0(VALU_DEP_3) | instskip(NEXT) | instid1(VALU_DEP_2)
	v_add_co_u32 v24, vcc_lo, v22, v24
	v_xor_b32_e32 v30, v16, v36
	v_add_co_ci_u32_e64 v22, null, v28, v25, vcc_lo
	s_delay_alu instid0(VALU_DEP_4) | instskip(NEXT) | instid1(VALU_DEP_2)
	v_dual_mov_b32 v25, v12 :: v_dual_bitop2_b32 v28, v17, v36 bitop3:0x14
	v_mul_u64_e32 v[32:33], v[30:31], v[22:23]
	s_delay_alu instid0(VALU_DEP_2) | instskip(SKIP_2) | instid1(VALU_DEP_1)
	v_mul_u64_e32 v[16:17], v[28:29], v[24:25]
	v_mul_u64_e32 v[22:23], v[28:29], v[22:23]
	v_mul_hi_u32 v24, v30, v24
	v_add_nc_u64_e32 v[24:25], v[24:25], v[32:33]
	s_delay_alu instid0(VALU_DEP_1) | instskip(NEXT) | instid1(VALU_DEP_2)
	v_add_co_u32 v12, vcc_lo, v24, v16
	v_add_co_ci_u32_e32 v12, vcc_lo, v25, v17, vcc_lo
	v_add_co_ci_u32_e32 v23, vcc_lo, 0, v23, vcc_lo
	s_delay_alu instid0(VALU_DEP_1) | instskip(NEXT) | instid1(VALU_DEP_1)
	v_add_nc_u64_e32 v[12:13], v[12:13], v[22:23]
	v_mul_u64_e32 v[16:17], v[18:19], v[12:13]
	s_delay_alu instid0(VALU_DEP_1) | instskip(NEXT) | instid1(VALU_DEP_2)
	v_sub_nc_u32_e32 v21, v28, v17
	v_sub_co_u32 v16, vcc_lo, v30, v16
	s_delay_alu instid0(VALU_DEP_1) | instskip(NEXT) | instid1(VALU_DEP_3)
	v_sub_co_ci_u32_e64 v24, null, v28, v17, vcc_lo
	v_sub_co_ci_u32_e64 v21, null, v21, v19, vcc_lo
	s_delay_alu instid0(VALU_DEP_3) | instskip(NEXT) | instid1(VALU_DEP_1)
	v_sub_co_u32 v22, s1, v16, v18
	v_subrev_co_ci_u32_e64 v21, null, 0, v21, s1
	s_delay_alu instid0(VALU_DEP_2) | instskip(SKIP_1) | instid1(VALU_DEP_3)
	v_cmp_ge_u32_e32 vcc_lo, v22, v18
	v_cndmask_b32_e64 v17, 0, -1, vcc_lo
	v_cmp_ge_u32_e32 vcc_lo, v21, v19
	v_cndmask_b32_e64 v22, 0, -1, vcc_lo
	;; [unrolled: 2-line block ×4, first 2 shown]
	v_cmp_eq_u32_e32 vcc_lo, v21, v19
	v_cndmask_b32_e32 v21, v22, v17, vcc_lo
	v_cmp_eq_u32_e32 vcc_lo, v24, v19
	v_add_nc_u64_e32 v[16:17], 2, v[12:13]
	v_add_nc_u64_e32 v[22:23], 1, v[12:13]
	v_cndmask_b32_e32 v18, v25, v18, vcc_lo
	v_cmp_ne_u32_e32 vcc_lo, 0, v21
	s_delay_alu instid0(VALU_DEP_2) | instskip(NEXT) | instid1(VALU_DEP_4)
	v_cmp_ne_u32_e64 s1, 0, v18
	v_dual_cndmask_b32 v17, v23, v17 :: v_dual_cndmask_b32 v18, v22, v16
	s_delay_alu instid0(VALU_DEP_1) | instskip(NEXT) | instid1(VALU_DEP_2)
	v_dual_cndmask_b32 v13, v13, v17, s1 :: v_dual_bitop2_b32 v16, v36, v20 bitop3:0x14
	v_cndmask_b32_e64 v12, v12, v18, s1
	s_delay_alu instid0(VALU_DEP_2) | instskip(NEXT) | instid1(VALU_DEP_3)
	v_mov_b32_e32 v17, v16
                                        ; implicit-def: $vgpr18_vgpr19
	v_xor_b32_e32 v13, v13, v16
	s_delay_alu instid0(VALU_DEP_3) | instskip(NEXT) | instid1(VALU_DEP_1)
	v_xor_b32_e32 v12, v12, v16
	v_sub_nc_u64_e32 v[20:21], v[12:13], v[16:17]
                                        ; implicit-def: $vgpr16_vgpr17
.LBB68_36:
	s_and_not1_saveexec_b32 s1, s6
	s_cbranch_execz .LBB68_38
; %bb.37:
	v_cvt_f32_u32_e32 v12, v18
	v_dual_sub_nc_u32 v13, 0, v18 :: v_dual_mov_b32 v21, 0
	s_delay_alu instid0(VALU_DEP_2) | instskip(SKIP_1) | instid1(TRANS32_DEP_1)
	v_rcp_iflag_f32_e32 v12, v12
	v_nop
	v_mul_f32_e32 v12, 0x4f7ffffe, v12
	s_delay_alu instid0(VALU_DEP_1) | instskip(NEXT) | instid1(VALU_DEP_1)
	v_cvt_u32_f32_e32 v12, v12
	v_mul_lo_u32 v13, v13, v12
	s_delay_alu instid0(VALU_DEP_1) | instskip(NEXT) | instid1(VALU_DEP_1)
	v_mul_hi_u32 v13, v12, v13
	v_add_nc_u32_e32 v12, v12, v13
	s_delay_alu instid0(VALU_DEP_1) | instskip(NEXT) | instid1(VALU_DEP_1)
	v_mul_hi_u32 v12, v16, v12
	v_mul_lo_u32 v13, v12, v18
	s_delay_alu instid0(VALU_DEP_1) | instskip(NEXT) | instid1(VALU_DEP_1)
	v_dual_sub_nc_u32 v13, v16, v13 :: v_dual_add_nc_u32 v16, 1, v12
	v_sub_nc_u32_e32 v17, v13, v18
	v_cmp_ge_u32_e32 vcc_lo, v13, v18
	s_delay_alu instid0(VALU_DEP_2) | instskip(NEXT) | instid1(VALU_DEP_1)
	v_dual_cndmask_b32 v13, v13, v17 :: v_dual_cndmask_b32 v12, v12, v16
	v_cmp_ge_u32_e32 vcc_lo, v13, v18
	s_delay_alu instid0(VALU_DEP_2) | instskip(NEXT) | instid1(VALU_DEP_1)
	v_add_nc_u32_e32 v16, 1, v12
	v_cndmask_b32_e32 v20, v12, v16, vcc_lo
.LBB68_38:
	s_or_b32 exec_lo, exec_lo, s1
	s_delay_alu instid0(VALU_DEP_1) | instskip(NEXT) | instid1(VALU_DEP_1)
	v_mul_u64_e32 v[12:13], v[20:21], v[14:15]
	v_sub_nc_u64_e32 v[14:15], 0, v[12:13]
	s_delay_alu instid0(VALU_DEP_1)
	v_max_i64 v[12:13], v[12:13], v[14:15]
.LBB68_39:
	s_or_b32 exec_lo, exec_lo, s3
.LBB68_40:
	s_delay_alu instid0(SALU_CYCLE_1) | instskip(SKIP_2) | instid1(VALU_DEP_1)
	s_or_b32 exec_lo, exec_lo, s2
	s_wait_loadcnt 0x0
	v_or_b32_e32 v14, 0x200, v0
	v_cmp_gt_i32_e32 vcc_lo, s9, v14
                                        ; implicit-def: $vgpr14_vgpr15
	s_and_saveexec_b32 s2, vcc_lo
	s_cbranch_execz .LBB68_56
; %bb.41:
	v_sub_nc_u64_e32 v[14:15], 0, v[8:9]
	s_mov_b32 s3, exec_lo
	s_delay_alu instid0(VALU_DEP_1)
	v_max_i64 v[16:17], v[8:9], v[14:15]
	v_cmpx_ne_u64_e32 0, v[10:11]
	s_cbranch_execz .LBB68_49
; %bb.42:
	v_sub_nc_u64_e32 v[14:15], 0, v[10:11]
	s_mov_b32 s6, 0
	s_delay_alu instid0(VALU_DEP_1)
	v_max_i64 v[20:21], v[10:11], v[14:15]
	v_mov_b32_e32 v14, 0
	s_branch .LBB68_44
.LBB68_43:                              ;   in Loop: Header=BB68_44 Depth=1
	s_or_b32 exec_lo, exec_lo, s1
	s_delay_alu instid0(VALU_DEP_1) | instskip(SKIP_2) | instid1(SALU_CYCLE_1)
	v_cmp_eq_u64_e32 vcc_lo, 0, v[20:21]
	v_mov_b64_e32 v[16:17], v[18:19]
	s_or_b32 s6, vcc_lo, s6
	s_and_not1_b32 exec_lo, exec_lo, s6
	s_cbranch_execz .LBB68_48
.LBB68_44:                              ; =>This Inner Loop Header: Depth=1
	s_delay_alu instid0(VALU_DEP_2) | instskip(SKIP_1) | instid1(VALU_DEP_1)
	v_mov_b64_e32 v[18:19], v[20:21]
                                        ; implicit-def: $vgpr20_vgpr21
	s_mov_b32 s1, exec_lo
	v_or_b32_e32 v15, v17, v19
	s_delay_alu instid0(VALU_DEP_1)
	v_cmpx_ne_u64_e32 0, v[14:15]
	s_xor_b32 s7, exec_lo, s1
	s_cbranch_execz .LBB68_46
; %bb.45:                               ;   in Loop: Header=BB68_44 Depth=1
	s_delay_alu instid0(VALU_DEP_3) | instskip(SKIP_3) | instid1(VALU_DEP_3)
	v_cvt_f32_u32_e32 v15, v18
	v_cvt_f32_u32_e32 v20, v19
	v_sub_nc_u64_e32 v[22:23], 0, v[18:19]
	v_dual_mov_b32 v31, v14 :: v_dual_mov_b32 v33, v14
	v_fmac_f32_e32 v15, 0x4f800000, v20
	s_delay_alu instid0(VALU_DEP_1) | instskip(SKIP_1) | instid1(TRANS32_DEP_1)
	v_rcp_f32_e32 v15, v15
	v_nop
	v_mul_f32_e32 v15, 0x5f7ffffc, v15
	s_delay_alu instid0(VALU_DEP_1) | instskip(NEXT) | instid1(VALU_DEP_1)
	v_mul_f32_e32 v20, 0x2f800000, v15
	v_trunc_f32_e32 v21, v20
	s_delay_alu instid0(VALU_DEP_1) | instskip(SKIP_1) | instid1(VALU_DEP_2)
	v_cvt_u32_f32_e32 v25, v21
	v_fmac_f32_e32 v15, 0xcf800000, v21
	v_dual_mov_b32 v21, v14 :: v_dual_mov_b32 v32, v25
	s_delay_alu instid0(VALU_DEP_2) | instskip(NEXT) | instid1(VALU_DEP_1)
	v_cvt_u32_f32_e32 v20, v15
	v_mov_b32_e32 v24, v20
	s_delay_alu instid0(VALU_DEP_1) | instskip(NEXT) | instid1(VALU_DEP_1)
	v_mul_u64_e32 v[28:29], v[22:23], v[24:25]
	v_dual_mov_b32 v30, v29 :: v_dual_mov_b32 v29, v14
	s_delay_alu instid0(VALU_DEP_1) | instskip(NEXT) | instid1(VALU_DEP_2)
	v_mul_u64_e32 v[34:35], v[20:21], v[30:31]
	v_mul_u64_e32 v[36:37], v[32:33], v[28:29]
	;; [unrolled: 1-line block ×3, first 2 shown]
	v_mul_hi_u32 v28, v20, v28
	s_delay_alu instid0(VALU_DEP_1) | instskip(NEXT) | instid1(VALU_DEP_1)
	v_add_nc_u64_e32 v[28:29], v[28:29], v[34:35]
	v_add_co_u32 v15, vcc_lo, v28, v36
	s_delay_alu instid0(VALU_DEP_2) | instskip(SKIP_1) | instid1(VALU_DEP_1)
	v_add_co_ci_u32_e32 v32, vcc_lo, v29, v37, vcc_lo
	v_add_co_ci_u32_e32 v31, vcc_lo, 0, v31, vcc_lo
	v_add_nc_u64_e32 v[28:29], v[32:33], v[30:31]
	s_delay_alu instid0(VALU_DEP_1) | instskip(NEXT) | instid1(VALU_DEP_1)
	v_add_co_u32 v20, vcc_lo, v20, v28
	v_add_co_ci_u32_e64 v24, null, v25, v29, vcc_lo
	v_dual_mov_b32 v29, v14 :: v_dual_mov_b32 v25, v14
	s_delay_alu instid0(VALU_DEP_2) | instskip(NEXT) | instid1(VALU_DEP_1)
	v_mov_b32_e32 v21, v24
	v_mul_u64_e32 v[22:23], v[22:23], v[20:21]
	s_delay_alu instid0(VALU_DEP_1) | instskip(NEXT) | instid1(VALU_DEP_2)
	v_dual_mov_b32 v21, v14 :: v_dual_mov_b32 v28, v23
	v_dual_mov_b32 v32, v22 :: v_dual_mov_b32 v23, v14
	v_mul_hi_u32 v22, v20, v22
	s_delay_alu instid0(VALU_DEP_3) | instskip(NEXT) | instid1(VALU_DEP_3)
	v_mul_u64_e32 v[30:31], v[20:21], v[28:29]
	v_mul_u64_e32 v[32:33], v[24:25], v[32:33]
	;; [unrolled: 1-line block ×3, first 2 shown]
	s_delay_alu instid0(VALU_DEP_3) | instskip(SKIP_1) | instid1(VALU_DEP_2)
	v_add_nc_u64_e32 v[22:23], v[22:23], v[30:31]
	v_mov_b32_e32 v31, v14
	v_add_co_u32 v15, vcc_lo, v22, v32
	s_delay_alu instid0(VALU_DEP_3) | instskip(SKIP_1) | instid1(VALU_DEP_1)
	v_add_co_ci_u32_e32 v30, vcc_lo, v23, v33, vcc_lo
	v_add_co_ci_u32_e32 v29, vcc_lo, 0, v29, vcc_lo
	v_add_nc_u64_e32 v[22:23], v[30:31], v[28:29]
	v_dual_mov_b32 v28, v16 :: v_dual_mov_b32 v29, v14
	s_delay_alu instid0(VALU_DEP_2) | instskip(NEXT) | instid1(VALU_DEP_1)
	v_add_co_u32 v22, vcc_lo, v20, v22
	v_add_co_ci_u32_e64 v20, null, v24, v23, vcc_lo
	v_dual_mov_b32 v24, v17 :: v_dual_mov_b32 v23, v14
	s_delay_alu instid0(VALU_DEP_2) | instskip(NEXT) | instid1(VALU_DEP_2)
	v_mul_u64_e32 v[28:29], v[28:29], v[20:21]
	v_mul_u64_e32 v[20:21], v[24:25], v[20:21]
	s_delay_alu instid0(VALU_DEP_3) | instskip(SKIP_1) | instid1(VALU_DEP_1)
	v_mul_u64_e32 v[30:31], v[24:25], v[22:23]
	v_mul_hi_u32 v22, v16, v22
	v_add_nc_u64_e32 v[22:23], v[22:23], v[28:29]
	s_delay_alu instid0(VALU_DEP_1) | instskip(NEXT) | instid1(VALU_DEP_2)
	v_add_co_u32 v15, vcc_lo, v22, v30
	v_add_co_ci_u32_e32 v24, vcc_lo, v23, v31, vcc_lo
	v_add_co_ci_u32_e32 v21, vcc_lo, 0, v21, vcc_lo
	s_delay_alu instid0(VALU_DEP_1) | instskip(NEXT) | instid1(VALU_DEP_1)
	v_add_nc_u64_e32 v[20:21], v[24:25], v[20:21]
	v_mul_u64_e32 v[20:21], v[18:19], v[20:21]
	s_delay_alu instid0(VALU_DEP_1) | instskip(NEXT) | instid1(VALU_DEP_2)
	v_sub_nc_u32_e32 v15, v17, v21
	v_sub_co_u32 v16, vcc_lo, v16, v20
	s_delay_alu instid0(VALU_DEP_1) | instskip(NEXT) | instid1(VALU_DEP_3)
	v_sub_co_ci_u32_e64 v17, null, v17, v21, vcc_lo
	v_sub_co_ci_u32_e64 v15, null, v15, v19, vcc_lo
	s_delay_alu instid0(VALU_DEP_3) | instskip(SKIP_1) | instid1(VALU_DEP_3)
	v_sub_co_u32 v20, vcc_lo, v16, v18
	v_cmp_ge_u32_e64 s1, v16, v18
	v_subrev_co_ci_u32_e64 v21, null, 0, v15, vcc_lo
	v_sub_co_ci_u32_e64 v15, null, v15, v19, vcc_lo
	s_delay_alu instid0(VALU_DEP_3) | instskip(SKIP_2) | instid1(VALU_DEP_2)
	v_cndmask_b32_e64 v22, 0, -1, s1
	v_cmp_ge_u32_e64 s1, v20, v18
	v_cmp_ge_u32_e32 vcc_lo, v17, v19
	v_cndmask_b32_e64 v23, 0, -1, s1
	v_cmp_ge_u32_e64 s1, v21, v19
	v_cndmask_b32_e64 v25, 0, -1, vcc_lo
	v_cmp_eq_u32_e32 vcc_lo, v21, v19
	s_delay_alu instid0(VALU_DEP_3) | instskip(SKIP_1) | instid1(VALU_DEP_1)
	v_cndmask_b32_e64 v24, 0, -1, s1
	v_cmp_eq_u32_e64 s1, v17, v19
	v_dual_cndmask_b32 v23, v24, v23, vcc_lo :: v_dual_cndmask_b32 v22, v25, v22, s1
	v_sub_co_u32 v24, vcc_lo, v20, v18
	s_delay_alu instid0(VALU_DEP_1) | instskip(NEXT) | instid1(VALU_DEP_3)
	v_subrev_co_ci_u32_e64 v15, null, 0, v15, vcc_lo
	v_cmp_ne_u32_e32 vcc_lo, 0, v23
	s_delay_alu instid0(VALU_DEP_2) | instskip(SKIP_1) | instid1(VALU_DEP_2)
	v_dual_cndmask_b32 v15, v21, v15 :: v_dual_cndmask_b32 v20, v20, v24
	v_cmp_ne_u32_e32 vcc_lo, 0, v22
	v_dual_cndmask_b32 v21, v17, v15 :: v_dual_cndmask_b32 v20, v16, v20
                                        ; implicit-def: $vgpr16_vgpr17
.LBB68_46:                              ;   in Loop: Header=BB68_44 Depth=1
	s_and_not1_saveexec_b32 s1, s7
	s_cbranch_execz .LBB68_43
; %bb.47:                               ;   in Loop: Header=BB68_44 Depth=1
	v_cvt_f32_u32_e32 v15, v18
	v_dual_sub_nc_u32 v17, 0, v18 :: v_dual_mov_b32 v21, v14
	s_delay_alu instid0(VALU_DEP_2) | instskip(SKIP_1) | instid1(TRANS32_DEP_1)
	v_rcp_iflag_f32_e32 v15, v15
	v_nop
	v_mul_f32_e32 v15, 0x4f7ffffe, v15
	s_delay_alu instid0(VALU_DEP_1) | instskip(NEXT) | instid1(VALU_DEP_1)
	v_cvt_u32_f32_e32 v15, v15
	v_mul_lo_u32 v17, v17, v15
	s_delay_alu instid0(VALU_DEP_1) | instskip(NEXT) | instid1(VALU_DEP_1)
	v_mul_hi_u32 v17, v15, v17
	v_add_nc_u32_e32 v15, v15, v17
	s_delay_alu instid0(VALU_DEP_1) | instskip(NEXT) | instid1(VALU_DEP_1)
	v_mul_hi_u32 v15, v16, v15
	v_mul_lo_u32 v15, v15, v18
	s_delay_alu instid0(VALU_DEP_1) | instskip(NEXT) | instid1(VALU_DEP_1)
	v_sub_nc_u32_e32 v15, v16, v15
	v_sub_nc_u32_e32 v16, v15, v18
	v_cmp_ge_u32_e32 vcc_lo, v15, v18
	s_delay_alu instid0(VALU_DEP_2) | instskip(NEXT) | instid1(VALU_DEP_1)
	v_cndmask_b32_e32 v15, v15, v16, vcc_lo
	v_sub_nc_u32_e32 v16, v15, v18
	v_cmp_ge_u32_e32 vcc_lo, v15, v18
	s_delay_alu instid0(VALU_DEP_2)
	v_cndmask_b32_e32 v20, v15, v16, vcc_lo
	s_branch .LBB68_43
.LBB68_48:
	s_or_b32 exec_lo, exec_lo, s6
	v_mov_b64_e32 v[16:17], v[18:19]
.LBB68_49:
	s_or_b32 exec_lo, exec_lo, s3
	v_mov_b64_e32 v[14:15], 0
	s_mov_b32 s3, exec_lo
	s_delay_alu instid0(VALU_DEP_2)
	v_cmpx_ne_u64_e32 0, v[16:17]
	s_cbranch_execz .LBB68_55
; %bb.50:
	v_dual_mov_b32 v14, 0 :: v_dual_bitop2_b32 v15, v11, v17 bitop3:0x54
                                        ; implicit-def: $vgpr18_vgpr19
	s_mov_b32 s1, exec_lo
	s_delay_alu instid0(VALU_DEP_1)
	v_cmpx_ne_u64_e32 0, v[14:15]
	s_xor_b32 s6, exec_lo, s1
	s_cbranch_execz .LBB68_52
; %bb.51:
	v_dual_mov_b32 v21, v14 :: v_dual_ashrrev_i32 v18, 31, v17
	v_dual_mov_b32 v31, v14 :: v_dual_mov_b32 v33, v14
	s_delay_alu instid0(VALU_DEP_2) | instskip(NEXT) | instid1(VALU_DEP_1)
	v_mov_b32_e32 v19, v18
	v_add_nc_u64_e32 v[16:17], v[16:17], v[18:19]
	s_delay_alu instid0(VALU_DEP_1) | instskip(NEXT) | instid1(VALU_DEP_2)
	v_xor_b32_e32 v16, v16, v18
	v_xor_b32_e32 v17, v17, v18
	s_delay_alu instid0(VALU_DEP_2) | instskip(NEXT) | instid1(VALU_DEP_2)
	v_cvt_f32_u32_e32 v15, v16
	v_cvt_f32_u32_e32 v19, v17
	s_delay_alu instid0(VALU_DEP_1) | instskip(NEXT) | instid1(VALU_DEP_1)
	v_fmamk_f32 v15, v19, 0x4f800000, v15
	v_rcp_f32_e32 v15, v15
	v_nop
	s_delay_alu instid0(TRANS32_DEP_1) | instskip(NEXT) | instid1(VALU_DEP_1)
	v_mul_f32_e32 v15, 0x5f7ffffc, v15
	v_mul_f32_e32 v19, 0x2f800000, v15
	s_delay_alu instid0(VALU_DEP_1) | instskip(NEXT) | instid1(VALU_DEP_1)
	v_trunc_f32_e32 v19, v19
	v_fmamk_f32 v15, v19, 0xcf800000, v15
	v_cvt_u32_f32_e32 v25, v19
	s_delay_alu instid0(VALU_DEP_2) | instskip(NEXT) | instid1(VALU_DEP_1)
	v_cvt_u32_f32_e32 v20, v15
	v_dual_mov_b32 v32, v25 :: v_dual_mov_b32 v24, v20
	v_sub_nc_u64_e32 v[22:23], 0, v[16:17]
	s_delay_alu instid0(VALU_DEP_1) | instskip(NEXT) | instid1(VALU_DEP_1)
	v_mul_u64_e32 v[28:29], v[22:23], v[24:25]
	v_dual_mov_b32 v30, v29 :: v_dual_mov_b32 v29, v14
	s_delay_alu instid0(VALU_DEP_1) | instskip(NEXT) | instid1(VALU_DEP_2)
	v_mul_u64_e32 v[34:35], v[20:21], v[30:31]
	v_mul_u64_e32 v[36:37], v[32:33], v[28:29]
	;; [unrolled: 1-line block ×3, first 2 shown]
	v_mul_hi_u32 v28, v20, v28
	s_delay_alu instid0(VALU_DEP_1) | instskip(SKIP_1) | instid1(VALU_DEP_2)
	v_add_nc_u64_e32 v[28:29], v[28:29], v[34:35]
	v_ashrrev_i32_e32 v34, 31, v11
	v_add_co_u32 v15, vcc_lo, v28, v36
	s_delay_alu instid0(VALU_DEP_3) | instskip(SKIP_1) | instid1(VALU_DEP_1)
	v_add_co_ci_u32_e32 v32, vcc_lo, v29, v37, vcc_lo
	v_add_co_ci_u32_e32 v31, vcc_lo, 0, v31, vcc_lo
	v_add_nc_u64_e32 v[28:29], v[32:33], v[30:31]
	s_delay_alu instid0(VALU_DEP_1) | instskip(NEXT) | instid1(VALU_DEP_1)
	v_add_co_u32 v20, vcc_lo, v20, v28
	v_add_co_ci_u32_e64 v24, null, v25, v29, vcc_lo
	v_dual_mov_b32 v25, v14 :: v_dual_mov_b32 v29, v14
	s_delay_alu instid0(VALU_DEP_2) | instskip(NEXT) | instid1(VALU_DEP_1)
	v_mov_b32_e32 v21, v24
	v_mul_u64_e32 v[22:23], v[22:23], v[20:21]
	s_delay_alu instid0(VALU_DEP_1) | instskip(NEXT) | instid1(VALU_DEP_2)
	v_dual_mov_b32 v21, v14 :: v_dual_mov_b32 v28, v23
	v_dual_mov_b32 v32, v22 :: v_dual_mov_b32 v23, v14
	v_mul_hi_u32 v22, v20, v22
	s_delay_alu instid0(VALU_DEP_3) | instskip(NEXT) | instid1(VALU_DEP_3)
	v_mul_u64_e32 v[30:31], v[20:21], v[28:29]
	v_mul_u64_e32 v[32:33], v[24:25], v[32:33]
	;; [unrolled: 1-line block ×3, first 2 shown]
	s_delay_alu instid0(VALU_DEP_3) | instskip(SKIP_1) | instid1(VALU_DEP_2)
	v_add_nc_u64_e32 v[22:23], v[22:23], v[30:31]
	v_dual_mov_b32 v31, v14 :: v_dual_mov_b32 v35, v34
	v_add_co_u32 v15, vcc_lo, v22, v32
	s_delay_alu instid0(VALU_DEP_3) | instskip(SKIP_2) | instid1(VALU_DEP_2)
	v_add_co_ci_u32_e32 v30, vcc_lo, v23, v33, vcc_lo
	v_add_co_ci_u32_e32 v29, vcc_lo, 0, v29, vcc_lo
	v_mov_b32_e32 v15, v14
	v_add_nc_u64_e32 v[22:23], v[30:31], v[28:29]
	v_mov_b32_e32 v29, v14
	v_add_nc_u64_e32 v[10:11], v[10:11], v[34:35]
	s_delay_alu instid0(VALU_DEP_3) | instskip(NEXT) | instid1(VALU_DEP_1)
	v_add_co_u32 v22, vcc_lo, v20, v22
	v_add_co_ci_u32_e64 v20, null, v24, v23, vcc_lo
	s_delay_alu instid0(VALU_DEP_3) | instskip(NEXT) | instid1(VALU_DEP_4)
	v_dual_mov_b32 v23, v14 :: v_dual_bitop2_b32 v24, v11, v34 bitop3:0x14
	v_xor_b32_e32 v28, v10, v34
	s_delay_alu instid0(VALU_DEP_2) | instskip(NEXT) | instid1(VALU_DEP_2)
	v_mul_u64_e32 v[10:11], v[24:25], v[22:23]
	v_mul_u64_e32 v[30:31], v[28:29], v[20:21]
	;; [unrolled: 1-line block ×3, first 2 shown]
	v_mul_hi_u32 v22, v28, v22
	s_delay_alu instid0(VALU_DEP_1) | instskip(NEXT) | instid1(VALU_DEP_1)
	v_add_nc_u64_e32 v[22:23], v[22:23], v[30:31]
	v_add_co_u32 v10, vcc_lo, v22, v10
	s_delay_alu instid0(VALU_DEP_2) | instskip(SKIP_1) | instid1(VALU_DEP_1)
	v_add_co_ci_u32_e32 v14, vcc_lo, v23, v11, vcc_lo
	v_add_co_ci_u32_e32 v21, vcc_lo, 0, v21, vcc_lo
	v_add_nc_u64_e32 v[10:11], v[14:15], v[20:21]
	s_delay_alu instid0(VALU_DEP_1) | instskip(NEXT) | instid1(VALU_DEP_1)
	v_mul_u64_e32 v[14:15], v[16:17], v[10:11]
	v_sub_nc_u32_e32 v19, v24, v15
	s_delay_alu instid0(VALU_DEP_2) | instskip(NEXT) | instid1(VALU_DEP_1)
	v_sub_co_u32 v14, vcc_lo, v28, v14
	v_sub_co_ci_u32_e64 v22, null, v24, v15, vcc_lo
	s_delay_alu instid0(VALU_DEP_3) | instskip(NEXT) | instid1(VALU_DEP_3)
	v_sub_co_ci_u32_e64 v19, null, v19, v17, vcc_lo
	v_sub_co_u32 v20, s1, v14, v16
	s_delay_alu instid0(VALU_DEP_1) | instskip(NEXT) | instid1(VALU_DEP_2)
	v_subrev_co_ci_u32_e64 v19, null, 0, v19, s1
	v_cmp_ge_u32_e32 vcc_lo, v20, v16
	v_cndmask_b32_e64 v15, 0, -1, vcc_lo
	s_delay_alu instid0(VALU_DEP_3)
	v_cmp_ge_u32_e32 vcc_lo, v19, v17
	v_cndmask_b32_e64 v20, 0, -1, vcc_lo
	v_cmp_ge_u32_e32 vcc_lo, v14, v16
	v_cndmask_b32_e64 v16, 0, -1, vcc_lo
	;; [unrolled: 2-line block ×3, first 2 shown]
	v_cmp_eq_u32_e32 vcc_lo, v19, v17
	v_cndmask_b32_e32 v19, v20, v15, vcc_lo
	v_cmp_eq_u32_e32 vcc_lo, v22, v17
	v_add_nc_u64_e32 v[14:15], 2, v[10:11]
	v_add_nc_u64_e32 v[20:21], 1, v[10:11]
	v_cndmask_b32_e32 v16, v23, v16, vcc_lo
	v_cmp_ne_u32_e32 vcc_lo, 0, v19
	s_delay_alu instid0(VALU_DEP_2) | instskip(NEXT) | instid1(VALU_DEP_4)
	v_cmp_ne_u32_e64 s1, 0, v16
	v_dual_cndmask_b32 v15, v21, v15 :: v_dual_cndmask_b32 v16, v20, v14
	s_delay_alu instid0(VALU_DEP_1) | instskip(NEXT) | instid1(VALU_DEP_2)
	v_dual_cndmask_b32 v11, v11, v15, s1 :: v_dual_bitop2_b32 v14, v34, v18 bitop3:0x14
	v_cndmask_b32_e64 v10, v10, v16, s1
	s_delay_alu instid0(VALU_DEP_2) | instskip(NEXT) | instid1(VALU_DEP_3)
	v_mov_b32_e32 v15, v14
                                        ; implicit-def: $vgpr16_vgpr17
	v_xor_b32_e32 v11, v11, v14
	s_delay_alu instid0(VALU_DEP_3) | instskip(NEXT) | instid1(VALU_DEP_1)
	v_xor_b32_e32 v10, v10, v14
	v_sub_nc_u64_e32 v[18:19], v[10:11], v[14:15]
                                        ; implicit-def: $vgpr10_vgpr11
.LBB68_52:
	s_and_not1_saveexec_b32 s1, s6
	s_cbranch_execz .LBB68_54
; %bb.53:
	v_cvt_f32_u32_e32 v11, v16
	v_dual_mov_b32 v19, 0 :: v_dual_sub_nc_u32 v14, 0, v16
	s_delay_alu instid0(VALU_DEP_2) | instskip(SKIP_1) | instid1(TRANS32_DEP_1)
	v_rcp_iflag_f32_e32 v11, v11
	v_nop
	v_mul_f32_e32 v11, 0x4f7ffffe, v11
	s_delay_alu instid0(VALU_DEP_1) | instskip(NEXT) | instid1(VALU_DEP_1)
	v_cvt_u32_f32_e32 v11, v11
	v_mul_lo_u32 v14, v14, v11
	s_delay_alu instid0(VALU_DEP_1) | instskip(NEXT) | instid1(VALU_DEP_1)
	v_mul_hi_u32 v14, v11, v14
	v_add_nc_u32_e32 v11, v11, v14
	s_delay_alu instid0(VALU_DEP_1) | instskip(NEXT) | instid1(VALU_DEP_1)
	v_mul_hi_u32 v11, v10, v11
	v_mul_lo_u32 v14, v11, v16
	s_delay_alu instid0(VALU_DEP_1) | instskip(NEXT) | instid1(VALU_DEP_1)
	v_dual_sub_nc_u32 v10, v10, v14 :: v_dual_add_nc_u32 v14, 1, v11
	v_sub_nc_u32_e32 v15, v10, v16
	v_cmp_ge_u32_e32 vcc_lo, v10, v16
	s_delay_alu instid0(VALU_DEP_2) | instskip(NEXT) | instid1(VALU_DEP_1)
	v_dual_cndmask_b32 v10, v10, v15 :: v_dual_cndmask_b32 v11, v11, v14
	v_cmp_ge_u32_e32 vcc_lo, v10, v16
	s_delay_alu instid0(VALU_DEP_2) | instskip(NEXT) | instid1(VALU_DEP_1)
	v_add_nc_u32_e32 v14, 1, v11
	v_cndmask_b32_e32 v18, v11, v14, vcc_lo
.LBB68_54:
	s_or_b32 exec_lo, exec_lo, s1
	s_delay_alu instid0(VALU_DEP_1) | instskip(NEXT) | instid1(VALU_DEP_1)
	v_mul_u64_e32 v[8:9], v[18:19], v[8:9]
	v_sub_nc_u64_e32 v[10:11], 0, v[8:9]
	s_delay_alu instid0(VALU_DEP_1)
	v_max_i64 v[14:15], v[8:9], v[10:11]
.LBB68_55:
	s_or_b32 exec_lo, exec_lo, s3
.LBB68_56:
	s_delay_alu instid0(SALU_CYCLE_1) | instskip(SKIP_2) | instid1(VALU_DEP_1)
	s_or_b32 exec_lo, exec_lo, s2
	v_or_b32_e32 v8, 0x300, v0
	s_mov_b32 s2, exec_lo
                                        ; implicit-def: $vgpr10_vgpr11
	v_cmpx_gt_i32_e64 s9, v8
	s_cbranch_execz .LBB68_64
; %bb.57:
	v_sub_nc_u64_e32 v[8:9], 0, v[2:3]
	s_mov_b32 s3, exec_lo
	s_delay_alu instid0(VALU_DEP_1)
	v_max_i64 v[8:9], v[2:3], v[8:9]
	v_cmpx_ne_u64_e32 0, v[4:5]
	s_cbranch_execz .LBB68_70
; %bb.58:
	v_sub_nc_u64_e32 v[10:11], 0, v[4:5]
	s_mov_b32 s6, 0
	s_delay_alu instid0(VALU_DEP_1)
	v_max_i64 v[18:19], v[4:5], v[10:11]
	v_mov_b32_e32 v10, 0
	s_branch .LBB68_60
.LBB68_59:                              ;   in Loop: Header=BB68_60 Depth=1
	s_or_b32 exec_lo, exec_lo, s1
	s_delay_alu instid0(VALU_DEP_1) | instskip(SKIP_2) | instid1(SALU_CYCLE_1)
	v_cmp_eq_u64_e32 vcc_lo, 0, v[18:19]
	v_mov_b64_e32 v[8:9], v[16:17]
	s_or_b32 s6, vcc_lo, s6
	s_and_not1_b32 exec_lo, exec_lo, s6
	s_cbranch_execz .LBB68_69
.LBB68_60:                              ; =>This Inner Loop Header: Depth=1
	s_delay_alu instid0(VALU_DEP_2) | instskip(SKIP_1) | instid1(VALU_DEP_1)
	v_mov_b64_e32 v[16:17], v[18:19]
                                        ; implicit-def: $vgpr18_vgpr19
	s_mov_b32 s1, exec_lo
	v_or_b32_e32 v11, v9, v17
	s_delay_alu instid0(VALU_DEP_1)
	v_cmpx_ne_u64_e32 0, v[10:11]
	s_xor_b32 s7, exec_lo, s1
	s_cbranch_execz .LBB68_62
; %bb.61:                               ;   in Loop: Header=BB68_60 Depth=1
	s_delay_alu instid0(VALU_DEP_3) | instskip(SKIP_3) | instid1(VALU_DEP_3)
	v_cvt_f32_u32_e32 v11, v16
	v_cvt_f32_u32_e32 v18, v17
	v_sub_nc_u64_e32 v[20:21], 0, v[16:17]
	v_dual_mov_b32 v29, v10 :: v_dual_mov_b32 v31, v10
	v_fmac_f32_e32 v11, 0x4f800000, v18
	s_delay_alu instid0(VALU_DEP_1) | instskip(SKIP_1) | instid1(TRANS32_DEP_1)
	v_rcp_f32_e32 v11, v11
	v_nop
	v_mul_f32_e32 v11, 0x5f7ffffc, v11
	s_delay_alu instid0(VALU_DEP_1) | instskip(NEXT) | instid1(VALU_DEP_1)
	v_mul_f32_e32 v18, 0x2f800000, v11
	v_trunc_f32_e32 v19, v18
	s_delay_alu instid0(VALU_DEP_1) | instskip(SKIP_1) | instid1(VALU_DEP_2)
	v_cvt_u32_f32_e32 v23, v19
	v_fmac_f32_e32 v11, 0xcf800000, v19
	v_dual_mov_b32 v19, v10 :: v_dual_mov_b32 v30, v23
	s_delay_alu instid0(VALU_DEP_2) | instskip(NEXT) | instid1(VALU_DEP_1)
	v_cvt_u32_f32_e32 v18, v11
	v_mov_b32_e32 v22, v18
	s_delay_alu instid0(VALU_DEP_1) | instskip(NEXT) | instid1(VALU_DEP_1)
	v_mul_u64_e32 v[24:25], v[20:21], v[22:23]
	v_dual_mov_b32 v28, v25 :: v_dual_mov_b32 v25, v10
	s_delay_alu instid0(VALU_DEP_1) | instskip(NEXT) | instid1(VALU_DEP_2)
	v_mul_u64_e32 v[32:33], v[18:19], v[28:29]
	v_mul_u64_e32 v[34:35], v[30:31], v[24:25]
	;; [unrolled: 1-line block ×3, first 2 shown]
	v_mul_hi_u32 v24, v18, v24
	s_delay_alu instid0(VALU_DEP_1) | instskip(NEXT) | instid1(VALU_DEP_1)
	v_add_nc_u64_e32 v[24:25], v[24:25], v[32:33]
	v_add_co_u32 v11, vcc_lo, v24, v34
	s_delay_alu instid0(VALU_DEP_2) | instskip(SKIP_1) | instid1(VALU_DEP_1)
	v_add_co_ci_u32_e32 v30, vcc_lo, v25, v35, vcc_lo
	v_add_co_ci_u32_e32 v29, vcc_lo, 0, v29, vcc_lo
	v_add_nc_u64_e32 v[24:25], v[30:31], v[28:29]
	s_delay_alu instid0(VALU_DEP_1) | instskip(NEXT) | instid1(VALU_DEP_1)
	v_add_co_u32 v18, vcc_lo, v18, v24
	v_add_co_ci_u32_e64 v22, null, v23, v25, vcc_lo
	v_dual_mov_b32 v25, v10 :: v_dual_mov_b32 v23, v10
	s_delay_alu instid0(VALU_DEP_2) | instskip(NEXT) | instid1(VALU_DEP_1)
	v_mov_b32_e32 v19, v22
	v_mul_u64_e32 v[20:21], v[20:21], v[18:19]
	s_delay_alu instid0(VALU_DEP_1) | instskip(NEXT) | instid1(VALU_DEP_2)
	v_dual_mov_b32 v19, v10 :: v_dual_mov_b32 v24, v21
	v_dual_mov_b32 v30, v20 :: v_dual_mov_b32 v21, v10
	v_mul_hi_u32 v20, v18, v20
	s_delay_alu instid0(VALU_DEP_3) | instskip(NEXT) | instid1(VALU_DEP_3)
	v_mul_u64_e32 v[28:29], v[18:19], v[24:25]
	v_mul_u64_e32 v[30:31], v[22:23], v[30:31]
	;; [unrolled: 1-line block ×3, first 2 shown]
	s_delay_alu instid0(VALU_DEP_3) | instskip(SKIP_1) | instid1(VALU_DEP_2)
	v_add_nc_u64_e32 v[20:21], v[20:21], v[28:29]
	v_mov_b32_e32 v29, v10
	v_add_co_u32 v11, vcc_lo, v20, v30
	s_delay_alu instid0(VALU_DEP_3) | instskip(SKIP_1) | instid1(VALU_DEP_1)
	v_add_co_ci_u32_e32 v28, vcc_lo, v21, v31, vcc_lo
	v_add_co_ci_u32_e32 v25, vcc_lo, 0, v25, vcc_lo
	v_add_nc_u64_e32 v[20:21], v[28:29], v[24:25]
	v_dual_mov_b32 v24, v8 :: v_dual_mov_b32 v25, v10
	s_delay_alu instid0(VALU_DEP_2) | instskip(NEXT) | instid1(VALU_DEP_1)
	v_add_co_u32 v20, vcc_lo, v18, v20
	v_add_co_ci_u32_e64 v18, null, v22, v21, vcc_lo
	v_dual_mov_b32 v22, v9 :: v_dual_mov_b32 v21, v10
	s_delay_alu instid0(VALU_DEP_2) | instskip(NEXT) | instid1(VALU_DEP_2)
	v_mul_u64_e32 v[24:25], v[24:25], v[18:19]
	v_mul_u64_e32 v[18:19], v[22:23], v[18:19]
	s_delay_alu instid0(VALU_DEP_3) | instskip(SKIP_1) | instid1(VALU_DEP_1)
	v_mul_u64_e32 v[28:29], v[22:23], v[20:21]
	v_mul_hi_u32 v20, v8, v20
	v_add_nc_u64_e32 v[20:21], v[20:21], v[24:25]
	s_delay_alu instid0(VALU_DEP_1) | instskip(NEXT) | instid1(VALU_DEP_2)
	v_add_co_u32 v11, vcc_lo, v20, v28
	v_add_co_ci_u32_e32 v22, vcc_lo, v21, v29, vcc_lo
	v_add_co_ci_u32_e32 v19, vcc_lo, 0, v19, vcc_lo
	s_delay_alu instid0(VALU_DEP_1) | instskip(NEXT) | instid1(VALU_DEP_1)
	v_add_nc_u64_e32 v[18:19], v[22:23], v[18:19]
	v_mul_u64_e32 v[18:19], v[16:17], v[18:19]
	s_delay_alu instid0(VALU_DEP_1) | instskip(NEXT) | instid1(VALU_DEP_2)
	v_sub_nc_u32_e32 v11, v9, v19
	v_sub_co_u32 v8, vcc_lo, v8, v18
	s_delay_alu instid0(VALU_DEP_1) | instskip(NEXT) | instid1(VALU_DEP_3)
	v_sub_co_ci_u32_e64 v9, null, v9, v19, vcc_lo
	v_sub_co_ci_u32_e64 v11, null, v11, v17, vcc_lo
	s_delay_alu instid0(VALU_DEP_3) | instskip(SKIP_1) | instid1(VALU_DEP_3)
	v_sub_co_u32 v18, vcc_lo, v8, v16
	v_cmp_ge_u32_e64 s1, v8, v16
	v_subrev_co_ci_u32_e64 v19, null, 0, v11, vcc_lo
	v_sub_co_ci_u32_e64 v11, null, v11, v17, vcc_lo
	s_delay_alu instid0(VALU_DEP_3) | instskip(SKIP_2) | instid1(VALU_DEP_2)
	v_cndmask_b32_e64 v20, 0, -1, s1
	v_cmp_ge_u32_e64 s1, v18, v16
	v_cmp_ge_u32_e32 vcc_lo, v9, v17
	v_cndmask_b32_e64 v21, 0, -1, s1
	v_cmp_ge_u32_e64 s1, v19, v17
	v_cndmask_b32_e64 v23, 0, -1, vcc_lo
	v_cmp_eq_u32_e32 vcc_lo, v19, v17
	s_delay_alu instid0(VALU_DEP_3) | instskip(SKIP_1) | instid1(VALU_DEP_1)
	v_cndmask_b32_e64 v22, 0, -1, s1
	v_cmp_eq_u32_e64 s1, v9, v17
	v_dual_cndmask_b32 v21, v22, v21, vcc_lo :: v_dual_cndmask_b32 v20, v23, v20, s1
	v_sub_co_u32 v22, vcc_lo, v18, v16
	s_delay_alu instid0(VALU_DEP_1) | instskip(NEXT) | instid1(VALU_DEP_3)
	v_subrev_co_ci_u32_e64 v11, null, 0, v11, vcc_lo
	v_cmp_ne_u32_e32 vcc_lo, 0, v21
	s_delay_alu instid0(VALU_DEP_2) | instskip(SKIP_1) | instid1(VALU_DEP_2)
	v_dual_cndmask_b32 v11, v19, v11 :: v_dual_cndmask_b32 v18, v18, v22
	v_cmp_ne_u32_e32 vcc_lo, 0, v20
	v_dual_cndmask_b32 v19, v9, v11 :: v_dual_cndmask_b32 v18, v8, v18
                                        ; implicit-def: $vgpr8_vgpr9
.LBB68_62:                              ;   in Loop: Header=BB68_60 Depth=1
	s_and_not1_saveexec_b32 s1, s7
	s_cbranch_execz .LBB68_59
; %bb.63:                               ;   in Loop: Header=BB68_60 Depth=1
	v_cvt_f32_u32_e32 v9, v16
	v_dual_sub_nc_u32 v11, 0, v16 :: v_dual_mov_b32 v19, v10
	s_delay_alu instid0(VALU_DEP_2) | instskip(SKIP_1) | instid1(TRANS32_DEP_1)
	v_rcp_iflag_f32_e32 v9, v9
	v_nop
	v_mul_f32_e32 v9, 0x4f7ffffe, v9
	s_delay_alu instid0(VALU_DEP_1) | instskip(NEXT) | instid1(VALU_DEP_1)
	v_cvt_u32_f32_e32 v9, v9
	v_mul_lo_u32 v11, v11, v9
	s_delay_alu instid0(VALU_DEP_1) | instskip(NEXT) | instid1(VALU_DEP_1)
	v_mul_hi_u32 v11, v9, v11
	v_add_nc_u32_e32 v9, v9, v11
	s_delay_alu instid0(VALU_DEP_1) | instskip(NEXT) | instid1(VALU_DEP_1)
	v_mul_hi_u32 v9, v8, v9
	v_mul_lo_u32 v9, v9, v16
	s_delay_alu instid0(VALU_DEP_1) | instskip(NEXT) | instid1(VALU_DEP_1)
	v_sub_nc_u32_e32 v8, v8, v9
	v_sub_nc_u32_e32 v9, v8, v16
	v_cmp_ge_u32_e32 vcc_lo, v8, v16
	s_delay_alu instid0(VALU_DEP_2) | instskip(NEXT) | instid1(VALU_DEP_1)
	v_cndmask_b32_e32 v8, v8, v9, vcc_lo
	v_sub_nc_u32_e32 v9, v8, v16
	v_cmp_ge_u32_e32 vcc_lo, v8, v16
	s_delay_alu instid0(VALU_DEP_2)
	v_cndmask_b32_e32 v18, v8, v9, vcc_lo
	s_branch .LBB68_59
.LBB68_64:
	s_or_b32 exec_lo, exec_lo, s2
	s_and_saveexec_b32 s1, s0
	s_delay_alu instid0(SALU_CYCLE_1)
	s_xor_b32 s0, exec_lo, s1
	s_cbranch_execz .LBB68_77
.LBB68_65:
	v_mov_b32_e32 v0, v1
	global_store_b64 v26, v[6:7], s[4:5] scale_offset
	s_wait_xcnt 0x0
	s_or_b32 exec_lo, exec_lo, s0
	s_delay_alu instid0(SALU_CYCLE_1)
	s_mov_b32 s0, exec_lo
	v_cmpx_gt_i32_e64 s9, v0
	s_cbranch_execnz .LBB68_78
.LBB68_66:
	s_or_b32 exec_lo, exec_lo, s0
	s_delay_alu instid0(SALU_CYCLE_1)
	s_mov_b32 s0, exec_lo
	v_cmpx_gt_i32_e64 s9, v0
	s_cbranch_execz .LBB68_79
.LBB68_67:
	v_add_nc_u32_e32 v1, 0x100, v0
	s_delay_alu instid0(VALU_DEP_1) | instskip(SKIP_3) | instid1(SALU_CYCLE_1)
	v_dual_add_nc_u32 v2, s8, v0 :: v_dual_mov_b32 v0, v1
	global_store_b64 v2, v[14:15], s[4:5] scale_offset
	s_wait_xcnt 0x0
	s_or_b32 exec_lo, exec_lo, s0
	s_mov_b32 s0, exec_lo
	v_cmpx_gt_i32_e64 s9, v0
	s_cbranch_execnz .LBB68_80
.LBB68_68:
	s_endpgm
.LBB68_69:
	s_or_b32 exec_lo, exec_lo, s6
	v_mov_b64_e32 v[8:9], v[16:17]
.LBB68_70:
	s_or_b32 exec_lo, exec_lo, s3
	v_mov_b64_e32 v[10:11], 0
	s_mov_b32 s3, exec_lo
	s_delay_alu instid0(VALU_DEP_2)
	v_cmpx_ne_u64_e32 0, v[8:9]
	s_cbranch_execz .LBB68_76
; %bb.71:
	v_dual_mov_b32 v10, 0 :: v_dual_bitop2_b32 v11, v5, v9 bitop3:0x54
                                        ; implicit-def: $vgpr16_vgpr17
	s_mov_b32 s1, exec_lo
	s_delay_alu instid0(VALU_DEP_1)
	v_cmpx_ne_u64_e32 0, v[10:11]
	s_xor_b32 s6, exec_lo, s1
	s_cbranch_execz .LBB68_73
; %bb.72:
	v_dual_mov_b32 v19, v10 :: v_dual_ashrrev_i32 v16, 31, v9
	v_dual_mov_b32 v29, v10 :: v_dual_mov_b32 v31, v10
	s_delay_alu instid0(VALU_DEP_2) | instskip(NEXT) | instid1(VALU_DEP_1)
	v_mov_b32_e32 v17, v16
	v_add_nc_u64_e32 v[8:9], v[8:9], v[16:17]
	s_delay_alu instid0(VALU_DEP_1) | instskip(NEXT) | instid1(VALU_DEP_2)
	v_xor_b32_e32 v8, v8, v16
	v_xor_b32_e32 v9, v9, v16
	s_delay_alu instid0(VALU_DEP_2) | instskip(NEXT) | instid1(VALU_DEP_2)
	v_cvt_f32_u32_e32 v11, v8
	v_cvt_f32_u32_e32 v17, v9
	s_delay_alu instid0(VALU_DEP_1) | instskip(NEXT) | instid1(VALU_DEP_1)
	v_fmamk_f32 v11, v17, 0x4f800000, v11
	v_rcp_f32_e32 v11, v11
	v_nop
	s_delay_alu instid0(TRANS32_DEP_1) | instskip(NEXT) | instid1(VALU_DEP_1)
	v_mul_f32_e32 v11, 0x5f7ffffc, v11
	v_mul_f32_e32 v17, 0x2f800000, v11
	s_delay_alu instid0(VALU_DEP_1) | instskip(NEXT) | instid1(VALU_DEP_1)
	v_trunc_f32_e32 v17, v17
	v_fmamk_f32 v11, v17, 0xcf800000, v11
	v_cvt_u32_f32_e32 v23, v17
	s_delay_alu instid0(VALU_DEP_2) | instskip(NEXT) | instid1(VALU_DEP_1)
	v_cvt_u32_f32_e32 v18, v11
	v_dual_mov_b32 v30, v23 :: v_dual_mov_b32 v22, v18
	v_sub_nc_u64_e32 v[20:21], 0, v[8:9]
	s_delay_alu instid0(VALU_DEP_1) | instskip(NEXT) | instid1(VALU_DEP_1)
	v_mul_u64_e32 v[24:25], v[20:21], v[22:23]
	v_dual_mov_b32 v28, v25 :: v_dual_mov_b32 v25, v10
	s_delay_alu instid0(VALU_DEP_1) | instskip(NEXT) | instid1(VALU_DEP_2)
	v_mul_u64_e32 v[32:33], v[18:19], v[28:29]
	v_mul_u64_e32 v[34:35], v[30:31], v[24:25]
	;; [unrolled: 1-line block ×3, first 2 shown]
	v_mul_hi_u32 v24, v18, v24
	s_delay_alu instid0(VALU_DEP_1) | instskip(SKIP_1) | instid1(VALU_DEP_2)
	v_add_nc_u64_e32 v[24:25], v[24:25], v[32:33]
	v_ashrrev_i32_e32 v32, 31, v5
	v_add_co_u32 v11, vcc_lo, v24, v34
	s_delay_alu instid0(VALU_DEP_3) | instskip(SKIP_1) | instid1(VALU_DEP_1)
	v_add_co_ci_u32_e32 v30, vcc_lo, v25, v35, vcc_lo
	v_add_co_ci_u32_e32 v29, vcc_lo, 0, v29, vcc_lo
	v_add_nc_u64_e32 v[24:25], v[30:31], v[28:29]
	s_delay_alu instid0(VALU_DEP_1) | instskip(NEXT) | instid1(VALU_DEP_1)
	v_add_co_u32 v18, vcc_lo, v18, v24
	v_add_co_ci_u32_e64 v22, null, v23, v25, vcc_lo
	v_dual_mov_b32 v23, v10 :: v_dual_mov_b32 v25, v10
	s_delay_alu instid0(VALU_DEP_2) | instskip(NEXT) | instid1(VALU_DEP_1)
	v_mov_b32_e32 v19, v22
	v_mul_u64_e32 v[20:21], v[20:21], v[18:19]
	s_delay_alu instid0(VALU_DEP_1) | instskip(NEXT) | instid1(VALU_DEP_2)
	v_dual_mov_b32 v19, v10 :: v_dual_mov_b32 v24, v21
	v_dual_mov_b32 v30, v20 :: v_dual_mov_b32 v21, v10
	v_mul_hi_u32 v20, v18, v20
	s_delay_alu instid0(VALU_DEP_3) | instskip(NEXT) | instid1(VALU_DEP_3)
	v_mul_u64_e32 v[28:29], v[18:19], v[24:25]
	v_mul_u64_e32 v[30:31], v[22:23], v[30:31]
	;; [unrolled: 1-line block ×3, first 2 shown]
	s_delay_alu instid0(VALU_DEP_3) | instskip(SKIP_1) | instid1(VALU_DEP_2)
	v_add_nc_u64_e32 v[20:21], v[20:21], v[28:29]
	v_dual_mov_b32 v29, v10 :: v_dual_mov_b32 v33, v32
	v_add_co_u32 v11, vcc_lo, v20, v30
	s_delay_alu instid0(VALU_DEP_3) | instskip(SKIP_2) | instid1(VALU_DEP_2)
	v_add_co_ci_u32_e32 v28, vcc_lo, v21, v31, vcc_lo
	v_add_co_ci_u32_e32 v25, vcc_lo, 0, v25, vcc_lo
	v_mov_b32_e32 v11, v10
	v_add_nc_u64_e32 v[20:21], v[28:29], v[24:25]
	v_mov_b32_e32 v25, v10
	v_add_nc_u64_e32 v[4:5], v[4:5], v[32:33]
	s_delay_alu instid0(VALU_DEP_3) | instskip(NEXT) | instid1(VALU_DEP_2)
	v_add_co_u32 v20, vcc_lo, v18, v20
	v_xor_b32_e32 v24, v4, v32
	v_add_co_ci_u32_e64 v18, null, v22, v21, vcc_lo
	s_delay_alu instid0(VALU_DEP_4) | instskip(NEXT) | instid1(VALU_DEP_2)
	v_dual_mov_b32 v21, v10 :: v_dual_bitop2_b32 v22, v5, v32 bitop3:0x14
	v_mul_u64_e32 v[28:29], v[24:25], v[18:19]
	s_delay_alu instid0(VALU_DEP_2) | instskip(SKIP_2) | instid1(VALU_DEP_1)
	v_mul_u64_e32 v[4:5], v[22:23], v[20:21]
	v_mul_u64_e32 v[18:19], v[22:23], v[18:19]
	v_mul_hi_u32 v20, v24, v20
	v_add_nc_u64_e32 v[20:21], v[20:21], v[28:29]
	s_delay_alu instid0(VALU_DEP_1) | instskip(NEXT) | instid1(VALU_DEP_2)
	v_add_co_u32 v4, vcc_lo, v20, v4
	v_add_co_ci_u32_e32 v10, vcc_lo, v21, v5, vcc_lo
	v_add_co_ci_u32_e32 v19, vcc_lo, 0, v19, vcc_lo
	s_delay_alu instid0(VALU_DEP_1) | instskip(NEXT) | instid1(VALU_DEP_1)
	v_add_nc_u64_e32 v[4:5], v[10:11], v[18:19]
	v_mul_u64_e32 v[10:11], v[8:9], v[4:5]
	s_delay_alu instid0(VALU_DEP_1) | instskip(NEXT) | instid1(VALU_DEP_2)
	v_sub_nc_u32_e32 v17, v22, v11
	v_sub_co_u32 v10, vcc_lo, v24, v10
	s_delay_alu instid0(VALU_DEP_1) | instskip(NEXT) | instid1(VALU_DEP_3)
	v_sub_co_ci_u32_e64 v20, null, v22, v11, vcc_lo
	v_sub_co_ci_u32_e64 v17, null, v17, v9, vcc_lo
	s_delay_alu instid0(VALU_DEP_3) | instskip(NEXT) | instid1(VALU_DEP_1)
	v_sub_co_u32 v18, s1, v10, v8
	v_subrev_co_ci_u32_e64 v17, null, 0, v17, s1
	s_delay_alu instid0(VALU_DEP_2) | instskip(SKIP_1) | instid1(VALU_DEP_3)
	v_cmp_ge_u32_e32 vcc_lo, v18, v8
	v_cndmask_b32_e64 v11, 0, -1, vcc_lo
	v_cmp_ge_u32_e32 vcc_lo, v17, v9
	v_cndmask_b32_e64 v18, 0, -1, vcc_lo
	v_cmp_ge_u32_e32 vcc_lo, v10, v8
	v_cndmask_b32_e64 v8, 0, -1, vcc_lo
	v_cmp_ge_u32_e32 vcc_lo, v20, v9
	v_cndmask_b32_e64 v21, 0, -1, vcc_lo
	v_cmp_eq_u32_e32 vcc_lo, v17, v9
	v_cndmask_b32_e32 v17, v18, v11, vcc_lo
	v_cmp_eq_u32_e32 vcc_lo, v20, v9
	v_add_nc_u64_e32 v[10:11], 2, v[4:5]
	v_add_nc_u64_e32 v[18:19], 1, v[4:5]
	v_cndmask_b32_e32 v8, v21, v8, vcc_lo
	v_cmp_ne_u32_e32 vcc_lo, 0, v17
	s_delay_alu instid0(VALU_DEP_2) | instskip(NEXT) | instid1(VALU_DEP_4)
	v_cmp_ne_u32_e64 s1, 0, v8
	v_dual_cndmask_b32 v9, v19, v11 :: v_dual_cndmask_b32 v10, v18, v10
	s_delay_alu instid0(VALU_DEP_1) | instskip(NEXT) | instid1(VALU_DEP_2)
	v_dual_cndmask_b32 v5, v5, v9, s1 :: v_dual_bitop2_b32 v8, v32, v16 bitop3:0x14
	v_cndmask_b32_e64 v4, v4, v10, s1
	s_delay_alu instid0(VALU_DEP_2) | instskip(NEXT) | instid1(VALU_DEP_2)
	v_dual_mov_b32 v9, v8 :: v_dual_bitop2_b32 v5, v5, v8 bitop3:0x14
	v_xor_b32_e32 v4, v4, v8
	s_delay_alu instid0(VALU_DEP_1)
	v_sub_nc_u64_e32 v[16:17], v[4:5], v[8:9]
                                        ; implicit-def: $vgpr8_vgpr9
                                        ; implicit-def: $vgpr4_vgpr5
.LBB68_73:
	s_and_not1_saveexec_b32 s1, s6
	s_cbranch_execz .LBB68_75
; %bb.74:
	v_cvt_f32_u32_e32 v5, v8
	v_dual_sub_nc_u32 v9, 0, v8 :: v_dual_mov_b32 v17, 0
	s_delay_alu instid0(VALU_DEP_2) | instskip(SKIP_1) | instid1(TRANS32_DEP_1)
	v_rcp_iflag_f32_e32 v5, v5
	v_nop
	v_mul_f32_e32 v5, 0x4f7ffffe, v5
	s_delay_alu instid0(VALU_DEP_1) | instskip(NEXT) | instid1(VALU_DEP_1)
	v_cvt_u32_f32_e32 v5, v5
	v_mul_lo_u32 v9, v9, v5
	s_delay_alu instid0(VALU_DEP_1) | instskip(NEXT) | instid1(VALU_DEP_1)
	v_mul_hi_u32 v9, v5, v9
	v_add_nc_u32_e32 v5, v5, v9
	s_delay_alu instid0(VALU_DEP_1) | instskip(NEXT) | instid1(VALU_DEP_1)
	v_mul_hi_u32 v5, v4, v5
	v_mul_lo_u32 v9, v5, v8
	s_delay_alu instid0(VALU_DEP_1) | instskip(NEXT) | instid1(VALU_DEP_1)
	v_sub_nc_u32_e32 v4, v4, v9
	v_dual_add_nc_u32 v9, 1, v5 :: v_dual_sub_nc_u32 v10, v4, v8
	v_cmp_ge_u32_e32 vcc_lo, v4, v8
	s_delay_alu instid0(VALU_DEP_2) | instskip(NEXT) | instid1(VALU_DEP_1)
	v_dual_cndmask_b32 v4, v4, v10 :: v_dual_cndmask_b32 v5, v5, v9
	v_cmp_ge_u32_e32 vcc_lo, v4, v8
	s_delay_alu instid0(VALU_DEP_2) | instskip(NEXT) | instid1(VALU_DEP_1)
	v_add_nc_u32_e32 v9, 1, v5
	v_cndmask_b32_e32 v16, v5, v9, vcc_lo
.LBB68_75:
	s_or_b32 exec_lo, exec_lo, s1
	s_delay_alu instid0(VALU_DEP_1) | instskip(NEXT) | instid1(VALU_DEP_1)
	v_mul_u64_e32 v[2:3], v[16:17], v[2:3]
	v_sub_nc_u64_e32 v[4:5], 0, v[2:3]
	s_delay_alu instid0(VALU_DEP_1)
	v_max_i64 v[10:11], v[2:3], v[4:5]
.LBB68_76:
	s_or_b32 exec_lo, exec_lo, s3
	s_delay_alu instid0(SALU_CYCLE_1) | instskip(SKIP_1) | instid1(SALU_CYCLE_1)
	s_or_b32 exec_lo, exec_lo, s2
	s_and_saveexec_b32 s1, s0
	s_xor_b32 s0, exec_lo, s1
	s_cbranch_execnz .LBB68_65
.LBB68_77:
	s_or_b32 exec_lo, exec_lo, s0
	s_delay_alu instid0(SALU_CYCLE_1)
	s_mov_b32 s0, exec_lo
	v_cmpx_gt_i32_e64 s9, v0
	s_cbranch_execz .LBB68_66
.LBB68_78:
	v_add_nc_u32_e32 v1, 0x100, v0
	s_delay_alu instid0(VALU_DEP_1) | instskip(SKIP_3) | instid1(SALU_CYCLE_1)
	v_dual_add_nc_u32 v2, s8, v0 :: v_dual_mov_b32 v0, v1
	global_store_b64 v2, v[12:13], s[4:5] scale_offset
	s_wait_xcnt 0x0
	s_or_b32 exec_lo, exec_lo, s0
	s_mov_b32 s0, exec_lo
	v_cmpx_gt_i32_e64 s9, v0
	s_cbranch_execnz .LBB68_67
.LBB68_79:
	s_or_b32 exec_lo, exec_lo, s0
	s_delay_alu instid0(SALU_CYCLE_1)
	s_mov_b32 s0, exec_lo
	v_cmpx_gt_i32_e64 s9, v0
	s_cbranch_execz .LBB68_68
.LBB68_80:
	v_add_nc_u32_e32 v0, s8, v0
	global_store_b64 v0, v[10:11], s[4:5] scale_offset
	s_endpgm
	.section	.rodata,"a",@progbits
	.p2align	6, 0x0
	.amdhsa_kernel _ZN2at6native27unrolled_elementwise_kernelIZZZNS0_15lcm_kernel_cudaERNS_18TensorIteratorBaseEENKUlvE_clEvENKUlvE2_clEvEUlllE_St5arrayIPcLm3EELi4E23TrivialOffsetCalculatorILi2EjESA_ILi1EjENS0_6memory15LoadWithoutCastENSD_16StoreWithoutCastEEEviT_T0_T2_T3_T4_T5_
		.amdhsa_group_segment_fixed_size 0
		.amdhsa_private_segment_fixed_size 0
		.amdhsa_kernarg_size 36
		.amdhsa_user_sgpr_count 2
		.amdhsa_user_sgpr_dispatch_ptr 0
		.amdhsa_user_sgpr_queue_ptr 0
		.amdhsa_user_sgpr_kernarg_segment_ptr 1
		.amdhsa_user_sgpr_dispatch_id 0
		.amdhsa_user_sgpr_kernarg_preload_length 0
		.amdhsa_user_sgpr_kernarg_preload_offset 0
		.amdhsa_user_sgpr_private_segment_size 0
		.amdhsa_wavefront_size32 1
		.amdhsa_uses_dynamic_stack 0
		.amdhsa_enable_private_segment 0
		.amdhsa_system_sgpr_workgroup_id_x 1
		.amdhsa_system_sgpr_workgroup_id_y 0
		.amdhsa_system_sgpr_workgroup_id_z 0
		.amdhsa_system_sgpr_workgroup_info 0
		.amdhsa_system_vgpr_workitem_id 0
		.amdhsa_next_free_vgpr 42
		.amdhsa_next_free_sgpr 11
		.amdhsa_named_barrier_count 0
		.amdhsa_reserve_vcc 1
		.amdhsa_float_round_mode_32 0
		.amdhsa_float_round_mode_16_64 0
		.amdhsa_float_denorm_mode_32 3
		.amdhsa_float_denorm_mode_16_64 3
		.amdhsa_fp16_overflow 0
		.amdhsa_memory_ordered 1
		.amdhsa_forward_progress 1
		.amdhsa_inst_pref_size 62
		.amdhsa_round_robin_scheduling 0
		.amdhsa_exception_fp_ieee_invalid_op 0
		.amdhsa_exception_fp_denorm_src 0
		.amdhsa_exception_fp_ieee_div_zero 0
		.amdhsa_exception_fp_ieee_overflow 0
		.amdhsa_exception_fp_ieee_underflow 0
		.amdhsa_exception_fp_ieee_inexact 0
		.amdhsa_exception_int_div_zero 0
	.end_amdhsa_kernel
	.section	.text._ZN2at6native27unrolled_elementwise_kernelIZZZNS0_15lcm_kernel_cudaERNS_18TensorIteratorBaseEENKUlvE_clEvENKUlvE2_clEvEUlllE_St5arrayIPcLm3EELi4E23TrivialOffsetCalculatorILi2EjESA_ILi1EjENS0_6memory15LoadWithoutCastENSD_16StoreWithoutCastEEEviT_T0_T2_T3_T4_T5_,"axG",@progbits,_ZN2at6native27unrolled_elementwise_kernelIZZZNS0_15lcm_kernel_cudaERNS_18TensorIteratorBaseEENKUlvE_clEvENKUlvE2_clEvEUlllE_St5arrayIPcLm3EELi4E23TrivialOffsetCalculatorILi2EjESA_ILi1EjENS0_6memory15LoadWithoutCastENSD_16StoreWithoutCastEEEviT_T0_T2_T3_T4_T5_,comdat
.Lfunc_end68:
	.size	_ZN2at6native27unrolled_elementwise_kernelIZZZNS0_15lcm_kernel_cudaERNS_18TensorIteratorBaseEENKUlvE_clEvENKUlvE2_clEvEUlllE_St5arrayIPcLm3EELi4E23TrivialOffsetCalculatorILi2EjESA_ILi1EjENS0_6memory15LoadWithoutCastENSD_16StoreWithoutCastEEEviT_T0_T2_T3_T4_T5_, .Lfunc_end68-_ZN2at6native27unrolled_elementwise_kernelIZZZNS0_15lcm_kernel_cudaERNS_18TensorIteratorBaseEENKUlvE_clEvENKUlvE2_clEvEUlllE_St5arrayIPcLm3EELi4E23TrivialOffsetCalculatorILi2EjESA_ILi1EjENS0_6memory15LoadWithoutCastENSD_16StoreWithoutCastEEEviT_T0_T2_T3_T4_T5_
                                        ; -- End function
	.set _ZN2at6native27unrolled_elementwise_kernelIZZZNS0_15lcm_kernel_cudaERNS_18TensorIteratorBaseEENKUlvE_clEvENKUlvE2_clEvEUlllE_St5arrayIPcLm3EELi4E23TrivialOffsetCalculatorILi2EjESA_ILi1EjENS0_6memory15LoadWithoutCastENSD_16StoreWithoutCastEEEviT_T0_T2_T3_T4_T5_.num_vgpr, 42
	.set _ZN2at6native27unrolled_elementwise_kernelIZZZNS0_15lcm_kernel_cudaERNS_18TensorIteratorBaseEENKUlvE_clEvENKUlvE2_clEvEUlllE_St5arrayIPcLm3EELi4E23TrivialOffsetCalculatorILi2EjESA_ILi1EjENS0_6memory15LoadWithoutCastENSD_16StoreWithoutCastEEEviT_T0_T2_T3_T4_T5_.num_agpr, 0
	.set _ZN2at6native27unrolled_elementwise_kernelIZZZNS0_15lcm_kernel_cudaERNS_18TensorIteratorBaseEENKUlvE_clEvENKUlvE2_clEvEUlllE_St5arrayIPcLm3EELi4E23TrivialOffsetCalculatorILi2EjESA_ILi1EjENS0_6memory15LoadWithoutCastENSD_16StoreWithoutCastEEEviT_T0_T2_T3_T4_T5_.numbered_sgpr, 11
	.set _ZN2at6native27unrolled_elementwise_kernelIZZZNS0_15lcm_kernel_cudaERNS_18TensorIteratorBaseEENKUlvE_clEvENKUlvE2_clEvEUlllE_St5arrayIPcLm3EELi4E23TrivialOffsetCalculatorILi2EjESA_ILi1EjENS0_6memory15LoadWithoutCastENSD_16StoreWithoutCastEEEviT_T0_T2_T3_T4_T5_.num_named_barrier, 0
	.set _ZN2at6native27unrolled_elementwise_kernelIZZZNS0_15lcm_kernel_cudaERNS_18TensorIteratorBaseEENKUlvE_clEvENKUlvE2_clEvEUlllE_St5arrayIPcLm3EELi4E23TrivialOffsetCalculatorILi2EjESA_ILi1EjENS0_6memory15LoadWithoutCastENSD_16StoreWithoutCastEEEviT_T0_T2_T3_T4_T5_.private_seg_size, 0
	.set _ZN2at6native27unrolled_elementwise_kernelIZZZNS0_15lcm_kernel_cudaERNS_18TensorIteratorBaseEENKUlvE_clEvENKUlvE2_clEvEUlllE_St5arrayIPcLm3EELi4E23TrivialOffsetCalculatorILi2EjESA_ILi1EjENS0_6memory15LoadWithoutCastENSD_16StoreWithoutCastEEEviT_T0_T2_T3_T4_T5_.uses_vcc, 1
	.set _ZN2at6native27unrolled_elementwise_kernelIZZZNS0_15lcm_kernel_cudaERNS_18TensorIteratorBaseEENKUlvE_clEvENKUlvE2_clEvEUlllE_St5arrayIPcLm3EELi4E23TrivialOffsetCalculatorILi2EjESA_ILi1EjENS0_6memory15LoadWithoutCastENSD_16StoreWithoutCastEEEviT_T0_T2_T3_T4_T5_.uses_flat_scratch, 0
	.set _ZN2at6native27unrolled_elementwise_kernelIZZZNS0_15lcm_kernel_cudaERNS_18TensorIteratorBaseEENKUlvE_clEvENKUlvE2_clEvEUlllE_St5arrayIPcLm3EELi4E23TrivialOffsetCalculatorILi2EjESA_ILi1EjENS0_6memory15LoadWithoutCastENSD_16StoreWithoutCastEEEviT_T0_T2_T3_T4_T5_.has_dyn_sized_stack, 0
	.set _ZN2at6native27unrolled_elementwise_kernelIZZZNS0_15lcm_kernel_cudaERNS_18TensorIteratorBaseEENKUlvE_clEvENKUlvE2_clEvEUlllE_St5arrayIPcLm3EELi4E23TrivialOffsetCalculatorILi2EjESA_ILi1EjENS0_6memory15LoadWithoutCastENSD_16StoreWithoutCastEEEviT_T0_T2_T3_T4_T5_.has_recursion, 0
	.set _ZN2at6native27unrolled_elementwise_kernelIZZZNS0_15lcm_kernel_cudaERNS_18TensorIteratorBaseEENKUlvE_clEvENKUlvE2_clEvEUlllE_St5arrayIPcLm3EELi4E23TrivialOffsetCalculatorILi2EjESA_ILi1EjENS0_6memory15LoadWithoutCastENSD_16StoreWithoutCastEEEviT_T0_T2_T3_T4_T5_.has_indirect_call, 0
	.section	.AMDGPU.csdata,"",@progbits
; Kernel info:
; codeLenInByte = 7892
; TotalNumSgprs: 13
; NumVgprs: 42
; ScratchSize: 0
; MemoryBound: 0
; FloatMode: 240
; IeeeMode: 1
; LDSByteSize: 0 bytes/workgroup (compile time only)
; SGPRBlocks: 0
; VGPRBlocks: 2
; NumSGPRsForWavesPerEU: 13
; NumVGPRsForWavesPerEU: 42
; NamedBarCnt: 0
; Occupancy: 16
; WaveLimiterHint : 0
; COMPUTE_PGM_RSRC2:SCRATCH_EN: 0
; COMPUTE_PGM_RSRC2:USER_SGPR: 2
; COMPUTE_PGM_RSRC2:TRAP_HANDLER: 0
; COMPUTE_PGM_RSRC2:TGID_X_EN: 1
; COMPUTE_PGM_RSRC2:TGID_Y_EN: 0
; COMPUTE_PGM_RSRC2:TGID_Z_EN: 0
; COMPUTE_PGM_RSRC2:TIDIG_COMP_CNT: 0
	.section	.text._ZN2at6native32elementwise_kernel_manual_unrollILi128ELi4EZNS0_22gpu_kernel_impl_nocastIZZZNS0_15lcm_kernel_cudaERNS_18TensorIteratorBaseEENKUlvE_clEvENKUlvE2_clEvEUlllE_EEvS4_RKT_EUlibE_EEviT1_,"axG",@progbits,_ZN2at6native32elementwise_kernel_manual_unrollILi128ELi4EZNS0_22gpu_kernel_impl_nocastIZZZNS0_15lcm_kernel_cudaERNS_18TensorIteratorBaseEENKUlvE_clEvENKUlvE2_clEvEUlllE_EEvS4_RKT_EUlibE_EEviT1_,comdat
	.globl	_ZN2at6native32elementwise_kernel_manual_unrollILi128ELi4EZNS0_22gpu_kernel_impl_nocastIZZZNS0_15lcm_kernel_cudaERNS_18TensorIteratorBaseEENKUlvE_clEvENKUlvE2_clEvEUlllE_EEvS4_RKT_EUlibE_EEviT1_ ; -- Begin function _ZN2at6native32elementwise_kernel_manual_unrollILi128ELi4EZNS0_22gpu_kernel_impl_nocastIZZZNS0_15lcm_kernel_cudaERNS_18TensorIteratorBaseEENKUlvE_clEvENKUlvE2_clEvEUlllE_EEvS4_RKT_EUlibE_EEviT1_
	.p2align	8
	.type	_ZN2at6native32elementwise_kernel_manual_unrollILi128ELi4EZNS0_22gpu_kernel_impl_nocastIZZZNS0_15lcm_kernel_cudaERNS_18TensorIteratorBaseEENKUlvE_clEvENKUlvE2_clEvEUlllE_EEvS4_RKT_EUlibE_EEviT1_,@function
_ZN2at6native32elementwise_kernel_manual_unrollILi128ELi4EZNS0_22gpu_kernel_impl_nocastIZZZNS0_15lcm_kernel_cudaERNS_18TensorIteratorBaseEENKUlvE_clEvENKUlvE2_clEvEUlllE_EEvS4_RKT_EUlibE_EEviT1_: ; @_ZN2at6native32elementwise_kernel_manual_unrollILi128ELi4EZNS0_22gpu_kernel_impl_nocastIZZZNS0_15lcm_kernel_cudaERNS_18TensorIteratorBaseEENKUlvE_clEvENKUlvE2_clEvEUlllE_EEvS4_RKT_EUlibE_EEviT1_
; %bb.0:
	s_clause 0x1
	s_load_b32 s26, s[0:1], 0x8
	s_load_b32 s33, s[0:1], 0x0
	s_bfe_u32 s2, ttmp6, 0x4000c
	s_and_b32 s3, ttmp6, 15
	s_add_co_i32 s2, s2, 1
	s_getreg_b32 s4, hwreg(HW_REG_IB_STS2, 6, 4)
	s_mul_i32 s2, ttmp9, s2
	s_mov_b32 s21, 0
	s_add_co_i32 s3, s3, s2
	s_cmp_eq_u32 s4, 0
	s_cselect_b32 s2, ttmp9, s3
	s_delay_alu instid0(SALU_CYCLE_1) | instskip(SKIP_3) | instid1(VALU_DEP_1)
	v_lshl_or_b32 v0, s2, 9, v0
	s_add_nc_u64 s[2:3], s[0:1], 8
	s_wait_xcnt 0x0
	s_mov_b32 s0, exec_lo
	v_or_b32_e32 v1, 0x180, v0
	s_wait_kmcnt 0x0
	s_add_co_i32 s27, s26, -1
	s_delay_alu instid0(SALU_CYCLE_1)
	s_cmp_gt_u32 s27, 1
	s_cselect_b32 s28, -1, 0
	v_cmpx_le_i32_e64 s33, v1
	s_xor_b32 s29, exec_lo, s0
	s_cbranch_execz .LBB69_110
; %bb.1:
	s_clause 0x5
	s_load_b128 s[8:11], s[2:3], 0x4
	s_load_b64 s[0:1], s[2:3], 0x14
	s_load_b128 s[12:15], s[2:3], 0xc4
	s_load_b64 s[18:19], s[2:3], 0xd4
	s_load_b64 s[16:17], s[2:3], 0x198
	s_load_b128 s[4:7], s[2:3], 0x188
	s_cmp_lg_u32 s26, 0
	s_mov_b32 s23, s21
	s_cselect_b32 s34, -1, 0
	s_min_u32 s31, s27, 15
	s_cmp_gt_u32 s26, 1
	s_cselect_b32 s30, -1, 0
	s_wait_kmcnt 0x0
	s_mov_b32 s20, s9
	s_mov_b32 s22, s0
	s_mov_b32 s9, exec_lo
	v_cmpx_gt_i32_e64 s33, v0
	s_cbranch_execnz .LBB69_5
; %bb.2:
	s_or_b32 exec_lo, exec_lo, s9
	s_delay_alu instid0(SALU_CYCLE_1)
	s_mov_b32 s9, exec_lo
	v_cmpx_gt_i32_e64 s33, v0
	s_cbranch_execnz .LBB69_31
.LBB69_3:
	s_or_b32 exec_lo, exec_lo, s9
	s_delay_alu instid0(SALU_CYCLE_1)
	s_mov_b32 s9, exec_lo
	v_cmpx_gt_i32_e64 s33, v0
	s_cbranch_execnz .LBB69_57
.LBB69_4:
	s_or_b32 exec_lo, exec_lo, s9
	s_delay_alu instid0(SALU_CYCLE_1)
	s_mov_b32 s9, exec_lo
	v_cmpx_gt_i32_e64 s33, v0
	s_cbranch_execnz .LBB69_83
	s_branch .LBB69_109
.LBB69_5:
	s_and_not1_b32 vcc_lo, exec_lo, s28
	s_cbranch_vccnz .LBB69_11
; %bb.6:
	s_and_not1_b32 vcc_lo, exec_lo, s34
	s_cbranch_vccnz .LBB69_12
; %bb.7:
	v_dual_mov_b32 v14, 0 :: v_dual_mov_b32 v1, v0
	v_dual_mov_b32 v7, 0 :: v_dual_mov_b32 v6, 0
	s_add_co_i32 s0, s31, 1
	s_mov_b64 s[24:25], 0xffffffffffffffe8
	s_and_b32 s0, s0, 30
	s_add_nc_u64 s[24:25], s[2:3], s[24:25]
.LBB69_8:                               ; =>This Inner Loop Header: Depth=1
	s_clause 0x1
	s_load_b128 s[36:39], s[24:25], 0x1c
	s_load_b64 s[44:45], s[24:25], 0x2c
	s_add_co_i32 s0, s0, -2
	s_delay_alu instid0(SALU_CYCLE_1) | instskip(SKIP_2) | instid1(VALU_DEP_1)
	s_cmp_lg_u32 s0, 0
	s_wait_kmcnt 0x0
	v_mul_hi_u32 v2, s37, v1
	v_add_nc_u32_e32 v2, v1, v2
	s_delay_alu instid0(VALU_DEP_1) | instskip(NEXT) | instid1(VALU_DEP_1)
	v_lshrrev_b32_e32 v2, s38, v2
	v_mul_hi_u32 v3, s44, v2
	v_mul_lo_u32 v4, v2, s36
	s_clause 0x1
	s_load_b128 s[40:43], s[24:25], 0xdc
	s_load_b64 s[36:37], s[24:25], 0xec
	s_wait_xcnt 0x0
	s_add_nc_u64 s[24:25], s[24:25], 24
	s_delay_alu instid0(VALU_DEP_1) | instskip(NEXT) | instid1(VALU_DEP_1)
	v_dual_add_nc_u32 v3, v2, v3 :: v_dual_sub_nc_u32 v4, v1, v4
	v_lshrrev_b32_e32 v1, s45, v3
	s_wait_kmcnt 0x0
	s_delay_alu instid0(VALU_DEP_2) | instskip(NEXT) | instid1(VALU_DEP_2)
	v_mad_u32 v5, v4, s40, v14
	v_mul_lo_u32 v3, v1, s39
	v_mad_u32 v6, v4, s42, v6
	v_mad_u32 v4, v4, s41, v7
	s_delay_alu instid0(VALU_DEP_3) | instskip(NEXT) | instid1(VALU_DEP_1)
	v_sub_nc_u32_e32 v2, v2, v3
	v_mad_u32 v14, v2, s43, v5
	s_delay_alu instid0(VALU_DEP_4) | instskip(NEXT) | instid1(VALU_DEP_4)
	v_mad_u32 v6, v2, s37, v6
	v_mad_u32 v7, v2, s36, v4
	s_cbranch_scc1 .LBB69_8
; %bb.9:
	s_bitcmp1_b32 s31, 0
	s_cselect_b32 s0, -1, 0
	s_delay_alu instid0(SALU_CYCLE_1)
	s_and_b32 vcc_lo, exec_lo, s0
	s_cbranch_vccnz .LBB69_13
; %bb.10:
	s_clause 0x1
	s_load_b96 s[36:38], s[24:25], 0x1c
	s_load_b96 s[40:42], s[24:25], 0xdc
	s_wait_kmcnt 0x0
	v_mul_hi_u32 v2, s37, v1
	s_delay_alu instid0(VALU_DEP_1) | instskip(NEXT) | instid1(VALU_DEP_1)
	v_add_nc_u32_e32 v2, v1, v2
	v_lshrrev_b32_e32 v2, s38, v2
	s_delay_alu instid0(VALU_DEP_1) | instskip(NEXT) | instid1(VALU_DEP_1)
	v_mul_lo_u32 v2, v2, s36
	v_sub_nc_u32_e32 v1, v1, v2
	s_delay_alu instid0(VALU_DEP_1)
	v_mad_u32 v14, v1, s40, v14
	v_mad_u32 v7, v1, s41, v7
	v_mad_u32 v6, v1, s42, v6
	s_cbranch_execz .LBB69_14
	s_branch .LBB69_16
.LBB69_11:
                                        ; implicit-def: $vgpr6
                                        ; implicit-def: $vgpr7
                                        ; implicit-def: $vgpr14
	s_branch .LBB69_14
.LBB69_12:
	v_dual_mov_b32 v6, 0 :: v_dual_mov_b32 v7, 0
	v_mov_b32_e32 v14, 0
.LBB69_13:
	s_cbranch_execnz .LBB69_16
.LBB69_14:
	v_mov_b32_e32 v1, 0
	s_and_not1_b32 vcc_lo, exec_lo, s30
	s_delay_alu instid0(VALU_DEP_1) | instskip(NEXT) | instid1(VALU_DEP_1)
	v_mul_u64_e32 v[2:3], s[20:21], v[0:1]
	v_add_nc_u32_e32 v2, v0, v3
	s_delay_alu instid0(VALU_DEP_1) | instskip(NEXT) | instid1(VALU_DEP_1)
	v_lshrrev_b32_e32 v2, s10, v2
	v_mul_lo_u32 v3, v2, s8
	s_delay_alu instid0(VALU_DEP_1) | instskip(NEXT) | instid1(VALU_DEP_1)
	v_sub_nc_u32_e32 v3, v0, v3
	v_mul_lo_u32 v14, v3, s12
	v_mul_lo_u32 v6, v3, s14
	;; [unrolled: 1-line block ×3, first 2 shown]
	s_cbranch_vccnz .LBB69_16
; %bb.15:
	v_mov_b32_e32 v3, v1
	s_delay_alu instid0(VALU_DEP_1) | instskip(NEXT) | instid1(VALU_DEP_1)
	v_mul_u64_e32 v[4:5], s[22:23], v[2:3]
	v_add_nc_u32_e32 v1, v2, v5
	s_delay_alu instid0(VALU_DEP_1) | instskip(NEXT) | instid1(VALU_DEP_1)
	v_lshrrev_b32_e32 v1, s1, v1
	v_mul_lo_u32 v1, v1, s11
	s_delay_alu instid0(VALU_DEP_1) | instskip(NEXT) | instid1(VALU_DEP_1)
	v_sub_nc_u32_e32 v1, v2, v1
	v_mad_u32 v14, v1, s15, v14
	v_mad_u32 v7, v1, s18, v7
	;; [unrolled: 1-line block ×3, first 2 shown]
.LBB69_16:
	global_load_b64 v[2:3], v6, s[16:17]
	global_load_b64 v[4:5], v7, s[6:7]
	s_mov_b32 s24, exec_lo
	s_wait_loadcnt 0x1
	s_wait_xcnt 0x0
	v_sub_nc_u64_e32 v[6:7], 0, v[2:3]
	s_delay_alu instid0(VALU_DEP_1)
	v_max_i64 v[6:7], v[2:3], v[6:7]
	s_wait_loadcnt 0x0
	v_cmpx_ne_u64_e32 0, v[4:5]
	s_cbranch_execz .LBB69_24
; %bb.17:
	v_sub_nc_u64_e32 v[8:9], 0, v[4:5]
	s_mov_b32 s25, 0
	s_delay_alu instid0(VALU_DEP_1)
	v_max_i64 v[12:13], v[4:5], v[8:9]
	v_mov_b32_e32 v8, 0
	s_branch .LBB69_19
.LBB69_18:                              ;   in Loop: Header=BB69_19 Depth=1
	s_or_b32 exec_lo, exec_lo, s0
	s_delay_alu instid0(VALU_DEP_1) | instskip(SKIP_2) | instid1(SALU_CYCLE_1)
	v_cmp_eq_u64_e32 vcc_lo, 0, v[12:13]
	v_mov_b64_e32 v[6:7], v[10:11]
	s_or_b32 s25, vcc_lo, s25
	s_and_not1_b32 exec_lo, exec_lo, s25
	s_cbranch_execz .LBB69_23
.LBB69_19:                              ; =>This Inner Loop Header: Depth=1
	s_delay_alu instid0(VALU_DEP_2) | instskip(SKIP_1) | instid1(VALU_DEP_1)
	v_mov_b64_e32 v[10:11], v[12:13]
                                        ; implicit-def: $vgpr12_vgpr13
	s_mov_b32 s0, exec_lo
	v_or_b32_e32 v9, v7, v11
	s_delay_alu instid0(VALU_DEP_1)
	v_cmpx_ne_u64_e32 0, v[8:9]
	s_xor_b32 s35, exec_lo, s0
	s_cbranch_execz .LBB69_21
; %bb.20:                               ;   in Loop: Header=BB69_19 Depth=1
	s_delay_alu instid0(VALU_DEP_3) | instskip(SKIP_4) | instid1(VALU_DEP_4)
	v_cvt_f32_u32_e32 v1, v10
	v_cvt_f32_u32_e32 v9, v11
	v_sub_nc_u64_e32 v[16:17], 0, v[10:11]
	v_dual_mov_b32 v13, v8 :: v_dual_mov_b32 v23, v8
	v_mov_b32_e32 v25, v8
	v_fmac_f32_e32 v1, 0x4f800000, v9
	s_delay_alu instid0(VALU_DEP_1) | instskip(SKIP_1) | instid1(TRANS32_DEP_1)
	v_rcp_f32_e32 v1, v1
	v_nop
	v_mul_f32_e32 v1, 0x5f7ffffc, v1
	s_delay_alu instid0(VALU_DEP_1) | instskip(NEXT) | instid1(VALU_DEP_1)
	v_mul_f32_e32 v9, 0x2f800000, v1
	v_trunc_f32_e32 v9, v9
	s_delay_alu instid0(VALU_DEP_1) | instskip(SKIP_1) | instid1(VALU_DEP_2)
	v_fmac_f32_e32 v1, 0xcf800000, v9
	v_cvt_u32_f32_e32 v19, v9
	v_cvt_u32_f32_e32 v12, v1
	s_delay_alu instid0(VALU_DEP_1) | instskip(NEXT) | instid1(VALU_DEP_1)
	v_dual_mov_b32 v24, v19 :: v_dual_mov_b32 v18, v12
	v_mul_u64_e32 v[20:21], v[16:17], v[18:19]
	s_delay_alu instid0(VALU_DEP_1) | instskip(NEXT) | instid1(VALU_DEP_1)
	v_dual_mov_b32 v22, v21 :: v_dual_mov_b32 v21, v8
	v_mul_u64_e32 v[26:27], v[12:13], v[22:23]
	s_delay_alu instid0(VALU_DEP_2) | instskip(SKIP_2) | instid1(VALU_DEP_1)
	v_mul_u64_e32 v[28:29], v[24:25], v[20:21]
	v_mul_u64_e32 v[22:23], v[24:25], v[22:23]
	v_mul_hi_u32 v20, v12, v20
	v_add_nc_u64_e32 v[20:21], v[20:21], v[26:27]
	s_delay_alu instid0(VALU_DEP_1) | instskip(NEXT) | instid1(VALU_DEP_2)
	v_add_co_u32 v1, vcc_lo, v20, v28
	v_add_co_ci_u32_e32 v24, vcc_lo, v21, v29, vcc_lo
	v_add_co_ci_u32_e32 v23, vcc_lo, 0, v23, vcc_lo
	s_delay_alu instid0(VALU_DEP_1) | instskip(NEXT) | instid1(VALU_DEP_1)
	v_add_nc_u64_e32 v[20:21], v[24:25], v[22:23]
	v_add_co_u32 v12, vcc_lo, v12, v20
	s_delay_alu instid0(VALU_DEP_1) | instskip(SKIP_1) | instid1(VALU_DEP_2)
	v_add_co_ci_u32_e64 v18, null, v19, v21, vcc_lo
	v_dual_mov_b32 v21, v8 :: v_dual_mov_b32 v19, v8
	v_mov_b32_e32 v13, v18
	s_delay_alu instid0(VALU_DEP_1) | instskip(NEXT) | instid1(VALU_DEP_1)
	v_mul_u64_e32 v[16:17], v[16:17], v[12:13]
	v_dual_mov_b32 v13, v8 :: v_dual_mov_b32 v20, v17
	s_delay_alu instid0(VALU_DEP_2) | instskip(SKIP_1) | instid1(VALU_DEP_3)
	v_dual_mov_b32 v24, v16 :: v_dual_mov_b32 v17, v8
	v_mul_hi_u32 v16, v12, v16
	v_mul_u64_e32 v[22:23], v[12:13], v[20:21]
	s_delay_alu instid0(VALU_DEP_3) | instskip(SKIP_1) | instid1(VALU_DEP_3)
	v_mul_u64_e32 v[24:25], v[18:19], v[24:25]
	v_mul_u64_e32 v[20:21], v[18:19], v[20:21]
	v_add_nc_u64_e32 v[16:17], v[16:17], v[22:23]
	v_mov_b32_e32 v23, v8
	s_delay_alu instid0(VALU_DEP_2) | instskip(NEXT) | instid1(VALU_DEP_3)
	v_add_co_u32 v1, vcc_lo, v16, v24
	v_add_co_ci_u32_e32 v22, vcc_lo, v17, v25, vcc_lo
	v_add_co_ci_u32_e32 v21, vcc_lo, 0, v21, vcc_lo
	s_delay_alu instid0(VALU_DEP_1) | instskip(SKIP_1) | instid1(VALU_DEP_2)
	v_add_nc_u64_e32 v[16:17], v[22:23], v[20:21]
	v_dual_mov_b32 v20, v6 :: v_dual_mov_b32 v21, v8
	v_add_co_u32 v16, vcc_lo, v12, v16
	s_delay_alu instid0(VALU_DEP_1) | instskip(SKIP_1) | instid1(VALU_DEP_2)
	v_add_co_ci_u32_e64 v12, null, v18, v17, vcc_lo
	v_dual_mov_b32 v18, v7 :: v_dual_mov_b32 v17, v8
	v_mul_u64_e32 v[20:21], v[20:21], v[12:13]
	s_delay_alu instid0(VALU_DEP_2) | instskip(NEXT) | instid1(VALU_DEP_3)
	v_mul_u64_e32 v[12:13], v[18:19], v[12:13]
	v_mul_u64_e32 v[22:23], v[18:19], v[16:17]
	v_mul_hi_u32 v16, v6, v16
	s_delay_alu instid0(VALU_DEP_1) | instskip(NEXT) | instid1(VALU_DEP_1)
	v_add_nc_u64_e32 v[16:17], v[16:17], v[20:21]
	v_add_co_u32 v1, vcc_lo, v16, v22
	s_delay_alu instid0(VALU_DEP_2) | instskip(SKIP_1) | instid1(VALU_DEP_1)
	v_add_co_ci_u32_e32 v18, vcc_lo, v17, v23, vcc_lo
	v_add_co_ci_u32_e32 v13, vcc_lo, 0, v13, vcc_lo
	v_add_nc_u64_e32 v[12:13], v[18:19], v[12:13]
	s_delay_alu instid0(VALU_DEP_1) | instskip(NEXT) | instid1(VALU_DEP_1)
	v_mul_u64_e32 v[12:13], v[10:11], v[12:13]
	v_sub_nc_u32_e32 v1, v7, v13
	s_delay_alu instid0(VALU_DEP_2) | instskip(NEXT) | instid1(VALU_DEP_1)
	v_sub_co_u32 v6, vcc_lo, v6, v12
	v_sub_co_ci_u32_e64 v7, null, v7, v13, vcc_lo
	s_delay_alu instid0(VALU_DEP_3) | instskip(NEXT) | instid1(VALU_DEP_3)
	v_sub_co_ci_u32_e64 v1, null, v1, v11, vcc_lo
	v_sub_co_u32 v9, vcc_lo, v6, v10
	v_cmp_ge_u32_e64 s0, v6, v10
	s_delay_alu instid0(VALU_DEP_3) | instskip(SKIP_1) | instid1(VALU_DEP_3)
	v_subrev_co_ci_u32_e64 v12, null, 0, v1, vcc_lo
	v_sub_co_ci_u32_e64 v1, null, v1, v11, vcc_lo
	v_cndmask_b32_e64 v13, 0, -1, s0
	v_cmp_ge_u32_e64 s0, v9, v10
	v_cmp_ge_u32_e32 vcc_lo, v7, v11
	s_delay_alu instid0(VALU_DEP_2) | instskip(SKIP_3) | instid1(VALU_DEP_3)
	v_cndmask_b32_e64 v15, 0, -1, s0
	v_cmp_ge_u32_e64 s0, v12, v11
	v_cndmask_b32_e64 v17, 0, -1, vcc_lo
	v_cmp_eq_u32_e32 vcc_lo, v12, v11
	v_cndmask_b32_e64 v16, 0, -1, s0
	v_cmp_eq_u32_e64 s0, v7, v11
	s_delay_alu instid0(VALU_DEP_1) | instskip(SKIP_1) | instid1(VALU_DEP_1)
	v_dual_cndmask_b32 v15, v16, v15, vcc_lo :: v_dual_cndmask_b32 v13, v17, v13, s0
	v_sub_co_u32 v16, vcc_lo, v9, v10
	v_subrev_co_ci_u32_e64 v1, null, 0, v1, vcc_lo
	s_delay_alu instid0(VALU_DEP_3) | instskip(NEXT) | instid1(VALU_DEP_2)
	v_cmp_ne_u32_e32 vcc_lo, 0, v15
	v_dual_cndmask_b32 v1, v12, v1, vcc_lo :: v_dual_cndmask_b32 v9, v9, v16, vcc_lo
	v_cmp_ne_u32_e32 vcc_lo, 0, v13
	s_delay_alu instid0(VALU_DEP_2) | instskip(NEXT) | instid1(VALU_DEP_3)
	v_cndmask_b32_e32 v13, v7, v1, vcc_lo
	v_cndmask_b32_e32 v12, v6, v9, vcc_lo
                                        ; implicit-def: $vgpr6_vgpr7
.LBB69_21:                              ;   in Loop: Header=BB69_19 Depth=1
	s_and_not1_saveexec_b32 s0, s35
	s_cbranch_execz .LBB69_18
; %bb.22:                               ;   in Loop: Header=BB69_19 Depth=1
	v_cvt_f32_u32_e32 v1, v10
	v_dual_sub_nc_u32 v7, 0, v10 :: v_dual_mov_b32 v13, v8
	s_delay_alu instid0(VALU_DEP_2) | instskip(SKIP_1) | instid1(TRANS32_DEP_1)
	v_rcp_iflag_f32_e32 v1, v1
	v_nop
	v_mul_f32_e32 v1, 0x4f7ffffe, v1
	s_delay_alu instid0(VALU_DEP_1) | instskip(NEXT) | instid1(VALU_DEP_1)
	v_cvt_u32_f32_e32 v1, v1
	v_mul_lo_u32 v7, v7, v1
	s_delay_alu instid0(VALU_DEP_1) | instskip(NEXT) | instid1(VALU_DEP_1)
	v_mul_hi_u32 v7, v1, v7
	v_add_nc_u32_e32 v1, v1, v7
	s_delay_alu instid0(VALU_DEP_1) | instskip(NEXT) | instid1(VALU_DEP_1)
	v_mul_hi_u32 v1, v6, v1
	v_mul_lo_u32 v1, v1, v10
	s_delay_alu instid0(VALU_DEP_1) | instskip(NEXT) | instid1(VALU_DEP_1)
	v_sub_nc_u32_e32 v1, v6, v1
	v_sub_nc_u32_e32 v6, v1, v10
	v_cmp_ge_u32_e32 vcc_lo, v1, v10
	s_delay_alu instid0(VALU_DEP_2) | instskip(NEXT) | instid1(VALU_DEP_1)
	v_cndmask_b32_e32 v1, v1, v6, vcc_lo
	v_sub_nc_u32_e32 v6, v1, v10
	v_cmp_ge_u32_e32 vcc_lo, v1, v10
	s_delay_alu instid0(VALU_DEP_2)
	v_cndmask_b32_e32 v12, v1, v6, vcc_lo
	s_branch .LBB69_18
.LBB69_23:
	s_or_b32 exec_lo, exec_lo, s25
	v_mov_b64_e32 v[6:7], v[10:11]
.LBB69_24:
	s_or_b32 exec_lo, exec_lo, s24
	v_mov_b64_e32 v[8:9], 0
	s_mov_b32 s24, exec_lo
	s_delay_alu instid0(VALU_DEP_2)
	v_cmpx_ne_u64_e32 0, v[6:7]
	s_cbranch_execz .LBB69_30
; %bb.25:
	v_dual_mov_b32 v8, 0 :: v_dual_bitop2_b32 v9, v5, v7 bitop3:0x54
                                        ; implicit-def: $vgpr10_vgpr11
	s_mov_b32 s0, exec_lo
	s_delay_alu instid0(VALU_DEP_1)
	v_cmpx_ne_u64_e32 0, v[8:9]
	s_xor_b32 s25, exec_lo, s0
	s_cbranch_execz .LBB69_27
; %bb.26:
	v_dual_mov_b32 v13, v8 :: v_dual_ashrrev_i32 v10, 31, v7
	v_dual_mov_b32 v23, v8 :: v_dual_mov_b32 v25, v8
	s_delay_alu instid0(VALU_DEP_2) | instskip(NEXT) | instid1(VALU_DEP_1)
	v_mov_b32_e32 v11, v10
	v_add_nc_u64_e32 v[6:7], v[6:7], v[10:11]
	s_delay_alu instid0(VALU_DEP_1) | instskip(NEXT) | instid1(VALU_DEP_2)
	v_xor_b32_e32 v6, v6, v10
	v_xor_b32_e32 v7, v7, v10
	s_delay_alu instid0(VALU_DEP_2) | instskip(NEXT) | instid1(VALU_DEP_2)
	v_cvt_f32_u32_e32 v1, v6
	v_cvt_f32_u32_e32 v9, v7
	s_delay_alu instid0(VALU_DEP_1) | instskip(NEXT) | instid1(VALU_DEP_1)
	v_fmamk_f32 v1, v9, 0x4f800000, v1
	v_rcp_f32_e32 v1, v1
	v_nop
	s_delay_alu instid0(TRANS32_DEP_1) | instskip(NEXT) | instid1(VALU_DEP_1)
	v_mul_f32_e32 v1, 0x5f7ffffc, v1
	v_mul_f32_e32 v9, 0x2f800000, v1
	s_delay_alu instid0(VALU_DEP_1) | instskip(NEXT) | instid1(VALU_DEP_1)
	v_trunc_f32_e32 v9, v9
	v_fmamk_f32 v1, v9, 0xcf800000, v1
	v_cvt_u32_f32_e32 v19, v9
	s_delay_alu instid0(VALU_DEP_2) | instskip(NEXT) | instid1(VALU_DEP_1)
	v_cvt_u32_f32_e32 v12, v1
	v_dual_mov_b32 v24, v19 :: v_dual_mov_b32 v18, v12
	v_sub_nc_u64_e32 v[16:17], 0, v[6:7]
	s_delay_alu instid0(VALU_DEP_1) | instskip(NEXT) | instid1(VALU_DEP_1)
	v_mul_u64_e32 v[20:21], v[16:17], v[18:19]
	v_dual_mov_b32 v22, v21 :: v_dual_mov_b32 v21, v8
	s_delay_alu instid0(VALU_DEP_1) | instskip(NEXT) | instid1(VALU_DEP_2)
	v_mul_u64_e32 v[26:27], v[12:13], v[22:23]
	v_mul_u64_e32 v[28:29], v[24:25], v[20:21]
	;; [unrolled: 1-line block ×3, first 2 shown]
	v_mul_hi_u32 v20, v12, v20
	s_delay_alu instid0(VALU_DEP_1) | instskip(SKIP_1) | instid1(VALU_DEP_2)
	v_add_nc_u64_e32 v[20:21], v[20:21], v[26:27]
	v_ashrrev_i32_e32 v26, 31, v5
	v_add_co_u32 v1, vcc_lo, v20, v28
	s_delay_alu instid0(VALU_DEP_3) | instskip(SKIP_1) | instid1(VALU_DEP_1)
	v_add_co_ci_u32_e32 v24, vcc_lo, v21, v29, vcc_lo
	v_add_co_ci_u32_e32 v23, vcc_lo, 0, v23, vcc_lo
	v_add_nc_u64_e32 v[20:21], v[24:25], v[22:23]
	s_delay_alu instid0(VALU_DEP_1) | instskip(NEXT) | instid1(VALU_DEP_1)
	v_add_co_u32 v12, vcc_lo, v12, v20
	v_add_co_ci_u32_e64 v18, null, v19, v21, vcc_lo
	v_dual_mov_b32 v19, v8 :: v_dual_mov_b32 v21, v8
	s_delay_alu instid0(VALU_DEP_2) | instskip(NEXT) | instid1(VALU_DEP_1)
	v_mov_b32_e32 v13, v18
	v_mul_u64_e32 v[16:17], v[16:17], v[12:13]
	s_delay_alu instid0(VALU_DEP_1) | instskip(NEXT) | instid1(VALU_DEP_2)
	v_dual_mov_b32 v13, v8 :: v_dual_mov_b32 v20, v17
	v_dual_mov_b32 v24, v16 :: v_dual_mov_b32 v17, v8
	v_mul_hi_u32 v16, v12, v16
	s_delay_alu instid0(VALU_DEP_3) | instskip(NEXT) | instid1(VALU_DEP_3)
	v_mul_u64_e32 v[22:23], v[12:13], v[20:21]
	v_mul_u64_e32 v[24:25], v[18:19], v[24:25]
	;; [unrolled: 1-line block ×3, first 2 shown]
	s_delay_alu instid0(VALU_DEP_3) | instskip(SKIP_2) | instid1(VALU_DEP_3)
	v_add_nc_u64_e32 v[16:17], v[16:17], v[22:23]
	v_dual_mov_b32 v23, v8 :: v_dual_mov_b32 v27, v26
	v_mov_b32_e32 v9, v8
	v_add_co_u32 v1, vcc_lo, v16, v24
	s_delay_alu instid0(VALU_DEP_4) | instskip(SKIP_1) | instid1(VALU_DEP_1)
	v_add_co_ci_u32_e32 v22, vcc_lo, v17, v25, vcc_lo
	v_add_co_ci_u32_e32 v21, vcc_lo, 0, v21, vcc_lo
	v_add_nc_u64_e32 v[16:17], v[22:23], v[20:21]
	v_mov_b32_e32 v21, v8
	v_add_nc_u64_e32 v[4:5], v[4:5], v[26:27]
	s_delay_alu instid0(VALU_DEP_3) | instskip(NEXT) | instid1(VALU_DEP_1)
	v_add_co_u32 v16, vcc_lo, v12, v16
	v_add_co_ci_u32_e64 v12, null, v18, v17, vcc_lo
	s_delay_alu instid0(VALU_DEP_3) | instskip(NEXT) | instid1(VALU_DEP_4)
	v_dual_mov_b32 v17, v8 :: v_dual_bitop2_b32 v18, v5, v26 bitop3:0x14
	v_xor_b32_e32 v20, v4, v26
	s_delay_alu instid0(VALU_DEP_2) | instskip(NEXT) | instid1(VALU_DEP_2)
	v_mul_u64_e32 v[4:5], v[18:19], v[16:17]
	v_mul_u64_e32 v[22:23], v[20:21], v[12:13]
	;; [unrolled: 1-line block ×3, first 2 shown]
	v_mul_hi_u32 v16, v20, v16
	s_delay_alu instid0(VALU_DEP_1) | instskip(NEXT) | instid1(VALU_DEP_1)
	v_add_nc_u64_e32 v[16:17], v[16:17], v[22:23]
	v_add_co_u32 v1, vcc_lo, v16, v4
	s_delay_alu instid0(VALU_DEP_2) | instskip(SKIP_1) | instid1(VALU_DEP_1)
	v_add_co_ci_u32_e32 v8, vcc_lo, v17, v5, vcc_lo
	v_add_co_ci_u32_e32 v13, vcc_lo, 0, v13, vcc_lo
	v_add_nc_u64_e32 v[4:5], v[8:9], v[12:13]
	s_delay_alu instid0(VALU_DEP_1) | instskip(SKIP_1) | instid1(VALU_DEP_2)
	v_mul_u64_e32 v[8:9], v[6:7], v[4:5]
	v_add_nc_u64_e32 v[12:13], 1, v[4:5]
	v_sub_nc_u32_e32 v1, v18, v9
	s_delay_alu instid0(VALU_DEP_3) | instskip(NEXT) | instid1(VALU_DEP_1)
	v_sub_co_u32 v8, vcc_lo, v20, v8
	v_sub_co_ci_u32_e64 v15, null, v18, v9, vcc_lo
	s_delay_alu instid0(VALU_DEP_3) | instskip(NEXT) | instid1(VALU_DEP_3)
	v_sub_co_ci_u32_e64 v1, null, v1, v7, vcc_lo
	v_sub_co_u32 v11, s0, v8, v6
	s_delay_alu instid0(VALU_DEP_1) | instskip(NEXT) | instid1(VALU_DEP_2)
	v_subrev_co_ci_u32_e64 v1, null, 0, v1, s0
	v_cmp_ge_u32_e32 vcc_lo, v11, v6
	v_cndmask_b32_e64 v9, 0, -1, vcc_lo
	s_delay_alu instid0(VALU_DEP_3)
	v_cmp_ge_u32_e32 vcc_lo, v1, v7
	v_cndmask_b32_e64 v11, 0, -1, vcc_lo
	v_cmp_ge_u32_e32 vcc_lo, v8, v6
	v_cndmask_b32_e64 v6, 0, -1, vcc_lo
	;; [unrolled: 2-line block ×3, first 2 shown]
	v_cmp_eq_u32_e32 vcc_lo, v1, v7
	v_cndmask_b32_e32 v1, v11, v9, vcc_lo
	v_cmp_eq_u32_e32 vcc_lo, v15, v7
	v_add_nc_u64_e32 v[8:9], 2, v[4:5]
	v_cndmask_b32_e32 v6, v16, v6, vcc_lo
	s_delay_alu instid0(VALU_DEP_4) | instskip(NEXT) | instid1(VALU_DEP_2)
	v_cmp_ne_u32_e32 vcc_lo, 0, v1
	v_cmp_ne_u32_e64 s0, 0, v6
	s_delay_alu instid0(VALU_DEP_4) | instskip(NEXT) | instid1(VALU_DEP_1)
	v_dual_cndmask_b32 v1, v13, v9, vcc_lo :: v_dual_cndmask_b32 v7, v12, v8, vcc_lo
	v_dual_cndmask_b32 v1, v5, v1, s0 :: v_dual_bitop2_b32 v6, v26, v10 bitop3:0x14
	s_delay_alu instid0(VALU_DEP_1) | instskip(NEXT) | instid1(VALU_DEP_2)
	v_dual_cndmask_b32 v4, v4, v7, s0 :: v_dual_mov_b32 v7, v6
	v_xor_b32_e32 v5, v1, v6
	s_delay_alu instid0(VALU_DEP_2) | instskip(NEXT) | instid1(VALU_DEP_1)
	v_xor_b32_e32 v4, v4, v6
	v_sub_nc_u64_e32 v[10:11], v[4:5], v[6:7]
                                        ; implicit-def: $vgpr6_vgpr7
                                        ; implicit-def: $vgpr4_vgpr5
.LBB69_27:
	s_and_not1_saveexec_b32 s0, s25
	s_cbranch_execz .LBB69_29
; %bb.28:
	v_cvt_f32_u32_e32 v1, v6
	v_dual_sub_nc_u32 v5, 0, v6 :: v_dual_mov_b32 v11, 0
	s_delay_alu instid0(VALU_DEP_2) | instskip(SKIP_1) | instid1(TRANS32_DEP_1)
	v_rcp_iflag_f32_e32 v1, v1
	v_nop
	v_mul_f32_e32 v1, 0x4f7ffffe, v1
	s_delay_alu instid0(VALU_DEP_1) | instskip(NEXT) | instid1(VALU_DEP_1)
	v_cvt_u32_f32_e32 v1, v1
	v_mul_lo_u32 v5, v5, v1
	s_delay_alu instid0(VALU_DEP_1) | instskip(NEXT) | instid1(VALU_DEP_1)
	v_mul_hi_u32 v5, v1, v5
	v_add_nc_u32_e32 v1, v1, v5
	s_delay_alu instid0(VALU_DEP_1) | instskip(NEXT) | instid1(VALU_DEP_1)
	v_mul_hi_u32 v1, v4, v1
	v_mul_lo_u32 v5, v1, v6
	s_delay_alu instid0(VALU_DEP_1) | instskip(NEXT) | instid1(VALU_DEP_1)
	v_sub_nc_u32_e32 v4, v4, v5
	v_dual_add_nc_u32 v5, 1, v1 :: v_dual_sub_nc_u32 v7, v4, v6
	v_cmp_ge_u32_e32 vcc_lo, v4, v6
	s_delay_alu instid0(VALU_DEP_2) | instskip(NEXT) | instid1(VALU_DEP_1)
	v_dual_cndmask_b32 v4, v4, v7 :: v_dual_cndmask_b32 v1, v1, v5
	v_cmp_ge_u32_e32 vcc_lo, v4, v6
	s_delay_alu instid0(VALU_DEP_2) | instskip(NEXT) | instid1(VALU_DEP_1)
	v_add_nc_u32_e32 v5, 1, v1
	v_cndmask_b32_e32 v10, v1, v5, vcc_lo
.LBB69_29:
	s_or_b32 exec_lo, exec_lo, s0
	s_delay_alu instid0(VALU_DEP_1) | instskip(NEXT) | instid1(VALU_DEP_1)
	v_mul_u64_e32 v[2:3], v[10:11], v[2:3]
	v_sub_nc_u64_e32 v[4:5], 0, v[2:3]
	s_delay_alu instid0(VALU_DEP_1)
	v_max_i64 v[8:9], v[2:3], v[4:5]
.LBB69_30:
	s_or_b32 exec_lo, exec_lo, s24
	v_add_nc_u32_e32 v0, 0x80, v0
	global_store_b64 v14, v[8:9], s[4:5]
	s_wait_xcnt 0x0
	s_or_b32 exec_lo, exec_lo, s9
	s_delay_alu instid0(SALU_CYCLE_1)
	s_mov_b32 s9, exec_lo
	v_cmpx_gt_i32_e64 s33, v0
	s_cbranch_execz .LBB69_3
.LBB69_31:
	s_and_not1_b32 vcc_lo, exec_lo, s28
	s_cbranch_vccnz .LBB69_37
; %bb.32:
	s_and_not1_b32 vcc_lo, exec_lo, s34
	s_cbranch_vccnz .LBB69_38
; %bb.33:
	v_dual_mov_b32 v14, 0 :: v_dual_mov_b32 v1, v0
	v_dual_mov_b32 v7, 0 :: v_dual_mov_b32 v6, 0
	s_add_co_i32 s0, s31, 1
	s_mov_b64 s[24:25], 0xffffffffffffffe8
	s_and_b32 s0, s0, 30
	s_add_nc_u64 s[24:25], s[2:3], s[24:25]
.LBB69_34:                              ; =>This Inner Loop Header: Depth=1
	s_clause 0x1
	s_load_b128 s[36:39], s[24:25], 0x1c
	s_load_b64 s[44:45], s[24:25], 0x2c
	s_add_co_i32 s0, s0, -2
	s_delay_alu instid0(SALU_CYCLE_1) | instskip(SKIP_2) | instid1(VALU_DEP_1)
	s_cmp_eq_u32 s0, 0
	s_wait_kmcnt 0x0
	v_mul_hi_u32 v2, s37, v1
	v_add_nc_u32_e32 v2, v1, v2
	s_delay_alu instid0(VALU_DEP_1) | instskip(NEXT) | instid1(VALU_DEP_1)
	v_lshrrev_b32_e32 v2, s38, v2
	v_mul_hi_u32 v3, s44, v2
	v_mul_lo_u32 v4, v2, s36
	s_clause 0x1
	s_load_b128 s[40:43], s[24:25], 0xdc
	s_load_b64 s[36:37], s[24:25], 0xec
	s_wait_xcnt 0x0
	s_add_nc_u64 s[24:25], s[24:25], 24
	s_delay_alu instid0(VALU_DEP_1) | instskip(NEXT) | instid1(VALU_DEP_1)
	v_dual_add_nc_u32 v3, v2, v3 :: v_dual_sub_nc_u32 v4, v1, v4
	v_lshrrev_b32_e32 v1, s45, v3
	s_wait_kmcnt 0x0
	s_delay_alu instid0(VALU_DEP_2) | instskip(NEXT) | instid1(VALU_DEP_2)
	v_mad_u32 v5, v4, s40, v14
	v_mul_lo_u32 v3, v1, s39
	v_mad_u32 v6, v4, s42, v6
	v_mad_u32 v4, v4, s41, v7
	s_delay_alu instid0(VALU_DEP_3) | instskip(NEXT) | instid1(VALU_DEP_1)
	v_sub_nc_u32_e32 v2, v2, v3
	v_mad_u32 v14, v2, s43, v5
	s_delay_alu instid0(VALU_DEP_4) | instskip(NEXT) | instid1(VALU_DEP_4)
	v_mad_u32 v6, v2, s37, v6
	v_mad_u32 v7, v2, s36, v4
	s_cbranch_scc0 .LBB69_34
; %bb.35:
	s_bitcmp1_b32 s31, 0
	s_cselect_b32 s0, -1, 0
	s_delay_alu instid0(SALU_CYCLE_1)
	s_and_b32 vcc_lo, exec_lo, s0
	s_cbranch_vccnz .LBB69_39
; %bb.36:
	s_clause 0x1
	s_load_b96 s[36:38], s[24:25], 0x1c
	s_load_b96 s[40:42], s[24:25], 0xdc
	s_wait_kmcnt 0x0
	v_mul_hi_u32 v2, s37, v1
	s_delay_alu instid0(VALU_DEP_1) | instskip(NEXT) | instid1(VALU_DEP_1)
	v_add_nc_u32_e32 v2, v1, v2
	v_lshrrev_b32_e32 v2, s38, v2
	s_delay_alu instid0(VALU_DEP_1) | instskip(NEXT) | instid1(VALU_DEP_1)
	v_mul_lo_u32 v2, v2, s36
	v_sub_nc_u32_e32 v1, v1, v2
	s_delay_alu instid0(VALU_DEP_1)
	v_mad_u32 v14, v1, s40, v14
	v_mad_u32 v7, v1, s41, v7
	;; [unrolled: 1-line block ×3, first 2 shown]
	s_branch .LBB69_39
.LBB69_37:
                                        ; implicit-def: $vgpr6
                                        ; implicit-def: $vgpr7
                                        ; implicit-def: $vgpr14
	s_branch .LBB69_40
.LBB69_38:
	v_dual_mov_b32 v6, 0 :: v_dual_mov_b32 v7, 0
	v_mov_b32_e32 v14, 0
.LBB69_39:
	s_cbranch_execnz .LBB69_42
.LBB69_40:
	v_mov_b32_e32 v1, 0
	s_and_not1_b32 vcc_lo, exec_lo, s30
	s_delay_alu instid0(VALU_DEP_1) | instskip(NEXT) | instid1(VALU_DEP_1)
	v_mul_u64_e32 v[2:3], s[20:21], v[0:1]
	v_add_nc_u32_e32 v2, v0, v3
	s_delay_alu instid0(VALU_DEP_1) | instskip(NEXT) | instid1(VALU_DEP_1)
	v_lshrrev_b32_e32 v2, s10, v2
	v_mul_lo_u32 v3, v2, s8
	s_delay_alu instid0(VALU_DEP_1) | instskip(NEXT) | instid1(VALU_DEP_1)
	v_sub_nc_u32_e32 v3, v0, v3
	v_mul_lo_u32 v14, v3, s12
	v_mul_lo_u32 v6, v3, s14
	;; [unrolled: 1-line block ×3, first 2 shown]
	s_cbranch_vccnz .LBB69_42
; %bb.41:
	v_mov_b32_e32 v3, v1
	s_delay_alu instid0(VALU_DEP_1) | instskip(NEXT) | instid1(VALU_DEP_1)
	v_mul_u64_e32 v[4:5], s[22:23], v[2:3]
	v_add_nc_u32_e32 v1, v2, v5
	s_delay_alu instid0(VALU_DEP_1) | instskip(NEXT) | instid1(VALU_DEP_1)
	v_lshrrev_b32_e32 v1, s1, v1
	v_mul_lo_u32 v1, v1, s11
	s_delay_alu instid0(VALU_DEP_1) | instskip(NEXT) | instid1(VALU_DEP_1)
	v_sub_nc_u32_e32 v1, v2, v1
	v_mad_u32 v14, v1, s15, v14
	v_mad_u32 v7, v1, s18, v7
	;; [unrolled: 1-line block ×3, first 2 shown]
.LBB69_42:
	global_load_b64 v[2:3], v6, s[16:17]
	global_load_b64 v[4:5], v7, s[6:7]
	s_mov_b32 s24, exec_lo
	s_wait_loadcnt 0x1
	s_wait_xcnt 0x0
	v_sub_nc_u64_e32 v[6:7], 0, v[2:3]
	s_delay_alu instid0(VALU_DEP_1)
	v_max_i64 v[6:7], v[2:3], v[6:7]
	s_wait_loadcnt 0x0
	v_cmpx_ne_u64_e32 0, v[4:5]
	s_cbranch_execz .LBB69_50
; %bb.43:
	v_sub_nc_u64_e32 v[8:9], 0, v[4:5]
	s_mov_b32 s25, 0
	s_delay_alu instid0(VALU_DEP_1)
	v_max_i64 v[12:13], v[4:5], v[8:9]
	v_mov_b32_e32 v8, 0
	s_branch .LBB69_45
.LBB69_44:                              ;   in Loop: Header=BB69_45 Depth=1
	s_or_b32 exec_lo, exec_lo, s0
	s_delay_alu instid0(VALU_DEP_1) | instskip(SKIP_2) | instid1(SALU_CYCLE_1)
	v_cmp_eq_u64_e32 vcc_lo, 0, v[12:13]
	v_mov_b64_e32 v[6:7], v[10:11]
	s_or_b32 s25, vcc_lo, s25
	s_and_not1_b32 exec_lo, exec_lo, s25
	s_cbranch_execz .LBB69_49
.LBB69_45:                              ; =>This Inner Loop Header: Depth=1
	s_delay_alu instid0(VALU_DEP_2) | instskip(SKIP_1) | instid1(VALU_DEP_1)
	v_mov_b64_e32 v[10:11], v[12:13]
                                        ; implicit-def: $vgpr12_vgpr13
	s_mov_b32 s0, exec_lo
	v_or_b32_e32 v9, v7, v11
	s_delay_alu instid0(VALU_DEP_1)
	v_cmpx_ne_u64_e32 0, v[8:9]
	s_xor_b32 s35, exec_lo, s0
	s_cbranch_execz .LBB69_47
; %bb.46:                               ;   in Loop: Header=BB69_45 Depth=1
	s_delay_alu instid0(VALU_DEP_3) | instskip(SKIP_4) | instid1(VALU_DEP_4)
	v_cvt_f32_u32_e32 v1, v10
	v_cvt_f32_u32_e32 v9, v11
	v_sub_nc_u64_e32 v[16:17], 0, v[10:11]
	v_dual_mov_b32 v13, v8 :: v_dual_mov_b32 v23, v8
	v_mov_b32_e32 v25, v8
	v_fmac_f32_e32 v1, 0x4f800000, v9
	s_delay_alu instid0(VALU_DEP_1) | instskip(SKIP_1) | instid1(TRANS32_DEP_1)
	v_rcp_f32_e32 v1, v1
	v_nop
	v_mul_f32_e32 v1, 0x5f7ffffc, v1
	s_delay_alu instid0(VALU_DEP_1) | instskip(NEXT) | instid1(VALU_DEP_1)
	v_mul_f32_e32 v9, 0x2f800000, v1
	v_trunc_f32_e32 v9, v9
	s_delay_alu instid0(VALU_DEP_1) | instskip(SKIP_1) | instid1(VALU_DEP_2)
	v_fmac_f32_e32 v1, 0xcf800000, v9
	v_cvt_u32_f32_e32 v19, v9
	v_cvt_u32_f32_e32 v12, v1
	s_delay_alu instid0(VALU_DEP_1) | instskip(NEXT) | instid1(VALU_DEP_1)
	v_dual_mov_b32 v24, v19 :: v_dual_mov_b32 v18, v12
	v_mul_u64_e32 v[20:21], v[16:17], v[18:19]
	s_delay_alu instid0(VALU_DEP_1) | instskip(NEXT) | instid1(VALU_DEP_1)
	v_dual_mov_b32 v22, v21 :: v_dual_mov_b32 v21, v8
	v_mul_u64_e32 v[26:27], v[12:13], v[22:23]
	s_delay_alu instid0(VALU_DEP_2) | instskip(SKIP_2) | instid1(VALU_DEP_1)
	v_mul_u64_e32 v[28:29], v[24:25], v[20:21]
	v_mul_u64_e32 v[22:23], v[24:25], v[22:23]
	v_mul_hi_u32 v20, v12, v20
	v_add_nc_u64_e32 v[20:21], v[20:21], v[26:27]
	s_delay_alu instid0(VALU_DEP_1) | instskip(NEXT) | instid1(VALU_DEP_2)
	v_add_co_u32 v1, vcc_lo, v20, v28
	v_add_co_ci_u32_e32 v24, vcc_lo, v21, v29, vcc_lo
	v_add_co_ci_u32_e32 v23, vcc_lo, 0, v23, vcc_lo
	s_delay_alu instid0(VALU_DEP_1) | instskip(NEXT) | instid1(VALU_DEP_1)
	v_add_nc_u64_e32 v[20:21], v[24:25], v[22:23]
	v_add_co_u32 v12, vcc_lo, v12, v20
	s_delay_alu instid0(VALU_DEP_1) | instskip(SKIP_1) | instid1(VALU_DEP_2)
	v_add_co_ci_u32_e64 v18, null, v19, v21, vcc_lo
	v_dual_mov_b32 v21, v8 :: v_dual_mov_b32 v19, v8
	v_mov_b32_e32 v13, v18
	s_delay_alu instid0(VALU_DEP_1) | instskip(NEXT) | instid1(VALU_DEP_1)
	v_mul_u64_e32 v[16:17], v[16:17], v[12:13]
	v_dual_mov_b32 v13, v8 :: v_dual_mov_b32 v20, v17
	s_delay_alu instid0(VALU_DEP_2) | instskip(SKIP_1) | instid1(VALU_DEP_3)
	v_dual_mov_b32 v24, v16 :: v_dual_mov_b32 v17, v8
	v_mul_hi_u32 v16, v12, v16
	v_mul_u64_e32 v[22:23], v[12:13], v[20:21]
	s_delay_alu instid0(VALU_DEP_3) | instskip(SKIP_1) | instid1(VALU_DEP_3)
	v_mul_u64_e32 v[24:25], v[18:19], v[24:25]
	v_mul_u64_e32 v[20:21], v[18:19], v[20:21]
	v_add_nc_u64_e32 v[16:17], v[16:17], v[22:23]
	v_mov_b32_e32 v23, v8
	s_delay_alu instid0(VALU_DEP_2) | instskip(NEXT) | instid1(VALU_DEP_3)
	v_add_co_u32 v1, vcc_lo, v16, v24
	v_add_co_ci_u32_e32 v22, vcc_lo, v17, v25, vcc_lo
	v_add_co_ci_u32_e32 v21, vcc_lo, 0, v21, vcc_lo
	s_delay_alu instid0(VALU_DEP_1) | instskip(SKIP_1) | instid1(VALU_DEP_2)
	v_add_nc_u64_e32 v[16:17], v[22:23], v[20:21]
	v_dual_mov_b32 v20, v6 :: v_dual_mov_b32 v21, v8
	v_add_co_u32 v16, vcc_lo, v12, v16
	s_delay_alu instid0(VALU_DEP_1) | instskip(SKIP_1) | instid1(VALU_DEP_2)
	v_add_co_ci_u32_e64 v12, null, v18, v17, vcc_lo
	v_dual_mov_b32 v18, v7 :: v_dual_mov_b32 v17, v8
	v_mul_u64_e32 v[20:21], v[20:21], v[12:13]
	s_delay_alu instid0(VALU_DEP_2) | instskip(NEXT) | instid1(VALU_DEP_3)
	v_mul_u64_e32 v[12:13], v[18:19], v[12:13]
	v_mul_u64_e32 v[22:23], v[18:19], v[16:17]
	v_mul_hi_u32 v16, v6, v16
	s_delay_alu instid0(VALU_DEP_1) | instskip(NEXT) | instid1(VALU_DEP_1)
	v_add_nc_u64_e32 v[16:17], v[16:17], v[20:21]
	v_add_co_u32 v1, vcc_lo, v16, v22
	s_delay_alu instid0(VALU_DEP_2) | instskip(SKIP_1) | instid1(VALU_DEP_1)
	v_add_co_ci_u32_e32 v18, vcc_lo, v17, v23, vcc_lo
	v_add_co_ci_u32_e32 v13, vcc_lo, 0, v13, vcc_lo
	v_add_nc_u64_e32 v[12:13], v[18:19], v[12:13]
	s_delay_alu instid0(VALU_DEP_1) | instskip(NEXT) | instid1(VALU_DEP_1)
	v_mul_u64_e32 v[12:13], v[10:11], v[12:13]
	v_sub_nc_u32_e32 v1, v7, v13
	s_delay_alu instid0(VALU_DEP_2) | instskip(NEXT) | instid1(VALU_DEP_1)
	v_sub_co_u32 v6, vcc_lo, v6, v12
	v_sub_co_ci_u32_e64 v7, null, v7, v13, vcc_lo
	s_delay_alu instid0(VALU_DEP_3) | instskip(NEXT) | instid1(VALU_DEP_3)
	v_sub_co_ci_u32_e64 v1, null, v1, v11, vcc_lo
	v_sub_co_u32 v9, vcc_lo, v6, v10
	v_cmp_ge_u32_e64 s0, v6, v10
	s_delay_alu instid0(VALU_DEP_3) | instskip(SKIP_1) | instid1(VALU_DEP_3)
	v_subrev_co_ci_u32_e64 v12, null, 0, v1, vcc_lo
	v_sub_co_ci_u32_e64 v1, null, v1, v11, vcc_lo
	v_cndmask_b32_e64 v13, 0, -1, s0
	v_cmp_ge_u32_e64 s0, v9, v10
	v_cmp_ge_u32_e32 vcc_lo, v7, v11
	s_delay_alu instid0(VALU_DEP_2) | instskip(SKIP_3) | instid1(VALU_DEP_3)
	v_cndmask_b32_e64 v15, 0, -1, s0
	v_cmp_ge_u32_e64 s0, v12, v11
	v_cndmask_b32_e64 v17, 0, -1, vcc_lo
	v_cmp_eq_u32_e32 vcc_lo, v12, v11
	v_cndmask_b32_e64 v16, 0, -1, s0
	v_cmp_eq_u32_e64 s0, v7, v11
	s_delay_alu instid0(VALU_DEP_1) | instskip(SKIP_1) | instid1(VALU_DEP_1)
	v_dual_cndmask_b32 v15, v16, v15, vcc_lo :: v_dual_cndmask_b32 v13, v17, v13, s0
	v_sub_co_u32 v16, vcc_lo, v9, v10
	v_subrev_co_ci_u32_e64 v1, null, 0, v1, vcc_lo
	s_delay_alu instid0(VALU_DEP_3) | instskip(NEXT) | instid1(VALU_DEP_2)
	v_cmp_ne_u32_e32 vcc_lo, 0, v15
	v_dual_cndmask_b32 v1, v12, v1, vcc_lo :: v_dual_cndmask_b32 v9, v9, v16, vcc_lo
	v_cmp_ne_u32_e32 vcc_lo, 0, v13
	s_delay_alu instid0(VALU_DEP_2) | instskip(NEXT) | instid1(VALU_DEP_3)
	v_cndmask_b32_e32 v13, v7, v1, vcc_lo
	v_cndmask_b32_e32 v12, v6, v9, vcc_lo
                                        ; implicit-def: $vgpr6_vgpr7
.LBB69_47:                              ;   in Loop: Header=BB69_45 Depth=1
	s_and_not1_saveexec_b32 s0, s35
	s_cbranch_execz .LBB69_44
; %bb.48:                               ;   in Loop: Header=BB69_45 Depth=1
	v_cvt_f32_u32_e32 v1, v10
	v_dual_sub_nc_u32 v7, 0, v10 :: v_dual_mov_b32 v13, v8
	s_delay_alu instid0(VALU_DEP_2) | instskip(SKIP_1) | instid1(TRANS32_DEP_1)
	v_rcp_iflag_f32_e32 v1, v1
	v_nop
	v_mul_f32_e32 v1, 0x4f7ffffe, v1
	s_delay_alu instid0(VALU_DEP_1) | instskip(NEXT) | instid1(VALU_DEP_1)
	v_cvt_u32_f32_e32 v1, v1
	v_mul_lo_u32 v7, v7, v1
	s_delay_alu instid0(VALU_DEP_1) | instskip(NEXT) | instid1(VALU_DEP_1)
	v_mul_hi_u32 v7, v1, v7
	v_add_nc_u32_e32 v1, v1, v7
	s_delay_alu instid0(VALU_DEP_1) | instskip(NEXT) | instid1(VALU_DEP_1)
	v_mul_hi_u32 v1, v6, v1
	v_mul_lo_u32 v1, v1, v10
	s_delay_alu instid0(VALU_DEP_1) | instskip(NEXT) | instid1(VALU_DEP_1)
	v_sub_nc_u32_e32 v1, v6, v1
	v_sub_nc_u32_e32 v6, v1, v10
	v_cmp_ge_u32_e32 vcc_lo, v1, v10
	s_delay_alu instid0(VALU_DEP_2) | instskip(NEXT) | instid1(VALU_DEP_1)
	v_cndmask_b32_e32 v1, v1, v6, vcc_lo
	v_sub_nc_u32_e32 v6, v1, v10
	v_cmp_ge_u32_e32 vcc_lo, v1, v10
	s_delay_alu instid0(VALU_DEP_2)
	v_cndmask_b32_e32 v12, v1, v6, vcc_lo
	s_branch .LBB69_44
.LBB69_49:
	s_or_b32 exec_lo, exec_lo, s25
	v_mov_b64_e32 v[6:7], v[10:11]
.LBB69_50:
	s_or_b32 exec_lo, exec_lo, s24
	v_mov_b64_e32 v[8:9], 0
	s_mov_b32 s24, exec_lo
	s_delay_alu instid0(VALU_DEP_2)
	v_cmpx_ne_u64_e32 0, v[6:7]
	s_cbranch_execz .LBB69_56
; %bb.51:
	v_dual_mov_b32 v8, 0 :: v_dual_bitop2_b32 v9, v5, v7 bitop3:0x54
                                        ; implicit-def: $vgpr10_vgpr11
	s_mov_b32 s0, exec_lo
	s_delay_alu instid0(VALU_DEP_1)
	v_cmpx_ne_u64_e32 0, v[8:9]
	s_xor_b32 s25, exec_lo, s0
	s_cbranch_execz .LBB69_53
; %bb.52:
	v_dual_mov_b32 v13, v8 :: v_dual_ashrrev_i32 v10, 31, v7
	v_dual_mov_b32 v23, v8 :: v_dual_mov_b32 v25, v8
	s_delay_alu instid0(VALU_DEP_2) | instskip(NEXT) | instid1(VALU_DEP_1)
	v_mov_b32_e32 v11, v10
	v_add_nc_u64_e32 v[6:7], v[6:7], v[10:11]
	s_delay_alu instid0(VALU_DEP_1) | instskip(NEXT) | instid1(VALU_DEP_2)
	v_xor_b32_e32 v6, v6, v10
	v_xor_b32_e32 v7, v7, v10
	s_delay_alu instid0(VALU_DEP_2) | instskip(NEXT) | instid1(VALU_DEP_2)
	v_cvt_f32_u32_e32 v1, v6
	v_cvt_f32_u32_e32 v9, v7
	s_delay_alu instid0(VALU_DEP_1) | instskip(NEXT) | instid1(VALU_DEP_1)
	v_fmamk_f32 v1, v9, 0x4f800000, v1
	v_rcp_f32_e32 v1, v1
	v_nop
	s_delay_alu instid0(TRANS32_DEP_1) | instskip(NEXT) | instid1(VALU_DEP_1)
	v_mul_f32_e32 v1, 0x5f7ffffc, v1
	v_mul_f32_e32 v9, 0x2f800000, v1
	s_delay_alu instid0(VALU_DEP_1) | instskip(NEXT) | instid1(VALU_DEP_1)
	v_trunc_f32_e32 v9, v9
	v_fmamk_f32 v1, v9, 0xcf800000, v1
	v_cvt_u32_f32_e32 v19, v9
	s_delay_alu instid0(VALU_DEP_2) | instskip(NEXT) | instid1(VALU_DEP_1)
	v_cvt_u32_f32_e32 v12, v1
	v_dual_mov_b32 v24, v19 :: v_dual_mov_b32 v18, v12
	v_sub_nc_u64_e32 v[16:17], 0, v[6:7]
	s_delay_alu instid0(VALU_DEP_1) | instskip(NEXT) | instid1(VALU_DEP_1)
	v_mul_u64_e32 v[20:21], v[16:17], v[18:19]
	v_dual_mov_b32 v22, v21 :: v_dual_mov_b32 v21, v8
	s_delay_alu instid0(VALU_DEP_1) | instskip(NEXT) | instid1(VALU_DEP_2)
	v_mul_u64_e32 v[26:27], v[12:13], v[22:23]
	v_mul_u64_e32 v[28:29], v[24:25], v[20:21]
	;; [unrolled: 1-line block ×3, first 2 shown]
	v_mul_hi_u32 v20, v12, v20
	s_delay_alu instid0(VALU_DEP_1) | instskip(SKIP_1) | instid1(VALU_DEP_2)
	v_add_nc_u64_e32 v[20:21], v[20:21], v[26:27]
	v_ashrrev_i32_e32 v26, 31, v5
	v_add_co_u32 v1, vcc_lo, v20, v28
	s_delay_alu instid0(VALU_DEP_3) | instskip(SKIP_1) | instid1(VALU_DEP_1)
	v_add_co_ci_u32_e32 v24, vcc_lo, v21, v29, vcc_lo
	v_add_co_ci_u32_e32 v23, vcc_lo, 0, v23, vcc_lo
	v_add_nc_u64_e32 v[20:21], v[24:25], v[22:23]
	s_delay_alu instid0(VALU_DEP_1) | instskip(NEXT) | instid1(VALU_DEP_1)
	v_add_co_u32 v12, vcc_lo, v12, v20
	v_add_co_ci_u32_e64 v18, null, v19, v21, vcc_lo
	v_dual_mov_b32 v19, v8 :: v_dual_mov_b32 v21, v8
	s_delay_alu instid0(VALU_DEP_2) | instskip(NEXT) | instid1(VALU_DEP_1)
	v_mov_b32_e32 v13, v18
	v_mul_u64_e32 v[16:17], v[16:17], v[12:13]
	s_delay_alu instid0(VALU_DEP_1) | instskip(NEXT) | instid1(VALU_DEP_2)
	v_dual_mov_b32 v13, v8 :: v_dual_mov_b32 v20, v17
	v_dual_mov_b32 v24, v16 :: v_dual_mov_b32 v17, v8
	v_mul_hi_u32 v16, v12, v16
	s_delay_alu instid0(VALU_DEP_3) | instskip(NEXT) | instid1(VALU_DEP_3)
	v_mul_u64_e32 v[22:23], v[12:13], v[20:21]
	v_mul_u64_e32 v[24:25], v[18:19], v[24:25]
	;; [unrolled: 1-line block ×3, first 2 shown]
	s_delay_alu instid0(VALU_DEP_3) | instskip(SKIP_2) | instid1(VALU_DEP_3)
	v_add_nc_u64_e32 v[16:17], v[16:17], v[22:23]
	v_dual_mov_b32 v23, v8 :: v_dual_mov_b32 v27, v26
	v_mov_b32_e32 v9, v8
	v_add_co_u32 v1, vcc_lo, v16, v24
	s_delay_alu instid0(VALU_DEP_4) | instskip(SKIP_1) | instid1(VALU_DEP_1)
	v_add_co_ci_u32_e32 v22, vcc_lo, v17, v25, vcc_lo
	v_add_co_ci_u32_e32 v21, vcc_lo, 0, v21, vcc_lo
	v_add_nc_u64_e32 v[16:17], v[22:23], v[20:21]
	v_mov_b32_e32 v21, v8
	v_add_nc_u64_e32 v[4:5], v[4:5], v[26:27]
	s_delay_alu instid0(VALU_DEP_3) | instskip(NEXT) | instid1(VALU_DEP_1)
	v_add_co_u32 v16, vcc_lo, v12, v16
	v_add_co_ci_u32_e64 v12, null, v18, v17, vcc_lo
	s_delay_alu instid0(VALU_DEP_3) | instskip(NEXT) | instid1(VALU_DEP_4)
	v_dual_mov_b32 v17, v8 :: v_dual_bitop2_b32 v18, v5, v26 bitop3:0x14
	v_xor_b32_e32 v20, v4, v26
	s_delay_alu instid0(VALU_DEP_2) | instskip(NEXT) | instid1(VALU_DEP_2)
	v_mul_u64_e32 v[4:5], v[18:19], v[16:17]
	v_mul_u64_e32 v[22:23], v[20:21], v[12:13]
	;; [unrolled: 1-line block ×3, first 2 shown]
	v_mul_hi_u32 v16, v20, v16
	s_delay_alu instid0(VALU_DEP_1) | instskip(NEXT) | instid1(VALU_DEP_1)
	v_add_nc_u64_e32 v[16:17], v[16:17], v[22:23]
	v_add_co_u32 v1, vcc_lo, v16, v4
	s_delay_alu instid0(VALU_DEP_2) | instskip(SKIP_1) | instid1(VALU_DEP_1)
	v_add_co_ci_u32_e32 v8, vcc_lo, v17, v5, vcc_lo
	v_add_co_ci_u32_e32 v13, vcc_lo, 0, v13, vcc_lo
	v_add_nc_u64_e32 v[4:5], v[8:9], v[12:13]
	s_delay_alu instid0(VALU_DEP_1) | instskip(SKIP_1) | instid1(VALU_DEP_2)
	v_mul_u64_e32 v[8:9], v[6:7], v[4:5]
	v_add_nc_u64_e32 v[12:13], 1, v[4:5]
	v_sub_nc_u32_e32 v1, v18, v9
	s_delay_alu instid0(VALU_DEP_3) | instskip(NEXT) | instid1(VALU_DEP_1)
	v_sub_co_u32 v8, vcc_lo, v20, v8
	v_sub_co_ci_u32_e64 v15, null, v18, v9, vcc_lo
	s_delay_alu instid0(VALU_DEP_3) | instskip(NEXT) | instid1(VALU_DEP_3)
	v_sub_co_ci_u32_e64 v1, null, v1, v7, vcc_lo
	v_sub_co_u32 v11, s0, v8, v6
	s_delay_alu instid0(VALU_DEP_1) | instskip(NEXT) | instid1(VALU_DEP_2)
	v_subrev_co_ci_u32_e64 v1, null, 0, v1, s0
	v_cmp_ge_u32_e32 vcc_lo, v11, v6
	v_cndmask_b32_e64 v9, 0, -1, vcc_lo
	s_delay_alu instid0(VALU_DEP_3)
	v_cmp_ge_u32_e32 vcc_lo, v1, v7
	v_cndmask_b32_e64 v11, 0, -1, vcc_lo
	v_cmp_ge_u32_e32 vcc_lo, v8, v6
	v_cndmask_b32_e64 v6, 0, -1, vcc_lo
	;; [unrolled: 2-line block ×3, first 2 shown]
	v_cmp_eq_u32_e32 vcc_lo, v1, v7
	v_cndmask_b32_e32 v1, v11, v9, vcc_lo
	v_cmp_eq_u32_e32 vcc_lo, v15, v7
	v_add_nc_u64_e32 v[8:9], 2, v[4:5]
	v_cndmask_b32_e32 v6, v16, v6, vcc_lo
	s_delay_alu instid0(VALU_DEP_4) | instskip(NEXT) | instid1(VALU_DEP_2)
	v_cmp_ne_u32_e32 vcc_lo, 0, v1
	v_cmp_ne_u32_e64 s0, 0, v6
	s_delay_alu instid0(VALU_DEP_4) | instskip(NEXT) | instid1(VALU_DEP_1)
	v_dual_cndmask_b32 v1, v13, v9, vcc_lo :: v_dual_cndmask_b32 v7, v12, v8, vcc_lo
	v_dual_cndmask_b32 v1, v5, v1, s0 :: v_dual_bitop2_b32 v6, v26, v10 bitop3:0x14
	s_delay_alu instid0(VALU_DEP_1) | instskip(NEXT) | instid1(VALU_DEP_2)
	v_dual_cndmask_b32 v4, v4, v7, s0 :: v_dual_mov_b32 v7, v6
	v_xor_b32_e32 v5, v1, v6
	s_delay_alu instid0(VALU_DEP_2) | instskip(NEXT) | instid1(VALU_DEP_1)
	v_xor_b32_e32 v4, v4, v6
	v_sub_nc_u64_e32 v[10:11], v[4:5], v[6:7]
                                        ; implicit-def: $vgpr6_vgpr7
                                        ; implicit-def: $vgpr4_vgpr5
.LBB69_53:
	s_and_not1_saveexec_b32 s0, s25
	s_cbranch_execz .LBB69_55
; %bb.54:
	v_cvt_f32_u32_e32 v1, v6
	v_dual_sub_nc_u32 v5, 0, v6 :: v_dual_mov_b32 v11, 0
	s_delay_alu instid0(VALU_DEP_2) | instskip(SKIP_1) | instid1(TRANS32_DEP_1)
	v_rcp_iflag_f32_e32 v1, v1
	v_nop
	v_mul_f32_e32 v1, 0x4f7ffffe, v1
	s_delay_alu instid0(VALU_DEP_1) | instskip(NEXT) | instid1(VALU_DEP_1)
	v_cvt_u32_f32_e32 v1, v1
	v_mul_lo_u32 v5, v5, v1
	s_delay_alu instid0(VALU_DEP_1) | instskip(NEXT) | instid1(VALU_DEP_1)
	v_mul_hi_u32 v5, v1, v5
	v_add_nc_u32_e32 v1, v1, v5
	s_delay_alu instid0(VALU_DEP_1) | instskip(NEXT) | instid1(VALU_DEP_1)
	v_mul_hi_u32 v1, v4, v1
	v_mul_lo_u32 v5, v1, v6
	s_delay_alu instid0(VALU_DEP_1) | instskip(NEXT) | instid1(VALU_DEP_1)
	v_sub_nc_u32_e32 v4, v4, v5
	v_dual_add_nc_u32 v5, 1, v1 :: v_dual_sub_nc_u32 v7, v4, v6
	v_cmp_ge_u32_e32 vcc_lo, v4, v6
	s_delay_alu instid0(VALU_DEP_2) | instskip(NEXT) | instid1(VALU_DEP_1)
	v_dual_cndmask_b32 v4, v4, v7 :: v_dual_cndmask_b32 v1, v1, v5
	v_cmp_ge_u32_e32 vcc_lo, v4, v6
	s_delay_alu instid0(VALU_DEP_2) | instskip(NEXT) | instid1(VALU_DEP_1)
	v_add_nc_u32_e32 v5, 1, v1
	v_cndmask_b32_e32 v10, v1, v5, vcc_lo
.LBB69_55:
	s_or_b32 exec_lo, exec_lo, s0
	s_delay_alu instid0(VALU_DEP_1) | instskip(NEXT) | instid1(VALU_DEP_1)
	v_mul_u64_e32 v[2:3], v[10:11], v[2:3]
	v_sub_nc_u64_e32 v[4:5], 0, v[2:3]
	s_delay_alu instid0(VALU_DEP_1)
	v_max_i64 v[8:9], v[2:3], v[4:5]
.LBB69_56:
	s_or_b32 exec_lo, exec_lo, s24
	v_add_nc_u32_e32 v0, 0x80, v0
	global_store_b64 v14, v[8:9], s[4:5]
	s_wait_xcnt 0x0
	s_or_b32 exec_lo, exec_lo, s9
	s_delay_alu instid0(SALU_CYCLE_1)
	s_mov_b32 s9, exec_lo
	v_cmpx_gt_i32_e64 s33, v0
	s_cbranch_execz .LBB69_4
.LBB69_57:
	s_and_not1_b32 vcc_lo, exec_lo, s28
	s_cbranch_vccnz .LBB69_63
; %bb.58:
	s_and_not1_b32 vcc_lo, exec_lo, s34
	s_cbranch_vccnz .LBB69_64
; %bb.59:
	v_dual_mov_b32 v14, 0 :: v_dual_mov_b32 v1, v0
	v_dual_mov_b32 v7, 0 :: v_dual_mov_b32 v6, 0
	s_add_co_i32 s0, s31, 1
	s_mov_b64 s[24:25], 0xffffffffffffffe8
	s_and_b32 s0, s0, 30
	s_add_nc_u64 s[24:25], s[2:3], s[24:25]
.LBB69_60:                              ; =>This Inner Loop Header: Depth=1
	s_clause 0x1
	s_load_b128 s[36:39], s[24:25], 0x1c
	s_load_b64 s[44:45], s[24:25], 0x2c
	s_add_co_i32 s0, s0, -2
	s_delay_alu instid0(SALU_CYCLE_1) | instskip(SKIP_2) | instid1(VALU_DEP_1)
	s_cmp_eq_u32 s0, 0
	s_wait_kmcnt 0x0
	v_mul_hi_u32 v2, s37, v1
	v_add_nc_u32_e32 v2, v1, v2
	s_delay_alu instid0(VALU_DEP_1) | instskip(NEXT) | instid1(VALU_DEP_1)
	v_lshrrev_b32_e32 v2, s38, v2
	v_mul_hi_u32 v3, s44, v2
	v_mul_lo_u32 v4, v2, s36
	s_clause 0x1
	s_load_b128 s[40:43], s[24:25], 0xdc
	s_load_b64 s[36:37], s[24:25], 0xec
	s_wait_xcnt 0x0
	s_add_nc_u64 s[24:25], s[24:25], 24
	s_delay_alu instid0(VALU_DEP_1) | instskip(NEXT) | instid1(VALU_DEP_1)
	v_dual_add_nc_u32 v3, v2, v3 :: v_dual_sub_nc_u32 v4, v1, v4
	v_lshrrev_b32_e32 v1, s45, v3
	s_wait_kmcnt 0x0
	s_delay_alu instid0(VALU_DEP_2) | instskip(NEXT) | instid1(VALU_DEP_2)
	v_mad_u32 v5, v4, s40, v14
	v_mul_lo_u32 v3, v1, s39
	v_mad_u32 v6, v4, s42, v6
	v_mad_u32 v4, v4, s41, v7
	s_delay_alu instid0(VALU_DEP_3) | instskip(NEXT) | instid1(VALU_DEP_1)
	v_sub_nc_u32_e32 v2, v2, v3
	v_mad_u32 v14, v2, s43, v5
	s_delay_alu instid0(VALU_DEP_4) | instskip(NEXT) | instid1(VALU_DEP_4)
	v_mad_u32 v6, v2, s37, v6
	v_mad_u32 v7, v2, s36, v4
	s_cbranch_scc0 .LBB69_60
; %bb.61:
	s_bitcmp1_b32 s31, 0
	s_cselect_b32 s0, -1, 0
	s_delay_alu instid0(SALU_CYCLE_1)
	s_and_b32 vcc_lo, exec_lo, s0
	s_cbranch_vccnz .LBB69_65
; %bb.62:
	s_clause 0x1
	s_load_b96 s[36:38], s[24:25], 0x1c
	s_load_b96 s[40:42], s[24:25], 0xdc
	s_wait_kmcnt 0x0
	v_mul_hi_u32 v2, s37, v1
	s_delay_alu instid0(VALU_DEP_1) | instskip(NEXT) | instid1(VALU_DEP_1)
	v_add_nc_u32_e32 v2, v1, v2
	v_lshrrev_b32_e32 v2, s38, v2
	s_delay_alu instid0(VALU_DEP_1) | instskip(NEXT) | instid1(VALU_DEP_1)
	v_mul_lo_u32 v2, v2, s36
	v_sub_nc_u32_e32 v1, v1, v2
	s_delay_alu instid0(VALU_DEP_1)
	v_mad_u32 v14, v1, s40, v14
	v_mad_u32 v7, v1, s41, v7
	;; [unrolled: 1-line block ×3, first 2 shown]
	s_branch .LBB69_65
.LBB69_63:
                                        ; implicit-def: $vgpr6
                                        ; implicit-def: $vgpr7
                                        ; implicit-def: $vgpr14
	s_branch .LBB69_66
.LBB69_64:
	v_dual_mov_b32 v6, 0 :: v_dual_mov_b32 v7, 0
	v_mov_b32_e32 v14, 0
.LBB69_65:
	s_cbranch_execnz .LBB69_68
.LBB69_66:
	v_mov_b32_e32 v1, 0
	s_and_not1_b32 vcc_lo, exec_lo, s30
	s_delay_alu instid0(VALU_DEP_1) | instskip(NEXT) | instid1(VALU_DEP_1)
	v_mul_u64_e32 v[2:3], s[20:21], v[0:1]
	v_add_nc_u32_e32 v2, v0, v3
	s_delay_alu instid0(VALU_DEP_1) | instskip(NEXT) | instid1(VALU_DEP_1)
	v_lshrrev_b32_e32 v2, s10, v2
	v_mul_lo_u32 v3, v2, s8
	s_delay_alu instid0(VALU_DEP_1) | instskip(NEXT) | instid1(VALU_DEP_1)
	v_sub_nc_u32_e32 v3, v0, v3
	v_mul_lo_u32 v14, v3, s12
	v_mul_lo_u32 v6, v3, s14
	v_mul_lo_u32 v7, v3, s13
	s_cbranch_vccnz .LBB69_68
; %bb.67:
	v_mov_b32_e32 v3, v1
	s_delay_alu instid0(VALU_DEP_1) | instskip(NEXT) | instid1(VALU_DEP_1)
	v_mul_u64_e32 v[4:5], s[22:23], v[2:3]
	v_add_nc_u32_e32 v1, v2, v5
	s_delay_alu instid0(VALU_DEP_1) | instskip(NEXT) | instid1(VALU_DEP_1)
	v_lshrrev_b32_e32 v1, s1, v1
	v_mul_lo_u32 v1, v1, s11
	s_delay_alu instid0(VALU_DEP_1) | instskip(NEXT) | instid1(VALU_DEP_1)
	v_sub_nc_u32_e32 v1, v2, v1
	v_mad_u32 v14, v1, s15, v14
	v_mad_u32 v7, v1, s18, v7
	;; [unrolled: 1-line block ×3, first 2 shown]
.LBB69_68:
	global_load_b64 v[2:3], v6, s[16:17]
	global_load_b64 v[4:5], v7, s[6:7]
	s_mov_b32 s24, exec_lo
	s_wait_loadcnt 0x1
	s_wait_xcnt 0x0
	v_sub_nc_u64_e32 v[6:7], 0, v[2:3]
	s_delay_alu instid0(VALU_DEP_1)
	v_max_i64 v[6:7], v[2:3], v[6:7]
	s_wait_loadcnt 0x0
	v_cmpx_ne_u64_e32 0, v[4:5]
	s_cbranch_execz .LBB69_76
; %bb.69:
	v_sub_nc_u64_e32 v[8:9], 0, v[4:5]
	s_mov_b32 s25, 0
	s_delay_alu instid0(VALU_DEP_1)
	v_max_i64 v[12:13], v[4:5], v[8:9]
	v_mov_b32_e32 v8, 0
	s_branch .LBB69_71
.LBB69_70:                              ;   in Loop: Header=BB69_71 Depth=1
	s_or_b32 exec_lo, exec_lo, s0
	s_delay_alu instid0(VALU_DEP_1) | instskip(SKIP_2) | instid1(SALU_CYCLE_1)
	v_cmp_eq_u64_e32 vcc_lo, 0, v[12:13]
	v_mov_b64_e32 v[6:7], v[10:11]
	s_or_b32 s25, vcc_lo, s25
	s_and_not1_b32 exec_lo, exec_lo, s25
	s_cbranch_execz .LBB69_75
.LBB69_71:                              ; =>This Inner Loop Header: Depth=1
	s_delay_alu instid0(VALU_DEP_2) | instskip(SKIP_1) | instid1(VALU_DEP_1)
	v_mov_b64_e32 v[10:11], v[12:13]
                                        ; implicit-def: $vgpr12_vgpr13
	s_mov_b32 s0, exec_lo
	v_or_b32_e32 v9, v7, v11
	s_delay_alu instid0(VALU_DEP_1)
	v_cmpx_ne_u64_e32 0, v[8:9]
	s_xor_b32 s35, exec_lo, s0
	s_cbranch_execz .LBB69_73
; %bb.72:                               ;   in Loop: Header=BB69_71 Depth=1
	s_delay_alu instid0(VALU_DEP_3) | instskip(SKIP_4) | instid1(VALU_DEP_4)
	v_cvt_f32_u32_e32 v1, v10
	v_cvt_f32_u32_e32 v9, v11
	v_sub_nc_u64_e32 v[16:17], 0, v[10:11]
	v_dual_mov_b32 v13, v8 :: v_dual_mov_b32 v23, v8
	v_mov_b32_e32 v25, v8
	v_fmac_f32_e32 v1, 0x4f800000, v9
	s_delay_alu instid0(VALU_DEP_1) | instskip(SKIP_1) | instid1(TRANS32_DEP_1)
	v_rcp_f32_e32 v1, v1
	v_nop
	v_mul_f32_e32 v1, 0x5f7ffffc, v1
	s_delay_alu instid0(VALU_DEP_1) | instskip(NEXT) | instid1(VALU_DEP_1)
	v_mul_f32_e32 v9, 0x2f800000, v1
	v_trunc_f32_e32 v9, v9
	s_delay_alu instid0(VALU_DEP_1) | instskip(SKIP_1) | instid1(VALU_DEP_2)
	v_fmac_f32_e32 v1, 0xcf800000, v9
	v_cvt_u32_f32_e32 v19, v9
	v_cvt_u32_f32_e32 v12, v1
	s_delay_alu instid0(VALU_DEP_1) | instskip(NEXT) | instid1(VALU_DEP_1)
	v_dual_mov_b32 v24, v19 :: v_dual_mov_b32 v18, v12
	v_mul_u64_e32 v[20:21], v[16:17], v[18:19]
	s_delay_alu instid0(VALU_DEP_1) | instskip(NEXT) | instid1(VALU_DEP_1)
	v_dual_mov_b32 v22, v21 :: v_dual_mov_b32 v21, v8
	v_mul_u64_e32 v[26:27], v[12:13], v[22:23]
	s_delay_alu instid0(VALU_DEP_2) | instskip(SKIP_2) | instid1(VALU_DEP_1)
	v_mul_u64_e32 v[28:29], v[24:25], v[20:21]
	v_mul_u64_e32 v[22:23], v[24:25], v[22:23]
	v_mul_hi_u32 v20, v12, v20
	v_add_nc_u64_e32 v[20:21], v[20:21], v[26:27]
	s_delay_alu instid0(VALU_DEP_1) | instskip(NEXT) | instid1(VALU_DEP_2)
	v_add_co_u32 v1, vcc_lo, v20, v28
	v_add_co_ci_u32_e32 v24, vcc_lo, v21, v29, vcc_lo
	v_add_co_ci_u32_e32 v23, vcc_lo, 0, v23, vcc_lo
	s_delay_alu instid0(VALU_DEP_1) | instskip(NEXT) | instid1(VALU_DEP_1)
	v_add_nc_u64_e32 v[20:21], v[24:25], v[22:23]
	v_add_co_u32 v12, vcc_lo, v12, v20
	s_delay_alu instid0(VALU_DEP_1) | instskip(SKIP_1) | instid1(VALU_DEP_2)
	v_add_co_ci_u32_e64 v18, null, v19, v21, vcc_lo
	v_dual_mov_b32 v21, v8 :: v_dual_mov_b32 v19, v8
	v_mov_b32_e32 v13, v18
	s_delay_alu instid0(VALU_DEP_1) | instskip(NEXT) | instid1(VALU_DEP_1)
	v_mul_u64_e32 v[16:17], v[16:17], v[12:13]
	v_dual_mov_b32 v13, v8 :: v_dual_mov_b32 v20, v17
	s_delay_alu instid0(VALU_DEP_2) | instskip(SKIP_1) | instid1(VALU_DEP_3)
	v_dual_mov_b32 v24, v16 :: v_dual_mov_b32 v17, v8
	v_mul_hi_u32 v16, v12, v16
	v_mul_u64_e32 v[22:23], v[12:13], v[20:21]
	s_delay_alu instid0(VALU_DEP_3) | instskip(SKIP_1) | instid1(VALU_DEP_3)
	v_mul_u64_e32 v[24:25], v[18:19], v[24:25]
	v_mul_u64_e32 v[20:21], v[18:19], v[20:21]
	v_add_nc_u64_e32 v[16:17], v[16:17], v[22:23]
	v_mov_b32_e32 v23, v8
	s_delay_alu instid0(VALU_DEP_2) | instskip(NEXT) | instid1(VALU_DEP_3)
	v_add_co_u32 v1, vcc_lo, v16, v24
	v_add_co_ci_u32_e32 v22, vcc_lo, v17, v25, vcc_lo
	v_add_co_ci_u32_e32 v21, vcc_lo, 0, v21, vcc_lo
	s_delay_alu instid0(VALU_DEP_1) | instskip(SKIP_1) | instid1(VALU_DEP_2)
	v_add_nc_u64_e32 v[16:17], v[22:23], v[20:21]
	v_dual_mov_b32 v20, v6 :: v_dual_mov_b32 v21, v8
	v_add_co_u32 v16, vcc_lo, v12, v16
	s_delay_alu instid0(VALU_DEP_1) | instskip(SKIP_1) | instid1(VALU_DEP_2)
	v_add_co_ci_u32_e64 v12, null, v18, v17, vcc_lo
	v_dual_mov_b32 v18, v7 :: v_dual_mov_b32 v17, v8
	v_mul_u64_e32 v[20:21], v[20:21], v[12:13]
	s_delay_alu instid0(VALU_DEP_2) | instskip(NEXT) | instid1(VALU_DEP_3)
	v_mul_u64_e32 v[12:13], v[18:19], v[12:13]
	v_mul_u64_e32 v[22:23], v[18:19], v[16:17]
	v_mul_hi_u32 v16, v6, v16
	s_delay_alu instid0(VALU_DEP_1) | instskip(NEXT) | instid1(VALU_DEP_1)
	v_add_nc_u64_e32 v[16:17], v[16:17], v[20:21]
	v_add_co_u32 v1, vcc_lo, v16, v22
	s_delay_alu instid0(VALU_DEP_2) | instskip(SKIP_1) | instid1(VALU_DEP_1)
	v_add_co_ci_u32_e32 v18, vcc_lo, v17, v23, vcc_lo
	v_add_co_ci_u32_e32 v13, vcc_lo, 0, v13, vcc_lo
	v_add_nc_u64_e32 v[12:13], v[18:19], v[12:13]
	s_delay_alu instid0(VALU_DEP_1) | instskip(NEXT) | instid1(VALU_DEP_1)
	v_mul_u64_e32 v[12:13], v[10:11], v[12:13]
	v_sub_nc_u32_e32 v1, v7, v13
	s_delay_alu instid0(VALU_DEP_2) | instskip(NEXT) | instid1(VALU_DEP_1)
	v_sub_co_u32 v6, vcc_lo, v6, v12
	v_sub_co_ci_u32_e64 v7, null, v7, v13, vcc_lo
	s_delay_alu instid0(VALU_DEP_3) | instskip(NEXT) | instid1(VALU_DEP_3)
	v_sub_co_ci_u32_e64 v1, null, v1, v11, vcc_lo
	v_sub_co_u32 v9, vcc_lo, v6, v10
	v_cmp_ge_u32_e64 s0, v6, v10
	s_delay_alu instid0(VALU_DEP_3) | instskip(SKIP_1) | instid1(VALU_DEP_3)
	v_subrev_co_ci_u32_e64 v12, null, 0, v1, vcc_lo
	v_sub_co_ci_u32_e64 v1, null, v1, v11, vcc_lo
	v_cndmask_b32_e64 v13, 0, -1, s0
	v_cmp_ge_u32_e64 s0, v9, v10
	v_cmp_ge_u32_e32 vcc_lo, v7, v11
	s_delay_alu instid0(VALU_DEP_2) | instskip(SKIP_3) | instid1(VALU_DEP_3)
	v_cndmask_b32_e64 v15, 0, -1, s0
	v_cmp_ge_u32_e64 s0, v12, v11
	v_cndmask_b32_e64 v17, 0, -1, vcc_lo
	v_cmp_eq_u32_e32 vcc_lo, v12, v11
	v_cndmask_b32_e64 v16, 0, -1, s0
	v_cmp_eq_u32_e64 s0, v7, v11
	s_delay_alu instid0(VALU_DEP_1) | instskip(SKIP_1) | instid1(VALU_DEP_1)
	v_dual_cndmask_b32 v15, v16, v15, vcc_lo :: v_dual_cndmask_b32 v13, v17, v13, s0
	v_sub_co_u32 v16, vcc_lo, v9, v10
	v_subrev_co_ci_u32_e64 v1, null, 0, v1, vcc_lo
	s_delay_alu instid0(VALU_DEP_3) | instskip(NEXT) | instid1(VALU_DEP_2)
	v_cmp_ne_u32_e32 vcc_lo, 0, v15
	v_dual_cndmask_b32 v1, v12, v1, vcc_lo :: v_dual_cndmask_b32 v9, v9, v16, vcc_lo
	v_cmp_ne_u32_e32 vcc_lo, 0, v13
	s_delay_alu instid0(VALU_DEP_2) | instskip(NEXT) | instid1(VALU_DEP_3)
	v_cndmask_b32_e32 v13, v7, v1, vcc_lo
	v_cndmask_b32_e32 v12, v6, v9, vcc_lo
                                        ; implicit-def: $vgpr6_vgpr7
.LBB69_73:                              ;   in Loop: Header=BB69_71 Depth=1
	s_and_not1_saveexec_b32 s0, s35
	s_cbranch_execz .LBB69_70
; %bb.74:                               ;   in Loop: Header=BB69_71 Depth=1
	v_cvt_f32_u32_e32 v1, v10
	v_dual_sub_nc_u32 v7, 0, v10 :: v_dual_mov_b32 v13, v8
	s_delay_alu instid0(VALU_DEP_2) | instskip(SKIP_1) | instid1(TRANS32_DEP_1)
	v_rcp_iflag_f32_e32 v1, v1
	v_nop
	v_mul_f32_e32 v1, 0x4f7ffffe, v1
	s_delay_alu instid0(VALU_DEP_1) | instskip(NEXT) | instid1(VALU_DEP_1)
	v_cvt_u32_f32_e32 v1, v1
	v_mul_lo_u32 v7, v7, v1
	s_delay_alu instid0(VALU_DEP_1) | instskip(NEXT) | instid1(VALU_DEP_1)
	v_mul_hi_u32 v7, v1, v7
	v_add_nc_u32_e32 v1, v1, v7
	s_delay_alu instid0(VALU_DEP_1) | instskip(NEXT) | instid1(VALU_DEP_1)
	v_mul_hi_u32 v1, v6, v1
	v_mul_lo_u32 v1, v1, v10
	s_delay_alu instid0(VALU_DEP_1) | instskip(NEXT) | instid1(VALU_DEP_1)
	v_sub_nc_u32_e32 v1, v6, v1
	v_sub_nc_u32_e32 v6, v1, v10
	v_cmp_ge_u32_e32 vcc_lo, v1, v10
	s_delay_alu instid0(VALU_DEP_2) | instskip(NEXT) | instid1(VALU_DEP_1)
	v_cndmask_b32_e32 v1, v1, v6, vcc_lo
	v_sub_nc_u32_e32 v6, v1, v10
	v_cmp_ge_u32_e32 vcc_lo, v1, v10
	s_delay_alu instid0(VALU_DEP_2)
	v_cndmask_b32_e32 v12, v1, v6, vcc_lo
	s_branch .LBB69_70
.LBB69_75:
	s_or_b32 exec_lo, exec_lo, s25
	v_mov_b64_e32 v[6:7], v[10:11]
.LBB69_76:
	s_or_b32 exec_lo, exec_lo, s24
	v_mov_b64_e32 v[8:9], 0
	s_mov_b32 s24, exec_lo
	s_delay_alu instid0(VALU_DEP_2)
	v_cmpx_ne_u64_e32 0, v[6:7]
	s_cbranch_execz .LBB69_82
; %bb.77:
	v_dual_mov_b32 v8, 0 :: v_dual_bitop2_b32 v9, v5, v7 bitop3:0x54
                                        ; implicit-def: $vgpr10_vgpr11
	s_mov_b32 s0, exec_lo
	s_delay_alu instid0(VALU_DEP_1)
	v_cmpx_ne_u64_e32 0, v[8:9]
	s_xor_b32 s25, exec_lo, s0
	s_cbranch_execz .LBB69_79
; %bb.78:
	v_dual_mov_b32 v13, v8 :: v_dual_ashrrev_i32 v10, 31, v7
	v_dual_mov_b32 v23, v8 :: v_dual_mov_b32 v25, v8
	s_delay_alu instid0(VALU_DEP_2) | instskip(NEXT) | instid1(VALU_DEP_1)
	v_mov_b32_e32 v11, v10
	v_add_nc_u64_e32 v[6:7], v[6:7], v[10:11]
	s_delay_alu instid0(VALU_DEP_1) | instskip(NEXT) | instid1(VALU_DEP_2)
	v_xor_b32_e32 v6, v6, v10
	v_xor_b32_e32 v7, v7, v10
	s_delay_alu instid0(VALU_DEP_2) | instskip(NEXT) | instid1(VALU_DEP_2)
	v_cvt_f32_u32_e32 v1, v6
	v_cvt_f32_u32_e32 v9, v7
	s_delay_alu instid0(VALU_DEP_1) | instskip(NEXT) | instid1(VALU_DEP_1)
	v_fmamk_f32 v1, v9, 0x4f800000, v1
	v_rcp_f32_e32 v1, v1
	v_nop
	s_delay_alu instid0(TRANS32_DEP_1) | instskip(NEXT) | instid1(VALU_DEP_1)
	v_mul_f32_e32 v1, 0x5f7ffffc, v1
	v_mul_f32_e32 v9, 0x2f800000, v1
	s_delay_alu instid0(VALU_DEP_1) | instskip(NEXT) | instid1(VALU_DEP_1)
	v_trunc_f32_e32 v9, v9
	v_fmamk_f32 v1, v9, 0xcf800000, v1
	v_cvt_u32_f32_e32 v19, v9
	s_delay_alu instid0(VALU_DEP_2) | instskip(NEXT) | instid1(VALU_DEP_1)
	v_cvt_u32_f32_e32 v12, v1
	v_dual_mov_b32 v24, v19 :: v_dual_mov_b32 v18, v12
	v_sub_nc_u64_e32 v[16:17], 0, v[6:7]
	s_delay_alu instid0(VALU_DEP_1) | instskip(NEXT) | instid1(VALU_DEP_1)
	v_mul_u64_e32 v[20:21], v[16:17], v[18:19]
	v_dual_mov_b32 v22, v21 :: v_dual_mov_b32 v21, v8
	s_delay_alu instid0(VALU_DEP_1) | instskip(NEXT) | instid1(VALU_DEP_2)
	v_mul_u64_e32 v[26:27], v[12:13], v[22:23]
	v_mul_u64_e32 v[28:29], v[24:25], v[20:21]
	;; [unrolled: 1-line block ×3, first 2 shown]
	v_mul_hi_u32 v20, v12, v20
	s_delay_alu instid0(VALU_DEP_1) | instskip(SKIP_1) | instid1(VALU_DEP_2)
	v_add_nc_u64_e32 v[20:21], v[20:21], v[26:27]
	v_ashrrev_i32_e32 v26, 31, v5
	v_add_co_u32 v1, vcc_lo, v20, v28
	s_delay_alu instid0(VALU_DEP_3) | instskip(SKIP_1) | instid1(VALU_DEP_1)
	v_add_co_ci_u32_e32 v24, vcc_lo, v21, v29, vcc_lo
	v_add_co_ci_u32_e32 v23, vcc_lo, 0, v23, vcc_lo
	v_add_nc_u64_e32 v[20:21], v[24:25], v[22:23]
	s_delay_alu instid0(VALU_DEP_1) | instskip(NEXT) | instid1(VALU_DEP_1)
	v_add_co_u32 v12, vcc_lo, v12, v20
	v_add_co_ci_u32_e64 v18, null, v19, v21, vcc_lo
	v_dual_mov_b32 v19, v8 :: v_dual_mov_b32 v21, v8
	s_delay_alu instid0(VALU_DEP_2) | instskip(NEXT) | instid1(VALU_DEP_1)
	v_mov_b32_e32 v13, v18
	v_mul_u64_e32 v[16:17], v[16:17], v[12:13]
	s_delay_alu instid0(VALU_DEP_1) | instskip(NEXT) | instid1(VALU_DEP_2)
	v_dual_mov_b32 v13, v8 :: v_dual_mov_b32 v20, v17
	v_dual_mov_b32 v24, v16 :: v_dual_mov_b32 v17, v8
	v_mul_hi_u32 v16, v12, v16
	s_delay_alu instid0(VALU_DEP_3) | instskip(NEXT) | instid1(VALU_DEP_3)
	v_mul_u64_e32 v[22:23], v[12:13], v[20:21]
	v_mul_u64_e32 v[24:25], v[18:19], v[24:25]
	;; [unrolled: 1-line block ×3, first 2 shown]
	s_delay_alu instid0(VALU_DEP_3) | instskip(SKIP_2) | instid1(VALU_DEP_3)
	v_add_nc_u64_e32 v[16:17], v[16:17], v[22:23]
	v_dual_mov_b32 v23, v8 :: v_dual_mov_b32 v27, v26
	v_mov_b32_e32 v9, v8
	v_add_co_u32 v1, vcc_lo, v16, v24
	s_delay_alu instid0(VALU_DEP_4) | instskip(SKIP_1) | instid1(VALU_DEP_1)
	v_add_co_ci_u32_e32 v22, vcc_lo, v17, v25, vcc_lo
	v_add_co_ci_u32_e32 v21, vcc_lo, 0, v21, vcc_lo
	v_add_nc_u64_e32 v[16:17], v[22:23], v[20:21]
	v_mov_b32_e32 v21, v8
	v_add_nc_u64_e32 v[4:5], v[4:5], v[26:27]
	s_delay_alu instid0(VALU_DEP_3) | instskip(NEXT) | instid1(VALU_DEP_1)
	v_add_co_u32 v16, vcc_lo, v12, v16
	v_add_co_ci_u32_e64 v12, null, v18, v17, vcc_lo
	s_delay_alu instid0(VALU_DEP_3) | instskip(NEXT) | instid1(VALU_DEP_4)
	v_dual_mov_b32 v17, v8 :: v_dual_bitop2_b32 v18, v5, v26 bitop3:0x14
	v_xor_b32_e32 v20, v4, v26
	s_delay_alu instid0(VALU_DEP_2) | instskip(NEXT) | instid1(VALU_DEP_2)
	v_mul_u64_e32 v[4:5], v[18:19], v[16:17]
	v_mul_u64_e32 v[22:23], v[20:21], v[12:13]
	;; [unrolled: 1-line block ×3, first 2 shown]
	v_mul_hi_u32 v16, v20, v16
	s_delay_alu instid0(VALU_DEP_1) | instskip(NEXT) | instid1(VALU_DEP_1)
	v_add_nc_u64_e32 v[16:17], v[16:17], v[22:23]
	v_add_co_u32 v1, vcc_lo, v16, v4
	s_delay_alu instid0(VALU_DEP_2) | instskip(SKIP_1) | instid1(VALU_DEP_1)
	v_add_co_ci_u32_e32 v8, vcc_lo, v17, v5, vcc_lo
	v_add_co_ci_u32_e32 v13, vcc_lo, 0, v13, vcc_lo
	v_add_nc_u64_e32 v[4:5], v[8:9], v[12:13]
	s_delay_alu instid0(VALU_DEP_1) | instskip(SKIP_1) | instid1(VALU_DEP_2)
	v_mul_u64_e32 v[8:9], v[6:7], v[4:5]
	v_add_nc_u64_e32 v[12:13], 1, v[4:5]
	v_sub_nc_u32_e32 v1, v18, v9
	s_delay_alu instid0(VALU_DEP_3) | instskip(NEXT) | instid1(VALU_DEP_1)
	v_sub_co_u32 v8, vcc_lo, v20, v8
	v_sub_co_ci_u32_e64 v15, null, v18, v9, vcc_lo
	s_delay_alu instid0(VALU_DEP_3) | instskip(NEXT) | instid1(VALU_DEP_3)
	v_sub_co_ci_u32_e64 v1, null, v1, v7, vcc_lo
	v_sub_co_u32 v11, s0, v8, v6
	s_delay_alu instid0(VALU_DEP_1) | instskip(NEXT) | instid1(VALU_DEP_2)
	v_subrev_co_ci_u32_e64 v1, null, 0, v1, s0
	v_cmp_ge_u32_e32 vcc_lo, v11, v6
	v_cndmask_b32_e64 v9, 0, -1, vcc_lo
	s_delay_alu instid0(VALU_DEP_3)
	v_cmp_ge_u32_e32 vcc_lo, v1, v7
	v_cndmask_b32_e64 v11, 0, -1, vcc_lo
	v_cmp_ge_u32_e32 vcc_lo, v8, v6
	v_cndmask_b32_e64 v6, 0, -1, vcc_lo
	;; [unrolled: 2-line block ×3, first 2 shown]
	v_cmp_eq_u32_e32 vcc_lo, v1, v7
	v_cndmask_b32_e32 v1, v11, v9, vcc_lo
	v_cmp_eq_u32_e32 vcc_lo, v15, v7
	v_add_nc_u64_e32 v[8:9], 2, v[4:5]
	v_cndmask_b32_e32 v6, v16, v6, vcc_lo
	s_delay_alu instid0(VALU_DEP_4) | instskip(NEXT) | instid1(VALU_DEP_2)
	v_cmp_ne_u32_e32 vcc_lo, 0, v1
	v_cmp_ne_u32_e64 s0, 0, v6
	s_delay_alu instid0(VALU_DEP_4) | instskip(NEXT) | instid1(VALU_DEP_1)
	v_dual_cndmask_b32 v1, v13, v9, vcc_lo :: v_dual_cndmask_b32 v7, v12, v8, vcc_lo
	v_dual_cndmask_b32 v1, v5, v1, s0 :: v_dual_bitop2_b32 v6, v26, v10 bitop3:0x14
	s_delay_alu instid0(VALU_DEP_1) | instskip(NEXT) | instid1(VALU_DEP_2)
	v_dual_cndmask_b32 v4, v4, v7, s0 :: v_dual_mov_b32 v7, v6
	v_xor_b32_e32 v5, v1, v6
	s_delay_alu instid0(VALU_DEP_2) | instskip(NEXT) | instid1(VALU_DEP_1)
	v_xor_b32_e32 v4, v4, v6
	v_sub_nc_u64_e32 v[10:11], v[4:5], v[6:7]
                                        ; implicit-def: $vgpr6_vgpr7
                                        ; implicit-def: $vgpr4_vgpr5
.LBB69_79:
	s_and_not1_saveexec_b32 s0, s25
	s_cbranch_execz .LBB69_81
; %bb.80:
	v_cvt_f32_u32_e32 v1, v6
	v_dual_sub_nc_u32 v5, 0, v6 :: v_dual_mov_b32 v11, 0
	s_delay_alu instid0(VALU_DEP_2) | instskip(SKIP_1) | instid1(TRANS32_DEP_1)
	v_rcp_iflag_f32_e32 v1, v1
	v_nop
	v_mul_f32_e32 v1, 0x4f7ffffe, v1
	s_delay_alu instid0(VALU_DEP_1) | instskip(NEXT) | instid1(VALU_DEP_1)
	v_cvt_u32_f32_e32 v1, v1
	v_mul_lo_u32 v5, v5, v1
	s_delay_alu instid0(VALU_DEP_1) | instskip(NEXT) | instid1(VALU_DEP_1)
	v_mul_hi_u32 v5, v1, v5
	v_add_nc_u32_e32 v1, v1, v5
	s_delay_alu instid0(VALU_DEP_1) | instskip(NEXT) | instid1(VALU_DEP_1)
	v_mul_hi_u32 v1, v4, v1
	v_mul_lo_u32 v5, v1, v6
	s_delay_alu instid0(VALU_DEP_1) | instskip(NEXT) | instid1(VALU_DEP_1)
	v_sub_nc_u32_e32 v4, v4, v5
	v_dual_add_nc_u32 v5, 1, v1 :: v_dual_sub_nc_u32 v7, v4, v6
	v_cmp_ge_u32_e32 vcc_lo, v4, v6
	s_delay_alu instid0(VALU_DEP_2) | instskip(NEXT) | instid1(VALU_DEP_1)
	v_dual_cndmask_b32 v4, v4, v7 :: v_dual_cndmask_b32 v1, v1, v5
	v_cmp_ge_u32_e32 vcc_lo, v4, v6
	s_delay_alu instid0(VALU_DEP_2) | instskip(NEXT) | instid1(VALU_DEP_1)
	v_add_nc_u32_e32 v5, 1, v1
	v_cndmask_b32_e32 v10, v1, v5, vcc_lo
.LBB69_81:
	s_or_b32 exec_lo, exec_lo, s0
	s_delay_alu instid0(VALU_DEP_1) | instskip(NEXT) | instid1(VALU_DEP_1)
	v_mul_u64_e32 v[2:3], v[10:11], v[2:3]
	v_sub_nc_u64_e32 v[4:5], 0, v[2:3]
	s_delay_alu instid0(VALU_DEP_1)
	v_max_i64 v[8:9], v[2:3], v[4:5]
.LBB69_82:
	s_or_b32 exec_lo, exec_lo, s24
	v_add_nc_u32_e32 v0, 0x80, v0
	global_store_b64 v14, v[8:9], s[4:5]
	s_wait_xcnt 0x0
	s_or_b32 exec_lo, exec_lo, s9
	s_delay_alu instid0(SALU_CYCLE_1)
	s_mov_b32 s9, exec_lo
	v_cmpx_gt_i32_e64 s33, v0
	s_cbranch_execz .LBB69_109
.LBB69_83:
	s_and_not1_b32 vcc_lo, exec_lo, s28
	s_cbranch_vccnz .LBB69_89
; %bb.84:
	s_and_not1_b32 vcc_lo, exec_lo, s34
	s_cbranch_vccnz .LBB69_90
; %bb.85:
	v_dual_mov_b32 v12, 0 :: v_dual_mov_b32 v1, v0
	v_dual_mov_b32 v4, 0 :: v_dual_mov_b32 v5, 0
	s_add_co_i32 s0, s31, 1
	s_mov_b64 s[24:25], 0xffffffffffffffe8
	s_and_b32 s0, s0, 30
	s_add_nc_u64 s[24:25], s[2:3], s[24:25]
.LBB69_86:                              ; =>This Inner Loop Header: Depth=1
	s_clause 0x1
	s_load_b128 s[36:39], s[24:25], 0x1c
	s_load_b64 s[34:35], s[24:25], 0x2c
	s_add_co_i32 s0, s0, -2
	s_delay_alu instid0(SALU_CYCLE_1) | instskip(SKIP_2) | instid1(VALU_DEP_1)
	s_cmp_eq_u32 s0, 0
	s_wait_kmcnt 0x0
	v_mul_hi_u32 v2, s37, v1
	v_add_nc_u32_e32 v2, v1, v2
	s_delay_alu instid0(VALU_DEP_1) | instskip(NEXT) | instid1(VALU_DEP_1)
	v_lshrrev_b32_e32 v2, s38, v2
	v_mul_hi_u32 v3, s34, v2
	v_mul_lo_u32 v6, v2, s36
	s_clause 0x1
	s_load_b128 s[40:43], s[24:25], 0xdc
	s_load_b64 s[36:37], s[24:25], 0xec
	s_wait_xcnt 0x0
	s_add_nc_u64 s[24:25], s[24:25], 24
	s_delay_alu instid0(VALU_DEP_1) | instskip(NEXT) | instid1(VALU_DEP_1)
	v_dual_add_nc_u32 v3, v2, v3 :: v_dual_sub_nc_u32 v6, v1, v6
	v_lshrrev_b32_e32 v1, s35, v3
	s_wait_kmcnt 0x0
	s_delay_alu instid0(VALU_DEP_2) | instskip(NEXT) | instid1(VALU_DEP_2)
	v_mad_u32 v7, v6, s40, v12
	v_mul_lo_u32 v3, v1, s39
	v_mad_u32 v5, v6, s42, v5
	v_mad_u32 v4, v6, s41, v4
	s_delay_alu instid0(VALU_DEP_3) | instskip(NEXT) | instid1(VALU_DEP_1)
	v_sub_nc_u32_e32 v2, v2, v3
	v_mad_u32 v12, v2, s43, v7
	s_delay_alu instid0(VALU_DEP_4) | instskip(NEXT) | instid1(VALU_DEP_4)
	v_mad_u32 v5, v2, s37, v5
	v_mad_u32 v4, v2, s36, v4
	s_cbranch_scc0 .LBB69_86
; %bb.87:
	s_bitcmp1_b32 s31, 0
	s_cselect_b32 s0, -1, 0
	s_delay_alu instid0(SALU_CYCLE_1)
	s_and_b32 vcc_lo, exec_lo, s0
	s_cbranch_vccnz .LBB69_91
; %bb.88:
	s_clause 0x1
	s_load_b96 s[36:38], s[24:25], 0x1c
	s_load_b96 s[40:42], s[24:25], 0xdc
	s_wait_kmcnt 0x0
	v_mul_hi_u32 v2, s37, v1
	s_delay_alu instid0(VALU_DEP_1) | instskip(NEXT) | instid1(VALU_DEP_1)
	v_add_nc_u32_e32 v2, v1, v2
	v_lshrrev_b32_e32 v2, s38, v2
	s_delay_alu instid0(VALU_DEP_1) | instskip(NEXT) | instid1(VALU_DEP_1)
	v_mul_lo_u32 v2, v2, s36
	v_sub_nc_u32_e32 v1, v1, v2
	s_delay_alu instid0(VALU_DEP_1)
	v_mad_u32 v12, v1, s40, v12
	v_mad_u32 v4, v1, s41, v4
	;; [unrolled: 1-line block ×3, first 2 shown]
	s_branch .LBB69_91
.LBB69_89:
                                        ; implicit-def: $vgpr5
                                        ; implicit-def: $vgpr4
                                        ; implicit-def: $vgpr12
	s_branch .LBB69_92
.LBB69_90:
	v_dual_mov_b32 v5, 0 :: v_dual_mov_b32 v4, 0
	v_mov_b32_e32 v12, 0
.LBB69_91:
	s_cbranch_execnz .LBB69_94
.LBB69_92:
	v_mov_b32_e32 v1, 0
	s_and_not1_b32 vcc_lo, exec_lo, s30
	s_delay_alu instid0(VALU_DEP_1) | instskip(NEXT) | instid1(VALU_DEP_1)
	v_mul_u64_e32 v[2:3], s[20:21], v[0:1]
	v_add_nc_u32_e32 v2, v0, v3
	s_delay_alu instid0(VALU_DEP_1) | instskip(NEXT) | instid1(VALU_DEP_1)
	v_lshrrev_b32_e32 v2, s10, v2
	v_mul_lo_u32 v3, v2, s8
	s_delay_alu instid0(VALU_DEP_1) | instskip(NEXT) | instid1(VALU_DEP_1)
	v_sub_nc_u32_e32 v0, v0, v3
	v_mul_lo_u32 v12, v0, s12
	v_mul_lo_u32 v5, v0, s14
	;; [unrolled: 1-line block ×3, first 2 shown]
	s_cbranch_vccnz .LBB69_94
; %bb.93:
	v_mov_b32_e32 v3, v1
	s_delay_alu instid0(VALU_DEP_1) | instskip(NEXT) | instid1(VALU_DEP_1)
	v_mul_u64_e32 v[0:1], s[22:23], v[2:3]
	v_add_nc_u32_e32 v0, v2, v1
	s_delay_alu instid0(VALU_DEP_1) | instskip(NEXT) | instid1(VALU_DEP_1)
	v_lshrrev_b32_e32 v0, s1, v0
	v_mul_lo_u32 v0, v0, s11
	s_delay_alu instid0(VALU_DEP_1) | instskip(NEXT) | instid1(VALU_DEP_1)
	v_sub_nc_u32_e32 v0, v2, v0
	v_mad_u32 v12, v0, s15, v12
	v_mad_u32 v4, v0, s18, v4
	;; [unrolled: 1-line block ×3, first 2 shown]
.LBB69_94:
	global_load_b64 v[0:1], v5, s[16:17]
	global_load_b64 v[2:3], v4, s[6:7]
	s_mov_b32 s1, exec_lo
	s_wait_loadcnt 0x1
	s_wait_xcnt 0x0
	v_sub_nc_u64_e32 v[4:5], 0, v[0:1]
	s_delay_alu instid0(VALU_DEP_1)
	v_max_i64 v[4:5], v[0:1], v[4:5]
	s_wait_loadcnt 0x0
	v_cmpx_ne_u64_e32 0, v[2:3]
	s_cbranch_execz .LBB69_102
; %bb.95:
	v_sub_nc_u64_e32 v[6:7], 0, v[2:3]
	s_mov_b32 s6, 0
	s_delay_alu instid0(VALU_DEP_1)
	v_max_i64 v[10:11], v[2:3], v[6:7]
	v_mov_b32_e32 v6, 0
	s_branch .LBB69_97
.LBB69_96:                              ;   in Loop: Header=BB69_97 Depth=1
	s_or_b32 exec_lo, exec_lo, s0
	s_delay_alu instid0(VALU_DEP_1) | instskip(SKIP_2) | instid1(SALU_CYCLE_1)
	v_cmp_eq_u64_e32 vcc_lo, 0, v[10:11]
	v_mov_b64_e32 v[4:5], v[8:9]
	s_or_b32 s6, vcc_lo, s6
	s_and_not1_b32 exec_lo, exec_lo, s6
	s_cbranch_execz .LBB69_101
.LBB69_97:                              ; =>This Inner Loop Header: Depth=1
	s_delay_alu instid0(VALU_DEP_2) | instskip(SKIP_1) | instid1(VALU_DEP_1)
	v_mov_b64_e32 v[8:9], v[10:11]
                                        ; implicit-def: $vgpr10_vgpr11
	s_mov_b32 s0, exec_lo
	v_or_b32_e32 v7, v5, v9
	s_delay_alu instid0(VALU_DEP_1)
	v_cmpx_ne_u64_e32 0, v[6:7]
	s_xor_b32 s7, exec_lo, s0
	s_cbranch_execz .LBB69_99
; %bb.98:                               ;   in Loop: Header=BB69_97 Depth=1
	s_delay_alu instid0(VALU_DEP_3) | instskip(SKIP_3) | instid1(VALU_DEP_3)
	v_cvt_f32_u32_e32 v7, v8
	v_cvt_f32_u32_e32 v10, v9
	v_sub_nc_u64_e32 v[14:15], 0, v[8:9]
	v_dual_mov_b32 v21, v6 :: v_dual_mov_b32 v23, v6
	v_fmac_f32_e32 v7, 0x4f800000, v10
	s_delay_alu instid0(VALU_DEP_1) | instskip(SKIP_1) | instid1(TRANS32_DEP_1)
	v_rcp_f32_e32 v7, v7
	v_nop
	v_mul_f32_e32 v7, 0x5f7ffffc, v7
	s_delay_alu instid0(VALU_DEP_1) | instskip(NEXT) | instid1(VALU_DEP_1)
	v_mul_f32_e32 v10, 0x2f800000, v7
	v_trunc_f32_e32 v11, v10
	s_delay_alu instid0(VALU_DEP_1) | instskip(SKIP_1) | instid1(VALU_DEP_2)
	v_cvt_u32_f32_e32 v17, v11
	v_fmac_f32_e32 v7, 0xcf800000, v11
	v_dual_mov_b32 v11, v6 :: v_dual_mov_b32 v22, v17
	s_delay_alu instid0(VALU_DEP_2) | instskip(NEXT) | instid1(VALU_DEP_1)
	v_cvt_u32_f32_e32 v10, v7
	v_mov_b32_e32 v16, v10
	s_delay_alu instid0(VALU_DEP_1) | instskip(NEXT) | instid1(VALU_DEP_1)
	v_mul_u64_e32 v[18:19], v[14:15], v[16:17]
	v_dual_mov_b32 v20, v19 :: v_dual_mov_b32 v19, v6
	s_delay_alu instid0(VALU_DEP_1) | instskip(NEXT) | instid1(VALU_DEP_2)
	v_mul_u64_e32 v[24:25], v[10:11], v[20:21]
	v_mul_u64_e32 v[26:27], v[22:23], v[18:19]
	;; [unrolled: 1-line block ×3, first 2 shown]
	v_mul_hi_u32 v18, v10, v18
	s_delay_alu instid0(VALU_DEP_1) | instskip(NEXT) | instid1(VALU_DEP_1)
	v_add_nc_u64_e32 v[18:19], v[18:19], v[24:25]
	v_add_co_u32 v7, vcc_lo, v18, v26
	s_delay_alu instid0(VALU_DEP_2) | instskip(SKIP_1) | instid1(VALU_DEP_1)
	v_add_co_ci_u32_e32 v22, vcc_lo, v19, v27, vcc_lo
	v_add_co_ci_u32_e32 v21, vcc_lo, 0, v21, vcc_lo
	v_add_nc_u64_e32 v[18:19], v[22:23], v[20:21]
	s_delay_alu instid0(VALU_DEP_1) | instskip(NEXT) | instid1(VALU_DEP_1)
	v_add_co_u32 v10, vcc_lo, v10, v18
	v_add_co_ci_u32_e64 v16, null, v17, v19, vcc_lo
	v_dual_mov_b32 v19, v6 :: v_dual_mov_b32 v17, v6
	s_delay_alu instid0(VALU_DEP_2) | instskip(NEXT) | instid1(VALU_DEP_1)
	v_mov_b32_e32 v11, v16
	v_mul_u64_e32 v[14:15], v[14:15], v[10:11]
	s_delay_alu instid0(VALU_DEP_1) | instskip(NEXT) | instid1(VALU_DEP_2)
	v_dual_mov_b32 v11, v6 :: v_dual_mov_b32 v18, v15
	v_dual_mov_b32 v22, v14 :: v_dual_mov_b32 v15, v6
	v_mul_hi_u32 v14, v10, v14
	s_delay_alu instid0(VALU_DEP_3) | instskip(NEXT) | instid1(VALU_DEP_3)
	v_mul_u64_e32 v[20:21], v[10:11], v[18:19]
	v_mul_u64_e32 v[22:23], v[16:17], v[22:23]
	;; [unrolled: 1-line block ×3, first 2 shown]
	s_delay_alu instid0(VALU_DEP_3) | instskip(SKIP_1) | instid1(VALU_DEP_2)
	v_add_nc_u64_e32 v[14:15], v[14:15], v[20:21]
	v_mov_b32_e32 v21, v6
	v_add_co_u32 v7, vcc_lo, v14, v22
	s_delay_alu instid0(VALU_DEP_3) | instskip(SKIP_1) | instid1(VALU_DEP_1)
	v_add_co_ci_u32_e32 v20, vcc_lo, v15, v23, vcc_lo
	v_add_co_ci_u32_e32 v19, vcc_lo, 0, v19, vcc_lo
	v_add_nc_u64_e32 v[14:15], v[20:21], v[18:19]
	v_dual_mov_b32 v18, v4 :: v_dual_mov_b32 v19, v6
	s_delay_alu instid0(VALU_DEP_2) | instskip(NEXT) | instid1(VALU_DEP_1)
	v_add_co_u32 v14, vcc_lo, v10, v14
	v_add_co_ci_u32_e64 v10, null, v16, v15, vcc_lo
	v_dual_mov_b32 v16, v5 :: v_dual_mov_b32 v15, v6
	s_delay_alu instid0(VALU_DEP_2) | instskip(NEXT) | instid1(VALU_DEP_2)
	v_mul_u64_e32 v[18:19], v[18:19], v[10:11]
	v_mul_u64_e32 v[10:11], v[16:17], v[10:11]
	s_delay_alu instid0(VALU_DEP_3) | instskip(SKIP_1) | instid1(VALU_DEP_1)
	v_mul_u64_e32 v[20:21], v[16:17], v[14:15]
	v_mul_hi_u32 v14, v4, v14
	v_add_nc_u64_e32 v[14:15], v[14:15], v[18:19]
	s_delay_alu instid0(VALU_DEP_1) | instskip(NEXT) | instid1(VALU_DEP_2)
	v_add_co_u32 v7, vcc_lo, v14, v20
	v_add_co_ci_u32_e32 v16, vcc_lo, v15, v21, vcc_lo
	v_add_co_ci_u32_e32 v11, vcc_lo, 0, v11, vcc_lo
	s_delay_alu instid0(VALU_DEP_1) | instskip(NEXT) | instid1(VALU_DEP_1)
	v_add_nc_u64_e32 v[10:11], v[16:17], v[10:11]
	v_mul_u64_e32 v[10:11], v[8:9], v[10:11]
	s_delay_alu instid0(VALU_DEP_1) | instskip(NEXT) | instid1(VALU_DEP_2)
	v_sub_nc_u32_e32 v7, v5, v11
	v_sub_co_u32 v4, vcc_lo, v4, v10
	s_delay_alu instid0(VALU_DEP_1) | instskip(NEXT) | instid1(VALU_DEP_3)
	v_sub_co_ci_u32_e64 v5, null, v5, v11, vcc_lo
	v_sub_co_ci_u32_e64 v7, null, v7, v9, vcc_lo
	s_delay_alu instid0(VALU_DEP_3) | instskip(SKIP_1) | instid1(VALU_DEP_3)
	v_sub_co_u32 v10, vcc_lo, v4, v8
	v_cmp_ge_u32_e64 s0, v4, v8
	v_subrev_co_ci_u32_e64 v11, null, 0, v7, vcc_lo
	v_sub_co_ci_u32_e64 v7, null, v7, v9, vcc_lo
	s_delay_alu instid0(VALU_DEP_3) | instskip(SKIP_2) | instid1(VALU_DEP_2)
	v_cndmask_b32_e64 v13, 0, -1, s0
	v_cmp_ge_u32_e64 s0, v10, v8
	v_cmp_ge_u32_e32 vcc_lo, v5, v9
	v_cndmask_b32_e64 v14, 0, -1, s0
	v_cmp_ge_u32_e64 s0, v11, v9
	v_cndmask_b32_e64 v16, 0, -1, vcc_lo
	v_cmp_eq_u32_e32 vcc_lo, v11, v9
	s_delay_alu instid0(VALU_DEP_3) | instskip(SKIP_1) | instid1(VALU_DEP_1)
	v_cndmask_b32_e64 v15, 0, -1, s0
	v_cmp_eq_u32_e64 s0, v5, v9
	v_dual_cndmask_b32 v14, v15, v14, vcc_lo :: v_dual_cndmask_b32 v13, v16, v13, s0
	v_sub_co_u32 v15, vcc_lo, v10, v8
	s_delay_alu instid0(VALU_DEP_1) | instskip(NEXT) | instid1(VALU_DEP_3)
	v_subrev_co_ci_u32_e64 v7, null, 0, v7, vcc_lo
	v_cmp_ne_u32_e32 vcc_lo, 0, v14
	s_delay_alu instid0(VALU_DEP_3) | instskip(NEXT) | instid1(VALU_DEP_3)
	v_cndmask_b32_e32 v10, v10, v15, vcc_lo
	v_cndmask_b32_e32 v7, v11, v7, vcc_lo
	v_cmp_ne_u32_e32 vcc_lo, 0, v13
	s_delay_alu instid0(VALU_DEP_2)
	v_dual_cndmask_b32 v10, v4, v10 :: v_dual_cndmask_b32 v11, v5, v7
                                        ; implicit-def: $vgpr4_vgpr5
.LBB69_99:                              ;   in Loop: Header=BB69_97 Depth=1
	s_and_not1_saveexec_b32 s0, s7
	s_cbranch_execz .LBB69_96
; %bb.100:                              ;   in Loop: Header=BB69_97 Depth=1
	v_cvt_f32_u32_e32 v5, v8
	v_dual_sub_nc_u32 v7, 0, v8 :: v_dual_mov_b32 v11, v6
	s_delay_alu instid0(VALU_DEP_2) | instskip(SKIP_1) | instid1(TRANS32_DEP_1)
	v_rcp_iflag_f32_e32 v5, v5
	v_nop
	v_mul_f32_e32 v5, 0x4f7ffffe, v5
	s_delay_alu instid0(VALU_DEP_1) | instskip(NEXT) | instid1(VALU_DEP_1)
	v_cvt_u32_f32_e32 v5, v5
	v_mul_lo_u32 v7, v7, v5
	s_delay_alu instid0(VALU_DEP_1) | instskip(NEXT) | instid1(VALU_DEP_1)
	v_mul_hi_u32 v7, v5, v7
	v_add_nc_u32_e32 v5, v5, v7
	s_delay_alu instid0(VALU_DEP_1) | instskip(NEXT) | instid1(VALU_DEP_1)
	v_mul_hi_u32 v5, v4, v5
	v_mul_lo_u32 v5, v5, v8
	s_delay_alu instid0(VALU_DEP_1) | instskip(NEXT) | instid1(VALU_DEP_1)
	v_sub_nc_u32_e32 v4, v4, v5
	v_sub_nc_u32_e32 v5, v4, v8
	v_cmp_ge_u32_e32 vcc_lo, v4, v8
	s_delay_alu instid0(VALU_DEP_2) | instskip(NEXT) | instid1(VALU_DEP_1)
	v_cndmask_b32_e32 v4, v4, v5, vcc_lo
	v_sub_nc_u32_e32 v5, v4, v8
	v_cmp_ge_u32_e32 vcc_lo, v4, v8
	s_delay_alu instid0(VALU_DEP_2)
	v_cndmask_b32_e32 v10, v4, v5, vcc_lo
	s_branch .LBB69_96
.LBB69_101:
	s_or_b32 exec_lo, exec_lo, s6
	v_mov_b64_e32 v[4:5], v[8:9]
.LBB69_102:
	s_or_b32 exec_lo, exec_lo, s1
	v_mov_b64_e32 v[6:7], 0
	s_mov_b32 s1, exec_lo
	s_delay_alu instid0(VALU_DEP_2)
	v_cmpx_ne_u64_e32 0, v[4:5]
	s_cbranch_execz .LBB69_108
; %bb.103:
	v_dual_mov_b32 v6, 0 :: v_dual_bitop2_b32 v7, v3, v5 bitop3:0x54
                                        ; implicit-def: $vgpr8_vgpr9
	s_mov_b32 s0, exec_lo
	s_delay_alu instid0(VALU_DEP_1)
	v_cmpx_ne_u64_e32 0, v[6:7]
	s_xor_b32 s6, exec_lo, s0
	s_cbranch_execz .LBB69_105
; %bb.104:
	v_dual_mov_b32 v11, v6 :: v_dual_ashrrev_i32 v8, 31, v5
	v_dual_mov_b32 v21, v6 :: v_dual_mov_b32 v23, v6
	s_delay_alu instid0(VALU_DEP_2) | instskip(NEXT) | instid1(VALU_DEP_1)
	v_mov_b32_e32 v9, v8
	v_add_nc_u64_e32 v[4:5], v[4:5], v[8:9]
	s_delay_alu instid0(VALU_DEP_1) | instskip(NEXT) | instid1(VALU_DEP_2)
	v_xor_b32_e32 v4, v4, v8
	v_xor_b32_e32 v5, v5, v8
	s_delay_alu instid0(VALU_DEP_2) | instskip(NEXT) | instid1(VALU_DEP_2)
	v_cvt_f32_u32_e32 v7, v4
	v_cvt_f32_u32_e32 v9, v5
	s_delay_alu instid0(VALU_DEP_1) | instskip(NEXT) | instid1(VALU_DEP_1)
	v_fmamk_f32 v7, v9, 0x4f800000, v7
	v_rcp_f32_e32 v7, v7
	v_nop
	s_delay_alu instid0(TRANS32_DEP_1) | instskip(NEXT) | instid1(VALU_DEP_1)
	v_mul_f32_e32 v7, 0x5f7ffffc, v7
	v_mul_f32_e32 v9, 0x2f800000, v7
	s_delay_alu instid0(VALU_DEP_1) | instskip(NEXT) | instid1(VALU_DEP_1)
	v_trunc_f32_e32 v9, v9
	v_fmamk_f32 v7, v9, 0xcf800000, v7
	v_cvt_u32_f32_e32 v17, v9
	s_delay_alu instid0(VALU_DEP_2) | instskip(NEXT) | instid1(VALU_DEP_1)
	v_cvt_u32_f32_e32 v10, v7
	v_dual_mov_b32 v22, v17 :: v_dual_mov_b32 v16, v10
	v_sub_nc_u64_e32 v[14:15], 0, v[4:5]
	s_delay_alu instid0(VALU_DEP_1) | instskip(NEXT) | instid1(VALU_DEP_1)
	v_mul_u64_e32 v[18:19], v[14:15], v[16:17]
	v_dual_mov_b32 v20, v19 :: v_dual_mov_b32 v19, v6
	s_delay_alu instid0(VALU_DEP_1) | instskip(NEXT) | instid1(VALU_DEP_2)
	v_mul_u64_e32 v[24:25], v[10:11], v[20:21]
	v_mul_u64_e32 v[26:27], v[22:23], v[18:19]
	;; [unrolled: 1-line block ×3, first 2 shown]
	v_mul_hi_u32 v18, v10, v18
	s_delay_alu instid0(VALU_DEP_1) | instskip(SKIP_1) | instid1(VALU_DEP_2)
	v_add_nc_u64_e32 v[18:19], v[18:19], v[24:25]
	v_ashrrev_i32_e32 v24, 31, v3
	v_add_co_u32 v7, vcc_lo, v18, v26
	s_delay_alu instid0(VALU_DEP_3) | instskip(SKIP_1) | instid1(VALU_DEP_1)
	v_add_co_ci_u32_e32 v22, vcc_lo, v19, v27, vcc_lo
	v_add_co_ci_u32_e32 v21, vcc_lo, 0, v21, vcc_lo
	v_add_nc_u64_e32 v[18:19], v[22:23], v[20:21]
	s_delay_alu instid0(VALU_DEP_1) | instskip(NEXT) | instid1(VALU_DEP_1)
	v_add_co_u32 v10, vcc_lo, v10, v18
	v_add_co_ci_u32_e64 v16, null, v17, v19, vcc_lo
	v_dual_mov_b32 v19, v6 :: v_dual_mov_b32 v17, v6
	s_delay_alu instid0(VALU_DEP_2) | instskip(NEXT) | instid1(VALU_DEP_1)
	v_mov_b32_e32 v11, v16
	v_mul_u64_e32 v[14:15], v[14:15], v[10:11]
	s_delay_alu instid0(VALU_DEP_1) | instskip(NEXT) | instid1(VALU_DEP_2)
	v_dual_mov_b32 v11, v6 :: v_dual_mov_b32 v18, v15
	v_dual_mov_b32 v22, v14 :: v_dual_mov_b32 v15, v6
	v_mul_hi_u32 v14, v10, v14
	s_delay_alu instid0(VALU_DEP_3) | instskip(NEXT) | instid1(VALU_DEP_3)
	v_mul_u64_e32 v[20:21], v[10:11], v[18:19]
	v_mul_u64_e32 v[22:23], v[16:17], v[22:23]
	;; [unrolled: 1-line block ×3, first 2 shown]
	s_delay_alu instid0(VALU_DEP_3) | instskip(SKIP_1) | instid1(VALU_DEP_2)
	v_add_nc_u64_e32 v[14:15], v[14:15], v[20:21]
	v_dual_mov_b32 v21, v6 :: v_dual_mov_b32 v25, v24
	v_add_co_u32 v7, vcc_lo, v14, v22
	s_delay_alu instid0(VALU_DEP_3) | instskip(SKIP_2) | instid1(VALU_DEP_2)
	v_add_co_ci_u32_e32 v20, vcc_lo, v15, v23, vcc_lo
	v_add_co_ci_u32_e32 v19, vcc_lo, 0, v19, vcc_lo
	v_mov_b32_e32 v7, v6
	v_add_nc_u64_e32 v[14:15], v[20:21], v[18:19]
	v_mov_b32_e32 v19, v6
	v_add_nc_u64_e32 v[2:3], v[2:3], v[24:25]
	s_delay_alu instid0(VALU_DEP_3) | instskip(NEXT) | instid1(VALU_DEP_1)
	v_add_co_u32 v14, vcc_lo, v10, v14
	v_add_co_ci_u32_e64 v10, null, v16, v15, vcc_lo
	s_delay_alu instid0(VALU_DEP_3) | instskip(NEXT) | instid1(VALU_DEP_4)
	v_dual_mov_b32 v15, v6 :: v_dual_bitop2_b32 v16, v3, v24 bitop3:0x14
	v_xor_b32_e32 v18, v2, v24
	s_delay_alu instid0(VALU_DEP_2) | instskip(NEXT) | instid1(VALU_DEP_2)
	v_mul_u64_e32 v[2:3], v[16:17], v[14:15]
	v_mul_u64_e32 v[20:21], v[18:19], v[10:11]
	;; [unrolled: 1-line block ×3, first 2 shown]
	v_mul_hi_u32 v14, v18, v14
	s_delay_alu instid0(VALU_DEP_1) | instskip(NEXT) | instid1(VALU_DEP_1)
	v_add_nc_u64_e32 v[14:15], v[14:15], v[20:21]
	v_add_co_u32 v2, vcc_lo, v14, v2
	s_delay_alu instid0(VALU_DEP_2) | instskip(SKIP_1) | instid1(VALU_DEP_1)
	v_add_co_ci_u32_e32 v6, vcc_lo, v15, v3, vcc_lo
	v_add_co_ci_u32_e32 v11, vcc_lo, 0, v11, vcc_lo
	v_add_nc_u64_e32 v[2:3], v[6:7], v[10:11]
	s_delay_alu instid0(VALU_DEP_1) | instskip(NEXT) | instid1(VALU_DEP_1)
	v_mul_u64_e32 v[6:7], v[4:5], v[2:3]
	v_sub_nc_u32_e32 v9, v16, v7
	s_delay_alu instid0(VALU_DEP_2) | instskip(NEXT) | instid1(VALU_DEP_1)
	v_sub_co_u32 v6, vcc_lo, v18, v6
	v_sub_co_ci_u32_e64 v13, null, v16, v7, vcc_lo
	s_delay_alu instid0(VALU_DEP_3) | instskip(NEXT) | instid1(VALU_DEP_3)
	v_sub_co_ci_u32_e64 v9, null, v9, v5, vcc_lo
	v_sub_co_u32 v10, s0, v6, v4
	s_delay_alu instid0(VALU_DEP_1) | instskip(NEXT) | instid1(VALU_DEP_2)
	v_subrev_co_ci_u32_e64 v9, null, 0, v9, s0
	v_cmp_ge_u32_e32 vcc_lo, v10, v4
	v_cndmask_b32_e64 v7, 0, -1, vcc_lo
	s_delay_alu instid0(VALU_DEP_3)
	v_cmp_ge_u32_e32 vcc_lo, v9, v5
	v_cndmask_b32_e64 v10, 0, -1, vcc_lo
	v_cmp_ge_u32_e32 vcc_lo, v6, v4
	v_cndmask_b32_e64 v4, 0, -1, vcc_lo
	;; [unrolled: 2-line block ×3, first 2 shown]
	v_cmp_eq_u32_e32 vcc_lo, v9, v5
	v_cndmask_b32_e32 v9, v10, v7, vcc_lo
	v_cmp_eq_u32_e32 vcc_lo, v13, v5
	v_add_nc_u64_e32 v[6:7], 2, v[2:3]
	v_add_nc_u64_e32 v[10:11], 1, v[2:3]
	v_cndmask_b32_e32 v4, v14, v4, vcc_lo
	v_cmp_ne_u32_e32 vcc_lo, 0, v9
	s_delay_alu instid0(VALU_DEP_2) | instskip(NEXT) | instid1(VALU_DEP_4)
	v_cmp_ne_u32_e64 s0, 0, v4
	v_dual_cndmask_b32 v5, v11, v7, vcc_lo :: v_dual_bitop2_b32 v4, v24, v8 bitop3:0x14
	s_delay_alu instid0(VALU_DEP_1) | instskip(NEXT) | instid1(VALU_DEP_1)
	v_dual_cndmask_b32 v6, v10, v6, vcc_lo :: v_dual_cndmask_b32 v3, v3, v5, s0
	v_dual_mov_b32 v5, v4 :: v_dual_cndmask_b32 v2, v2, v6, s0
	s_delay_alu instid0(VALU_DEP_2) | instskip(NEXT) | instid1(VALU_DEP_2)
	v_xor_b32_e32 v3, v3, v4
	v_xor_b32_e32 v2, v2, v4
	s_delay_alu instid0(VALU_DEP_1)
	v_sub_nc_u64_e32 v[8:9], v[2:3], v[4:5]
                                        ; implicit-def: $vgpr4_vgpr5
                                        ; implicit-def: $vgpr2_vgpr3
.LBB69_105:
	s_and_not1_saveexec_b32 s0, s6
	s_cbranch_execz .LBB69_107
; %bb.106:
	v_cvt_f32_u32_e32 v3, v4
	v_dual_sub_nc_u32 v5, 0, v4 :: v_dual_mov_b32 v9, 0
	s_delay_alu instid0(VALU_DEP_2) | instskip(SKIP_1) | instid1(TRANS32_DEP_1)
	v_rcp_iflag_f32_e32 v3, v3
	v_nop
	v_mul_f32_e32 v3, 0x4f7ffffe, v3
	s_delay_alu instid0(VALU_DEP_1) | instskip(NEXT) | instid1(VALU_DEP_1)
	v_cvt_u32_f32_e32 v3, v3
	v_mul_lo_u32 v5, v5, v3
	s_delay_alu instid0(VALU_DEP_1) | instskip(NEXT) | instid1(VALU_DEP_1)
	v_mul_hi_u32 v5, v3, v5
	v_add_nc_u32_e32 v3, v3, v5
	s_delay_alu instid0(VALU_DEP_1) | instskip(NEXT) | instid1(VALU_DEP_1)
	v_mul_hi_u32 v3, v2, v3
	v_mul_lo_u32 v5, v3, v4
	s_delay_alu instid0(VALU_DEP_1) | instskip(NEXT) | instid1(VALU_DEP_1)
	v_dual_sub_nc_u32 v2, v2, v5 :: v_dual_add_nc_u32 v5, 1, v3
	v_sub_nc_u32_e32 v6, v2, v4
	v_cmp_ge_u32_e32 vcc_lo, v2, v4
	s_delay_alu instid0(VALU_DEP_2) | instskip(NEXT) | instid1(VALU_DEP_1)
	v_dual_cndmask_b32 v2, v2, v6 :: v_dual_cndmask_b32 v3, v3, v5
	v_cmp_ge_u32_e32 vcc_lo, v2, v4
	s_delay_alu instid0(VALU_DEP_2) | instskip(NEXT) | instid1(VALU_DEP_1)
	v_add_nc_u32_e32 v5, 1, v3
	v_cndmask_b32_e32 v8, v3, v5, vcc_lo
.LBB69_107:
	s_or_b32 exec_lo, exec_lo, s0
	s_delay_alu instid0(VALU_DEP_1) | instskip(NEXT) | instid1(VALU_DEP_1)
	v_mul_u64_e32 v[0:1], v[8:9], v[0:1]
	v_sub_nc_u64_e32 v[2:3], 0, v[0:1]
	s_delay_alu instid0(VALU_DEP_1)
	v_max_i64 v[6:7], v[0:1], v[2:3]
.LBB69_108:
	s_or_b32 exec_lo, exec_lo, s1
	global_store_b64 v12, v[6:7], s[4:5]
.LBB69_109:
	s_wait_xcnt 0x0
	s_or_b32 exec_lo, exec_lo, s9
                                        ; implicit-def: $vgpr1
                                        ; implicit-def: $vgpr0
.LBB69_110:
	s_and_not1_saveexec_b32 s0, s29
	s_cbranch_execz .LBB69_117
; %bb.111:
	v_cndmask_b32_e64 v3, 0, 1, s28
	s_and_not1_b32 vcc_lo, exec_lo, s28
	s_cbranch_vccnz .LBB69_118
; %bb.112:
	s_cmp_lg_u32 s26, 0
	s_mov_b32 s4, 0
	s_cbranch_scc0 .LBB69_122
; %bb.113:
	s_min_u32 s5, s27, 15
	v_dual_mov_b32 v18, 0 :: v_dual_mov_b32 v5, v0
	v_dual_mov_b32 v4, 0 :: v_dual_mov_b32 v2, 0
	s_add_co_i32 s6, s5, 1
	s_mov_b64 s[0:1], 0xffffffffffffffe8
	s_and_b32 s6, s6, 30
	s_add_nc_u64 s[0:1], s[2:3], s[0:1]
.LBB69_114:                             ; =>This Inner Loop Header: Depth=1
	s_clause 0x1
	s_load_b128 s[8:11], s[0:1], 0x1c
	s_load_b64 s[16:17], s[0:1], 0x2c
	s_add_co_i32 s6, s6, -2
	s_delay_alu instid0(SALU_CYCLE_1) | instskip(SKIP_2) | instid1(VALU_DEP_1)
	s_cmp_lg_u32 s6, 0
	s_wait_kmcnt 0x0
	v_mul_hi_u32 v6, s9, v5
	v_add_nc_u32_e32 v6, v5, v6
	s_delay_alu instid0(VALU_DEP_1) | instskip(NEXT) | instid1(VALU_DEP_1)
	v_lshrrev_b32_e32 v6, s10, v6
	v_mul_hi_u32 v7, s16, v6
	v_mul_lo_u32 v8, v6, s8
	s_clause 0x1
	s_load_b128 s[12:15], s[0:1], 0xdc
	s_load_b64 s[8:9], s[0:1], 0xec
	s_wait_xcnt 0x0
	s_add_nc_u64 s[0:1], s[0:1], 24
	s_delay_alu instid0(VALU_DEP_1) | instskip(NEXT) | instid1(VALU_DEP_1)
	v_dual_add_nc_u32 v7, v6, v7 :: v_dual_sub_nc_u32 v8, v5, v8
	v_lshrrev_b32_e32 v5, s17, v7
	s_wait_kmcnt 0x0
	s_delay_alu instid0(VALU_DEP_2) | instskip(NEXT) | instid1(VALU_DEP_2)
	v_mad_u32 v9, v8, s12, v18
	v_mul_lo_u32 v7, v5, s11
	v_mad_u32 v2, v8, s14, v2
	v_mad_u32 v4, v8, s13, v4
	s_delay_alu instid0(VALU_DEP_3) | instskip(NEXT) | instid1(VALU_DEP_1)
	v_sub_nc_u32_e32 v6, v6, v7
	v_mad_u32 v18, v6, s15, v9
	s_delay_alu instid0(VALU_DEP_4) | instskip(NEXT) | instid1(VALU_DEP_4)
	v_mad_u32 v2, v6, s9, v2
	v_mad_u32 v4, v6, s8, v4
	s_cbranch_scc1 .LBB69_114
; %bb.115:
	s_bitcmp1_b32 s5, 0
	s_cselect_b32 s5, -1, 0
	s_delay_alu instid0(SALU_CYCLE_1)
	s_and_b32 vcc_lo, exec_lo, s5
	s_cbranch_vccnz .LBB69_119
; %bb.116:
	s_clause 0x1
	s_load_b96 s[8:10], s[0:1], 0x1c
	s_load_b96 s[12:14], s[0:1], 0xdc
	s_wait_kmcnt 0x0
	v_mul_hi_u32 v6, s9, v5
	s_delay_alu instid0(VALU_DEP_1) | instskip(NEXT) | instid1(VALU_DEP_1)
	v_add_nc_u32_e32 v6, v5, v6
	v_lshrrev_b32_e32 v6, s10, v6
	s_delay_alu instid0(VALU_DEP_1) | instskip(NEXT) | instid1(VALU_DEP_1)
	v_mul_lo_u32 v6, v6, s8
	v_sub_nc_u32_e32 v5, v5, v6
	s_delay_alu instid0(VALU_DEP_1)
	v_mad_u32 v18, v5, s12, v18
	v_mad_u32 v4, v5, s13, v4
	;; [unrolled: 1-line block ×3, first 2 shown]
	s_and_not1_b32 vcc_lo, exec_lo, s4
	s_cbranch_vccz .LBB69_120
	s_branch .LBB69_123
.LBB69_117:
	s_endpgm
.LBB69_118:
	s_mov_b32 s4, -1
                                        ; implicit-def: $vgpr2
                                        ; implicit-def: $vgpr4
                                        ; implicit-def: $vgpr18
.LBB69_119:
	s_delay_alu instid0(SALU_CYCLE_1)
	s_and_not1_b32 vcc_lo, exec_lo, s4
	s_cbranch_vccnz .LBB69_123
.LBB69_120:
	s_clause 0x1
	s_load_b96 s[4:6], s[2:3], 0x4
	s_load_b96 s[8:10], s[2:3], 0xc4
	s_cmp_lt_u32 s26, 2
	s_wait_kmcnt 0x0
	v_mul_hi_u32 v2, s5, v0
	s_delay_alu instid0(VALU_DEP_1) | instskip(NEXT) | instid1(VALU_DEP_1)
	v_add_nc_u32_e32 v2, v0, v2
	v_lshrrev_b32_e32 v5, s6, v2
	s_delay_alu instid0(VALU_DEP_1) | instskip(NEXT) | instid1(VALU_DEP_1)
	v_mul_lo_u32 v2, v5, s4
	v_sub_nc_u32_e32 v4, v0, v2
	s_delay_alu instid0(VALU_DEP_1)
	v_mul_lo_u32 v18, v4, s8
	v_mul_lo_u32 v2, v4, s10
	v_mul_lo_u32 v4, v4, s9
	s_cbranch_scc1 .LBB69_123
; %bb.121:
	s_clause 0x1
	s_load_b96 s[4:6], s[2:3], 0x10
	s_load_b96 s[8:10], s[2:3], 0xd0
	s_wait_kmcnt 0x0
	v_mul_hi_u32 v6, s5, v5
	s_delay_alu instid0(VALU_DEP_1) | instskip(NEXT) | instid1(VALU_DEP_1)
	v_add_nc_u32_e32 v6, v5, v6
	v_lshrrev_b32_e32 v6, s6, v6
	s_delay_alu instid0(VALU_DEP_1) | instskip(NEXT) | instid1(VALU_DEP_1)
	v_mul_lo_u32 v6, v6, s4
	v_sub_nc_u32_e32 v5, v5, v6
	s_delay_alu instid0(VALU_DEP_1)
	v_mad_u32 v18, v5, s8, v18
	v_mad_u32 v4, v5, s9, v4
	v_mad_u32 v2, v5, s10, v2
	s_branch .LBB69_123
.LBB69_122:
	v_dual_mov_b32 v2, 0 :: v_dual_mov_b32 v4, 0
	v_mov_b32_e32 v18, 0
	s_and_not1_b32 vcc_lo, exec_lo, s4
	s_cbranch_vccz .LBB69_120
.LBB69_123:
	v_cmp_ne_u32_e32 vcc_lo, 1, v3
	v_add_nc_u32_e32 v5, 0x80, v0
	s_cbranch_vccnz .LBB69_129
; %bb.124:
	s_cmp_lg_u32 s26, 0
	s_mov_b32 s4, 0
	s_cbranch_scc0 .LBB69_133
; %bb.125:
	s_min_u32 s5, s27, 15
	v_dual_mov_b32 v19, 0 :: v_dual_mov_b32 v6, v5
	v_dual_mov_b32 v13, 0 :: v_dual_mov_b32 v12, 0
	s_add_co_i32 s6, s5, 1
	s_mov_b64 s[0:1], 0xffffffffffffffe8
	s_and_b32 s6, s6, 30
	s_add_nc_u64 s[0:1], s[2:3], s[0:1]
.LBB69_126:                             ; =>This Inner Loop Header: Depth=1
	s_clause 0x1
	s_load_b128 s[8:11], s[0:1], 0x1c
	s_load_b64 s[16:17], s[0:1], 0x2c
	s_add_co_i32 s6, s6, -2
	s_delay_alu instid0(SALU_CYCLE_1) | instskip(SKIP_2) | instid1(VALU_DEP_1)
	s_cmp_lg_u32 s6, 0
	s_wait_kmcnt 0x0
	v_mul_hi_u32 v7, s9, v6
	v_add_nc_u32_e32 v7, v6, v7
	s_delay_alu instid0(VALU_DEP_1) | instskip(NEXT) | instid1(VALU_DEP_1)
	v_lshrrev_b32_e32 v7, s10, v7
	v_mul_hi_u32 v8, s16, v7
	v_mul_lo_u32 v9, v7, s8
	s_clause 0x1
	s_load_b128 s[12:15], s[0:1], 0xdc
	s_load_b64 s[8:9], s[0:1], 0xec
	s_wait_xcnt 0x0
	s_add_nc_u64 s[0:1], s[0:1], 24
	s_delay_alu instid0(VALU_DEP_1) | instskip(NEXT) | instid1(VALU_DEP_1)
	v_dual_add_nc_u32 v8, v7, v8 :: v_dual_sub_nc_u32 v9, v6, v9
	v_lshrrev_b32_e32 v6, s17, v8
	s_wait_kmcnt 0x0
	s_delay_alu instid0(VALU_DEP_2) | instskip(NEXT) | instid1(VALU_DEP_2)
	v_mad_u32 v10, v9, s12, v19
	v_mul_lo_u32 v8, v6, s11
	v_mad_u32 v11, v9, s14, v12
	v_mad_u32 v9, v9, s13, v13
	s_delay_alu instid0(VALU_DEP_3) | instskip(NEXT) | instid1(VALU_DEP_1)
	v_sub_nc_u32_e32 v7, v7, v8
	v_mad_u32 v19, v7, s15, v10
	s_delay_alu instid0(VALU_DEP_4) | instskip(NEXT) | instid1(VALU_DEP_4)
	v_mad_u32 v12, v7, s9, v11
	v_mad_u32 v13, v7, s8, v9
	s_cbranch_scc1 .LBB69_126
; %bb.127:
	s_bitcmp1_b32 s5, 0
	s_cselect_b32 s5, -1, 0
	s_delay_alu instid0(SALU_CYCLE_1)
	s_and_b32 vcc_lo, exec_lo, s5
	s_cbranch_vccnz .LBB69_130
; %bb.128:
	s_clause 0x1
	s_load_b96 s[8:10], s[0:1], 0x1c
	s_load_b96 s[12:14], s[0:1], 0xdc
	s_wait_kmcnt 0x0
	v_mul_hi_u32 v7, s9, v6
	s_delay_alu instid0(VALU_DEP_1) | instskip(NEXT) | instid1(VALU_DEP_1)
	v_add_nc_u32_e32 v7, v6, v7
	v_lshrrev_b32_e32 v7, s10, v7
	s_delay_alu instid0(VALU_DEP_1) | instskip(NEXT) | instid1(VALU_DEP_1)
	v_mul_lo_u32 v7, v7, s8
	v_sub_nc_u32_e32 v6, v6, v7
	s_delay_alu instid0(VALU_DEP_1)
	v_mad_u32 v19, v6, s12, v19
	v_mad_u32 v13, v6, s13, v13
	;; [unrolled: 1-line block ×3, first 2 shown]
	s_and_not1_b32 vcc_lo, exec_lo, s4
	s_cbranch_vccz .LBB69_131
	s_branch .LBB69_134
.LBB69_129:
	s_mov_b32 s4, -1
                                        ; implicit-def: $vgpr12
                                        ; implicit-def: $vgpr13
                                        ; implicit-def: $vgpr19
.LBB69_130:
	s_delay_alu instid0(SALU_CYCLE_1)
	s_and_not1_b32 vcc_lo, exec_lo, s4
	s_cbranch_vccnz .LBB69_134
.LBB69_131:
	s_clause 0x1
	s_load_b96 s[4:6], s[2:3], 0x4
	s_load_b96 s[8:10], s[2:3], 0xc4
	s_cmp_lt_u32 s26, 2
	s_wait_kmcnt 0x0
	v_mul_hi_u32 v6, s5, v5
	s_delay_alu instid0(VALU_DEP_1) | instskip(NEXT) | instid1(VALU_DEP_1)
	v_add_nc_u32_e32 v6, v5, v6
	v_lshrrev_b32_e32 v6, s6, v6
	s_delay_alu instid0(VALU_DEP_1) | instskip(NEXT) | instid1(VALU_DEP_1)
	v_mul_lo_u32 v7, v6, s4
	v_sub_nc_u32_e32 v5, v5, v7
	s_delay_alu instid0(VALU_DEP_1)
	v_mul_lo_u32 v19, v5, s8
	v_mul_lo_u32 v12, v5, s10
	;; [unrolled: 1-line block ×3, first 2 shown]
	s_cbranch_scc1 .LBB69_134
; %bb.132:
	s_clause 0x1
	s_load_b96 s[4:6], s[2:3], 0x10
	s_load_b96 s[8:10], s[2:3], 0xd0
	s_wait_kmcnt 0x0
	v_mul_hi_u32 v5, s5, v6
	s_delay_alu instid0(VALU_DEP_1) | instskip(NEXT) | instid1(VALU_DEP_1)
	v_add_nc_u32_e32 v5, v6, v5
	v_lshrrev_b32_e32 v5, s6, v5
	s_delay_alu instid0(VALU_DEP_1) | instskip(NEXT) | instid1(VALU_DEP_1)
	v_mul_lo_u32 v5, v5, s4
	v_sub_nc_u32_e32 v5, v6, v5
	s_delay_alu instid0(VALU_DEP_1)
	v_mad_u32 v19, v5, s8, v19
	v_mad_u32 v13, v5, s9, v13
	;; [unrolled: 1-line block ×3, first 2 shown]
	s_branch .LBB69_134
.LBB69_133:
	v_dual_mov_b32 v12, 0 :: v_dual_mov_b32 v13, 0
	v_mov_b32_e32 v19, 0
	s_and_not1_b32 vcc_lo, exec_lo, s4
	s_cbranch_vccz .LBB69_131
.LBB69_134:
	v_cmp_ne_u32_e32 vcc_lo, 1, v3
	v_add_nc_u32_e32 v0, 0x100, v0
	s_cbranch_vccnz .LBB69_140
; %bb.135:
	s_cmp_lg_u32 s26, 0
	s_mov_b32 s4, 0
	s_cbranch_scc0 .LBB69_144
; %bb.136:
	s_min_u32 s5, s27, 15
	v_dual_mov_b32 v20, 0 :: v_dual_mov_b32 v5, v0
	v_dual_mov_b32 v15, 0 :: v_dual_mov_b32 v14, 0
	s_add_co_i32 s6, s5, 1
	s_mov_b64 s[0:1], 0xffffffffffffffe8
	s_and_b32 s6, s6, 30
	s_add_nc_u64 s[0:1], s[2:3], s[0:1]
.LBB69_137:                             ; =>This Inner Loop Header: Depth=1
	s_clause 0x1
	s_load_b128 s[8:11], s[0:1], 0x1c
	s_load_b64 s[16:17], s[0:1], 0x2c
	s_add_co_i32 s6, s6, -2
	s_delay_alu instid0(SALU_CYCLE_1) | instskip(SKIP_2) | instid1(VALU_DEP_1)
	s_cmp_lg_u32 s6, 0
	s_wait_kmcnt 0x0
	v_mul_hi_u32 v6, s9, v5
	v_add_nc_u32_e32 v6, v5, v6
	s_delay_alu instid0(VALU_DEP_1) | instskip(NEXT) | instid1(VALU_DEP_1)
	v_lshrrev_b32_e32 v6, s10, v6
	v_mul_hi_u32 v7, s16, v6
	v_mul_lo_u32 v8, v6, s8
	s_clause 0x1
	s_load_b128 s[12:15], s[0:1], 0xdc
	s_load_b64 s[8:9], s[0:1], 0xec
	s_wait_xcnt 0x0
	s_add_nc_u64 s[0:1], s[0:1], 24
	s_delay_alu instid0(VALU_DEP_1) | instskip(NEXT) | instid1(VALU_DEP_1)
	v_dual_add_nc_u32 v7, v6, v7 :: v_dual_sub_nc_u32 v8, v5, v8
	v_lshrrev_b32_e32 v5, s17, v7
	s_wait_kmcnt 0x0
	s_delay_alu instid0(VALU_DEP_2) | instskip(NEXT) | instid1(VALU_DEP_2)
	v_mad_u32 v9, v8, s12, v20
	v_mul_lo_u32 v7, v5, s11
	v_mad_u32 v10, v8, s14, v14
	v_mad_u32 v8, v8, s13, v15
	s_delay_alu instid0(VALU_DEP_3) | instskip(NEXT) | instid1(VALU_DEP_1)
	v_sub_nc_u32_e32 v6, v6, v7
	v_mad_u32 v20, v6, s15, v9
	s_delay_alu instid0(VALU_DEP_4) | instskip(NEXT) | instid1(VALU_DEP_4)
	v_mad_u32 v14, v6, s9, v10
	v_mad_u32 v15, v6, s8, v8
	s_cbranch_scc1 .LBB69_137
; %bb.138:
	s_bitcmp1_b32 s5, 0
	s_cselect_b32 s5, -1, 0
	s_delay_alu instid0(SALU_CYCLE_1)
	s_and_b32 vcc_lo, exec_lo, s5
	s_cbranch_vccnz .LBB69_141
; %bb.139:
	s_clause 0x1
	s_load_b96 s[8:10], s[0:1], 0x1c
	s_load_b96 s[12:14], s[0:1], 0xdc
	s_wait_kmcnt 0x0
	v_mul_hi_u32 v6, s9, v5
	s_delay_alu instid0(VALU_DEP_1) | instskip(NEXT) | instid1(VALU_DEP_1)
	v_add_nc_u32_e32 v6, v5, v6
	v_lshrrev_b32_e32 v6, s10, v6
	s_delay_alu instid0(VALU_DEP_1) | instskip(NEXT) | instid1(VALU_DEP_1)
	v_mul_lo_u32 v6, v6, s8
	v_sub_nc_u32_e32 v5, v5, v6
	s_delay_alu instid0(VALU_DEP_1)
	v_mad_u32 v20, v5, s12, v20
	v_mad_u32 v15, v5, s13, v15
	;; [unrolled: 1-line block ×3, first 2 shown]
	s_and_not1_b32 vcc_lo, exec_lo, s4
	s_cbranch_vccz .LBB69_142
	s_branch .LBB69_145
.LBB69_140:
	s_mov_b32 s4, -1
                                        ; implicit-def: $vgpr14
                                        ; implicit-def: $vgpr15
                                        ; implicit-def: $vgpr20
.LBB69_141:
	s_delay_alu instid0(SALU_CYCLE_1)
	s_and_not1_b32 vcc_lo, exec_lo, s4
	s_cbranch_vccnz .LBB69_145
.LBB69_142:
	s_clause 0x1
	s_load_b96 s[4:6], s[2:3], 0x4
	s_load_b96 s[8:10], s[2:3], 0xc4
	s_cmp_lt_u32 s26, 2
	s_wait_kmcnt 0x0
	v_mul_hi_u32 v5, s5, v0
	s_delay_alu instid0(VALU_DEP_1) | instskip(NEXT) | instid1(VALU_DEP_1)
	v_add_nc_u32_e32 v5, v0, v5
	v_lshrrev_b32_e32 v5, s6, v5
	s_delay_alu instid0(VALU_DEP_1) | instskip(NEXT) | instid1(VALU_DEP_1)
	v_mul_lo_u32 v6, v5, s4
	v_sub_nc_u32_e32 v0, v0, v6
	s_delay_alu instid0(VALU_DEP_1)
	v_mul_lo_u32 v20, v0, s8
	v_mul_lo_u32 v14, v0, s10
	;; [unrolled: 1-line block ×3, first 2 shown]
	s_cbranch_scc1 .LBB69_145
; %bb.143:
	s_clause 0x1
	s_load_b96 s[4:6], s[2:3], 0x10
	s_load_b96 s[8:10], s[2:3], 0xd0
	s_wait_kmcnt 0x0
	v_mul_hi_u32 v0, s5, v5
	s_delay_alu instid0(VALU_DEP_1) | instskip(NEXT) | instid1(VALU_DEP_1)
	v_add_nc_u32_e32 v0, v5, v0
	v_lshrrev_b32_e32 v0, s6, v0
	s_delay_alu instid0(VALU_DEP_1) | instskip(NEXT) | instid1(VALU_DEP_1)
	v_mul_lo_u32 v0, v0, s4
	v_sub_nc_u32_e32 v0, v5, v0
	s_delay_alu instid0(VALU_DEP_1)
	v_mad_u32 v20, v0, s8, v20
	v_mad_u32 v15, v0, s9, v15
	;; [unrolled: 1-line block ×3, first 2 shown]
	s_branch .LBB69_145
.LBB69_144:
	v_dual_mov_b32 v14, 0 :: v_dual_mov_b32 v15, 0
	v_mov_b32_e32 v20, 0
	s_and_not1_b32 vcc_lo, exec_lo, s4
	s_cbranch_vccz .LBB69_142
.LBB69_145:
	v_cmp_ne_u32_e32 vcc_lo, 1, v3
	s_cbranch_vccnz .LBB69_151
; %bb.146:
	s_cmp_lg_u32 s26, 0
	s_mov_b32 s4, 0
	s_cbranch_scc0 .LBB69_155
; %bb.147:
	s_min_u32 s5, s27, 15
	v_dual_mov_b32 v21, 0 :: v_dual_mov_b32 v0, v1
	v_dual_mov_b32 v17, 0 :: v_dual_mov_b32 v16, 0
	s_add_co_i32 s6, s5, 1
	s_mov_b64 s[0:1], 0xffffffffffffffe8
	s_and_b32 s6, s6, 30
	s_add_nc_u64 s[0:1], s[2:3], s[0:1]
.LBB69_148:                             ; =>This Inner Loop Header: Depth=1
	s_clause 0x1
	s_load_b128 s[8:11], s[0:1], 0x1c
	s_load_b64 s[16:17], s[0:1], 0x2c
	s_add_co_i32 s6, s6, -2
	s_delay_alu instid0(SALU_CYCLE_1) | instskip(SKIP_2) | instid1(VALU_DEP_1)
	s_cmp_lg_u32 s6, 0
	s_wait_kmcnt 0x0
	v_mul_hi_u32 v3, s9, v0
	v_add_nc_u32_e32 v3, v0, v3
	s_delay_alu instid0(VALU_DEP_1) | instskip(NEXT) | instid1(VALU_DEP_1)
	v_lshrrev_b32_e32 v3, s10, v3
	v_mul_hi_u32 v5, s16, v3
	v_mul_lo_u32 v6, v3, s8
	s_clause 0x1
	s_load_b128 s[12:15], s[0:1], 0xdc
	s_load_b64 s[8:9], s[0:1], 0xec
	s_wait_xcnt 0x0
	s_add_nc_u64 s[0:1], s[0:1], 24
	s_delay_alu instid0(VALU_DEP_1) | instskip(NEXT) | instid1(VALU_DEP_1)
	v_dual_add_nc_u32 v5, v3, v5 :: v_dual_sub_nc_u32 v6, v0, v6
	v_lshrrev_b32_e32 v0, s17, v5
	s_wait_kmcnt 0x0
	s_delay_alu instid0(VALU_DEP_2) | instskip(NEXT) | instid1(VALU_DEP_2)
	v_mad_u32 v7, v6, s12, v21
	v_mul_lo_u32 v5, v0, s11
	v_mad_u32 v8, v6, s14, v16
	v_mad_u32 v6, v6, s13, v17
	s_delay_alu instid0(VALU_DEP_3) | instskip(NEXT) | instid1(VALU_DEP_1)
	v_sub_nc_u32_e32 v3, v3, v5
	v_mad_u32 v21, v3, s15, v7
	s_delay_alu instid0(VALU_DEP_4) | instskip(NEXT) | instid1(VALU_DEP_4)
	v_mad_u32 v16, v3, s9, v8
	v_mad_u32 v17, v3, s8, v6
	s_cbranch_scc1 .LBB69_148
; %bb.149:
	s_bitcmp1_b32 s5, 0
	s_cselect_b32 s5, -1, 0
	s_delay_alu instid0(SALU_CYCLE_1)
	s_and_b32 vcc_lo, exec_lo, s5
	s_cbranch_vccnz .LBB69_152
; %bb.150:
	s_clause 0x1
	s_load_b96 s[8:10], s[0:1], 0x1c
	s_load_b96 s[12:14], s[0:1], 0xdc
	s_wait_kmcnt 0x0
	v_mul_hi_u32 v3, s9, v0
	s_delay_alu instid0(VALU_DEP_1) | instskip(NEXT) | instid1(VALU_DEP_1)
	v_add_nc_u32_e32 v3, v0, v3
	v_lshrrev_b32_e32 v3, s10, v3
	s_delay_alu instid0(VALU_DEP_1) | instskip(NEXT) | instid1(VALU_DEP_1)
	v_mul_lo_u32 v3, v3, s8
	v_sub_nc_u32_e32 v0, v0, v3
	s_delay_alu instid0(VALU_DEP_1)
	v_mad_u32 v21, v0, s12, v21
	v_mad_u32 v17, v0, s13, v17
	;; [unrolled: 1-line block ×3, first 2 shown]
	s_and_not1_b32 vcc_lo, exec_lo, s4
	s_cbranch_vccz .LBB69_153
	s_branch .LBB69_156
.LBB69_151:
	s_mov_b32 s4, -1
                                        ; implicit-def: $vgpr16
                                        ; implicit-def: $vgpr17
                                        ; implicit-def: $vgpr21
.LBB69_152:
	s_delay_alu instid0(SALU_CYCLE_1)
	s_and_not1_b32 vcc_lo, exec_lo, s4
	s_cbranch_vccnz .LBB69_156
.LBB69_153:
	s_clause 0x1
	s_load_b96 s[4:6], s[2:3], 0x4
	s_load_b96 s[8:10], s[2:3], 0xc4
	s_cmp_lt_u32 s26, 2
	s_wait_kmcnt 0x0
	v_mul_hi_u32 v0, s5, v1
	s_delay_alu instid0(VALU_DEP_1) | instskip(NEXT) | instid1(VALU_DEP_1)
	v_add_nc_u32_e32 v0, v1, v0
	v_lshrrev_b32_e32 v0, s6, v0
	s_delay_alu instid0(VALU_DEP_1) | instskip(NEXT) | instid1(VALU_DEP_1)
	v_mul_lo_u32 v3, v0, s4
	v_sub_nc_u32_e32 v1, v1, v3
	s_delay_alu instid0(VALU_DEP_1)
	v_mul_lo_u32 v21, v1, s8
	v_mul_lo_u32 v16, v1, s10
	;; [unrolled: 1-line block ×3, first 2 shown]
	s_cbranch_scc1 .LBB69_156
; %bb.154:
	s_clause 0x1
	s_load_b96 s[4:6], s[2:3], 0x10
	s_load_b96 s[8:10], s[2:3], 0xd0
	s_wait_kmcnt 0x0
	v_mul_hi_u32 v1, s5, v0
	s_delay_alu instid0(VALU_DEP_1) | instskip(NEXT) | instid1(VALU_DEP_1)
	v_add_nc_u32_e32 v1, v0, v1
	v_lshrrev_b32_e32 v1, s6, v1
	s_delay_alu instid0(VALU_DEP_1) | instskip(NEXT) | instid1(VALU_DEP_1)
	v_mul_lo_u32 v1, v1, s4
	v_sub_nc_u32_e32 v0, v0, v1
	s_delay_alu instid0(VALU_DEP_1)
	v_mad_u32 v21, v0, s8, v21
	v_mad_u32 v17, v0, s9, v17
	;; [unrolled: 1-line block ×3, first 2 shown]
	s_branch .LBB69_156
.LBB69_155:
	v_dual_mov_b32 v16, 0 :: v_dual_mov_b32 v17, 0
	v_mov_b32_e32 v21, 0
	s_and_not1_b32 vcc_lo, exec_lo, s4
	s_cbranch_vccz .LBB69_153
.LBB69_156:
	s_clause 0x1
	s_load_b64 s[8:9], s[2:3], 0x198
	s_load_b128 s[4:7], s[2:3], 0x188
	s_mov_b32 s1, exec_lo
	s_wait_kmcnt 0x0
	global_load_b64 v[2:3], v2, s[8:9]
	global_load_b64 v[4:5], v4, s[6:7]
	s_wait_loadcnt 0x1
	v_sub_nc_u64_e32 v[0:1], 0, v[2:3]
	s_delay_alu instid0(VALU_DEP_1)
	v_max_i64 v[6:7], v[2:3], v[0:1]
	s_wait_loadcnt 0x0
	v_cmpx_ne_u64_e32 0, v[4:5]
	s_cbranch_execz .LBB69_164
; %bb.157:
	v_sub_nc_u64_e32 v[0:1], 0, v[4:5]
	s_mov_b32 s2, 0
	s_delay_alu instid0(VALU_DEP_1)
	v_max_i64 v[10:11], v[4:5], v[0:1]
	v_mov_b32_e32 v0, 0
	s_branch .LBB69_159
.LBB69_158:                             ;   in Loop: Header=BB69_159 Depth=1
	s_or_b32 exec_lo, exec_lo, s0
	s_delay_alu instid0(VALU_DEP_1) | instskip(SKIP_2) | instid1(SALU_CYCLE_1)
	v_cmp_eq_u64_e32 vcc_lo, 0, v[10:11]
	v_mov_b64_e32 v[6:7], v[8:9]
	s_or_b32 s2, vcc_lo, s2
	s_and_not1_b32 exec_lo, exec_lo, s2
	s_cbranch_execz .LBB69_163
.LBB69_159:                             ; =>This Inner Loop Header: Depth=1
	s_delay_alu instid0(VALU_DEP_2) | instskip(SKIP_1) | instid1(VALU_DEP_1)
	v_mov_b64_e32 v[8:9], v[10:11]
                                        ; implicit-def: $vgpr10_vgpr11
	s_mov_b32 s0, exec_lo
	v_or_b32_e32 v1, v7, v9
	s_delay_alu instid0(VALU_DEP_1)
	v_cmpx_ne_u64_e32 0, v[0:1]
	s_xor_b32 s3, exec_lo, s0
	s_cbranch_execz .LBB69_161
; %bb.160:                              ;   in Loop: Header=BB69_159 Depth=1
	s_delay_alu instid0(VALU_DEP_3) | instskip(SKIP_3) | instid1(VALU_DEP_3)
	v_cvt_f32_u32_e32 v1, v8
	v_cvt_f32_u32_e32 v10, v9
	v_sub_nc_u64_e32 v[22:23], 0, v[8:9]
	v_dual_mov_b32 v29, v0 :: v_dual_mov_b32 v31, v0
	v_fmac_f32_e32 v1, 0x4f800000, v10
	s_delay_alu instid0(VALU_DEP_1) | instskip(SKIP_1) | instid1(TRANS32_DEP_1)
	v_rcp_f32_e32 v1, v1
	v_nop
	v_mul_f32_e32 v1, 0x5f7ffffc, v1
	s_delay_alu instid0(VALU_DEP_1) | instskip(NEXT) | instid1(VALU_DEP_1)
	v_mul_f32_e32 v10, 0x2f800000, v1
	v_trunc_f32_e32 v11, v10
	s_delay_alu instid0(VALU_DEP_1) | instskip(SKIP_1) | instid1(VALU_DEP_2)
	v_cvt_u32_f32_e32 v25, v11
	v_fmac_f32_e32 v1, 0xcf800000, v11
	v_dual_mov_b32 v11, v0 :: v_dual_mov_b32 v30, v25
	s_delay_alu instid0(VALU_DEP_2) | instskip(NEXT) | instid1(VALU_DEP_1)
	v_cvt_u32_f32_e32 v10, v1
	v_mov_b32_e32 v24, v10
	s_delay_alu instid0(VALU_DEP_1) | instskip(NEXT) | instid1(VALU_DEP_1)
	v_mul_u64_e32 v[26:27], v[22:23], v[24:25]
	v_dual_mov_b32 v28, v27 :: v_dual_mov_b32 v27, v0
	s_delay_alu instid0(VALU_DEP_1) | instskip(NEXT) | instid1(VALU_DEP_2)
	v_mul_u64_e32 v[32:33], v[10:11], v[28:29]
	v_mul_u64_e32 v[34:35], v[30:31], v[26:27]
	;; [unrolled: 1-line block ×3, first 2 shown]
	v_mul_hi_u32 v26, v10, v26
	s_delay_alu instid0(VALU_DEP_1) | instskip(NEXT) | instid1(VALU_DEP_1)
	v_add_nc_u64_e32 v[26:27], v[26:27], v[32:33]
	v_add_co_u32 v1, vcc_lo, v26, v34
	s_delay_alu instid0(VALU_DEP_2) | instskip(SKIP_1) | instid1(VALU_DEP_1)
	v_add_co_ci_u32_e32 v30, vcc_lo, v27, v35, vcc_lo
	v_add_co_ci_u32_e32 v29, vcc_lo, 0, v29, vcc_lo
	v_add_nc_u64_e32 v[26:27], v[30:31], v[28:29]
	s_delay_alu instid0(VALU_DEP_1) | instskip(NEXT) | instid1(VALU_DEP_1)
	v_add_co_u32 v10, vcc_lo, v10, v26
	v_add_co_ci_u32_e64 v24, null, v25, v27, vcc_lo
	v_dual_mov_b32 v27, v0 :: v_dual_mov_b32 v25, v0
	s_delay_alu instid0(VALU_DEP_2) | instskip(NEXT) | instid1(VALU_DEP_1)
	v_mov_b32_e32 v11, v24
	v_mul_u64_e32 v[22:23], v[22:23], v[10:11]
	s_delay_alu instid0(VALU_DEP_1) | instskip(NEXT) | instid1(VALU_DEP_2)
	v_dual_mov_b32 v11, v0 :: v_dual_mov_b32 v26, v23
	v_dual_mov_b32 v30, v22 :: v_dual_mov_b32 v23, v0
	v_mul_hi_u32 v22, v10, v22
	s_delay_alu instid0(VALU_DEP_3) | instskip(NEXT) | instid1(VALU_DEP_3)
	v_mul_u64_e32 v[28:29], v[10:11], v[26:27]
	v_mul_u64_e32 v[30:31], v[24:25], v[30:31]
	;; [unrolled: 1-line block ×3, first 2 shown]
	s_delay_alu instid0(VALU_DEP_3) | instskip(SKIP_1) | instid1(VALU_DEP_2)
	v_add_nc_u64_e32 v[22:23], v[22:23], v[28:29]
	v_mov_b32_e32 v29, v0
	v_add_co_u32 v1, vcc_lo, v22, v30
	s_delay_alu instid0(VALU_DEP_3) | instskip(SKIP_1) | instid1(VALU_DEP_1)
	v_add_co_ci_u32_e32 v28, vcc_lo, v23, v31, vcc_lo
	v_add_co_ci_u32_e32 v27, vcc_lo, 0, v27, vcc_lo
	v_add_nc_u64_e32 v[22:23], v[28:29], v[26:27]
	v_dual_mov_b32 v26, v6 :: v_dual_mov_b32 v27, v0
	s_delay_alu instid0(VALU_DEP_2) | instskip(NEXT) | instid1(VALU_DEP_1)
	v_add_co_u32 v22, vcc_lo, v10, v22
	v_add_co_ci_u32_e64 v10, null, v24, v23, vcc_lo
	v_dual_mov_b32 v24, v7 :: v_dual_mov_b32 v23, v0
	s_delay_alu instid0(VALU_DEP_2) | instskip(NEXT) | instid1(VALU_DEP_2)
	v_mul_u64_e32 v[26:27], v[26:27], v[10:11]
	v_mul_u64_e32 v[10:11], v[24:25], v[10:11]
	s_delay_alu instid0(VALU_DEP_3) | instskip(SKIP_1) | instid1(VALU_DEP_1)
	v_mul_u64_e32 v[28:29], v[24:25], v[22:23]
	v_mul_hi_u32 v22, v6, v22
	v_add_nc_u64_e32 v[22:23], v[22:23], v[26:27]
	s_delay_alu instid0(VALU_DEP_1) | instskip(NEXT) | instid1(VALU_DEP_2)
	v_add_co_u32 v1, vcc_lo, v22, v28
	v_add_co_ci_u32_e32 v24, vcc_lo, v23, v29, vcc_lo
	v_add_co_ci_u32_e32 v11, vcc_lo, 0, v11, vcc_lo
	s_delay_alu instid0(VALU_DEP_1) | instskip(NEXT) | instid1(VALU_DEP_1)
	v_add_nc_u64_e32 v[10:11], v[24:25], v[10:11]
	v_mul_u64_e32 v[10:11], v[8:9], v[10:11]
	s_delay_alu instid0(VALU_DEP_1) | instskip(NEXT) | instid1(VALU_DEP_2)
	v_sub_nc_u32_e32 v1, v7, v11
	v_sub_co_u32 v6, vcc_lo, v6, v10
	s_delay_alu instid0(VALU_DEP_1) | instskip(NEXT) | instid1(VALU_DEP_3)
	v_sub_co_ci_u32_e64 v7, null, v7, v11, vcc_lo
	v_sub_co_ci_u32_e64 v1, null, v1, v9, vcc_lo
	s_delay_alu instid0(VALU_DEP_3) | instskip(SKIP_1) | instid1(VALU_DEP_3)
	v_sub_co_u32 v10, vcc_lo, v6, v8
	v_cmp_ge_u32_e64 s0, v6, v8
	v_subrev_co_ci_u32_e64 v11, null, 0, v1, vcc_lo
	v_sub_co_ci_u32_e64 v1, null, v1, v9, vcc_lo
	s_delay_alu instid0(VALU_DEP_3) | instskip(SKIP_2) | instid1(VALU_DEP_2)
	v_cndmask_b32_e64 v22, 0, -1, s0
	v_cmp_ge_u32_e64 s0, v10, v8
	v_cmp_ge_u32_e32 vcc_lo, v7, v9
	v_cndmask_b32_e64 v23, 0, -1, s0
	v_cmp_ge_u32_e64 s0, v11, v9
	v_cndmask_b32_e64 v25, 0, -1, vcc_lo
	v_cmp_eq_u32_e32 vcc_lo, v11, v9
	s_delay_alu instid0(VALU_DEP_3) | instskip(SKIP_1) | instid1(VALU_DEP_1)
	v_cndmask_b32_e64 v24, 0, -1, s0
	v_cmp_eq_u32_e64 s0, v7, v9
	v_dual_cndmask_b32 v23, v24, v23, vcc_lo :: v_dual_cndmask_b32 v22, v25, v22, s0
	v_sub_co_u32 v24, vcc_lo, v10, v8
	s_delay_alu instid0(VALU_DEP_1) | instskip(NEXT) | instid1(VALU_DEP_3)
	v_subrev_co_ci_u32_e64 v1, null, 0, v1, vcc_lo
	v_cmp_ne_u32_e32 vcc_lo, 0, v23
	s_delay_alu instid0(VALU_DEP_2) | instskip(SKIP_1) | instid1(VALU_DEP_2)
	v_dual_cndmask_b32 v1, v11, v1 :: v_dual_cndmask_b32 v10, v10, v24
	v_cmp_ne_u32_e32 vcc_lo, 0, v22
	v_dual_cndmask_b32 v11, v7, v1 :: v_dual_cndmask_b32 v10, v6, v10
                                        ; implicit-def: $vgpr6_vgpr7
.LBB69_161:                             ;   in Loop: Header=BB69_159 Depth=1
	s_and_not1_saveexec_b32 s0, s3
	s_cbranch_execz .LBB69_158
; %bb.162:                              ;   in Loop: Header=BB69_159 Depth=1
	v_cvt_f32_u32_e32 v1, v8
	v_dual_sub_nc_u32 v7, 0, v8 :: v_dual_mov_b32 v11, v0
	s_delay_alu instid0(VALU_DEP_2) | instskip(SKIP_1) | instid1(TRANS32_DEP_1)
	v_rcp_iflag_f32_e32 v1, v1
	v_nop
	v_mul_f32_e32 v1, 0x4f7ffffe, v1
	s_delay_alu instid0(VALU_DEP_1) | instskip(NEXT) | instid1(VALU_DEP_1)
	v_cvt_u32_f32_e32 v1, v1
	v_mul_lo_u32 v7, v7, v1
	s_delay_alu instid0(VALU_DEP_1) | instskip(NEXT) | instid1(VALU_DEP_1)
	v_mul_hi_u32 v7, v1, v7
	v_add_nc_u32_e32 v1, v1, v7
	s_delay_alu instid0(VALU_DEP_1) | instskip(NEXT) | instid1(VALU_DEP_1)
	v_mul_hi_u32 v1, v6, v1
	v_mul_lo_u32 v1, v1, v8
	s_delay_alu instid0(VALU_DEP_1) | instskip(NEXT) | instid1(VALU_DEP_1)
	v_sub_nc_u32_e32 v1, v6, v1
	v_sub_nc_u32_e32 v6, v1, v8
	v_cmp_ge_u32_e32 vcc_lo, v1, v8
	s_delay_alu instid0(VALU_DEP_2) | instskip(NEXT) | instid1(VALU_DEP_1)
	v_cndmask_b32_e32 v1, v1, v6, vcc_lo
	v_sub_nc_u32_e32 v6, v1, v8
	v_cmp_ge_u32_e32 vcc_lo, v1, v8
	s_delay_alu instid0(VALU_DEP_2)
	v_cndmask_b32_e32 v10, v1, v6, vcc_lo
	s_branch .LBB69_158
.LBB69_163:
	s_or_b32 exec_lo, exec_lo, s2
	v_mov_b64_e32 v[6:7], v[8:9]
.LBB69_164:
	s_or_b32 exec_lo, exec_lo, s1
	v_mov_b64_e32 v[0:1], 0
	s_mov_b32 s1, exec_lo
	s_delay_alu instid0(VALU_DEP_2)
	v_cmpx_ne_u64_e32 0, v[6:7]
	s_cbranch_execz .LBB69_170
; %bb.165:
	v_dual_mov_b32 v0, 0 :: v_dual_bitop2_b32 v1, v5, v7 bitop3:0x54
                                        ; implicit-def: $vgpr8_vgpr9
	s_mov_b32 s0, exec_lo
	s_delay_alu instid0(VALU_DEP_1)
	v_cmpx_ne_u64_e32 0, v[0:1]
	s_xor_b32 s2, exec_lo, s0
	s_cbranch_execz .LBB69_167
; %bb.166:
	v_dual_mov_b32 v11, v0 :: v_dual_ashrrev_i32 v8, 31, v7
	v_dual_mov_b32 v29, v0 :: v_dual_mov_b32 v31, v0
	s_delay_alu instid0(VALU_DEP_2) | instskip(NEXT) | instid1(VALU_DEP_1)
	v_mov_b32_e32 v9, v8
	v_add_nc_u64_e32 v[6:7], v[6:7], v[8:9]
	s_delay_alu instid0(VALU_DEP_1) | instskip(NEXT) | instid1(VALU_DEP_2)
	v_xor_b32_e32 v6, v6, v8
	v_xor_b32_e32 v7, v7, v8
	s_delay_alu instid0(VALU_DEP_2) | instskip(NEXT) | instid1(VALU_DEP_2)
	v_cvt_f32_u32_e32 v1, v6
	v_cvt_f32_u32_e32 v9, v7
	s_delay_alu instid0(VALU_DEP_1) | instskip(NEXT) | instid1(VALU_DEP_1)
	v_fmamk_f32 v1, v9, 0x4f800000, v1
	v_rcp_f32_e32 v1, v1
	v_nop
	s_delay_alu instid0(TRANS32_DEP_1) | instskip(NEXT) | instid1(VALU_DEP_1)
	v_mul_f32_e32 v1, 0x5f7ffffc, v1
	v_mul_f32_e32 v9, 0x2f800000, v1
	s_delay_alu instid0(VALU_DEP_1) | instskip(NEXT) | instid1(VALU_DEP_1)
	v_trunc_f32_e32 v9, v9
	v_fmamk_f32 v1, v9, 0xcf800000, v1
	v_cvt_u32_f32_e32 v25, v9
	s_delay_alu instid0(VALU_DEP_2) | instskip(NEXT) | instid1(VALU_DEP_1)
	v_cvt_u32_f32_e32 v10, v1
	v_dual_mov_b32 v30, v25 :: v_dual_mov_b32 v24, v10
	v_sub_nc_u64_e32 v[22:23], 0, v[6:7]
	s_delay_alu instid0(VALU_DEP_1) | instskip(NEXT) | instid1(VALU_DEP_1)
	v_mul_u64_e32 v[26:27], v[22:23], v[24:25]
	v_dual_mov_b32 v28, v27 :: v_dual_mov_b32 v27, v0
	s_delay_alu instid0(VALU_DEP_1) | instskip(NEXT) | instid1(VALU_DEP_2)
	v_mul_u64_e32 v[32:33], v[10:11], v[28:29]
	v_mul_u64_e32 v[34:35], v[30:31], v[26:27]
	;; [unrolled: 1-line block ×3, first 2 shown]
	v_mul_hi_u32 v26, v10, v26
	s_delay_alu instid0(VALU_DEP_1) | instskip(SKIP_1) | instid1(VALU_DEP_2)
	v_add_nc_u64_e32 v[26:27], v[26:27], v[32:33]
	v_ashrrev_i32_e32 v32, 31, v5
	v_add_co_u32 v1, vcc_lo, v26, v34
	s_delay_alu instid0(VALU_DEP_3) | instskip(SKIP_1) | instid1(VALU_DEP_1)
	v_add_co_ci_u32_e32 v30, vcc_lo, v27, v35, vcc_lo
	v_add_co_ci_u32_e32 v29, vcc_lo, 0, v29, vcc_lo
	v_add_nc_u64_e32 v[26:27], v[30:31], v[28:29]
	s_delay_alu instid0(VALU_DEP_1) | instskip(NEXT) | instid1(VALU_DEP_1)
	v_add_co_u32 v10, vcc_lo, v10, v26
	v_add_co_ci_u32_e64 v24, null, v25, v27, vcc_lo
	v_dual_mov_b32 v27, v0 :: v_dual_mov_b32 v25, v0
	s_delay_alu instid0(VALU_DEP_2) | instskip(NEXT) | instid1(VALU_DEP_1)
	v_mov_b32_e32 v11, v24
	v_mul_u64_e32 v[22:23], v[22:23], v[10:11]
	s_delay_alu instid0(VALU_DEP_1) | instskip(NEXT) | instid1(VALU_DEP_2)
	v_dual_mov_b32 v11, v0 :: v_dual_mov_b32 v26, v23
	v_dual_mov_b32 v30, v22 :: v_dual_mov_b32 v23, v0
	v_mul_hi_u32 v22, v10, v22
	s_delay_alu instid0(VALU_DEP_3) | instskip(NEXT) | instid1(VALU_DEP_3)
	v_mul_u64_e32 v[28:29], v[10:11], v[26:27]
	v_mul_u64_e32 v[30:31], v[24:25], v[30:31]
	;; [unrolled: 1-line block ×3, first 2 shown]
	s_delay_alu instid0(VALU_DEP_3) | instskip(SKIP_1) | instid1(VALU_DEP_2)
	v_add_nc_u64_e32 v[22:23], v[22:23], v[28:29]
	v_dual_mov_b32 v29, v0 :: v_dual_mov_b32 v33, v32
	v_add_co_u32 v1, vcc_lo, v22, v30
	s_delay_alu instid0(VALU_DEP_3) | instskip(SKIP_2) | instid1(VALU_DEP_2)
	v_add_co_ci_u32_e32 v28, vcc_lo, v23, v31, vcc_lo
	v_add_co_ci_u32_e32 v27, vcc_lo, 0, v27, vcc_lo
	v_mov_b32_e32 v1, v0
	v_add_nc_u64_e32 v[22:23], v[28:29], v[26:27]
	v_mov_b32_e32 v27, v0
	v_add_nc_u64_e32 v[4:5], v[4:5], v[32:33]
	s_delay_alu instid0(VALU_DEP_3) | instskip(NEXT) | instid1(VALU_DEP_2)
	v_add_co_u32 v22, vcc_lo, v10, v22
	v_xor_b32_e32 v26, v4, v32
	v_add_co_ci_u32_e64 v10, null, v24, v23, vcc_lo
	s_delay_alu instid0(VALU_DEP_4) | instskip(NEXT) | instid1(VALU_DEP_2)
	v_dual_mov_b32 v23, v0 :: v_dual_bitop2_b32 v24, v5, v32 bitop3:0x14
	v_mul_u64_e32 v[28:29], v[26:27], v[10:11]
	s_delay_alu instid0(VALU_DEP_2) | instskip(SKIP_2) | instid1(VALU_DEP_1)
	v_mul_u64_e32 v[4:5], v[24:25], v[22:23]
	v_mul_u64_e32 v[10:11], v[24:25], v[10:11]
	v_mul_hi_u32 v22, v26, v22
	v_add_nc_u64_e32 v[22:23], v[22:23], v[28:29]
	s_delay_alu instid0(VALU_DEP_1) | instskip(NEXT) | instid1(VALU_DEP_2)
	v_add_co_u32 v0, vcc_lo, v22, v4
	v_add_co_ci_u32_e32 v0, vcc_lo, v23, v5, vcc_lo
	v_add_co_ci_u32_e32 v11, vcc_lo, 0, v11, vcc_lo
	s_delay_alu instid0(VALU_DEP_1) | instskip(NEXT) | instid1(VALU_DEP_1)
	v_add_nc_u64_e32 v[0:1], v[0:1], v[10:11]
	v_mul_u64_e32 v[4:5], v[6:7], v[0:1]
	s_delay_alu instid0(VALU_DEP_1) | instskip(NEXT) | instid1(VALU_DEP_2)
	v_sub_nc_u32_e32 v9, v24, v5
	v_sub_co_u32 v4, vcc_lo, v26, v4
	s_delay_alu instid0(VALU_DEP_1) | instskip(NEXT) | instid1(VALU_DEP_3)
	v_sub_co_ci_u32_e64 v22, null, v24, v5, vcc_lo
	v_sub_co_ci_u32_e64 v9, null, v9, v7, vcc_lo
	s_delay_alu instid0(VALU_DEP_3) | instskip(NEXT) | instid1(VALU_DEP_1)
	v_sub_co_u32 v10, s0, v4, v6
	v_subrev_co_ci_u32_e64 v9, null, 0, v9, s0
	s_delay_alu instid0(VALU_DEP_2) | instskip(SKIP_1) | instid1(VALU_DEP_3)
	v_cmp_ge_u32_e32 vcc_lo, v10, v6
	v_cndmask_b32_e64 v5, 0, -1, vcc_lo
	v_cmp_ge_u32_e32 vcc_lo, v9, v7
	v_cndmask_b32_e64 v10, 0, -1, vcc_lo
	;; [unrolled: 2-line block ×4, first 2 shown]
	v_cmp_eq_u32_e32 vcc_lo, v9, v7
	v_cndmask_b32_e32 v9, v10, v5, vcc_lo
	v_cmp_eq_u32_e32 vcc_lo, v22, v7
	v_add_nc_u64_e32 v[4:5], 2, v[0:1]
	v_add_nc_u64_e32 v[10:11], 1, v[0:1]
	v_cndmask_b32_e32 v6, v23, v6, vcc_lo
	v_cmp_ne_u32_e32 vcc_lo, 0, v9
	s_delay_alu instid0(VALU_DEP_2) | instskip(NEXT) | instid1(VALU_DEP_4)
	v_cmp_ne_u32_e64 s0, 0, v6
	v_dual_cndmask_b32 v5, v11, v5 :: v_dual_cndmask_b32 v6, v10, v4
	s_delay_alu instid0(VALU_DEP_1) | instskip(NEXT) | instid1(VALU_DEP_2)
	v_dual_cndmask_b32 v1, v1, v5, s0 :: v_dual_bitop2_b32 v4, v32, v8 bitop3:0x14
	v_cndmask_b32_e64 v0, v0, v6, s0
	s_delay_alu instid0(VALU_DEP_2) | instskip(NEXT) | instid1(VALU_DEP_3)
	v_mov_b32_e32 v5, v4
                                        ; implicit-def: $vgpr6_vgpr7
	v_xor_b32_e32 v1, v1, v4
	s_delay_alu instid0(VALU_DEP_3) | instskip(NEXT) | instid1(VALU_DEP_1)
	v_xor_b32_e32 v0, v0, v4
	v_sub_nc_u64_e32 v[8:9], v[0:1], v[4:5]
                                        ; implicit-def: $vgpr4_vgpr5
.LBB69_167:
	s_and_not1_saveexec_b32 s0, s2
	s_cbranch_execz .LBB69_169
; %bb.168:
	v_cvt_f32_u32_e32 v0, v6
	v_dual_sub_nc_u32 v1, 0, v6 :: v_dual_mov_b32 v9, 0
	s_delay_alu instid0(VALU_DEP_2) | instskip(SKIP_1) | instid1(TRANS32_DEP_1)
	v_rcp_iflag_f32_e32 v0, v0
	v_nop
	v_mul_f32_e32 v0, 0x4f7ffffe, v0
	s_delay_alu instid0(VALU_DEP_1) | instskip(NEXT) | instid1(VALU_DEP_1)
	v_cvt_u32_f32_e32 v0, v0
	v_mul_lo_u32 v1, v1, v0
	s_delay_alu instid0(VALU_DEP_1) | instskip(NEXT) | instid1(VALU_DEP_1)
	v_mul_hi_u32 v1, v0, v1
	v_add_nc_u32_e32 v0, v0, v1
	s_delay_alu instid0(VALU_DEP_1) | instskip(NEXT) | instid1(VALU_DEP_1)
	v_mul_hi_u32 v0, v4, v0
	v_mul_lo_u32 v1, v0, v6
	s_delay_alu instid0(VALU_DEP_1) | instskip(NEXT) | instid1(VALU_DEP_1)
	v_dual_sub_nc_u32 v1, v4, v1 :: v_dual_add_nc_u32 v4, 1, v0
	v_sub_nc_u32_e32 v5, v1, v6
	v_cmp_ge_u32_e32 vcc_lo, v1, v6
	s_delay_alu instid0(VALU_DEP_2) | instskip(NEXT) | instid1(VALU_DEP_1)
	v_dual_cndmask_b32 v1, v1, v5 :: v_dual_cndmask_b32 v0, v0, v4
	v_cmp_ge_u32_e32 vcc_lo, v1, v6
	s_delay_alu instid0(VALU_DEP_2) | instskip(NEXT) | instid1(VALU_DEP_1)
	v_add_nc_u32_e32 v4, 1, v0
	v_cndmask_b32_e32 v8, v0, v4, vcc_lo
.LBB69_169:
	s_or_b32 exec_lo, exec_lo, s0
	s_delay_alu instid0(VALU_DEP_1) | instskip(NEXT) | instid1(VALU_DEP_1)
	v_mul_u64_e32 v[0:1], v[8:9], v[2:3]
	v_sub_nc_u64_e32 v[2:3], 0, v[0:1]
	s_delay_alu instid0(VALU_DEP_1)
	v_max_i64 v[0:1], v[0:1], v[2:3]
.LBB69_170:
	s_or_b32 exec_lo, exec_lo, s1
	global_load_b64 v[4:5], v12, s[8:9]
	global_load_b64 v[6:7], v13, s[6:7]
	s_mov_b32 s1, exec_lo
	s_wait_loadcnt 0x1
	v_sub_nc_u64_e32 v[2:3], 0, v[4:5]
	s_delay_alu instid0(VALU_DEP_1)
	v_max_i64 v[8:9], v[4:5], v[2:3]
	s_wait_loadcnt 0x0
	v_cmpx_ne_u64_e32 0, v[6:7]
	s_cbranch_execz .LBB69_178
; %bb.171:
	v_sub_nc_u64_e32 v[2:3], 0, v[6:7]
	s_mov_b32 s2, 0
	s_delay_alu instid0(VALU_DEP_1)
	v_max_i64 v[12:13], v[6:7], v[2:3]
	v_mov_b32_e32 v2, 0
	s_branch .LBB69_173
.LBB69_172:                             ;   in Loop: Header=BB69_173 Depth=1
	s_or_b32 exec_lo, exec_lo, s0
	s_delay_alu instid0(VALU_DEP_1) | instskip(SKIP_2) | instid1(SALU_CYCLE_1)
	v_cmp_eq_u64_e32 vcc_lo, 0, v[12:13]
	v_mov_b64_e32 v[8:9], v[10:11]
	s_or_b32 s2, vcc_lo, s2
	s_and_not1_b32 exec_lo, exec_lo, s2
	s_cbranch_execz .LBB69_177
.LBB69_173:                             ; =>This Inner Loop Header: Depth=1
	s_delay_alu instid0(VALU_DEP_2) | instskip(SKIP_1) | instid1(VALU_DEP_1)
	v_mov_b64_e32 v[10:11], v[12:13]
                                        ; implicit-def: $vgpr12_vgpr13
	s_mov_b32 s0, exec_lo
	v_or_b32_e32 v3, v9, v11
	s_delay_alu instid0(VALU_DEP_1)
	v_cmpx_ne_u64_e32 0, v[2:3]
	s_xor_b32 s3, exec_lo, s0
	s_cbranch_execz .LBB69_175
; %bb.174:                              ;   in Loop: Header=BB69_173 Depth=1
	s_delay_alu instid0(VALU_DEP_3) | instskip(SKIP_3) | instid1(VALU_DEP_3)
	v_cvt_f32_u32_e32 v3, v10
	v_cvt_f32_u32_e32 v12, v11
	v_sub_nc_u64_e32 v[22:23], 0, v[10:11]
	v_dual_mov_b32 v29, v2 :: v_dual_mov_b32 v31, v2
	v_fmac_f32_e32 v3, 0x4f800000, v12
	s_delay_alu instid0(VALU_DEP_1) | instskip(SKIP_1) | instid1(TRANS32_DEP_1)
	v_rcp_f32_e32 v3, v3
	v_nop
	v_mul_f32_e32 v3, 0x5f7ffffc, v3
	s_delay_alu instid0(VALU_DEP_1) | instskip(NEXT) | instid1(VALU_DEP_1)
	v_mul_f32_e32 v12, 0x2f800000, v3
	v_trunc_f32_e32 v13, v12
	s_delay_alu instid0(VALU_DEP_1) | instskip(SKIP_1) | instid1(VALU_DEP_2)
	v_cvt_u32_f32_e32 v25, v13
	v_fmac_f32_e32 v3, 0xcf800000, v13
	v_dual_mov_b32 v13, v2 :: v_dual_mov_b32 v30, v25
	s_delay_alu instid0(VALU_DEP_2) | instskip(NEXT) | instid1(VALU_DEP_1)
	v_cvt_u32_f32_e32 v12, v3
	v_mov_b32_e32 v24, v12
	s_delay_alu instid0(VALU_DEP_1) | instskip(NEXT) | instid1(VALU_DEP_1)
	v_mul_u64_e32 v[26:27], v[22:23], v[24:25]
	v_dual_mov_b32 v28, v27 :: v_dual_mov_b32 v27, v2
	s_delay_alu instid0(VALU_DEP_1) | instskip(NEXT) | instid1(VALU_DEP_2)
	v_mul_u64_e32 v[32:33], v[12:13], v[28:29]
	v_mul_u64_e32 v[34:35], v[30:31], v[26:27]
	v_mul_u64_e32 v[28:29], v[30:31], v[28:29]
	v_mul_hi_u32 v26, v12, v26
	s_delay_alu instid0(VALU_DEP_1) | instskip(NEXT) | instid1(VALU_DEP_1)
	v_add_nc_u64_e32 v[26:27], v[26:27], v[32:33]
	v_add_co_u32 v3, vcc_lo, v26, v34
	s_delay_alu instid0(VALU_DEP_2) | instskip(SKIP_1) | instid1(VALU_DEP_1)
	v_add_co_ci_u32_e32 v30, vcc_lo, v27, v35, vcc_lo
	v_add_co_ci_u32_e32 v29, vcc_lo, 0, v29, vcc_lo
	v_add_nc_u64_e32 v[26:27], v[30:31], v[28:29]
	s_delay_alu instid0(VALU_DEP_1) | instskip(NEXT) | instid1(VALU_DEP_1)
	v_add_co_u32 v12, vcc_lo, v12, v26
	v_add_co_ci_u32_e64 v24, null, v25, v27, vcc_lo
	v_dual_mov_b32 v27, v2 :: v_dual_mov_b32 v25, v2
	s_delay_alu instid0(VALU_DEP_2) | instskip(NEXT) | instid1(VALU_DEP_1)
	v_mov_b32_e32 v13, v24
	v_mul_u64_e32 v[22:23], v[22:23], v[12:13]
	s_delay_alu instid0(VALU_DEP_1) | instskip(NEXT) | instid1(VALU_DEP_2)
	v_dual_mov_b32 v13, v2 :: v_dual_mov_b32 v26, v23
	v_dual_mov_b32 v30, v22 :: v_dual_mov_b32 v23, v2
	v_mul_hi_u32 v22, v12, v22
	s_delay_alu instid0(VALU_DEP_3) | instskip(NEXT) | instid1(VALU_DEP_3)
	v_mul_u64_e32 v[28:29], v[12:13], v[26:27]
	v_mul_u64_e32 v[30:31], v[24:25], v[30:31]
	v_mul_u64_e32 v[26:27], v[24:25], v[26:27]
	s_delay_alu instid0(VALU_DEP_3) | instskip(SKIP_1) | instid1(VALU_DEP_2)
	v_add_nc_u64_e32 v[22:23], v[22:23], v[28:29]
	v_mov_b32_e32 v29, v2
	v_add_co_u32 v3, vcc_lo, v22, v30
	s_delay_alu instid0(VALU_DEP_3) | instskip(SKIP_1) | instid1(VALU_DEP_1)
	v_add_co_ci_u32_e32 v28, vcc_lo, v23, v31, vcc_lo
	v_add_co_ci_u32_e32 v27, vcc_lo, 0, v27, vcc_lo
	v_add_nc_u64_e32 v[22:23], v[28:29], v[26:27]
	v_dual_mov_b32 v26, v8 :: v_dual_mov_b32 v27, v2
	s_delay_alu instid0(VALU_DEP_2) | instskip(NEXT) | instid1(VALU_DEP_1)
	v_add_co_u32 v22, vcc_lo, v12, v22
	v_add_co_ci_u32_e64 v12, null, v24, v23, vcc_lo
	v_dual_mov_b32 v24, v9 :: v_dual_mov_b32 v23, v2
	s_delay_alu instid0(VALU_DEP_2) | instskip(NEXT) | instid1(VALU_DEP_2)
	v_mul_u64_e32 v[26:27], v[26:27], v[12:13]
	v_mul_u64_e32 v[12:13], v[24:25], v[12:13]
	s_delay_alu instid0(VALU_DEP_3) | instskip(SKIP_1) | instid1(VALU_DEP_1)
	v_mul_u64_e32 v[28:29], v[24:25], v[22:23]
	v_mul_hi_u32 v22, v8, v22
	v_add_nc_u64_e32 v[22:23], v[22:23], v[26:27]
	s_delay_alu instid0(VALU_DEP_1) | instskip(NEXT) | instid1(VALU_DEP_2)
	v_add_co_u32 v3, vcc_lo, v22, v28
	v_add_co_ci_u32_e32 v24, vcc_lo, v23, v29, vcc_lo
	v_add_co_ci_u32_e32 v13, vcc_lo, 0, v13, vcc_lo
	s_delay_alu instid0(VALU_DEP_1) | instskip(NEXT) | instid1(VALU_DEP_1)
	v_add_nc_u64_e32 v[12:13], v[24:25], v[12:13]
	v_mul_u64_e32 v[12:13], v[10:11], v[12:13]
	s_delay_alu instid0(VALU_DEP_1) | instskip(NEXT) | instid1(VALU_DEP_2)
	v_sub_nc_u32_e32 v3, v9, v13
	v_sub_co_u32 v8, vcc_lo, v8, v12
	s_delay_alu instid0(VALU_DEP_1) | instskip(NEXT) | instid1(VALU_DEP_3)
	v_sub_co_ci_u32_e64 v9, null, v9, v13, vcc_lo
	v_sub_co_ci_u32_e64 v3, null, v3, v11, vcc_lo
	s_delay_alu instid0(VALU_DEP_3) | instskip(SKIP_1) | instid1(VALU_DEP_3)
	v_sub_co_u32 v12, vcc_lo, v8, v10
	v_cmp_ge_u32_e64 s0, v8, v10
	v_subrev_co_ci_u32_e64 v13, null, 0, v3, vcc_lo
	v_sub_co_ci_u32_e64 v3, null, v3, v11, vcc_lo
	s_delay_alu instid0(VALU_DEP_3) | instskip(SKIP_2) | instid1(VALU_DEP_2)
	v_cndmask_b32_e64 v22, 0, -1, s0
	v_cmp_ge_u32_e64 s0, v12, v10
	v_cmp_ge_u32_e32 vcc_lo, v9, v11
	v_cndmask_b32_e64 v23, 0, -1, s0
	v_cmp_ge_u32_e64 s0, v13, v11
	v_cndmask_b32_e64 v25, 0, -1, vcc_lo
	v_cmp_eq_u32_e32 vcc_lo, v13, v11
	s_delay_alu instid0(VALU_DEP_3) | instskip(SKIP_1) | instid1(VALU_DEP_1)
	v_cndmask_b32_e64 v24, 0, -1, s0
	v_cmp_eq_u32_e64 s0, v9, v11
	v_dual_cndmask_b32 v23, v24, v23, vcc_lo :: v_dual_cndmask_b32 v22, v25, v22, s0
	v_sub_co_u32 v24, vcc_lo, v12, v10
	s_delay_alu instid0(VALU_DEP_1) | instskip(NEXT) | instid1(VALU_DEP_3)
	v_subrev_co_ci_u32_e64 v3, null, 0, v3, vcc_lo
	v_cmp_ne_u32_e32 vcc_lo, 0, v23
	s_delay_alu instid0(VALU_DEP_2) | instskip(SKIP_1) | instid1(VALU_DEP_2)
	v_dual_cndmask_b32 v3, v13, v3 :: v_dual_cndmask_b32 v12, v12, v24
	v_cmp_ne_u32_e32 vcc_lo, 0, v22
	v_dual_cndmask_b32 v13, v9, v3 :: v_dual_cndmask_b32 v12, v8, v12
                                        ; implicit-def: $vgpr8_vgpr9
.LBB69_175:                             ;   in Loop: Header=BB69_173 Depth=1
	s_and_not1_saveexec_b32 s0, s3
	s_cbranch_execz .LBB69_172
; %bb.176:                              ;   in Loop: Header=BB69_173 Depth=1
	v_cvt_f32_u32_e32 v3, v10
	v_dual_sub_nc_u32 v9, 0, v10 :: v_dual_mov_b32 v13, v2
	s_delay_alu instid0(VALU_DEP_2) | instskip(SKIP_1) | instid1(TRANS32_DEP_1)
	v_rcp_iflag_f32_e32 v3, v3
	v_nop
	v_mul_f32_e32 v3, 0x4f7ffffe, v3
	s_delay_alu instid0(VALU_DEP_1) | instskip(NEXT) | instid1(VALU_DEP_1)
	v_cvt_u32_f32_e32 v3, v3
	v_mul_lo_u32 v9, v9, v3
	s_delay_alu instid0(VALU_DEP_1) | instskip(NEXT) | instid1(VALU_DEP_1)
	v_mul_hi_u32 v9, v3, v9
	v_add_nc_u32_e32 v3, v3, v9
	s_delay_alu instid0(VALU_DEP_1) | instskip(NEXT) | instid1(VALU_DEP_1)
	v_mul_hi_u32 v3, v8, v3
	v_mul_lo_u32 v3, v3, v10
	s_delay_alu instid0(VALU_DEP_1) | instskip(NEXT) | instid1(VALU_DEP_1)
	v_sub_nc_u32_e32 v3, v8, v3
	v_sub_nc_u32_e32 v8, v3, v10
	v_cmp_ge_u32_e32 vcc_lo, v3, v10
	s_delay_alu instid0(VALU_DEP_2) | instskip(NEXT) | instid1(VALU_DEP_1)
	v_cndmask_b32_e32 v3, v3, v8, vcc_lo
	v_sub_nc_u32_e32 v8, v3, v10
	v_cmp_ge_u32_e32 vcc_lo, v3, v10
	s_delay_alu instid0(VALU_DEP_2)
	v_cndmask_b32_e32 v12, v3, v8, vcc_lo
	s_branch .LBB69_172
.LBB69_177:
	s_or_b32 exec_lo, exec_lo, s2
	v_mov_b64_e32 v[8:9], v[10:11]
.LBB69_178:
	s_or_b32 exec_lo, exec_lo, s1
	v_mov_b64_e32 v[2:3], 0
	s_mov_b32 s1, exec_lo
	s_delay_alu instid0(VALU_DEP_2)
	v_cmpx_ne_u64_e32 0, v[8:9]
	s_cbranch_execz .LBB69_184
; %bb.179:
	v_dual_mov_b32 v2, 0 :: v_dual_bitop2_b32 v3, v7, v9 bitop3:0x54
                                        ; implicit-def: $vgpr10_vgpr11
	s_mov_b32 s0, exec_lo
	s_delay_alu instid0(VALU_DEP_1)
	v_cmpx_ne_u64_e32 0, v[2:3]
	s_xor_b32 s2, exec_lo, s0
	s_cbranch_execz .LBB69_181
; %bb.180:
	v_dual_mov_b32 v13, v2 :: v_dual_ashrrev_i32 v10, 31, v9
	v_dual_mov_b32 v29, v2 :: v_dual_mov_b32 v31, v2
	s_delay_alu instid0(VALU_DEP_2) | instskip(NEXT) | instid1(VALU_DEP_1)
	v_mov_b32_e32 v11, v10
	v_add_nc_u64_e32 v[8:9], v[8:9], v[10:11]
	s_delay_alu instid0(VALU_DEP_1) | instskip(NEXT) | instid1(VALU_DEP_2)
	v_xor_b32_e32 v8, v8, v10
	v_xor_b32_e32 v9, v9, v10
	s_delay_alu instid0(VALU_DEP_2) | instskip(NEXT) | instid1(VALU_DEP_2)
	v_cvt_f32_u32_e32 v3, v8
	v_cvt_f32_u32_e32 v11, v9
	s_delay_alu instid0(VALU_DEP_1) | instskip(NEXT) | instid1(VALU_DEP_1)
	v_fmamk_f32 v3, v11, 0x4f800000, v3
	v_rcp_f32_e32 v3, v3
	v_nop
	s_delay_alu instid0(TRANS32_DEP_1) | instskip(NEXT) | instid1(VALU_DEP_1)
	v_mul_f32_e32 v3, 0x5f7ffffc, v3
	v_mul_f32_e32 v11, 0x2f800000, v3
	s_delay_alu instid0(VALU_DEP_1) | instskip(NEXT) | instid1(VALU_DEP_1)
	v_trunc_f32_e32 v11, v11
	v_fmamk_f32 v3, v11, 0xcf800000, v3
	v_cvt_u32_f32_e32 v25, v11
	s_delay_alu instid0(VALU_DEP_2) | instskip(NEXT) | instid1(VALU_DEP_1)
	v_cvt_u32_f32_e32 v12, v3
	v_dual_mov_b32 v30, v25 :: v_dual_mov_b32 v24, v12
	v_sub_nc_u64_e32 v[22:23], 0, v[8:9]
	s_delay_alu instid0(VALU_DEP_1) | instskip(NEXT) | instid1(VALU_DEP_1)
	v_mul_u64_e32 v[26:27], v[22:23], v[24:25]
	v_dual_mov_b32 v28, v27 :: v_dual_mov_b32 v27, v2
	s_delay_alu instid0(VALU_DEP_1) | instskip(NEXT) | instid1(VALU_DEP_2)
	v_mul_u64_e32 v[32:33], v[12:13], v[28:29]
	v_mul_u64_e32 v[34:35], v[30:31], v[26:27]
	;; [unrolled: 1-line block ×3, first 2 shown]
	v_mul_hi_u32 v26, v12, v26
	s_delay_alu instid0(VALU_DEP_1) | instskip(SKIP_1) | instid1(VALU_DEP_2)
	v_add_nc_u64_e32 v[26:27], v[26:27], v[32:33]
	v_ashrrev_i32_e32 v32, 31, v7
	v_add_co_u32 v3, vcc_lo, v26, v34
	s_delay_alu instid0(VALU_DEP_3) | instskip(SKIP_1) | instid1(VALU_DEP_1)
	v_add_co_ci_u32_e32 v30, vcc_lo, v27, v35, vcc_lo
	v_add_co_ci_u32_e32 v29, vcc_lo, 0, v29, vcc_lo
	v_add_nc_u64_e32 v[26:27], v[30:31], v[28:29]
	s_delay_alu instid0(VALU_DEP_1) | instskip(NEXT) | instid1(VALU_DEP_1)
	v_add_co_u32 v12, vcc_lo, v12, v26
	v_add_co_ci_u32_e64 v24, null, v25, v27, vcc_lo
	v_dual_mov_b32 v25, v2 :: v_dual_mov_b32 v27, v2
	s_delay_alu instid0(VALU_DEP_2) | instskip(NEXT) | instid1(VALU_DEP_1)
	v_mov_b32_e32 v13, v24
	v_mul_u64_e32 v[22:23], v[22:23], v[12:13]
	s_delay_alu instid0(VALU_DEP_1) | instskip(NEXT) | instid1(VALU_DEP_2)
	v_dual_mov_b32 v13, v2 :: v_dual_mov_b32 v26, v23
	v_dual_mov_b32 v30, v22 :: v_dual_mov_b32 v23, v2
	v_mul_hi_u32 v22, v12, v22
	s_delay_alu instid0(VALU_DEP_3) | instskip(NEXT) | instid1(VALU_DEP_3)
	v_mul_u64_e32 v[28:29], v[12:13], v[26:27]
	v_mul_u64_e32 v[30:31], v[24:25], v[30:31]
	v_mul_u64_e32 v[26:27], v[24:25], v[26:27]
	s_delay_alu instid0(VALU_DEP_3) | instskip(SKIP_1) | instid1(VALU_DEP_2)
	v_add_nc_u64_e32 v[22:23], v[22:23], v[28:29]
	v_dual_mov_b32 v29, v2 :: v_dual_mov_b32 v33, v32
	v_add_co_u32 v3, vcc_lo, v22, v30
	s_delay_alu instid0(VALU_DEP_3) | instskip(SKIP_2) | instid1(VALU_DEP_2)
	v_add_co_ci_u32_e32 v28, vcc_lo, v23, v31, vcc_lo
	v_add_co_ci_u32_e32 v27, vcc_lo, 0, v27, vcc_lo
	v_mov_b32_e32 v3, v2
	v_add_nc_u64_e32 v[22:23], v[28:29], v[26:27]
	v_mov_b32_e32 v27, v2
	v_add_nc_u64_e32 v[6:7], v[6:7], v[32:33]
	s_delay_alu instid0(VALU_DEP_3) | instskip(NEXT) | instid1(VALU_DEP_1)
	v_add_co_u32 v22, vcc_lo, v12, v22
	v_add_co_ci_u32_e64 v12, null, v24, v23, vcc_lo
	s_delay_alu instid0(VALU_DEP_3) | instskip(NEXT) | instid1(VALU_DEP_4)
	v_dual_mov_b32 v23, v2 :: v_dual_bitop2_b32 v24, v7, v32 bitop3:0x14
	v_xor_b32_e32 v26, v6, v32
	s_delay_alu instid0(VALU_DEP_2) | instskip(NEXT) | instid1(VALU_DEP_2)
	v_mul_u64_e32 v[6:7], v[24:25], v[22:23]
	v_mul_u64_e32 v[28:29], v[26:27], v[12:13]
	;; [unrolled: 1-line block ×3, first 2 shown]
	v_mul_hi_u32 v22, v26, v22
	s_delay_alu instid0(VALU_DEP_1) | instskip(NEXT) | instid1(VALU_DEP_1)
	v_add_nc_u64_e32 v[22:23], v[22:23], v[28:29]
	v_add_co_u32 v2, vcc_lo, v22, v6
	s_delay_alu instid0(VALU_DEP_2) | instskip(SKIP_1) | instid1(VALU_DEP_1)
	v_add_co_ci_u32_e32 v2, vcc_lo, v23, v7, vcc_lo
	v_add_co_ci_u32_e32 v13, vcc_lo, 0, v13, vcc_lo
	v_add_nc_u64_e32 v[2:3], v[2:3], v[12:13]
	s_delay_alu instid0(VALU_DEP_1) | instskip(NEXT) | instid1(VALU_DEP_1)
	v_mul_u64_e32 v[6:7], v[8:9], v[2:3]
	v_sub_nc_u32_e32 v11, v24, v7
	s_delay_alu instid0(VALU_DEP_2) | instskip(NEXT) | instid1(VALU_DEP_1)
	v_sub_co_u32 v6, vcc_lo, v26, v6
	v_sub_co_ci_u32_e64 v22, null, v24, v7, vcc_lo
	s_delay_alu instid0(VALU_DEP_3) | instskip(NEXT) | instid1(VALU_DEP_3)
	v_sub_co_ci_u32_e64 v11, null, v11, v9, vcc_lo
	v_sub_co_u32 v12, s0, v6, v8
	s_delay_alu instid0(VALU_DEP_1) | instskip(NEXT) | instid1(VALU_DEP_2)
	v_subrev_co_ci_u32_e64 v11, null, 0, v11, s0
	v_cmp_ge_u32_e32 vcc_lo, v12, v8
	v_cndmask_b32_e64 v7, 0, -1, vcc_lo
	s_delay_alu instid0(VALU_DEP_3)
	v_cmp_ge_u32_e32 vcc_lo, v11, v9
	v_cndmask_b32_e64 v12, 0, -1, vcc_lo
	v_cmp_ge_u32_e32 vcc_lo, v6, v8
	v_cndmask_b32_e64 v8, 0, -1, vcc_lo
	;; [unrolled: 2-line block ×3, first 2 shown]
	v_cmp_eq_u32_e32 vcc_lo, v11, v9
	v_cndmask_b32_e32 v11, v12, v7, vcc_lo
	v_cmp_eq_u32_e32 vcc_lo, v22, v9
	v_add_nc_u64_e32 v[6:7], 2, v[2:3]
	v_add_nc_u64_e32 v[12:13], 1, v[2:3]
	v_cndmask_b32_e32 v8, v23, v8, vcc_lo
	v_cmp_ne_u32_e32 vcc_lo, 0, v11
	s_delay_alu instid0(VALU_DEP_3) | instskip(NEXT) | instid1(VALU_DEP_3)
	v_cndmask_b32_e32 v7, v13, v7, vcc_lo
	v_cmp_ne_u32_e64 s0, 0, v8
	s_delay_alu instid0(VALU_DEP_1) | instskip(NEXT) | instid1(VALU_DEP_1)
	v_dual_cndmask_b32 v8, v12, v6, vcc_lo :: v_dual_cndmask_b32 v3, v3, v7, s0
	v_dual_cndmask_b32 v2, v2, v8, s0 :: v_dual_bitop2_b32 v6, v32, v10 bitop3:0x14
                                        ; implicit-def: $vgpr8_vgpr9
	s_delay_alu instid0(VALU_DEP_1) | instskip(NEXT) | instid1(VALU_DEP_2)
	v_dual_mov_b32 v7, v6 :: v_dual_bitop2_b32 v3, v3, v6 bitop3:0x14
	v_xor_b32_e32 v2, v2, v6
	s_delay_alu instid0(VALU_DEP_1)
	v_sub_nc_u64_e32 v[10:11], v[2:3], v[6:7]
                                        ; implicit-def: $vgpr6_vgpr7
.LBB69_181:
	s_and_not1_saveexec_b32 s0, s2
	s_cbranch_execz .LBB69_183
; %bb.182:
	v_cvt_f32_u32_e32 v2, v8
	v_dual_sub_nc_u32 v3, 0, v8 :: v_dual_mov_b32 v11, 0
	s_delay_alu instid0(VALU_DEP_2) | instskip(SKIP_1) | instid1(TRANS32_DEP_1)
	v_rcp_iflag_f32_e32 v2, v2
	v_nop
	v_mul_f32_e32 v2, 0x4f7ffffe, v2
	s_delay_alu instid0(VALU_DEP_1) | instskip(NEXT) | instid1(VALU_DEP_1)
	v_cvt_u32_f32_e32 v2, v2
	v_mul_lo_u32 v3, v3, v2
	s_delay_alu instid0(VALU_DEP_1) | instskip(NEXT) | instid1(VALU_DEP_1)
	v_mul_hi_u32 v3, v2, v3
	v_add_nc_u32_e32 v2, v2, v3
	s_delay_alu instid0(VALU_DEP_1) | instskip(NEXT) | instid1(VALU_DEP_1)
	v_mul_hi_u32 v2, v6, v2
	v_mul_lo_u32 v3, v2, v8
	s_delay_alu instid0(VALU_DEP_1) | instskip(NEXT) | instid1(VALU_DEP_1)
	v_dual_sub_nc_u32 v3, v6, v3 :: v_dual_add_nc_u32 v6, 1, v2
	v_sub_nc_u32_e32 v7, v3, v8
	v_cmp_ge_u32_e32 vcc_lo, v3, v8
	s_delay_alu instid0(VALU_DEP_2) | instskip(NEXT) | instid1(VALU_DEP_1)
	v_dual_cndmask_b32 v3, v3, v7 :: v_dual_cndmask_b32 v2, v2, v6
	v_cmp_ge_u32_e32 vcc_lo, v3, v8
	s_delay_alu instid0(VALU_DEP_2) | instskip(NEXT) | instid1(VALU_DEP_1)
	v_add_nc_u32_e32 v6, 1, v2
	v_cndmask_b32_e32 v10, v2, v6, vcc_lo
.LBB69_183:
	s_or_b32 exec_lo, exec_lo, s0
	s_delay_alu instid0(VALU_DEP_1) | instskip(NEXT) | instid1(VALU_DEP_1)
	v_mul_u64_e32 v[2:3], v[10:11], v[4:5]
	v_sub_nc_u64_e32 v[4:5], 0, v[2:3]
	s_delay_alu instid0(VALU_DEP_1)
	v_max_i64 v[2:3], v[2:3], v[4:5]
.LBB69_184:
	s_or_b32 exec_lo, exec_lo, s1
	global_load_b64 v[6:7], v14, s[8:9]
	global_load_b64 v[8:9], v15, s[6:7]
	s_mov_b32 s1, exec_lo
	s_wait_loadcnt 0x1
	v_sub_nc_u64_e32 v[4:5], 0, v[6:7]
	s_delay_alu instid0(VALU_DEP_1)
	v_max_i64 v[10:11], v[6:7], v[4:5]
	s_wait_loadcnt 0x0
	v_cmpx_ne_u64_e32 0, v[8:9]
	s_cbranch_execz .LBB69_192
; %bb.185:
	v_sub_nc_u64_e32 v[4:5], 0, v[8:9]
	s_mov_b32 s2, 0
	s_delay_alu instid0(VALU_DEP_1)
	v_max_i64 v[14:15], v[8:9], v[4:5]
	v_mov_b32_e32 v4, 0
	s_branch .LBB69_187
.LBB69_186:                             ;   in Loop: Header=BB69_187 Depth=1
	s_or_b32 exec_lo, exec_lo, s0
	s_delay_alu instid0(VALU_DEP_1) | instskip(SKIP_2) | instid1(SALU_CYCLE_1)
	v_cmp_eq_u64_e32 vcc_lo, 0, v[14:15]
	v_mov_b64_e32 v[10:11], v[12:13]
	s_or_b32 s2, vcc_lo, s2
	s_and_not1_b32 exec_lo, exec_lo, s2
	s_cbranch_execz .LBB69_191
.LBB69_187:                             ; =>This Inner Loop Header: Depth=1
	s_delay_alu instid0(VALU_DEP_2) | instskip(SKIP_1) | instid1(VALU_DEP_1)
	v_mov_b64_e32 v[12:13], v[14:15]
                                        ; implicit-def: $vgpr14_vgpr15
	s_mov_b32 s0, exec_lo
	v_or_b32_e32 v5, v11, v13
	s_delay_alu instid0(VALU_DEP_1)
	v_cmpx_ne_u64_e32 0, v[4:5]
	s_xor_b32 s3, exec_lo, s0
	s_cbranch_execz .LBB69_189
; %bb.188:                              ;   in Loop: Header=BB69_187 Depth=1
	s_delay_alu instid0(VALU_DEP_3) | instskip(SKIP_3) | instid1(VALU_DEP_3)
	v_cvt_f32_u32_e32 v5, v12
	v_cvt_f32_u32_e32 v14, v13
	v_sub_nc_u64_e32 v[22:23], 0, v[12:13]
	v_dual_mov_b32 v29, v4 :: v_dual_mov_b32 v31, v4
	v_fmac_f32_e32 v5, 0x4f800000, v14
	s_delay_alu instid0(VALU_DEP_1) | instskip(SKIP_1) | instid1(TRANS32_DEP_1)
	v_rcp_f32_e32 v5, v5
	v_nop
	v_mul_f32_e32 v5, 0x5f7ffffc, v5
	s_delay_alu instid0(VALU_DEP_1) | instskip(NEXT) | instid1(VALU_DEP_1)
	v_mul_f32_e32 v14, 0x2f800000, v5
	v_trunc_f32_e32 v15, v14
	s_delay_alu instid0(VALU_DEP_1) | instskip(SKIP_1) | instid1(VALU_DEP_2)
	v_cvt_u32_f32_e32 v25, v15
	v_fmac_f32_e32 v5, 0xcf800000, v15
	v_dual_mov_b32 v15, v4 :: v_dual_mov_b32 v30, v25
	s_delay_alu instid0(VALU_DEP_2) | instskip(NEXT) | instid1(VALU_DEP_1)
	v_cvt_u32_f32_e32 v14, v5
	v_mov_b32_e32 v24, v14
	s_delay_alu instid0(VALU_DEP_1) | instskip(NEXT) | instid1(VALU_DEP_1)
	v_mul_u64_e32 v[26:27], v[22:23], v[24:25]
	v_dual_mov_b32 v28, v27 :: v_dual_mov_b32 v27, v4
	s_delay_alu instid0(VALU_DEP_1) | instskip(NEXT) | instid1(VALU_DEP_2)
	v_mul_u64_e32 v[32:33], v[14:15], v[28:29]
	v_mul_u64_e32 v[34:35], v[30:31], v[26:27]
	;; [unrolled: 1-line block ×3, first 2 shown]
	v_mul_hi_u32 v26, v14, v26
	s_delay_alu instid0(VALU_DEP_1) | instskip(NEXT) | instid1(VALU_DEP_1)
	v_add_nc_u64_e32 v[26:27], v[26:27], v[32:33]
	v_add_co_u32 v5, vcc_lo, v26, v34
	s_delay_alu instid0(VALU_DEP_2) | instskip(SKIP_1) | instid1(VALU_DEP_1)
	v_add_co_ci_u32_e32 v30, vcc_lo, v27, v35, vcc_lo
	v_add_co_ci_u32_e32 v29, vcc_lo, 0, v29, vcc_lo
	v_add_nc_u64_e32 v[26:27], v[30:31], v[28:29]
	s_delay_alu instid0(VALU_DEP_1) | instskip(NEXT) | instid1(VALU_DEP_1)
	v_add_co_u32 v14, vcc_lo, v14, v26
	v_add_co_ci_u32_e64 v24, null, v25, v27, vcc_lo
	v_dual_mov_b32 v27, v4 :: v_dual_mov_b32 v25, v4
	s_delay_alu instid0(VALU_DEP_2) | instskip(NEXT) | instid1(VALU_DEP_1)
	v_mov_b32_e32 v15, v24
	v_mul_u64_e32 v[22:23], v[22:23], v[14:15]
	s_delay_alu instid0(VALU_DEP_1) | instskip(NEXT) | instid1(VALU_DEP_2)
	v_dual_mov_b32 v15, v4 :: v_dual_mov_b32 v26, v23
	v_dual_mov_b32 v30, v22 :: v_dual_mov_b32 v23, v4
	v_mul_hi_u32 v22, v14, v22
	s_delay_alu instid0(VALU_DEP_3) | instskip(NEXT) | instid1(VALU_DEP_3)
	v_mul_u64_e32 v[28:29], v[14:15], v[26:27]
	v_mul_u64_e32 v[30:31], v[24:25], v[30:31]
	;; [unrolled: 1-line block ×3, first 2 shown]
	s_delay_alu instid0(VALU_DEP_3) | instskip(SKIP_1) | instid1(VALU_DEP_2)
	v_add_nc_u64_e32 v[22:23], v[22:23], v[28:29]
	v_mov_b32_e32 v29, v4
	v_add_co_u32 v5, vcc_lo, v22, v30
	s_delay_alu instid0(VALU_DEP_3) | instskip(SKIP_1) | instid1(VALU_DEP_1)
	v_add_co_ci_u32_e32 v28, vcc_lo, v23, v31, vcc_lo
	v_add_co_ci_u32_e32 v27, vcc_lo, 0, v27, vcc_lo
	v_add_nc_u64_e32 v[22:23], v[28:29], v[26:27]
	v_dual_mov_b32 v26, v10 :: v_dual_mov_b32 v27, v4
	s_delay_alu instid0(VALU_DEP_2) | instskip(NEXT) | instid1(VALU_DEP_1)
	v_add_co_u32 v22, vcc_lo, v14, v22
	v_add_co_ci_u32_e64 v14, null, v24, v23, vcc_lo
	v_dual_mov_b32 v24, v11 :: v_dual_mov_b32 v23, v4
	s_delay_alu instid0(VALU_DEP_2) | instskip(NEXT) | instid1(VALU_DEP_2)
	v_mul_u64_e32 v[26:27], v[26:27], v[14:15]
	v_mul_u64_e32 v[14:15], v[24:25], v[14:15]
	s_delay_alu instid0(VALU_DEP_3) | instskip(SKIP_1) | instid1(VALU_DEP_1)
	v_mul_u64_e32 v[28:29], v[24:25], v[22:23]
	v_mul_hi_u32 v22, v10, v22
	v_add_nc_u64_e32 v[22:23], v[22:23], v[26:27]
	s_delay_alu instid0(VALU_DEP_1) | instskip(NEXT) | instid1(VALU_DEP_2)
	v_add_co_u32 v5, vcc_lo, v22, v28
	v_add_co_ci_u32_e32 v24, vcc_lo, v23, v29, vcc_lo
	v_add_co_ci_u32_e32 v15, vcc_lo, 0, v15, vcc_lo
	s_delay_alu instid0(VALU_DEP_1) | instskip(NEXT) | instid1(VALU_DEP_1)
	v_add_nc_u64_e32 v[14:15], v[24:25], v[14:15]
	v_mul_u64_e32 v[14:15], v[12:13], v[14:15]
	s_delay_alu instid0(VALU_DEP_1) | instskip(NEXT) | instid1(VALU_DEP_2)
	v_sub_nc_u32_e32 v5, v11, v15
	v_sub_co_u32 v10, vcc_lo, v10, v14
	s_delay_alu instid0(VALU_DEP_1) | instskip(NEXT) | instid1(VALU_DEP_3)
	v_sub_co_ci_u32_e64 v11, null, v11, v15, vcc_lo
	v_sub_co_ci_u32_e64 v5, null, v5, v13, vcc_lo
	s_delay_alu instid0(VALU_DEP_3) | instskip(SKIP_1) | instid1(VALU_DEP_3)
	v_sub_co_u32 v14, vcc_lo, v10, v12
	v_cmp_ge_u32_e64 s0, v10, v12
	v_subrev_co_ci_u32_e64 v15, null, 0, v5, vcc_lo
	v_sub_co_ci_u32_e64 v5, null, v5, v13, vcc_lo
	s_delay_alu instid0(VALU_DEP_3) | instskip(SKIP_2) | instid1(VALU_DEP_2)
	v_cndmask_b32_e64 v22, 0, -1, s0
	v_cmp_ge_u32_e64 s0, v14, v12
	v_cmp_ge_u32_e32 vcc_lo, v11, v13
	v_cndmask_b32_e64 v23, 0, -1, s0
	v_cmp_ge_u32_e64 s0, v15, v13
	v_cndmask_b32_e64 v25, 0, -1, vcc_lo
	v_cmp_eq_u32_e32 vcc_lo, v15, v13
	s_delay_alu instid0(VALU_DEP_3) | instskip(SKIP_1) | instid1(VALU_DEP_1)
	v_cndmask_b32_e64 v24, 0, -1, s0
	v_cmp_eq_u32_e64 s0, v11, v13
	v_dual_cndmask_b32 v23, v24, v23, vcc_lo :: v_dual_cndmask_b32 v22, v25, v22, s0
	v_sub_co_u32 v24, vcc_lo, v14, v12
	s_delay_alu instid0(VALU_DEP_1) | instskip(NEXT) | instid1(VALU_DEP_3)
	v_subrev_co_ci_u32_e64 v5, null, 0, v5, vcc_lo
	v_cmp_ne_u32_e32 vcc_lo, 0, v23
	s_delay_alu instid0(VALU_DEP_2) | instskip(SKIP_1) | instid1(VALU_DEP_2)
	v_dual_cndmask_b32 v5, v15, v5 :: v_dual_cndmask_b32 v14, v14, v24
	v_cmp_ne_u32_e32 vcc_lo, 0, v22
	v_dual_cndmask_b32 v15, v11, v5 :: v_dual_cndmask_b32 v14, v10, v14
                                        ; implicit-def: $vgpr10_vgpr11
.LBB69_189:                             ;   in Loop: Header=BB69_187 Depth=1
	s_and_not1_saveexec_b32 s0, s3
	s_cbranch_execz .LBB69_186
; %bb.190:                              ;   in Loop: Header=BB69_187 Depth=1
	v_cvt_f32_u32_e32 v5, v12
	v_dual_sub_nc_u32 v11, 0, v12 :: v_dual_mov_b32 v15, v4
	s_delay_alu instid0(VALU_DEP_2) | instskip(SKIP_1) | instid1(TRANS32_DEP_1)
	v_rcp_iflag_f32_e32 v5, v5
	v_nop
	v_mul_f32_e32 v5, 0x4f7ffffe, v5
	s_delay_alu instid0(VALU_DEP_1) | instskip(NEXT) | instid1(VALU_DEP_1)
	v_cvt_u32_f32_e32 v5, v5
	v_mul_lo_u32 v11, v11, v5
	s_delay_alu instid0(VALU_DEP_1) | instskip(NEXT) | instid1(VALU_DEP_1)
	v_mul_hi_u32 v11, v5, v11
	v_add_nc_u32_e32 v5, v5, v11
	s_delay_alu instid0(VALU_DEP_1) | instskip(NEXT) | instid1(VALU_DEP_1)
	v_mul_hi_u32 v5, v10, v5
	v_mul_lo_u32 v5, v5, v12
	s_delay_alu instid0(VALU_DEP_1) | instskip(NEXT) | instid1(VALU_DEP_1)
	v_sub_nc_u32_e32 v5, v10, v5
	v_sub_nc_u32_e32 v10, v5, v12
	v_cmp_ge_u32_e32 vcc_lo, v5, v12
	s_delay_alu instid0(VALU_DEP_2) | instskip(NEXT) | instid1(VALU_DEP_1)
	v_cndmask_b32_e32 v5, v5, v10, vcc_lo
	v_sub_nc_u32_e32 v10, v5, v12
	v_cmp_ge_u32_e32 vcc_lo, v5, v12
	s_delay_alu instid0(VALU_DEP_2)
	v_cndmask_b32_e32 v14, v5, v10, vcc_lo
	s_branch .LBB69_186
.LBB69_191:
	s_or_b32 exec_lo, exec_lo, s2
	v_mov_b64_e32 v[10:11], v[12:13]
.LBB69_192:
	s_or_b32 exec_lo, exec_lo, s1
	v_mov_b64_e32 v[4:5], 0
	s_mov_b32 s1, exec_lo
	s_delay_alu instid0(VALU_DEP_2)
	v_cmpx_ne_u64_e32 0, v[10:11]
	s_cbranch_execz .LBB69_198
; %bb.193:
	v_dual_mov_b32 v4, 0 :: v_dual_bitop2_b32 v5, v9, v11 bitop3:0x54
                                        ; implicit-def: $vgpr12_vgpr13
	s_mov_b32 s0, exec_lo
	s_delay_alu instid0(VALU_DEP_1)
	v_cmpx_ne_u64_e32 0, v[4:5]
	s_xor_b32 s2, exec_lo, s0
	s_cbranch_execz .LBB69_195
; %bb.194:
	v_dual_mov_b32 v15, v4 :: v_dual_ashrrev_i32 v12, 31, v11
	v_dual_mov_b32 v29, v4 :: v_dual_mov_b32 v31, v4
	s_delay_alu instid0(VALU_DEP_2) | instskip(NEXT) | instid1(VALU_DEP_1)
	v_mov_b32_e32 v13, v12
	v_add_nc_u64_e32 v[10:11], v[10:11], v[12:13]
	s_delay_alu instid0(VALU_DEP_1) | instskip(NEXT) | instid1(VALU_DEP_2)
	v_xor_b32_e32 v10, v10, v12
	v_xor_b32_e32 v11, v11, v12
	s_delay_alu instid0(VALU_DEP_2) | instskip(NEXT) | instid1(VALU_DEP_2)
	v_cvt_f32_u32_e32 v5, v10
	v_cvt_f32_u32_e32 v13, v11
	s_delay_alu instid0(VALU_DEP_1) | instskip(NEXT) | instid1(VALU_DEP_1)
	v_fmamk_f32 v5, v13, 0x4f800000, v5
	v_rcp_f32_e32 v5, v5
	v_nop
	s_delay_alu instid0(TRANS32_DEP_1) | instskip(NEXT) | instid1(VALU_DEP_1)
	v_mul_f32_e32 v5, 0x5f7ffffc, v5
	v_mul_f32_e32 v13, 0x2f800000, v5
	s_delay_alu instid0(VALU_DEP_1) | instskip(NEXT) | instid1(VALU_DEP_1)
	v_trunc_f32_e32 v13, v13
	v_fmamk_f32 v5, v13, 0xcf800000, v5
	v_cvt_u32_f32_e32 v25, v13
	s_delay_alu instid0(VALU_DEP_2) | instskip(NEXT) | instid1(VALU_DEP_1)
	v_cvt_u32_f32_e32 v14, v5
	v_dual_mov_b32 v30, v25 :: v_dual_mov_b32 v24, v14
	v_sub_nc_u64_e32 v[22:23], 0, v[10:11]
	s_delay_alu instid0(VALU_DEP_1) | instskip(NEXT) | instid1(VALU_DEP_1)
	v_mul_u64_e32 v[26:27], v[22:23], v[24:25]
	v_dual_mov_b32 v28, v27 :: v_dual_mov_b32 v27, v4
	s_delay_alu instid0(VALU_DEP_1) | instskip(NEXT) | instid1(VALU_DEP_2)
	v_mul_u64_e32 v[32:33], v[14:15], v[28:29]
	v_mul_u64_e32 v[34:35], v[30:31], v[26:27]
	;; [unrolled: 1-line block ×3, first 2 shown]
	v_mul_hi_u32 v26, v14, v26
	s_delay_alu instid0(VALU_DEP_1) | instskip(SKIP_1) | instid1(VALU_DEP_2)
	v_add_nc_u64_e32 v[26:27], v[26:27], v[32:33]
	v_ashrrev_i32_e32 v32, 31, v9
	v_add_co_u32 v5, vcc_lo, v26, v34
	s_delay_alu instid0(VALU_DEP_3) | instskip(SKIP_1) | instid1(VALU_DEP_1)
	v_add_co_ci_u32_e32 v30, vcc_lo, v27, v35, vcc_lo
	v_add_co_ci_u32_e32 v29, vcc_lo, 0, v29, vcc_lo
	v_add_nc_u64_e32 v[26:27], v[30:31], v[28:29]
	s_delay_alu instid0(VALU_DEP_1) | instskip(NEXT) | instid1(VALU_DEP_1)
	v_add_co_u32 v14, vcc_lo, v14, v26
	v_add_co_ci_u32_e64 v24, null, v25, v27, vcc_lo
	v_dual_mov_b32 v27, v4 :: v_dual_mov_b32 v25, v4
	s_delay_alu instid0(VALU_DEP_2) | instskip(NEXT) | instid1(VALU_DEP_1)
	v_mov_b32_e32 v15, v24
	v_mul_u64_e32 v[22:23], v[22:23], v[14:15]
	s_delay_alu instid0(VALU_DEP_1) | instskip(NEXT) | instid1(VALU_DEP_2)
	v_dual_mov_b32 v15, v4 :: v_dual_mov_b32 v26, v23
	v_dual_mov_b32 v30, v22 :: v_dual_mov_b32 v23, v4
	v_mul_hi_u32 v22, v14, v22
	s_delay_alu instid0(VALU_DEP_3) | instskip(NEXT) | instid1(VALU_DEP_3)
	v_mul_u64_e32 v[28:29], v[14:15], v[26:27]
	v_mul_u64_e32 v[30:31], v[24:25], v[30:31]
	v_mul_u64_e32 v[26:27], v[24:25], v[26:27]
	s_delay_alu instid0(VALU_DEP_3) | instskip(SKIP_1) | instid1(VALU_DEP_2)
	v_add_nc_u64_e32 v[22:23], v[22:23], v[28:29]
	v_dual_mov_b32 v29, v4 :: v_dual_mov_b32 v33, v32
	v_add_co_u32 v5, vcc_lo, v22, v30
	s_delay_alu instid0(VALU_DEP_3) | instskip(SKIP_2) | instid1(VALU_DEP_2)
	v_add_co_ci_u32_e32 v28, vcc_lo, v23, v31, vcc_lo
	v_add_co_ci_u32_e32 v27, vcc_lo, 0, v27, vcc_lo
	v_mov_b32_e32 v5, v4
	v_add_nc_u64_e32 v[22:23], v[28:29], v[26:27]
	v_mov_b32_e32 v27, v4
	v_add_nc_u64_e32 v[8:9], v[8:9], v[32:33]
	s_delay_alu instid0(VALU_DEP_3) | instskip(NEXT) | instid1(VALU_DEP_2)
	v_add_co_u32 v22, vcc_lo, v14, v22
	v_xor_b32_e32 v26, v8, v32
	v_add_co_ci_u32_e64 v14, null, v24, v23, vcc_lo
	s_delay_alu instid0(VALU_DEP_4) | instskip(NEXT) | instid1(VALU_DEP_2)
	v_dual_mov_b32 v23, v4 :: v_dual_bitop2_b32 v24, v9, v32 bitop3:0x14
	v_mul_u64_e32 v[28:29], v[26:27], v[14:15]
	s_delay_alu instid0(VALU_DEP_2) | instskip(SKIP_2) | instid1(VALU_DEP_1)
	v_mul_u64_e32 v[8:9], v[24:25], v[22:23]
	v_mul_u64_e32 v[14:15], v[24:25], v[14:15]
	v_mul_hi_u32 v22, v26, v22
	v_add_nc_u64_e32 v[22:23], v[22:23], v[28:29]
	s_delay_alu instid0(VALU_DEP_1) | instskip(NEXT) | instid1(VALU_DEP_2)
	v_add_co_u32 v4, vcc_lo, v22, v8
	v_add_co_ci_u32_e32 v4, vcc_lo, v23, v9, vcc_lo
	v_add_co_ci_u32_e32 v15, vcc_lo, 0, v15, vcc_lo
	s_delay_alu instid0(VALU_DEP_1) | instskip(NEXT) | instid1(VALU_DEP_1)
	v_add_nc_u64_e32 v[4:5], v[4:5], v[14:15]
	v_mul_u64_e32 v[8:9], v[10:11], v[4:5]
	s_delay_alu instid0(VALU_DEP_1) | instskip(NEXT) | instid1(VALU_DEP_2)
	v_sub_nc_u32_e32 v13, v24, v9
	v_sub_co_u32 v8, vcc_lo, v26, v8
	s_delay_alu instid0(VALU_DEP_1) | instskip(NEXT) | instid1(VALU_DEP_3)
	v_sub_co_ci_u32_e64 v22, null, v24, v9, vcc_lo
	v_sub_co_ci_u32_e64 v13, null, v13, v11, vcc_lo
	s_delay_alu instid0(VALU_DEP_3) | instskip(NEXT) | instid1(VALU_DEP_1)
	v_sub_co_u32 v14, s0, v8, v10
	v_subrev_co_ci_u32_e64 v13, null, 0, v13, s0
	s_delay_alu instid0(VALU_DEP_2) | instskip(SKIP_1) | instid1(VALU_DEP_3)
	v_cmp_ge_u32_e32 vcc_lo, v14, v10
	v_cndmask_b32_e64 v9, 0, -1, vcc_lo
	v_cmp_ge_u32_e32 vcc_lo, v13, v11
	v_cndmask_b32_e64 v14, 0, -1, vcc_lo
	;; [unrolled: 2-line block ×4, first 2 shown]
	v_cmp_eq_u32_e32 vcc_lo, v13, v11
	v_cndmask_b32_e32 v13, v14, v9, vcc_lo
	v_cmp_eq_u32_e32 vcc_lo, v22, v11
	v_add_nc_u64_e32 v[8:9], 2, v[4:5]
	v_add_nc_u64_e32 v[14:15], 1, v[4:5]
	v_cndmask_b32_e32 v10, v23, v10, vcc_lo
	v_cmp_ne_u32_e32 vcc_lo, 0, v13
	s_delay_alu instid0(VALU_DEP_2) | instskip(NEXT) | instid1(VALU_DEP_4)
	v_cmp_ne_u32_e64 s0, 0, v10
	v_dual_cndmask_b32 v9, v15, v9 :: v_dual_cndmask_b32 v10, v14, v8
	s_delay_alu instid0(VALU_DEP_1) | instskip(NEXT) | instid1(VALU_DEP_2)
	v_dual_cndmask_b32 v5, v5, v9, s0 :: v_dual_bitop2_b32 v8, v32, v12 bitop3:0x14
	v_cndmask_b32_e64 v4, v4, v10, s0
	s_delay_alu instid0(VALU_DEP_2) | instskip(NEXT) | instid1(VALU_DEP_3)
	v_mov_b32_e32 v9, v8
                                        ; implicit-def: $vgpr10_vgpr11
	v_xor_b32_e32 v5, v5, v8
	s_delay_alu instid0(VALU_DEP_3) | instskip(NEXT) | instid1(VALU_DEP_1)
	v_xor_b32_e32 v4, v4, v8
	v_sub_nc_u64_e32 v[12:13], v[4:5], v[8:9]
                                        ; implicit-def: $vgpr8_vgpr9
.LBB69_195:
	s_and_not1_saveexec_b32 s0, s2
	s_cbranch_execz .LBB69_197
; %bb.196:
	v_cvt_f32_u32_e32 v4, v10
	v_dual_sub_nc_u32 v5, 0, v10 :: v_dual_mov_b32 v13, 0
	s_delay_alu instid0(VALU_DEP_2) | instskip(SKIP_1) | instid1(TRANS32_DEP_1)
	v_rcp_iflag_f32_e32 v4, v4
	v_nop
	v_mul_f32_e32 v4, 0x4f7ffffe, v4
	s_delay_alu instid0(VALU_DEP_1) | instskip(NEXT) | instid1(VALU_DEP_1)
	v_cvt_u32_f32_e32 v4, v4
	v_mul_lo_u32 v5, v5, v4
	s_delay_alu instid0(VALU_DEP_1) | instskip(NEXT) | instid1(VALU_DEP_1)
	v_mul_hi_u32 v5, v4, v5
	v_add_nc_u32_e32 v4, v4, v5
	s_delay_alu instid0(VALU_DEP_1) | instskip(NEXT) | instid1(VALU_DEP_1)
	v_mul_hi_u32 v4, v8, v4
	v_mul_lo_u32 v5, v4, v10
	s_delay_alu instid0(VALU_DEP_1) | instskip(NEXT) | instid1(VALU_DEP_1)
	v_dual_sub_nc_u32 v5, v8, v5 :: v_dual_add_nc_u32 v8, 1, v4
	v_sub_nc_u32_e32 v9, v5, v10
	v_cmp_ge_u32_e32 vcc_lo, v5, v10
	s_delay_alu instid0(VALU_DEP_2) | instskip(NEXT) | instid1(VALU_DEP_1)
	v_dual_cndmask_b32 v5, v5, v9 :: v_dual_cndmask_b32 v4, v4, v8
	v_cmp_ge_u32_e32 vcc_lo, v5, v10
	s_delay_alu instid0(VALU_DEP_2) | instskip(NEXT) | instid1(VALU_DEP_1)
	v_add_nc_u32_e32 v8, 1, v4
	v_cndmask_b32_e32 v12, v4, v8, vcc_lo
.LBB69_197:
	s_or_b32 exec_lo, exec_lo, s0
	s_delay_alu instid0(VALU_DEP_1) | instskip(NEXT) | instid1(VALU_DEP_1)
	v_mul_u64_e32 v[4:5], v[12:13], v[6:7]
	v_sub_nc_u64_e32 v[6:7], 0, v[4:5]
	s_delay_alu instid0(VALU_DEP_1)
	v_max_i64 v[4:5], v[4:5], v[6:7]
.LBB69_198:
	s_or_b32 exec_lo, exec_lo, s1
	global_load_b64 v[6:7], v16, s[8:9]
	global_load_b64 v[8:9], v17, s[6:7]
	s_mov_b32 s1, exec_lo
	s_wait_loadcnt 0x1
	v_sub_nc_u64_e32 v[10:11], 0, v[6:7]
	s_delay_alu instid0(VALU_DEP_1)
	v_max_i64 v[10:11], v[6:7], v[10:11]
	s_wait_loadcnt 0x0
	v_cmpx_ne_u64_e32 0, v[8:9]
	s_cbranch_execz .LBB69_206
; %bb.199:
	v_sub_nc_u64_e32 v[12:13], 0, v[8:9]
	s_mov_b32 s2, 0
	s_delay_alu instid0(VALU_DEP_1)
	v_max_i64 v[16:17], v[8:9], v[12:13]
	v_mov_b32_e32 v12, 0
	s_branch .LBB69_201
.LBB69_200:                             ;   in Loop: Header=BB69_201 Depth=1
	s_or_b32 exec_lo, exec_lo, s0
	s_delay_alu instid0(VALU_DEP_1) | instskip(SKIP_2) | instid1(SALU_CYCLE_1)
	v_cmp_eq_u64_e32 vcc_lo, 0, v[16:17]
	v_mov_b64_e32 v[10:11], v[14:15]
	s_or_b32 s2, vcc_lo, s2
	s_and_not1_b32 exec_lo, exec_lo, s2
	s_cbranch_execz .LBB69_205
.LBB69_201:                             ; =>This Inner Loop Header: Depth=1
	s_delay_alu instid0(VALU_DEP_2) | instskip(SKIP_1) | instid1(VALU_DEP_1)
	v_mov_b64_e32 v[14:15], v[16:17]
                                        ; implicit-def: $vgpr16_vgpr17
	s_mov_b32 s0, exec_lo
	v_or_b32_e32 v13, v11, v15
	s_delay_alu instid0(VALU_DEP_1)
	v_cmpx_ne_u64_e32 0, v[12:13]
	s_xor_b32 s3, exec_lo, s0
	s_cbranch_execz .LBB69_203
; %bb.202:                              ;   in Loop: Header=BB69_201 Depth=1
	s_delay_alu instid0(VALU_DEP_3) | instskip(SKIP_3) | instid1(VALU_DEP_3)
	v_cvt_f32_u32_e32 v13, v14
	v_cvt_f32_u32_e32 v16, v15
	v_sub_nc_u64_e32 v[22:23], 0, v[14:15]
	v_dual_mov_b32 v29, v12 :: v_dual_mov_b32 v31, v12
	v_fmac_f32_e32 v13, 0x4f800000, v16
	s_delay_alu instid0(VALU_DEP_1) | instskip(SKIP_1) | instid1(TRANS32_DEP_1)
	v_rcp_f32_e32 v13, v13
	v_nop
	v_mul_f32_e32 v13, 0x5f7ffffc, v13
	s_delay_alu instid0(VALU_DEP_1) | instskip(NEXT) | instid1(VALU_DEP_1)
	v_mul_f32_e32 v16, 0x2f800000, v13
	v_trunc_f32_e32 v17, v16
	s_delay_alu instid0(VALU_DEP_1) | instskip(SKIP_1) | instid1(VALU_DEP_2)
	v_cvt_u32_f32_e32 v25, v17
	v_fmac_f32_e32 v13, 0xcf800000, v17
	v_dual_mov_b32 v17, v12 :: v_dual_mov_b32 v30, v25
	s_delay_alu instid0(VALU_DEP_2) | instskip(NEXT) | instid1(VALU_DEP_1)
	v_cvt_u32_f32_e32 v16, v13
	v_mov_b32_e32 v24, v16
	s_delay_alu instid0(VALU_DEP_1) | instskip(NEXT) | instid1(VALU_DEP_1)
	v_mul_u64_e32 v[26:27], v[22:23], v[24:25]
	v_dual_mov_b32 v28, v27 :: v_dual_mov_b32 v27, v12
	s_delay_alu instid0(VALU_DEP_1) | instskip(NEXT) | instid1(VALU_DEP_2)
	v_mul_u64_e32 v[32:33], v[16:17], v[28:29]
	v_mul_u64_e32 v[34:35], v[30:31], v[26:27]
	;; [unrolled: 1-line block ×3, first 2 shown]
	v_mul_hi_u32 v26, v16, v26
	s_delay_alu instid0(VALU_DEP_1) | instskip(NEXT) | instid1(VALU_DEP_1)
	v_add_nc_u64_e32 v[26:27], v[26:27], v[32:33]
	v_add_co_u32 v13, vcc_lo, v26, v34
	s_delay_alu instid0(VALU_DEP_2) | instskip(SKIP_1) | instid1(VALU_DEP_1)
	v_add_co_ci_u32_e32 v30, vcc_lo, v27, v35, vcc_lo
	v_add_co_ci_u32_e32 v29, vcc_lo, 0, v29, vcc_lo
	v_add_nc_u64_e32 v[26:27], v[30:31], v[28:29]
	s_delay_alu instid0(VALU_DEP_1) | instskip(NEXT) | instid1(VALU_DEP_1)
	v_add_co_u32 v16, vcc_lo, v16, v26
	v_add_co_ci_u32_e64 v24, null, v25, v27, vcc_lo
	v_dual_mov_b32 v27, v12 :: v_dual_mov_b32 v25, v12
	s_delay_alu instid0(VALU_DEP_2) | instskip(NEXT) | instid1(VALU_DEP_1)
	v_mov_b32_e32 v17, v24
	v_mul_u64_e32 v[22:23], v[22:23], v[16:17]
	s_delay_alu instid0(VALU_DEP_1) | instskip(NEXT) | instid1(VALU_DEP_2)
	v_dual_mov_b32 v17, v12 :: v_dual_mov_b32 v26, v23
	v_dual_mov_b32 v30, v22 :: v_dual_mov_b32 v23, v12
	v_mul_hi_u32 v22, v16, v22
	s_delay_alu instid0(VALU_DEP_3) | instskip(NEXT) | instid1(VALU_DEP_3)
	v_mul_u64_e32 v[28:29], v[16:17], v[26:27]
	v_mul_u64_e32 v[30:31], v[24:25], v[30:31]
	;; [unrolled: 1-line block ×3, first 2 shown]
	s_delay_alu instid0(VALU_DEP_3) | instskip(SKIP_1) | instid1(VALU_DEP_2)
	v_add_nc_u64_e32 v[22:23], v[22:23], v[28:29]
	v_mov_b32_e32 v29, v12
	v_add_co_u32 v13, vcc_lo, v22, v30
	s_delay_alu instid0(VALU_DEP_3) | instskip(SKIP_1) | instid1(VALU_DEP_1)
	v_add_co_ci_u32_e32 v28, vcc_lo, v23, v31, vcc_lo
	v_add_co_ci_u32_e32 v27, vcc_lo, 0, v27, vcc_lo
	v_add_nc_u64_e32 v[22:23], v[28:29], v[26:27]
	v_dual_mov_b32 v26, v10 :: v_dual_mov_b32 v27, v12
	s_delay_alu instid0(VALU_DEP_2) | instskip(NEXT) | instid1(VALU_DEP_1)
	v_add_co_u32 v22, vcc_lo, v16, v22
	v_add_co_ci_u32_e64 v16, null, v24, v23, vcc_lo
	v_dual_mov_b32 v24, v11 :: v_dual_mov_b32 v23, v12
	s_delay_alu instid0(VALU_DEP_2) | instskip(NEXT) | instid1(VALU_DEP_2)
	v_mul_u64_e32 v[26:27], v[26:27], v[16:17]
	v_mul_u64_e32 v[16:17], v[24:25], v[16:17]
	s_delay_alu instid0(VALU_DEP_3) | instskip(SKIP_1) | instid1(VALU_DEP_1)
	v_mul_u64_e32 v[28:29], v[24:25], v[22:23]
	v_mul_hi_u32 v22, v10, v22
	v_add_nc_u64_e32 v[22:23], v[22:23], v[26:27]
	s_delay_alu instid0(VALU_DEP_1) | instskip(NEXT) | instid1(VALU_DEP_2)
	v_add_co_u32 v13, vcc_lo, v22, v28
	v_add_co_ci_u32_e32 v24, vcc_lo, v23, v29, vcc_lo
	v_add_co_ci_u32_e32 v17, vcc_lo, 0, v17, vcc_lo
	s_delay_alu instid0(VALU_DEP_1) | instskip(NEXT) | instid1(VALU_DEP_1)
	v_add_nc_u64_e32 v[16:17], v[24:25], v[16:17]
	v_mul_u64_e32 v[16:17], v[14:15], v[16:17]
	s_delay_alu instid0(VALU_DEP_1) | instskip(NEXT) | instid1(VALU_DEP_2)
	v_sub_nc_u32_e32 v13, v11, v17
	v_sub_co_u32 v10, vcc_lo, v10, v16
	s_delay_alu instid0(VALU_DEP_1) | instskip(NEXT) | instid1(VALU_DEP_3)
	v_sub_co_ci_u32_e64 v11, null, v11, v17, vcc_lo
	v_sub_co_ci_u32_e64 v13, null, v13, v15, vcc_lo
	s_delay_alu instid0(VALU_DEP_3) | instskip(SKIP_1) | instid1(VALU_DEP_3)
	v_sub_co_u32 v16, vcc_lo, v10, v14
	v_cmp_ge_u32_e64 s0, v10, v14
	v_subrev_co_ci_u32_e64 v17, null, 0, v13, vcc_lo
	v_sub_co_ci_u32_e64 v13, null, v13, v15, vcc_lo
	s_delay_alu instid0(VALU_DEP_3) | instskip(SKIP_2) | instid1(VALU_DEP_2)
	v_cndmask_b32_e64 v22, 0, -1, s0
	v_cmp_ge_u32_e64 s0, v16, v14
	v_cmp_ge_u32_e32 vcc_lo, v11, v15
	v_cndmask_b32_e64 v23, 0, -1, s0
	v_cmp_ge_u32_e64 s0, v17, v15
	v_cndmask_b32_e64 v25, 0, -1, vcc_lo
	v_cmp_eq_u32_e32 vcc_lo, v17, v15
	s_delay_alu instid0(VALU_DEP_3) | instskip(SKIP_1) | instid1(VALU_DEP_1)
	v_cndmask_b32_e64 v24, 0, -1, s0
	v_cmp_eq_u32_e64 s0, v11, v15
	v_dual_cndmask_b32 v23, v24, v23, vcc_lo :: v_dual_cndmask_b32 v22, v25, v22, s0
	v_sub_co_u32 v24, vcc_lo, v16, v14
	s_delay_alu instid0(VALU_DEP_1) | instskip(NEXT) | instid1(VALU_DEP_3)
	v_subrev_co_ci_u32_e64 v13, null, 0, v13, vcc_lo
	v_cmp_ne_u32_e32 vcc_lo, 0, v23
	s_delay_alu instid0(VALU_DEP_2) | instskip(SKIP_1) | instid1(VALU_DEP_2)
	v_dual_cndmask_b32 v13, v17, v13 :: v_dual_cndmask_b32 v16, v16, v24
	v_cmp_ne_u32_e32 vcc_lo, 0, v22
	v_dual_cndmask_b32 v17, v11, v13 :: v_dual_cndmask_b32 v16, v10, v16
                                        ; implicit-def: $vgpr10_vgpr11
.LBB69_203:                             ;   in Loop: Header=BB69_201 Depth=1
	s_and_not1_saveexec_b32 s0, s3
	s_cbranch_execz .LBB69_200
; %bb.204:                              ;   in Loop: Header=BB69_201 Depth=1
	v_cvt_f32_u32_e32 v11, v14
	v_dual_sub_nc_u32 v13, 0, v14 :: v_dual_mov_b32 v17, v12
	s_delay_alu instid0(VALU_DEP_2) | instskip(SKIP_1) | instid1(TRANS32_DEP_1)
	v_rcp_iflag_f32_e32 v11, v11
	v_nop
	v_mul_f32_e32 v11, 0x4f7ffffe, v11
	s_delay_alu instid0(VALU_DEP_1) | instskip(NEXT) | instid1(VALU_DEP_1)
	v_cvt_u32_f32_e32 v11, v11
	v_mul_lo_u32 v13, v13, v11
	s_delay_alu instid0(VALU_DEP_1) | instskip(NEXT) | instid1(VALU_DEP_1)
	v_mul_hi_u32 v13, v11, v13
	v_add_nc_u32_e32 v11, v11, v13
	s_delay_alu instid0(VALU_DEP_1) | instskip(NEXT) | instid1(VALU_DEP_1)
	v_mul_hi_u32 v11, v10, v11
	v_mul_lo_u32 v11, v11, v14
	s_delay_alu instid0(VALU_DEP_1) | instskip(NEXT) | instid1(VALU_DEP_1)
	v_sub_nc_u32_e32 v10, v10, v11
	v_sub_nc_u32_e32 v11, v10, v14
	v_cmp_ge_u32_e32 vcc_lo, v10, v14
	s_delay_alu instid0(VALU_DEP_2) | instskip(NEXT) | instid1(VALU_DEP_1)
	v_cndmask_b32_e32 v10, v10, v11, vcc_lo
	v_sub_nc_u32_e32 v11, v10, v14
	v_cmp_ge_u32_e32 vcc_lo, v10, v14
	s_delay_alu instid0(VALU_DEP_2)
	v_cndmask_b32_e32 v16, v10, v11, vcc_lo
	s_branch .LBB69_200
.LBB69_205:
	s_or_b32 exec_lo, exec_lo, s2
	v_mov_b64_e32 v[10:11], v[14:15]
.LBB69_206:
	s_or_b32 exec_lo, exec_lo, s1
	v_mov_b64_e32 v[12:13], 0
	s_mov_b32 s1, exec_lo
	s_delay_alu instid0(VALU_DEP_2)
	v_cmpx_ne_u64_e32 0, v[10:11]
	s_cbranch_execz .LBB69_212
; %bb.207:
	v_dual_mov_b32 v12, 0 :: v_dual_bitop2_b32 v13, v9, v11 bitop3:0x54
                                        ; implicit-def: $vgpr14_vgpr15
	s_mov_b32 s0, exec_lo
	s_delay_alu instid0(VALU_DEP_1)
	v_cmpx_ne_u64_e32 0, v[12:13]
	s_xor_b32 s2, exec_lo, s0
	s_cbranch_execz .LBB69_209
; %bb.208:
	v_dual_mov_b32 v17, v12 :: v_dual_ashrrev_i32 v14, 31, v11
	v_dual_mov_b32 v29, v12 :: v_dual_mov_b32 v31, v12
	s_delay_alu instid0(VALU_DEP_2) | instskip(NEXT) | instid1(VALU_DEP_1)
	v_mov_b32_e32 v15, v14
	v_add_nc_u64_e32 v[10:11], v[10:11], v[14:15]
	s_delay_alu instid0(VALU_DEP_1) | instskip(NEXT) | instid1(VALU_DEP_2)
	v_xor_b32_e32 v10, v10, v14
	v_xor_b32_e32 v11, v11, v14
	s_delay_alu instid0(VALU_DEP_2) | instskip(NEXT) | instid1(VALU_DEP_2)
	v_cvt_f32_u32_e32 v13, v10
	v_cvt_f32_u32_e32 v15, v11
	s_delay_alu instid0(VALU_DEP_1) | instskip(NEXT) | instid1(VALU_DEP_1)
	v_fmamk_f32 v13, v15, 0x4f800000, v13
	v_rcp_f32_e32 v13, v13
	v_nop
	s_delay_alu instid0(TRANS32_DEP_1) | instskip(NEXT) | instid1(VALU_DEP_1)
	v_mul_f32_e32 v13, 0x5f7ffffc, v13
	v_mul_f32_e32 v15, 0x2f800000, v13
	s_delay_alu instid0(VALU_DEP_1) | instskip(NEXT) | instid1(VALU_DEP_1)
	v_trunc_f32_e32 v15, v15
	v_fmamk_f32 v13, v15, 0xcf800000, v13
	v_cvt_u32_f32_e32 v25, v15
	s_delay_alu instid0(VALU_DEP_2) | instskip(NEXT) | instid1(VALU_DEP_1)
	v_cvt_u32_f32_e32 v16, v13
	v_dual_mov_b32 v30, v25 :: v_dual_mov_b32 v24, v16
	v_sub_nc_u64_e32 v[22:23], 0, v[10:11]
	s_delay_alu instid0(VALU_DEP_1) | instskip(NEXT) | instid1(VALU_DEP_1)
	v_mul_u64_e32 v[26:27], v[22:23], v[24:25]
	v_dual_mov_b32 v28, v27 :: v_dual_mov_b32 v27, v12
	s_delay_alu instid0(VALU_DEP_1) | instskip(NEXT) | instid1(VALU_DEP_2)
	v_mul_u64_e32 v[32:33], v[16:17], v[28:29]
	v_mul_u64_e32 v[34:35], v[30:31], v[26:27]
	;; [unrolled: 1-line block ×3, first 2 shown]
	v_mul_hi_u32 v26, v16, v26
	s_delay_alu instid0(VALU_DEP_1) | instskip(SKIP_1) | instid1(VALU_DEP_2)
	v_add_nc_u64_e32 v[26:27], v[26:27], v[32:33]
	v_ashrrev_i32_e32 v32, 31, v9
	v_add_co_u32 v13, vcc_lo, v26, v34
	s_delay_alu instid0(VALU_DEP_3) | instskip(SKIP_1) | instid1(VALU_DEP_1)
	v_add_co_ci_u32_e32 v30, vcc_lo, v27, v35, vcc_lo
	v_add_co_ci_u32_e32 v29, vcc_lo, 0, v29, vcc_lo
	v_add_nc_u64_e32 v[26:27], v[30:31], v[28:29]
	s_delay_alu instid0(VALU_DEP_1) | instskip(NEXT) | instid1(VALU_DEP_1)
	v_add_co_u32 v16, vcc_lo, v16, v26
	v_add_co_ci_u32_e64 v24, null, v25, v27, vcc_lo
	v_dual_mov_b32 v25, v12 :: v_dual_mov_b32 v27, v12
	s_delay_alu instid0(VALU_DEP_2) | instskip(NEXT) | instid1(VALU_DEP_1)
	v_mov_b32_e32 v17, v24
	v_mul_u64_e32 v[22:23], v[22:23], v[16:17]
	s_delay_alu instid0(VALU_DEP_1) | instskip(NEXT) | instid1(VALU_DEP_2)
	v_dual_mov_b32 v17, v12 :: v_dual_mov_b32 v26, v23
	v_dual_mov_b32 v30, v22 :: v_dual_mov_b32 v23, v12
	v_mul_hi_u32 v22, v16, v22
	s_delay_alu instid0(VALU_DEP_3) | instskip(NEXT) | instid1(VALU_DEP_3)
	v_mul_u64_e32 v[28:29], v[16:17], v[26:27]
	v_mul_u64_e32 v[30:31], v[24:25], v[30:31]
	;; [unrolled: 1-line block ×3, first 2 shown]
	s_delay_alu instid0(VALU_DEP_3) | instskip(SKIP_1) | instid1(VALU_DEP_2)
	v_add_nc_u64_e32 v[22:23], v[22:23], v[28:29]
	v_dual_mov_b32 v29, v12 :: v_dual_mov_b32 v33, v32
	v_add_co_u32 v13, vcc_lo, v22, v30
	s_delay_alu instid0(VALU_DEP_3) | instskip(SKIP_2) | instid1(VALU_DEP_2)
	v_add_co_ci_u32_e32 v28, vcc_lo, v23, v31, vcc_lo
	v_add_co_ci_u32_e32 v27, vcc_lo, 0, v27, vcc_lo
	v_mov_b32_e32 v13, v12
	v_add_nc_u64_e32 v[22:23], v[28:29], v[26:27]
	v_mov_b32_e32 v27, v12
	v_add_nc_u64_e32 v[8:9], v[8:9], v[32:33]
	s_delay_alu instid0(VALU_DEP_3) | instskip(NEXT) | instid1(VALU_DEP_2)
	v_add_co_u32 v22, vcc_lo, v16, v22
	v_xor_b32_e32 v26, v8, v32
	v_add_co_ci_u32_e64 v16, null, v24, v23, vcc_lo
	s_delay_alu instid0(VALU_DEP_4) | instskip(NEXT) | instid1(VALU_DEP_2)
	v_dual_mov_b32 v23, v12 :: v_dual_bitop2_b32 v24, v9, v32 bitop3:0x14
	v_mul_u64_e32 v[28:29], v[26:27], v[16:17]
	s_delay_alu instid0(VALU_DEP_2) | instskip(SKIP_2) | instid1(VALU_DEP_1)
	v_mul_u64_e32 v[8:9], v[24:25], v[22:23]
	v_mul_u64_e32 v[16:17], v[24:25], v[16:17]
	v_mul_hi_u32 v22, v26, v22
	v_add_nc_u64_e32 v[22:23], v[22:23], v[28:29]
	s_delay_alu instid0(VALU_DEP_1) | instskip(NEXT) | instid1(VALU_DEP_2)
	v_add_co_u32 v8, vcc_lo, v22, v8
	v_add_co_ci_u32_e32 v12, vcc_lo, v23, v9, vcc_lo
	v_add_co_ci_u32_e32 v17, vcc_lo, 0, v17, vcc_lo
	s_delay_alu instid0(VALU_DEP_1) | instskip(NEXT) | instid1(VALU_DEP_1)
	v_add_nc_u64_e32 v[8:9], v[12:13], v[16:17]
	v_mul_u64_e32 v[12:13], v[10:11], v[8:9]
	s_delay_alu instid0(VALU_DEP_1) | instskip(NEXT) | instid1(VALU_DEP_2)
	v_sub_nc_u32_e32 v15, v24, v13
	v_sub_co_u32 v12, vcc_lo, v26, v12
	s_delay_alu instid0(VALU_DEP_1) | instskip(NEXT) | instid1(VALU_DEP_3)
	v_sub_co_ci_u32_e64 v22, null, v24, v13, vcc_lo
	v_sub_co_ci_u32_e64 v15, null, v15, v11, vcc_lo
	s_delay_alu instid0(VALU_DEP_3) | instskip(NEXT) | instid1(VALU_DEP_1)
	v_sub_co_u32 v16, s0, v12, v10
	v_subrev_co_ci_u32_e64 v15, null, 0, v15, s0
	s_delay_alu instid0(VALU_DEP_2) | instskip(SKIP_1) | instid1(VALU_DEP_3)
	v_cmp_ge_u32_e32 vcc_lo, v16, v10
	v_cndmask_b32_e64 v13, 0, -1, vcc_lo
	v_cmp_ge_u32_e32 vcc_lo, v15, v11
	v_cndmask_b32_e64 v16, 0, -1, vcc_lo
	;; [unrolled: 2-line block ×4, first 2 shown]
	v_cmp_eq_u32_e32 vcc_lo, v15, v11
	v_cndmask_b32_e32 v15, v16, v13, vcc_lo
	v_cmp_eq_u32_e32 vcc_lo, v22, v11
	v_add_nc_u64_e32 v[12:13], 2, v[8:9]
	v_add_nc_u64_e32 v[16:17], 1, v[8:9]
	v_cndmask_b32_e32 v10, v23, v10, vcc_lo
	v_cmp_ne_u32_e32 vcc_lo, 0, v15
	s_delay_alu instid0(VALU_DEP_2) | instskip(NEXT) | instid1(VALU_DEP_4)
	v_cmp_ne_u32_e64 s0, 0, v10
	v_dual_cndmask_b32 v11, v17, v13 :: v_dual_cndmask_b32 v12, v16, v12
	s_delay_alu instid0(VALU_DEP_1) | instskip(NEXT) | instid1(VALU_DEP_1)
	v_dual_cndmask_b32 v9, v9, v11, s0 :: v_dual_bitop2_b32 v10, v32, v14 bitop3:0x14
	v_dual_cndmask_b32 v8, v8, v12, s0 :: v_dual_mov_b32 v11, v10
	s_delay_alu instid0(VALU_DEP_2) | instskip(NEXT) | instid1(VALU_DEP_2)
	v_xor_b32_e32 v9, v9, v10
	v_xor_b32_e32 v8, v8, v10
	s_delay_alu instid0(VALU_DEP_1)
	v_sub_nc_u64_e32 v[14:15], v[8:9], v[10:11]
                                        ; implicit-def: $vgpr10_vgpr11
                                        ; implicit-def: $vgpr8_vgpr9
.LBB69_209:
	s_and_not1_saveexec_b32 s0, s2
	s_cbranch_execz .LBB69_211
; %bb.210:
	v_cvt_f32_u32_e32 v9, v10
	v_dual_sub_nc_u32 v11, 0, v10 :: v_dual_mov_b32 v15, 0
	s_delay_alu instid0(VALU_DEP_2) | instskip(SKIP_1) | instid1(TRANS32_DEP_1)
	v_rcp_iflag_f32_e32 v9, v9
	v_nop
	v_mul_f32_e32 v9, 0x4f7ffffe, v9
	s_delay_alu instid0(VALU_DEP_1) | instskip(NEXT) | instid1(VALU_DEP_1)
	v_cvt_u32_f32_e32 v9, v9
	v_mul_lo_u32 v11, v11, v9
	s_delay_alu instid0(VALU_DEP_1) | instskip(NEXT) | instid1(VALU_DEP_1)
	v_mul_hi_u32 v11, v9, v11
	v_add_nc_u32_e32 v9, v9, v11
	s_delay_alu instid0(VALU_DEP_1) | instskip(NEXT) | instid1(VALU_DEP_1)
	v_mul_hi_u32 v9, v8, v9
	v_mul_lo_u32 v11, v9, v10
	s_delay_alu instid0(VALU_DEP_1) | instskip(NEXT) | instid1(VALU_DEP_1)
	v_dual_sub_nc_u32 v8, v8, v11 :: v_dual_add_nc_u32 v11, 1, v9
	v_sub_nc_u32_e32 v12, v8, v10
	v_cmp_ge_u32_e32 vcc_lo, v8, v10
	s_delay_alu instid0(VALU_DEP_2) | instskip(NEXT) | instid1(VALU_DEP_1)
	v_dual_cndmask_b32 v8, v8, v12 :: v_dual_cndmask_b32 v9, v9, v11
	v_cmp_ge_u32_e32 vcc_lo, v8, v10
	s_delay_alu instid0(VALU_DEP_2) | instskip(NEXT) | instid1(VALU_DEP_1)
	v_add_nc_u32_e32 v11, 1, v9
	v_cndmask_b32_e32 v14, v9, v11, vcc_lo
.LBB69_211:
	s_or_b32 exec_lo, exec_lo, s0
	s_delay_alu instid0(VALU_DEP_1) | instskip(NEXT) | instid1(VALU_DEP_1)
	v_mul_u64_e32 v[6:7], v[14:15], v[6:7]
	v_sub_nc_u64_e32 v[8:9], 0, v[6:7]
	s_delay_alu instid0(VALU_DEP_1)
	v_max_i64 v[12:13], v[6:7], v[8:9]
.LBB69_212:
	s_or_b32 exec_lo, exec_lo, s1
	s_clause 0x3
	global_store_b64 v18, v[0:1], s[4:5]
	global_store_b64 v19, v[2:3], s[4:5]
	;; [unrolled: 1-line block ×4, first 2 shown]
	s_endpgm
	.section	.rodata,"a",@progbits
	.p2align	6, 0x0
	.amdhsa_kernel _ZN2at6native32elementwise_kernel_manual_unrollILi128ELi4EZNS0_22gpu_kernel_impl_nocastIZZZNS0_15lcm_kernel_cudaERNS_18TensorIteratorBaseEENKUlvE_clEvENKUlvE2_clEvEUlllE_EEvS4_RKT_EUlibE_EEviT1_
		.amdhsa_group_segment_fixed_size 0
		.amdhsa_private_segment_fixed_size 0
		.amdhsa_kernarg_size 432
		.amdhsa_user_sgpr_count 2
		.amdhsa_user_sgpr_dispatch_ptr 0
		.amdhsa_user_sgpr_queue_ptr 0
		.amdhsa_user_sgpr_kernarg_segment_ptr 1
		.amdhsa_user_sgpr_dispatch_id 0
		.amdhsa_user_sgpr_kernarg_preload_length 0
		.amdhsa_user_sgpr_kernarg_preload_offset 0
		.amdhsa_user_sgpr_private_segment_size 0
		.amdhsa_wavefront_size32 1
		.amdhsa_uses_dynamic_stack 0
		.amdhsa_enable_private_segment 0
		.amdhsa_system_sgpr_workgroup_id_x 1
		.amdhsa_system_sgpr_workgroup_id_y 0
		.amdhsa_system_sgpr_workgroup_id_z 0
		.amdhsa_system_sgpr_workgroup_info 0
		.amdhsa_system_vgpr_workitem_id 0
		.amdhsa_next_free_vgpr 36
		.amdhsa_next_free_sgpr 46
		.amdhsa_named_barrier_count 0
		.amdhsa_reserve_vcc 1
		.amdhsa_float_round_mode_32 0
		.amdhsa_float_round_mode_16_64 0
		.amdhsa_float_denorm_mode_32 3
		.amdhsa_float_denorm_mode_16_64 3
		.amdhsa_fp16_overflow 0
		.amdhsa_memory_ordered 1
		.amdhsa_forward_progress 1
		.amdhsa_inst_pref_size 154
		.amdhsa_round_robin_scheduling 0
		.amdhsa_exception_fp_ieee_invalid_op 0
		.amdhsa_exception_fp_denorm_src 0
		.amdhsa_exception_fp_ieee_div_zero 0
		.amdhsa_exception_fp_ieee_overflow 0
		.amdhsa_exception_fp_ieee_underflow 0
		.amdhsa_exception_fp_ieee_inexact 0
		.amdhsa_exception_int_div_zero 0
	.end_amdhsa_kernel
	.section	.text._ZN2at6native32elementwise_kernel_manual_unrollILi128ELi4EZNS0_22gpu_kernel_impl_nocastIZZZNS0_15lcm_kernel_cudaERNS_18TensorIteratorBaseEENKUlvE_clEvENKUlvE2_clEvEUlllE_EEvS4_RKT_EUlibE_EEviT1_,"axG",@progbits,_ZN2at6native32elementwise_kernel_manual_unrollILi128ELi4EZNS0_22gpu_kernel_impl_nocastIZZZNS0_15lcm_kernel_cudaERNS_18TensorIteratorBaseEENKUlvE_clEvENKUlvE2_clEvEUlllE_EEvS4_RKT_EUlibE_EEviT1_,comdat
.Lfunc_end69:
	.size	_ZN2at6native32elementwise_kernel_manual_unrollILi128ELi4EZNS0_22gpu_kernel_impl_nocastIZZZNS0_15lcm_kernel_cudaERNS_18TensorIteratorBaseEENKUlvE_clEvENKUlvE2_clEvEUlllE_EEvS4_RKT_EUlibE_EEviT1_, .Lfunc_end69-_ZN2at6native32elementwise_kernel_manual_unrollILi128ELi4EZNS0_22gpu_kernel_impl_nocastIZZZNS0_15lcm_kernel_cudaERNS_18TensorIteratorBaseEENKUlvE_clEvENKUlvE2_clEvEUlllE_EEvS4_RKT_EUlibE_EEviT1_
                                        ; -- End function
	.set _ZN2at6native32elementwise_kernel_manual_unrollILi128ELi4EZNS0_22gpu_kernel_impl_nocastIZZZNS0_15lcm_kernel_cudaERNS_18TensorIteratorBaseEENKUlvE_clEvENKUlvE2_clEvEUlllE_EEvS4_RKT_EUlibE_EEviT1_.num_vgpr, 36
	.set _ZN2at6native32elementwise_kernel_manual_unrollILi128ELi4EZNS0_22gpu_kernel_impl_nocastIZZZNS0_15lcm_kernel_cudaERNS_18TensorIteratorBaseEENKUlvE_clEvENKUlvE2_clEvEUlllE_EEvS4_RKT_EUlibE_EEviT1_.num_agpr, 0
	.set _ZN2at6native32elementwise_kernel_manual_unrollILi128ELi4EZNS0_22gpu_kernel_impl_nocastIZZZNS0_15lcm_kernel_cudaERNS_18TensorIteratorBaseEENKUlvE_clEvENKUlvE2_clEvEUlllE_EEvS4_RKT_EUlibE_EEviT1_.numbered_sgpr, 46
	.set _ZN2at6native32elementwise_kernel_manual_unrollILi128ELi4EZNS0_22gpu_kernel_impl_nocastIZZZNS0_15lcm_kernel_cudaERNS_18TensorIteratorBaseEENKUlvE_clEvENKUlvE2_clEvEUlllE_EEvS4_RKT_EUlibE_EEviT1_.num_named_barrier, 0
	.set _ZN2at6native32elementwise_kernel_manual_unrollILi128ELi4EZNS0_22gpu_kernel_impl_nocastIZZZNS0_15lcm_kernel_cudaERNS_18TensorIteratorBaseEENKUlvE_clEvENKUlvE2_clEvEUlllE_EEvS4_RKT_EUlibE_EEviT1_.private_seg_size, 0
	.set _ZN2at6native32elementwise_kernel_manual_unrollILi128ELi4EZNS0_22gpu_kernel_impl_nocastIZZZNS0_15lcm_kernel_cudaERNS_18TensorIteratorBaseEENKUlvE_clEvENKUlvE2_clEvEUlllE_EEvS4_RKT_EUlibE_EEviT1_.uses_vcc, 1
	.set _ZN2at6native32elementwise_kernel_manual_unrollILi128ELi4EZNS0_22gpu_kernel_impl_nocastIZZZNS0_15lcm_kernel_cudaERNS_18TensorIteratorBaseEENKUlvE_clEvENKUlvE2_clEvEUlllE_EEvS4_RKT_EUlibE_EEviT1_.uses_flat_scratch, 0
	.set _ZN2at6native32elementwise_kernel_manual_unrollILi128ELi4EZNS0_22gpu_kernel_impl_nocastIZZZNS0_15lcm_kernel_cudaERNS_18TensorIteratorBaseEENKUlvE_clEvENKUlvE2_clEvEUlllE_EEvS4_RKT_EUlibE_EEviT1_.has_dyn_sized_stack, 0
	.set _ZN2at6native32elementwise_kernel_manual_unrollILi128ELi4EZNS0_22gpu_kernel_impl_nocastIZZZNS0_15lcm_kernel_cudaERNS_18TensorIteratorBaseEENKUlvE_clEvENKUlvE2_clEvEUlllE_EEvS4_RKT_EUlibE_EEviT1_.has_recursion, 0
	.set _ZN2at6native32elementwise_kernel_manual_unrollILi128ELi4EZNS0_22gpu_kernel_impl_nocastIZZZNS0_15lcm_kernel_cudaERNS_18TensorIteratorBaseEENKUlvE_clEvENKUlvE2_clEvEUlllE_EEvS4_RKT_EUlibE_EEviT1_.has_indirect_call, 0
	.section	.AMDGPU.csdata,"",@progbits
; Kernel info:
; codeLenInByte = 19612
; TotalNumSgprs: 48
; NumVgprs: 36
; ScratchSize: 0
; MemoryBound: 0
; FloatMode: 240
; IeeeMode: 1
; LDSByteSize: 0 bytes/workgroup (compile time only)
; SGPRBlocks: 0
; VGPRBlocks: 2
; NumSGPRsForWavesPerEU: 48
; NumVGPRsForWavesPerEU: 36
; NamedBarCnt: 0
; Occupancy: 16
; WaveLimiterHint : 1
; COMPUTE_PGM_RSRC2:SCRATCH_EN: 0
; COMPUTE_PGM_RSRC2:USER_SGPR: 2
; COMPUTE_PGM_RSRC2:TRAP_HANDLER: 0
; COMPUTE_PGM_RSRC2:TGID_X_EN: 1
; COMPUTE_PGM_RSRC2:TGID_Y_EN: 0
; COMPUTE_PGM_RSRC2:TGID_Z_EN: 0
; COMPUTE_PGM_RSRC2:TIDIG_COMP_CNT: 0
	.section	.text._ZN2at6native32elementwise_kernel_manual_unrollILi128ELi4EZNS0_15gpu_kernel_implIZZZNS0_15lcm_kernel_cudaERNS_18TensorIteratorBaseEENKUlvE_clEvENKUlvE2_clEvEUlllE_EEvS4_RKT_EUlibE_EEviT1_,"axG",@progbits,_ZN2at6native32elementwise_kernel_manual_unrollILi128ELi4EZNS0_15gpu_kernel_implIZZZNS0_15lcm_kernel_cudaERNS_18TensorIteratorBaseEENKUlvE_clEvENKUlvE2_clEvEUlllE_EEvS4_RKT_EUlibE_EEviT1_,comdat
	.globl	_ZN2at6native32elementwise_kernel_manual_unrollILi128ELi4EZNS0_15gpu_kernel_implIZZZNS0_15lcm_kernel_cudaERNS_18TensorIteratorBaseEENKUlvE_clEvENKUlvE2_clEvEUlllE_EEvS4_RKT_EUlibE_EEviT1_ ; -- Begin function _ZN2at6native32elementwise_kernel_manual_unrollILi128ELi4EZNS0_15gpu_kernel_implIZZZNS0_15lcm_kernel_cudaERNS_18TensorIteratorBaseEENKUlvE_clEvENKUlvE2_clEvEUlllE_EEvS4_RKT_EUlibE_EEviT1_
	.p2align	8
	.type	_ZN2at6native32elementwise_kernel_manual_unrollILi128ELi4EZNS0_15gpu_kernel_implIZZZNS0_15lcm_kernel_cudaERNS_18TensorIteratorBaseEENKUlvE_clEvENKUlvE2_clEvEUlllE_EEvS4_RKT_EUlibE_EEviT1_,@function
_ZN2at6native32elementwise_kernel_manual_unrollILi128ELi4EZNS0_15gpu_kernel_implIZZZNS0_15lcm_kernel_cudaERNS_18TensorIteratorBaseEENKUlvE_clEvENKUlvE2_clEvEUlllE_EEvS4_RKT_EUlibE_EEviT1_: ; @_ZN2at6native32elementwise_kernel_manual_unrollILi128ELi4EZNS0_15gpu_kernel_implIZZZNS0_15lcm_kernel_cudaERNS_18TensorIteratorBaseEENKUlvE_clEvENKUlvE2_clEvEUlllE_EEvS4_RKT_EUlibE_EEviT1_
; %bb.0:
	v_mov_b32_e32 v1, 0
	s_bfe_u32 s4, ttmp6, 0x4000c
	s_load_b32 s16, s[0:1], 0x0
	s_add_co_i32 s13, s4, 1
	s_load_b128 s[4:7], s[0:1], 0x8
	s_clause 0x1
	global_load_u16 v2, v1, s[0:1] offset:45
	global_load_i8 v3, v1, s[0:1] offset:47
	s_clause 0x1
	s_load_b64 s[2:3], s[0:1], 0x18
	s_load_b96 s[8:10], s[0:1], 0x20
	s_and_b32 s12, ttmp6, 15
	s_wait_xcnt 0x0
	s_mul_i32 s0, ttmp9, s13
	s_getreg_b32 s14, hwreg(HW_REG_IB_STS2, 6, 4)
	s_add_co_i32 s12, s12, s0
	s_mov_b32 s15, 0
	s_wait_loadcnt 0x1
	v_readfirstlane_b32 s11, v2
	s_wait_loadcnt 0x0
	v_readfirstlane_b32 s1, v3
	s_lshr_b32 s13, s11, 8
	s_cmp_eq_u32 s14, 0
	s_cselect_b32 s0, ttmp9, s12
	s_mov_b32 s12, 0
	v_lshl_or_b32 v20, s0, 9, v0
	s_mov_b32 s0, exec_lo
	s_delay_alu instid0(VALU_DEP_1) | instskip(SKIP_1) | instid1(VALU_DEP_1)
	v_or_b32_e32 v0, 0x180, v20
	s_wait_kmcnt 0x0
	v_cmpx_le_i32_e64 s16, v0
	s_xor_b32 s14, exec_lo, s0
	s_cbranch_execz .LBB70_1571
; %bb.1:
	s_mov_b32 s23, -1
	s_mov_b32 s20, 0
	s_mov_b32 s18, 0
	;; [unrolled: 1-line block ×3, first 2 shown]
	s_mov_b32 s19, exec_lo
	v_cmpx_gt_i32_e64 s16, v20
	s_cbranch_execz .LBB70_388
; %bb.2:
	v_mul_lo_u32 v0, v20, s9
	s_and_b32 s0, s13, 0xff
	s_delay_alu instid0(SALU_CYCLE_1) | instskip(NEXT) | instid1(VALU_DEP_1)
	s_cmp_lt_i32 s0, 11
	v_ashrrev_i32_e32 v1, 31, v0
	s_delay_alu instid0(VALU_DEP_1)
	v_add_nc_u64_e32 v[2:3], s[6:7], v[0:1]
	s_cbranch_scc1 .LBB70_9
; %bb.3:
	s_and_b32 s15, 0xffff, s0
	s_delay_alu instid0(SALU_CYCLE_1)
	s_cmp_gt_i32 s15, 25
	s_cbranch_scc0 .LBB70_18
; %bb.4:
	s_cmp_gt_i32 s15, 28
	s_cbranch_scc0 .LBB70_28
; %bb.5:
	s_cmp_gt_i32 s15, 43
	s_cbranch_scc0 .LBB70_45
; %bb.6:
	s_cmp_gt_i32 s15, 45
	s_cbranch_scc0 .LBB70_48
; %bb.7:
	s_cmp_eq_u32 s15, 46
	s_mov_b32 s21, 0
	s_cbranch_scc0 .LBB70_51
; %bb.8:
	global_load_b32 v0, v[2:3], off
	s_mov_b32 s17, -1
	s_wait_loadcnt 0x0
	v_lshlrev_b32_e32 v0, 16, v0
	s_delay_alu instid0(VALU_DEP_1) | instskip(NEXT) | instid1(VALU_DEP_1)
	v_trunc_f32_e32 v0, v0
	v_mul_f32_e64 v1, 0x2f800000, |v0|
	s_delay_alu instid0(VALU_DEP_1) | instskip(NEXT) | instid1(VALU_DEP_1)
	v_floor_f32_e32 v1, v1
	v_fma_f32 v4, 0xcf800000, v1, |v0|
	v_ashrrev_i32_e32 v0, 31, v0
	v_cvt_u32_f32_e32 v5, v1
	s_delay_alu instid0(VALU_DEP_3) | instskip(NEXT) | instid1(VALU_DEP_2)
	v_cvt_u32_f32_e32 v4, v4
	v_dual_mov_b32 v1, v0 :: v_dual_bitop2_b32 v5, v5, v0 bitop3:0x14
	s_delay_alu instid0(VALU_DEP_2) | instskip(NEXT) | instid1(VALU_DEP_1)
	v_xor_b32_e32 v4, v4, v0
	v_sub_nc_u64_e32 v[0:1], v[4:5], v[0:1]
	s_branch .LBB70_53
.LBB70_9:
                                        ; implicit-def: $vgpr0_vgpr1
	s_cbranch_execnz .LBB70_115
.LBB70_10:
	s_and_not1_b32 vcc_lo, exec_lo, s17
	s_cbranch_vccnz .LBB70_162
.LBB70_11:
	s_wait_xcnt 0x0
	v_mul_lo_u32 v2, v20, s10
	s_and_b32 s0, s1, 0xff
	s_delay_alu instid0(SALU_CYCLE_1) | instskip(NEXT) | instid1(VALU_DEP_1)
	s_cmp_lt_i32 s0, 11
	v_ashrrev_i32_e32 v3, 31, v2
	s_delay_alu instid0(VALU_DEP_1)
	v_add_nc_u64_e32 v[4:5], s[2:3], v[2:3]
	s_cbranch_scc1 .LBB70_19
; %bb.12:
	s_and_b32 s15, 0xffff, s0
	s_delay_alu instid0(SALU_CYCLE_1)
	s_cmp_gt_i32 s15, 25
	s_cbranch_scc0 .LBB70_29
; %bb.13:
	s_cmp_gt_i32 s15, 28
	s_cbranch_scc0 .LBB70_46
; %bb.14:
	;; [unrolled: 3-line block ×4, first 2 shown]
	s_cmp_eq_u32 s15, 46
	s_mov_b32 s22, 0
	s_cbranch_scc0 .LBB70_163
; %bb.17:
	global_load_b32 v2, v[4:5], off
	s_mov_b32 s21, -1
	s_mov_b32 s17, 0
	s_wait_loadcnt 0x0
	v_lshlrev_b32_e32 v2, 16, v2
	s_delay_alu instid0(VALU_DEP_1) | instskip(NEXT) | instid1(VALU_DEP_1)
	v_trunc_f32_e32 v2, v2
	v_mul_f32_e64 v3, 0x2f800000, |v2|
	s_delay_alu instid0(VALU_DEP_1) | instskip(NEXT) | instid1(VALU_DEP_1)
	v_floor_f32_e32 v3, v3
	v_fma_f32 v6, 0xcf800000, v3, |v2|
	v_ashrrev_i32_e32 v2, 31, v2
	v_cvt_u32_f32_e32 v7, v3
	s_delay_alu instid0(VALU_DEP_3) | instskip(NEXT) | instid1(VALU_DEP_2)
	v_cvt_u32_f32_e32 v6, v6
	v_dual_mov_b32 v3, v2 :: v_dual_bitop2_b32 v7, v7, v2 bitop3:0x14
	s_delay_alu instid0(VALU_DEP_2) | instskip(NEXT) | instid1(VALU_DEP_1)
	v_xor_b32_e32 v6, v6, v2
	v_sub_nc_u64_e32 v[2:3], v[6:7], v[2:3]
	s_branch .LBB70_165
.LBB70_18:
                                        ; implicit-def: $vgpr0_vgpr1
	s_cbranch_execnz .LBB70_82
	s_branch .LBB70_114
.LBB70_19:
	s_mov_b32 s17, 0
	s_mov_b32 s21, 0
                                        ; implicit-def: $vgpr2_vgpr3
	s_cbranch_execnz .LBB70_337
.LBB70_20:
	s_and_not1_b32 vcc_lo, exec_lo, s21
	s_cbranch_vccnz .LBB70_385
.LBB70_21:
	s_wait_loadcnt 0x0
	s_delay_alu instid0(VALU_DEP_1) | instskip(SKIP_1) | instid1(VALU_DEP_1)
	v_sub_nc_u64_e32 v[4:5], 0, v[2:3]
	s_mov_b32 s15, exec_lo
	v_max_i64 v[6:7], v[2:3], v[4:5]
	v_cmpx_ne_u64_e32 0, v[0:1]
	s_cbranch_execz .LBB70_31
; %bb.22:
	v_sub_nc_u64_e32 v[4:5], 0, v[0:1]
	s_mov_b32 s21, 0
	s_delay_alu instid0(VALU_DEP_1)
	v_max_i64 v[10:11], v[0:1], v[4:5]
	v_mov_b32_e32 v4, 0
	s_branch .LBB70_24
.LBB70_23:                              ;   in Loop: Header=BB70_24 Depth=1
	s_or_b32 exec_lo, exec_lo, s0
	s_delay_alu instid0(VALU_DEP_1) | instskip(SKIP_2) | instid1(SALU_CYCLE_1)
	v_cmp_eq_u64_e32 vcc_lo, 0, v[10:11]
	v_mov_b64_e32 v[6:7], v[8:9]
	s_or_b32 s21, vcc_lo, s21
	s_and_not1_b32 exec_lo, exec_lo, s21
	s_cbranch_execz .LBB70_30
.LBB70_24:                              ; =>This Inner Loop Header: Depth=1
	s_delay_alu instid0(VALU_DEP_2) | instskip(SKIP_1) | instid1(VALU_DEP_1)
	v_mov_b64_e32 v[8:9], v[10:11]
                                        ; implicit-def: $vgpr10_vgpr11
	s_mov_b32 s0, exec_lo
	v_or_b32_e32 v5, v7, v9
	s_delay_alu instid0(VALU_DEP_1)
	v_cmpx_ne_u64_e32 0, v[4:5]
	s_xor_b32 s22, exec_lo, s0
	s_cbranch_execz .LBB70_26
; %bb.25:                               ;   in Loop: Header=BB70_24 Depth=1
	s_delay_alu instid0(VALU_DEP_3) | instskip(SKIP_3) | instid1(VALU_DEP_3)
	v_cvt_f32_u32_e32 v5, v8
	v_cvt_f32_u32_e32 v10, v9
	v_sub_nc_u64_e32 v[12:13], 0, v[8:9]
	v_dual_mov_b32 v19, v4 :: v_dual_mov_b32 v23, v4
	v_fmac_f32_e32 v5, 0x4f800000, v10
	s_delay_alu instid0(VALU_DEP_1) | instskip(SKIP_1) | instid1(TRANS32_DEP_1)
	v_rcp_f32_e32 v5, v5
	v_nop
	v_mul_f32_e32 v5, 0x5f7ffffc, v5
	s_delay_alu instid0(VALU_DEP_1) | instskip(NEXT) | instid1(VALU_DEP_1)
	v_mul_f32_e32 v10, 0x2f800000, v5
	v_trunc_f32_e32 v11, v10
	s_delay_alu instid0(VALU_DEP_1) | instskip(SKIP_1) | instid1(VALU_DEP_2)
	v_cvt_u32_f32_e32 v15, v11
	v_fmac_f32_e32 v5, 0xcf800000, v11
	v_dual_mov_b32 v11, v4 :: v_dual_mov_b32 v22, v15
	s_delay_alu instid0(VALU_DEP_2) | instskip(NEXT) | instid1(VALU_DEP_1)
	v_cvt_u32_f32_e32 v10, v5
	v_mov_b32_e32 v14, v10
	s_delay_alu instid0(VALU_DEP_1) | instskip(NEXT) | instid1(VALU_DEP_1)
	v_mul_u64_e32 v[16:17], v[12:13], v[14:15]
	v_dual_mov_b32 v18, v17 :: v_dual_mov_b32 v17, v4
	s_delay_alu instid0(VALU_DEP_1) | instskip(NEXT) | instid1(VALU_DEP_2)
	v_mul_u64_e32 v[24:25], v[10:11], v[18:19]
	v_mul_u64_e32 v[26:27], v[22:23], v[16:17]
	;; [unrolled: 1-line block ×3, first 2 shown]
	v_mul_hi_u32 v16, v10, v16
	s_delay_alu instid0(VALU_DEP_1) | instskip(NEXT) | instid1(VALU_DEP_1)
	v_add_nc_u64_e32 v[16:17], v[16:17], v[24:25]
	v_add_co_u32 v5, vcc_lo, v16, v26
	s_delay_alu instid0(VALU_DEP_2) | instskip(SKIP_1) | instid1(VALU_DEP_1)
	v_add_co_ci_u32_e32 v22, vcc_lo, v17, v27, vcc_lo
	v_add_co_ci_u32_e32 v19, vcc_lo, 0, v19, vcc_lo
	v_add_nc_u64_e32 v[16:17], v[22:23], v[18:19]
	s_delay_alu instid0(VALU_DEP_1) | instskip(NEXT) | instid1(VALU_DEP_1)
	v_add_co_u32 v10, vcc_lo, v10, v16
	v_add_co_ci_u32_e64 v14, null, v15, v17, vcc_lo
	v_dual_mov_b32 v17, v4 :: v_dual_mov_b32 v15, v4
	s_delay_alu instid0(VALU_DEP_2) | instskip(NEXT) | instid1(VALU_DEP_1)
	v_mov_b32_e32 v11, v14
	v_mul_u64_e32 v[12:13], v[12:13], v[10:11]
	s_delay_alu instid0(VALU_DEP_1) | instskip(NEXT) | instid1(VALU_DEP_2)
	v_dual_mov_b32 v11, v4 :: v_dual_mov_b32 v16, v13
	v_dual_mov_b32 v22, v12 :: v_dual_mov_b32 v13, v4
	v_mul_hi_u32 v12, v10, v12
	s_delay_alu instid0(VALU_DEP_3) | instskip(NEXT) | instid1(VALU_DEP_3)
	v_mul_u64_e32 v[18:19], v[10:11], v[16:17]
	v_mul_u64_e32 v[22:23], v[14:15], v[22:23]
	;; [unrolled: 1-line block ×3, first 2 shown]
	s_delay_alu instid0(VALU_DEP_3) | instskip(SKIP_1) | instid1(VALU_DEP_2)
	v_add_nc_u64_e32 v[12:13], v[12:13], v[18:19]
	v_mov_b32_e32 v19, v4
	v_add_co_u32 v5, vcc_lo, v12, v22
	s_delay_alu instid0(VALU_DEP_3) | instskip(SKIP_1) | instid1(VALU_DEP_1)
	v_add_co_ci_u32_e32 v18, vcc_lo, v13, v23, vcc_lo
	v_add_co_ci_u32_e32 v17, vcc_lo, 0, v17, vcc_lo
	v_add_nc_u64_e32 v[12:13], v[18:19], v[16:17]
	v_dual_mov_b32 v16, v6 :: v_dual_mov_b32 v17, v4
	s_delay_alu instid0(VALU_DEP_2) | instskip(NEXT) | instid1(VALU_DEP_1)
	v_add_co_u32 v12, vcc_lo, v10, v12
	v_add_co_ci_u32_e64 v10, null, v14, v13, vcc_lo
	v_dual_mov_b32 v14, v7 :: v_dual_mov_b32 v13, v4
	s_delay_alu instid0(VALU_DEP_2) | instskip(NEXT) | instid1(VALU_DEP_2)
	v_mul_u64_e32 v[16:17], v[16:17], v[10:11]
	v_mul_u64_e32 v[10:11], v[14:15], v[10:11]
	s_delay_alu instid0(VALU_DEP_3) | instskip(SKIP_1) | instid1(VALU_DEP_1)
	v_mul_u64_e32 v[18:19], v[14:15], v[12:13]
	v_mul_hi_u32 v12, v6, v12
	v_add_nc_u64_e32 v[12:13], v[12:13], v[16:17]
	s_delay_alu instid0(VALU_DEP_1) | instskip(NEXT) | instid1(VALU_DEP_2)
	v_add_co_u32 v5, vcc_lo, v12, v18
	v_add_co_ci_u32_e32 v14, vcc_lo, v13, v19, vcc_lo
	v_add_co_ci_u32_e32 v11, vcc_lo, 0, v11, vcc_lo
	s_delay_alu instid0(VALU_DEP_1) | instskip(NEXT) | instid1(VALU_DEP_1)
	v_add_nc_u64_e32 v[10:11], v[14:15], v[10:11]
	v_mul_u64_e32 v[10:11], v[8:9], v[10:11]
	s_delay_alu instid0(VALU_DEP_1) | instskip(NEXT) | instid1(VALU_DEP_2)
	v_sub_nc_u32_e32 v5, v7, v11
	v_sub_co_u32 v6, vcc_lo, v6, v10
	s_delay_alu instid0(VALU_DEP_1) | instskip(NEXT) | instid1(VALU_DEP_3)
	v_sub_co_ci_u32_e64 v7, null, v7, v11, vcc_lo
	v_sub_co_ci_u32_e64 v5, null, v5, v9, vcc_lo
	s_delay_alu instid0(VALU_DEP_3) | instskip(SKIP_1) | instid1(VALU_DEP_3)
	v_sub_co_u32 v10, vcc_lo, v6, v8
	v_cmp_ge_u32_e64 s0, v6, v8
	v_subrev_co_ci_u32_e64 v11, null, 0, v5, vcc_lo
	v_sub_co_ci_u32_e64 v5, null, v5, v9, vcc_lo
	s_delay_alu instid0(VALU_DEP_3) | instskip(SKIP_2) | instid1(VALU_DEP_2)
	v_cndmask_b32_e64 v12, 0, -1, s0
	v_cmp_ge_u32_e64 s0, v10, v8
	v_cmp_ge_u32_e32 vcc_lo, v7, v9
	v_cndmask_b32_e64 v13, 0, -1, s0
	v_cmp_ge_u32_e64 s0, v11, v9
	v_cndmask_b32_e64 v15, 0, -1, vcc_lo
	v_cmp_eq_u32_e32 vcc_lo, v11, v9
	s_delay_alu instid0(VALU_DEP_3) | instskip(SKIP_1) | instid1(VALU_DEP_1)
	v_cndmask_b32_e64 v14, 0, -1, s0
	v_cmp_eq_u32_e64 s0, v7, v9
	v_dual_cndmask_b32 v13, v14, v13, vcc_lo :: v_dual_cndmask_b32 v12, v15, v12, s0
	v_sub_co_u32 v14, vcc_lo, v10, v8
	s_delay_alu instid0(VALU_DEP_1) | instskip(NEXT) | instid1(VALU_DEP_3)
	v_subrev_co_ci_u32_e64 v5, null, 0, v5, vcc_lo
	v_cmp_ne_u32_e32 vcc_lo, 0, v13
	s_delay_alu instid0(VALU_DEP_2) | instskip(SKIP_1) | instid1(VALU_DEP_2)
	v_dual_cndmask_b32 v5, v11, v5 :: v_dual_cndmask_b32 v10, v10, v14
	v_cmp_ne_u32_e32 vcc_lo, 0, v12
	v_dual_cndmask_b32 v11, v7, v5 :: v_dual_cndmask_b32 v10, v6, v10
                                        ; implicit-def: $vgpr6_vgpr7
.LBB70_26:                              ;   in Loop: Header=BB70_24 Depth=1
	s_and_not1_saveexec_b32 s0, s22
	s_cbranch_execz .LBB70_23
; %bb.27:                               ;   in Loop: Header=BB70_24 Depth=1
	v_cvt_f32_u32_e32 v5, v8
	v_dual_sub_nc_u32 v7, 0, v8 :: v_dual_mov_b32 v11, v4
	s_delay_alu instid0(VALU_DEP_2) | instskip(SKIP_1) | instid1(TRANS32_DEP_1)
	v_rcp_iflag_f32_e32 v5, v5
	v_nop
	v_mul_f32_e32 v5, 0x4f7ffffe, v5
	s_delay_alu instid0(VALU_DEP_1) | instskip(NEXT) | instid1(VALU_DEP_1)
	v_cvt_u32_f32_e32 v5, v5
	v_mul_lo_u32 v7, v7, v5
	s_delay_alu instid0(VALU_DEP_1) | instskip(NEXT) | instid1(VALU_DEP_1)
	v_mul_hi_u32 v7, v5, v7
	v_add_nc_u32_e32 v5, v5, v7
	s_delay_alu instid0(VALU_DEP_1) | instskip(NEXT) | instid1(VALU_DEP_1)
	v_mul_hi_u32 v5, v6, v5
	v_mul_lo_u32 v5, v5, v8
	s_delay_alu instid0(VALU_DEP_1) | instskip(NEXT) | instid1(VALU_DEP_1)
	v_sub_nc_u32_e32 v5, v6, v5
	v_sub_nc_u32_e32 v6, v5, v8
	v_cmp_ge_u32_e32 vcc_lo, v5, v8
	s_delay_alu instid0(VALU_DEP_2) | instskip(NEXT) | instid1(VALU_DEP_1)
	v_cndmask_b32_e32 v5, v5, v6, vcc_lo
	v_sub_nc_u32_e32 v6, v5, v8
	v_cmp_ge_u32_e32 vcc_lo, v5, v8
	s_delay_alu instid0(VALU_DEP_2)
	v_cndmask_b32_e32 v10, v5, v6, vcc_lo
	s_branch .LBB70_23
.LBB70_28:
	s_mov_b32 s21, -1
                                        ; implicit-def: $vgpr0_vgpr1
	s_branch .LBB70_65
.LBB70_29:
	s_mov_b32 s22, -1
	s_mov_b32 s17, 0
	s_mov_b32 s21, 0
                                        ; implicit-def: $vgpr2_vgpr3
	s_branch .LBB70_303
.LBB70_30:
	s_or_b32 exec_lo, exec_lo, s21
	v_mov_b64_e32 v[6:7], v[8:9]
.LBB70_31:
	s_or_b32 exec_lo, exec_lo, s15
	v_mov_b64_e32 v[4:5], 0
	s_mov_b32 s15, exec_lo
	s_delay_alu instid0(VALU_DEP_2)
	v_cmpx_ne_u64_e32 0, v[6:7]
	s_cbranch_execz .LBB70_37
; %bb.32:
	v_dual_mov_b32 v4, 0 :: v_dual_bitop2_b32 v5, v1, v7 bitop3:0x54
                                        ; implicit-def: $vgpr8_vgpr9
	s_mov_b32 s0, exec_lo
	s_delay_alu instid0(VALU_DEP_1)
	v_cmpx_ne_u64_e32 0, v[4:5]
	s_xor_b32 s21, exec_lo, s0
	s_cbranch_execz .LBB70_34
; %bb.33:
	v_dual_mov_b32 v11, v4 :: v_dual_ashrrev_i32 v8, 31, v7
	v_dual_mov_b32 v19, v4 :: v_dual_mov_b32 v23, v4
	s_delay_alu instid0(VALU_DEP_2) | instskip(NEXT) | instid1(VALU_DEP_1)
	v_mov_b32_e32 v9, v8
	v_add_nc_u64_e32 v[6:7], v[6:7], v[8:9]
	s_delay_alu instid0(VALU_DEP_1) | instskip(NEXT) | instid1(VALU_DEP_2)
	v_xor_b32_e32 v6, v6, v8
	v_xor_b32_e32 v7, v7, v8
	s_delay_alu instid0(VALU_DEP_2) | instskip(NEXT) | instid1(VALU_DEP_2)
	v_cvt_f32_u32_e32 v5, v6
	v_cvt_f32_u32_e32 v9, v7
	s_delay_alu instid0(VALU_DEP_1) | instskip(NEXT) | instid1(VALU_DEP_1)
	v_fmamk_f32 v5, v9, 0x4f800000, v5
	v_rcp_f32_e32 v5, v5
	v_nop
	s_delay_alu instid0(TRANS32_DEP_1) | instskip(NEXT) | instid1(VALU_DEP_1)
	v_mul_f32_e32 v5, 0x5f7ffffc, v5
	v_mul_f32_e32 v9, 0x2f800000, v5
	s_delay_alu instid0(VALU_DEP_1) | instskip(NEXT) | instid1(VALU_DEP_1)
	v_trunc_f32_e32 v9, v9
	v_fmamk_f32 v5, v9, 0xcf800000, v5
	v_cvt_u32_f32_e32 v15, v9
	s_delay_alu instid0(VALU_DEP_2) | instskip(NEXT) | instid1(VALU_DEP_1)
	v_cvt_u32_f32_e32 v10, v5
	v_dual_mov_b32 v22, v15 :: v_dual_mov_b32 v14, v10
	v_sub_nc_u64_e32 v[12:13], 0, v[6:7]
	s_delay_alu instid0(VALU_DEP_1) | instskip(NEXT) | instid1(VALU_DEP_1)
	v_mul_u64_e32 v[16:17], v[12:13], v[14:15]
	v_dual_mov_b32 v18, v17 :: v_dual_mov_b32 v17, v4
	s_delay_alu instid0(VALU_DEP_1) | instskip(NEXT) | instid1(VALU_DEP_2)
	v_mul_u64_e32 v[24:25], v[10:11], v[18:19]
	v_mul_u64_e32 v[26:27], v[22:23], v[16:17]
	;; [unrolled: 1-line block ×3, first 2 shown]
	v_mul_hi_u32 v16, v10, v16
	s_delay_alu instid0(VALU_DEP_1) | instskip(SKIP_1) | instid1(VALU_DEP_2)
	v_add_nc_u64_e32 v[16:17], v[16:17], v[24:25]
	v_ashrrev_i32_e32 v24, 31, v1
	v_add_co_u32 v5, vcc_lo, v16, v26
	s_delay_alu instid0(VALU_DEP_3) | instskip(SKIP_1) | instid1(VALU_DEP_1)
	v_add_co_ci_u32_e32 v22, vcc_lo, v17, v27, vcc_lo
	v_add_co_ci_u32_e32 v19, vcc_lo, 0, v19, vcc_lo
	v_add_nc_u64_e32 v[16:17], v[22:23], v[18:19]
	s_delay_alu instid0(VALU_DEP_1) | instskip(NEXT) | instid1(VALU_DEP_1)
	v_add_co_u32 v10, vcc_lo, v10, v16
	v_add_co_ci_u32_e64 v14, null, v15, v17, vcc_lo
	v_dual_mov_b32 v15, v4 :: v_dual_mov_b32 v17, v4
	s_delay_alu instid0(VALU_DEP_2) | instskip(NEXT) | instid1(VALU_DEP_1)
	v_mov_b32_e32 v11, v14
	v_mul_u64_e32 v[12:13], v[12:13], v[10:11]
	s_delay_alu instid0(VALU_DEP_1) | instskip(NEXT) | instid1(VALU_DEP_2)
	v_dual_mov_b32 v11, v4 :: v_dual_mov_b32 v16, v13
	v_dual_mov_b32 v22, v12 :: v_dual_mov_b32 v13, v4
	v_mul_hi_u32 v12, v10, v12
	s_delay_alu instid0(VALU_DEP_3) | instskip(NEXT) | instid1(VALU_DEP_3)
	v_mul_u64_e32 v[18:19], v[10:11], v[16:17]
	v_mul_u64_e32 v[22:23], v[14:15], v[22:23]
	;; [unrolled: 1-line block ×3, first 2 shown]
	s_delay_alu instid0(VALU_DEP_3) | instskip(SKIP_1) | instid1(VALU_DEP_2)
	v_add_nc_u64_e32 v[12:13], v[12:13], v[18:19]
	v_dual_mov_b32 v19, v4 :: v_dual_mov_b32 v25, v24
	v_add_co_u32 v5, vcc_lo, v12, v22
	s_delay_alu instid0(VALU_DEP_3) | instskip(SKIP_2) | instid1(VALU_DEP_2)
	v_add_co_ci_u32_e32 v18, vcc_lo, v13, v23, vcc_lo
	v_add_co_ci_u32_e32 v17, vcc_lo, 0, v17, vcc_lo
	v_mov_b32_e32 v5, v4
	v_add_nc_u64_e32 v[12:13], v[18:19], v[16:17]
	v_mov_b32_e32 v17, v4
	v_add_nc_u64_e32 v[0:1], v[0:1], v[24:25]
	s_delay_alu instid0(VALU_DEP_3) | instskip(NEXT) | instid1(VALU_DEP_1)
	v_add_co_u32 v12, vcc_lo, v10, v12
	v_add_co_ci_u32_e64 v10, null, v14, v13, vcc_lo
	s_delay_alu instid0(VALU_DEP_3) | instskip(NEXT) | instid1(VALU_DEP_4)
	v_dual_mov_b32 v13, v4 :: v_dual_bitop2_b32 v14, v1, v24 bitop3:0x14
	v_xor_b32_e32 v16, v0, v24
	s_delay_alu instid0(VALU_DEP_2) | instskip(NEXT) | instid1(VALU_DEP_2)
	v_mul_u64_e32 v[0:1], v[14:15], v[12:13]
	v_mul_u64_e32 v[18:19], v[16:17], v[10:11]
	;; [unrolled: 1-line block ×3, first 2 shown]
	v_mul_hi_u32 v12, v16, v12
	s_delay_alu instid0(VALU_DEP_1) | instskip(NEXT) | instid1(VALU_DEP_1)
	v_add_nc_u64_e32 v[12:13], v[12:13], v[18:19]
	v_add_co_u32 v0, vcc_lo, v12, v0
	s_delay_alu instid0(VALU_DEP_2) | instskip(SKIP_1) | instid1(VALU_DEP_1)
	v_add_co_ci_u32_e32 v4, vcc_lo, v13, v1, vcc_lo
	v_add_co_ci_u32_e32 v11, vcc_lo, 0, v11, vcc_lo
	v_add_nc_u64_e32 v[0:1], v[4:5], v[10:11]
	s_delay_alu instid0(VALU_DEP_1) | instskip(NEXT) | instid1(VALU_DEP_1)
	v_mul_u64_e32 v[4:5], v[6:7], v[0:1]
	v_sub_nc_u32_e32 v9, v14, v5
	s_delay_alu instid0(VALU_DEP_2) | instskip(NEXT) | instid1(VALU_DEP_1)
	v_sub_co_u32 v4, vcc_lo, v16, v4
	v_sub_co_ci_u32_e64 v12, null, v14, v5, vcc_lo
	s_delay_alu instid0(VALU_DEP_3) | instskip(NEXT) | instid1(VALU_DEP_3)
	v_sub_co_ci_u32_e64 v9, null, v9, v7, vcc_lo
	v_sub_co_u32 v10, s0, v4, v6
	s_delay_alu instid0(VALU_DEP_1) | instskip(NEXT) | instid1(VALU_DEP_2)
	v_subrev_co_ci_u32_e64 v9, null, 0, v9, s0
	v_cmp_ge_u32_e32 vcc_lo, v10, v6
	v_cndmask_b32_e64 v5, 0, -1, vcc_lo
	s_delay_alu instid0(VALU_DEP_3)
	v_cmp_ge_u32_e32 vcc_lo, v9, v7
	v_cndmask_b32_e64 v10, 0, -1, vcc_lo
	v_cmp_ge_u32_e32 vcc_lo, v4, v6
	v_cndmask_b32_e64 v6, 0, -1, vcc_lo
	;; [unrolled: 2-line block ×3, first 2 shown]
	v_cmp_eq_u32_e32 vcc_lo, v9, v7
	v_cndmask_b32_e32 v9, v10, v5, vcc_lo
	v_cmp_eq_u32_e32 vcc_lo, v12, v7
	v_add_nc_u64_e32 v[4:5], 2, v[0:1]
	v_add_nc_u64_e32 v[10:11], 1, v[0:1]
	v_cndmask_b32_e32 v6, v13, v6, vcc_lo
	v_cmp_ne_u32_e32 vcc_lo, 0, v9
	s_delay_alu instid0(VALU_DEP_2) | instskip(NEXT) | instid1(VALU_DEP_4)
	v_cmp_ne_u32_e64 s0, 0, v6
	v_dual_cndmask_b32 v5, v11, v5 :: v_dual_cndmask_b32 v6, v10, v4
	s_delay_alu instid0(VALU_DEP_1) | instskip(NEXT) | instid1(VALU_DEP_2)
	v_dual_cndmask_b32 v1, v1, v5, s0 :: v_dual_bitop2_b32 v4, v24, v8 bitop3:0x14
	v_cndmask_b32_e64 v0, v0, v6, s0
	s_delay_alu instid0(VALU_DEP_2) | instskip(NEXT) | instid1(VALU_DEP_3)
	v_mov_b32_e32 v5, v4
                                        ; implicit-def: $vgpr6_vgpr7
	v_xor_b32_e32 v1, v1, v4
	s_delay_alu instid0(VALU_DEP_3) | instskip(NEXT) | instid1(VALU_DEP_1)
	v_xor_b32_e32 v0, v0, v4
	v_sub_nc_u64_e32 v[8:9], v[0:1], v[4:5]
                                        ; implicit-def: $vgpr0_vgpr1
.LBB70_34:
	s_and_not1_saveexec_b32 s0, s21
	s_cbranch_execz .LBB70_36
; %bb.35:
	v_cvt_f32_u32_e32 v1, v6
	v_dual_mov_b32 v9, 0 :: v_dual_sub_nc_u32 v4, 0, v6
	s_delay_alu instid0(VALU_DEP_2) | instskip(SKIP_1) | instid1(TRANS32_DEP_1)
	v_rcp_iflag_f32_e32 v1, v1
	v_nop
	v_mul_f32_e32 v1, 0x4f7ffffe, v1
	s_delay_alu instid0(VALU_DEP_1) | instskip(NEXT) | instid1(VALU_DEP_1)
	v_cvt_u32_f32_e32 v1, v1
	v_mul_lo_u32 v4, v4, v1
	s_delay_alu instid0(VALU_DEP_1) | instskip(NEXT) | instid1(VALU_DEP_1)
	v_mul_hi_u32 v4, v1, v4
	v_add_nc_u32_e32 v1, v1, v4
	s_delay_alu instid0(VALU_DEP_1) | instskip(NEXT) | instid1(VALU_DEP_1)
	v_mul_hi_u32 v1, v0, v1
	v_mul_lo_u32 v4, v1, v6
	s_delay_alu instid0(VALU_DEP_1) | instskip(NEXT) | instid1(VALU_DEP_1)
	v_dual_sub_nc_u32 v0, v0, v4 :: v_dual_add_nc_u32 v4, 1, v1
	v_sub_nc_u32_e32 v5, v0, v6
	v_cmp_ge_u32_e32 vcc_lo, v0, v6
	s_delay_alu instid0(VALU_DEP_2) | instskip(NEXT) | instid1(VALU_DEP_1)
	v_dual_cndmask_b32 v0, v0, v5 :: v_dual_cndmask_b32 v1, v1, v4
	v_cmp_ge_u32_e32 vcc_lo, v0, v6
	s_delay_alu instid0(VALU_DEP_2) | instskip(NEXT) | instid1(VALU_DEP_1)
	v_add_nc_u32_e32 v4, 1, v1
	v_cndmask_b32_e32 v8, v1, v4, vcc_lo
.LBB70_36:
	s_or_b32 exec_lo, exec_lo, s0
	s_delay_alu instid0(VALU_DEP_1) | instskip(NEXT) | instid1(VALU_DEP_1)
	v_mul_u64_e32 v[0:1], v[8:9], v[2:3]
	v_sub_nc_u64_e32 v[2:3], 0, v[0:1]
	s_delay_alu instid0(VALU_DEP_1)
	v_max_i64 v[4:5], v[0:1], v[2:3]
.LBB70_37:
	s_or_b32 exec_lo, exec_lo, s15
	v_mul_lo_u32 v0, v20, s8
	s_and_b32 s15, s11, 0xff
	s_delay_alu instid0(SALU_CYCLE_1) | instskip(NEXT) | instid1(VALU_DEP_1)
	s_cmp_lt_i32 s15, 11
	v_ashrrev_i32_e32 v1, 31, v0
	s_delay_alu instid0(VALU_DEP_1)
	v_add_nc_u64_e32 v[0:1], s[4:5], v[0:1]
	s_cbranch_scc1 .LBB70_44
; %bb.38:
	s_and_b32 s21, 0xffff, s15
	s_delay_alu instid0(SALU_CYCLE_1)
	s_cmp_gt_i32 s21, 25
	s_cbranch_scc0 .LBB70_47
; %bb.39:
	s_cmp_gt_i32 s21, 28
	s_cbranch_scc0 .LBB70_50
; %bb.40:
	;; [unrolled: 3-line block ×4, first 2 shown]
	s_mov_b32 s23, 0
	s_mov_b32 s0, -1
	s_cmp_eq_u32 s21, 46
	s_mov_b32 s22, 0
	s_cbranch_scc0 .LBB70_169
; %bb.43:
	s_delay_alu instid0(VALU_DEP_4) | instskip(SKIP_2) | instid1(VALU_DEP_1)
	v_clz_i32_u32_e32 v2, v5
	s_mov_b32 s22, -1
	s_mov_b32 s0, 0
	v_min_u32_e32 v6, 32, v2
	s_delay_alu instid0(VALU_DEP_1) | instskip(NEXT) | instid1(VALU_DEP_1)
	v_lshlrev_b64_e32 v[2:3], v6, v[4:5]
	v_min_u32_e32 v2, 1, v2
	s_delay_alu instid0(VALU_DEP_1) | instskip(SKIP_1) | instid1(VALU_DEP_2)
	v_or_b32_e32 v2, v3, v2
	v_sub_nc_u32_e32 v3, 32, v6
	v_cvt_f32_u32_e32 v2, v2
	s_delay_alu instid0(VALU_DEP_1) | instskip(NEXT) | instid1(VALU_DEP_1)
	v_ldexp_f32 v2, v2, v3
	v_bfe_u32 v3, v2, 16, 1
	s_delay_alu instid0(VALU_DEP_1) | instskip(NEXT) | instid1(VALU_DEP_1)
	v_add3_u32 v2, v2, v3, 0x7fff
	v_lshrrev_b32_e32 v2, 16, v2
	global_store_b32 v[0:1], v2, off
	s_branch .LBB70_169
.LBB70_44:
	s_mov_b32 s21, -1
	s_mov_b32 s0, 0
	s_mov_b32 s22, 0
	s_branch .LBB70_238
.LBB70_45:
	s_mov_b32 s21, -1
                                        ; implicit-def: $vgpr0_vgpr1
	s_branch .LBB70_60
.LBB70_46:
	s_mov_b32 s22, -1
	s_mov_b32 s17, 0
	s_mov_b32 s21, 0
                                        ; implicit-def: $vgpr2_vgpr3
	s_branch .LBB70_286
.LBB70_47:
	s_mov_b32 s23, -1
	s_mov_b32 s0, 0
	s_mov_b32 s22, 0
	s_branch .LBB70_196
.LBB70_48:
	s_mov_b32 s21, -1
	s_branch .LBB70_52
.LBB70_49:
	s_mov_b32 s22, -1
	s_mov_b32 s17, 0
	s_mov_b32 s21, 0
                                        ; implicit-def: $vgpr2_vgpr3
	s_branch .LBB70_281
.LBB70_50:
	s_mov_b32 s23, -1
	s_mov_b32 s0, 0
	s_mov_b32 s22, 0
	s_branch .LBB70_179
.LBB70_51:
	s_mov_b32 s18, -1
.LBB70_52:
                                        ; implicit-def: $vgpr0_vgpr1
.LBB70_53:
	s_and_b32 vcc_lo, exec_lo, s21
	s_cbranch_vccz .LBB70_59
; %bb.54:
	s_cmp_eq_u32 s15, 44
	s_cbranch_scc0 .LBB70_58
; %bb.55:
	global_load_u8 v6, v[2:3], off
	s_mov_b32 s18, 0
	s_mov_b32 s17, -1
	s_wait_loadcnt 0x0
	v_cmp_ne_u32_e32 vcc_lo, 0, v6
	v_lshlrev_b32_e32 v0, 23, v6
	s_delay_alu instid0(VALU_DEP_1) | instskip(NEXT) | instid1(VALU_DEP_1)
	v_trunc_f32_e32 v0, v0
	v_mul_f32_e64 v1, 0x2f800000, |v0|
	s_delay_alu instid0(VALU_DEP_1) | instskip(NEXT) | instid1(VALU_DEP_1)
	v_floor_f32_e32 v1, v1
	v_fma_f32 v4, 0xcf800000, v1, |v0|
	v_ashrrev_i32_e32 v0, 31, v0
	v_cvt_u32_f32_e32 v5, v1
	s_delay_alu instid0(VALU_DEP_3) | instskip(NEXT) | instid1(VALU_DEP_2)
	v_cvt_u32_f32_e32 v4, v4
	v_dual_mov_b32 v1, v0 :: v_dual_bitop2_b32 v5, v5, v0 bitop3:0x14
	s_delay_alu instid0(VALU_DEP_2) | instskip(NEXT) | instid1(VALU_DEP_1)
	v_xor_b32_e32 v4, v4, v0
	v_sub_nc_u64_e32 v[0:1], v[4:5], v[0:1]
	s_delay_alu instid0(VALU_DEP_1)
	v_dual_cndmask_b32 v1, 0, v1 :: v_dual_cndmask_b32 v0, 0, v0
	s_branch .LBB70_59
.LBB70_56:
	s_mov_b32 s22, -1
	s_mov_b32 s17, 0
	s_branch .LBB70_164
.LBB70_57:
	s_mov_b32 s23, -1
	s_mov_b32 s0, 0
	s_mov_b32 s22, 0
	s_branch .LBB70_175
.LBB70_58:
	s_mov_b32 s18, -1
                                        ; implicit-def: $vgpr0_vgpr1
.LBB70_59:
	s_mov_b32 s21, 0
.LBB70_60:
	s_delay_alu instid0(SALU_CYCLE_1)
	s_and_b32 vcc_lo, exec_lo, s21
	s_cbranch_vccz .LBB70_64
; %bb.61:
	s_cmp_eq_u32 s15, 29
	s_cbranch_scc0 .LBB70_63
; %bb.62:
	global_load_b64 v[0:1], v[2:3], off
	s_mov_b32 s17, -1
	s_mov_b32 s18, 0
	s_branch .LBB70_64
.LBB70_63:
	s_mov_b32 s18, -1
                                        ; implicit-def: $vgpr0_vgpr1
.LBB70_64:
	s_mov_b32 s21, 0
.LBB70_65:
	s_delay_alu instid0(SALU_CYCLE_1)
	s_and_b32 vcc_lo, exec_lo, s21
	s_cbranch_vccz .LBB70_81
; %bb.66:
	s_cmp_lt_i32 s15, 27
	s_cbranch_scc1 .LBB70_69
; %bb.67:
	s_cmp_gt_i32 s15, 27
	s_cbranch_scc0 .LBB70_70
; %bb.68:
	s_wait_loadcnt 0x0
	global_load_b32 v0, v[2:3], off
	v_mov_b32_e32 v1, 0
	s_mov_b32 s17, 0
	s_branch .LBB70_71
.LBB70_69:
	s_mov_b32 s17, -1
                                        ; implicit-def: $vgpr0_vgpr1
	s_branch .LBB70_74
.LBB70_70:
	s_mov_b32 s17, -1
                                        ; implicit-def: $vgpr0_vgpr1
.LBB70_71:
	s_delay_alu instid0(SALU_CYCLE_1)
	s_and_not1_b32 vcc_lo, exec_lo, s17
	s_cbranch_vccnz .LBB70_73
; %bb.72:
	s_wait_loadcnt 0x0
	global_load_u16 v0, v[2:3], off
	s_mov_b32 s17, 0
	s_delay_alu instid0(SALU_CYCLE_1)
	v_mov_b32_e32 v1, s17
	s_wait_loadcnt 0x0
	v_and_b32_e32 v0, 0xffff, v0
.LBB70_73:
	s_mov_b32 s17, 0
.LBB70_74:
	s_delay_alu instid0(SALU_CYCLE_1)
	s_and_not1_b32 vcc_lo, exec_lo, s17
	s_cbranch_vccnz .LBB70_80
; %bb.75:
	global_load_u8 v4, v[2:3], off
	s_mov_b32 s21, 0
	s_mov_b32 s17, exec_lo
	s_wait_loadcnt 0x0
	v_cmpx_lt_i16_e32 0x7f, v4
	s_xor_b32 s17, exec_lo, s17
	s_cbranch_execz .LBB70_91
; %bb.76:
	v_cmp_ne_u16_e32 vcc_lo, 0x80, v4
	s_and_b32 s21, vcc_lo, exec_lo
	s_and_not1_saveexec_b32 s17, s17
	s_cbranch_execnz .LBB70_92
.LBB70_77:
	s_or_b32 exec_lo, exec_lo, s17
	v_mov_b64_e32 v[0:1], 0
	s_and_saveexec_b32 s17, s21
	s_cbranch_execz .LBB70_79
.LBB70_78:
	v_and_b32_e32 v0, 0xffff, v4
	s_delay_alu instid0(VALU_DEP_1) | instskip(SKIP_1) | instid1(VALU_DEP_2)
	v_and_b32_e32 v1, 7, v0
	v_bfe_u32 v7, v0, 3, 4
	v_clz_i32_u32_e32 v5, v1
	s_delay_alu instid0(VALU_DEP_2) | instskip(NEXT) | instid1(VALU_DEP_2)
	v_cmp_eq_u32_e32 vcc_lo, 0, v7
	v_min_u32_e32 v5, 32, v5
	s_delay_alu instid0(VALU_DEP_1) | instskip(NEXT) | instid1(VALU_DEP_1)
	v_subrev_nc_u32_e32 v6, 28, v5
	v_dual_lshlrev_b32 v0, v6, v0 :: v_dual_sub_nc_u32 v5, 29, v5
	s_delay_alu instid0(VALU_DEP_1) | instskip(NEXT) | instid1(VALU_DEP_2)
	v_and_b32_e32 v0, 7, v0
	v_dual_cndmask_b32 v5, v7, v5 :: v_dual_lshlrev_b32 v4, 24, v4
	s_delay_alu instid0(VALU_DEP_2) | instskip(NEXT) | instid1(VALU_DEP_2)
	v_cndmask_b32_e32 v0, v1, v0, vcc_lo
	v_and_b32_e32 v1, 0x80000000, v4
	s_delay_alu instid0(VALU_DEP_3) | instskip(NEXT) | instid1(VALU_DEP_3)
	v_lshl_add_u32 v4, v5, 23, 0x3b800000
	v_lshlrev_b32_e32 v0, 20, v0
	s_delay_alu instid0(VALU_DEP_1) | instskip(NEXT) | instid1(VALU_DEP_1)
	v_or3_b32 v0, v1, v4, v0
	v_trunc_f32_e32 v0, v0
	s_delay_alu instid0(VALU_DEP_1) | instskip(NEXT) | instid1(VALU_DEP_1)
	v_mul_f32_e64 v1, 0x2f800000, |v0|
	v_floor_f32_e32 v1, v1
	s_delay_alu instid0(VALU_DEP_1) | instskip(SKIP_2) | instid1(VALU_DEP_3)
	v_fma_f32 v4, 0xcf800000, v1, |v0|
	v_ashrrev_i32_e32 v0, 31, v0
	v_cvt_u32_f32_e32 v5, v1
	v_cvt_u32_f32_e32 v4, v4
	s_delay_alu instid0(VALU_DEP_2) | instskip(NEXT) | instid1(VALU_DEP_2)
	v_dual_mov_b32 v1, v0 :: v_dual_bitop2_b32 v5, v5, v0 bitop3:0x14
	v_xor_b32_e32 v4, v4, v0
	s_delay_alu instid0(VALU_DEP_1)
	v_sub_nc_u64_e32 v[0:1], v[4:5], v[0:1]
.LBB70_79:
	s_or_b32 exec_lo, exec_lo, s17
.LBB70_80:
	s_mov_b32 s17, -1
.LBB70_81:
	s_branch .LBB70_114
.LBB70_82:
	s_cmp_gt_i32 s15, 22
	s_cbranch_scc0 .LBB70_90
; %bb.83:
	s_cmp_lt_i32 s15, 24
	s_cbranch_scc1 .LBB70_93
; %bb.84:
	s_cmp_gt_i32 s15, 24
	s_cbranch_scc0 .LBB70_94
; %bb.85:
	global_load_u8 v4, v[2:3], off
	s_mov_b32 s21, 0
	s_mov_b32 s17, exec_lo
	s_wait_loadcnt 0x0
	v_cmpx_lt_i16_e32 0x7f, v4
	s_xor_b32 s17, exec_lo, s17
	s_cbranch_execz .LBB70_106
; %bb.86:
	v_cmp_ne_u16_e32 vcc_lo, 0x80, v4
	s_and_b32 s21, vcc_lo, exec_lo
	s_and_not1_saveexec_b32 s17, s17
	s_cbranch_execnz .LBB70_107
.LBB70_87:
	s_or_b32 exec_lo, exec_lo, s17
	v_mov_b64_e32 v[0:1], 0
	s_and_saveexec_b32 s17, s21
	s_cbranch_execz .LBB70_89
.LBB70_88:
	v_and_b32_e32 v0, 0xffff, v4
	s_delay_alu instid0(VALU_DEP_1) | instskip(SKIP_1) | instid1(VALU_DEP_2)
	v_and_b32_e32 v1, 3, v0
	v_bfe_u32 v7, v0, 2, 5
	v_clz_i32_u32_e32 v5, v1
	s_delay_alu instid0(VALU_DEP_2) | instskip(NEXT) | instid1(VALU_DEP_2)
	v_cmp_eq_u32_e32 vcc_lo, 0, v7
	v_min_u32_e32 v5, 32, v5
	s_delay_alu instid0(VALU_DEP_1) | instskip(NEXT) | instid1(VALU_DEP_1)
	v_subrev_nc_u32_e32 v6, 29, v5
	v_dual_lshlrev_b32 v0, v6, v0 :: v_dual_sub_nc_u32 v5, 30, v5
	s_delay_alu instid0(VALU_DEP_1) | instskip(NEXT) | instid1(VALU_DEP_2)
	v_and_b32_e32 v0, 3, v0
	v_dual_cndmask_b32 v5, v7, v5 :: v_dual_lshlrev_b32 v4, 24, v4
	s_delay_alu instid0(VALU_DEP_2) | instskip(NEXT) | instid1(VALU_DEP_2)
	v_cndmask_b32_e32 v0, v1, v0, vcc_lo
	v_and_b32_e32 v1, 0x80000000, v4
	s_delay_alu instid0(VALU_DEP_3) | instskip(NEXT) | instid1(VALU_DEP_3)
	v_lshl_add_u32 v4, v5, 23, 0x37800000
	v_lshlrev_b32_e32 v0, 21, v0
	s_delay_alu instid0(VALU_DEP_1) | instskip(NEXT) | instid1(VALU_DEP_1)
	v_or3_b32 v0, v1, v4, v0
	v_trunc_f32_e32 v0, v0
	s_delay_alu instid0(VALU_DEP_1) | instskip(NEXT) | instid1(VALU_DEP_1)
	v_mul_f32_e64 v1, 0x2f800000, |v0|
	v_floor_f32_e32 v1, v1
	s_delay_alu instid0(VALU_DEP_1) | instskip(SKIP_2) | instid1(VALU_DEP_3)
	v_fma_f32 v4, 0xcf800000, v1, |v0|
	v_ashrrev_i32_e32 v0, 31, v0
	v_cvt_u32_f32_e32 v5, v1
	v_cvt_u32_f32_e32 v4, v4
	s_delay_alu instid0(VALU_DEP_2) | instskip(NEXT) | instid1(VALU_DEP_2)
	v_dual_mov_b32 v1, v0 :: v_dual_bitop2_b32 v5, v5, v0 bitop3:0x14
	v_xor_b32_e32 v4, v4, v0
	s_delay_alu instid0(VALU_DEP_1)
	v_sub_nc_u64_e32 v[0:1], v[4:5], v[0:1]
.LBB70_89:
	s_or_b32 exec_lo, exec_lo, s17
	s_mov_b32 s17, 0
	s_branch .LBB70_95
.LBB70_90:
	s_mov_b32 s21, -1
                                        ; implicit-def: $vgpr0_vgpr1
	s_branch .LBB70_101
.LBB70_91:
	s_and_not1_saveexec_b32 s17, s17
	s_cbranch_execz .LBB70_77
.LBB70_92:
	v_cmp_ne_u16_e32 vcc_lo, 0, v4
	s_and_not1_b32 s21, s21, exec_lo
	s_and_b32 s22, vcc_lo, exec_lo
	s_delay_alu instid0(SALU_CYCLE_1)
	s_or_b32 s21, s21, s22
	s_or_b32 exec_lo, exec_lo, s17
	v_mov_b64_e32 v[0:1], 0
	s_and_saveexec_b32 s17, s21
	s_cbranch_execnz .LBB70_78
	s_branch .LBB70_79
.LBB70_93:
	s_mov_b32 s17, -1
                                        ; implicit-def: $vgpr0_vgpr1
	s_branch .LBB70_98
.LBB70_94:
	s_mov_b32 s17, -1
                                        ; implicit-def: $vgpr0_vgpr1
.LBB70_95:
	s_delay_alu instid0(SALU_CYCLE_1)
	s_and_b32 vcc_lo, exec_lo, s17
	s_cbranch_vccz .LBB70_97
; %bb.96:
	s_wait_loadcnt 0x0
	global_load_u8 v0, v[2:3], off
	s_wait_loadcnt 0x0
	v_lshlrev_b32_e32 v0, 24, v0
	s_delay_alu instid0(VALU_DEP_1) | instskip(NEXT) | instid1(VALU_DEP_1)
	v_and_b32_e32 v1, 0x7f000000, v0
	v_clz_i32_u32_e32 v4, v1
	v_cmp_ne_u32_e32 vcc_lo, 0, v1
	v_add_nc_u32_e32 v6, 0x1000000, v1
	s_delay_alu instid0(VALU_DEP_3) | instskip(NEXT) | instid1(VALU_DEP_1)
	v_min_u32_e32 v4, 32, v4
	v_sub_nc_u32_e64 v4, v4, 4 clamp
	s_delay_alu instid0(VALU_DEP_1) | instskip(NEXT) | instid1(VALU_DEP_1)
	v_dual_lshlrev_b32 v5, v4, v1 :: v_dual_lshlrev_b32 v4, 23, v4
	v_lshrrev_b32_e32 v5, 4, v5
	s_delay_alu instid0(VALU_DEP_1) | instskip(NEXT) | instid1(VALU_DEP_1)
	v_dual_sub_nc_u32 v4, v5, v4 :: v_dual_ashrrev_i32 v5, 8, v6
	v_add_nc_u32_e32 v4, 0x3c000000, v4
	s_delay_alu instid0(VALU_DEP_1) | instskip(NEXT) | instid1(VALU_DEP_1)
	v_and_or_b32 v4, 0x7f800000, v5, v4
	v_cndmask_b32_e32 v1, 0, v4, vcc_lo
	s_delay_alu instid0(VALU_DEP_1) | instskip(NEXT) | instid1(VALU_DEP_1)
	v_and_or_b32 v0, 0x80000000, v0, v1
	v_trunc_f32_e32 v0, v0
	s_delay_alu instid0(VALU_DEP_1) | instskip(NEXT) | instid1(VALU_DEP_1)
	v_mul_f32_e64 v1, 0x2f800000, |v0|
	v_floor_f32_e32 v1, v1
	s_delay_alu instid0(VALU_DEP_1) | instskip(SKIP_2) | instid1(VALU_DEP_3)
	v_fma_f32 v4, 0xcf800000, v1, |v0|
	v_ashrrev_i32_e32 v0, 31, v0
	v_cvt_u32_f32_e32 v5, v1
	v_cvt_u32_f32_e32 v4, v4
	s_delay_alu instid0(VALU_DEP_2) | instskip(NEXT) | instid1(VALU_DEP_2)
	v_dual_mov_b32 v1, v0 :: v_dual_bitop2_b32 v5, v5, v0 bitop3:0x14
	v_xor_b32_e32 v4, v4, v0
	s_delay_alu instid0(VALU_DEP_1)
	v_sub_nc_u64_e32 v[0:1], v[4:5], v[0:1]
.LBB70_97:
	s_mov_b32 s17, 0
.LBB70_98:
	s_delay_alu instid0(SALU_CYCLE_1)
	s_and_not1_b32 vcc_lo, exec_lo, s17
	s_cbranch_vccnz .LBB70_100
; %bb.99:
	s_wait_loadcnt 0x0
	global_load_u8 v0, v[2:3], off
	s_wait_loadcnt 0x0
	v_lshlrev_b32_e32 v1, 25, v0
	v_lshlrev_b16 v0, 8, v0
	s_delay_alu instid0(VALU_DEP_1) | instskip(SKIP_1) | instid1(VALU_DEP_2)
	v_and_or_b32 v5, 0x7f00, v0, 0.5
	v_bfe_i32 v0, v0, 0, 16
	v_add_f32_e32 v5, -0.5, v5
	v_lshrrev_b32_e32 v4, 4, v1
	v_cmp_gt_u32_e32 vcc_lo, 0x8000000, v1
	s_delay_alu instid0(VALU_DEP_2) | instskip(NEXT) | instid1(VALU_DEP_1)
	v_or_b32_e32 v4, 0x70000000, v4
	v_mul_f32_e32 v4, 0x7800000, v4
	s_delay_alu instid0(VALU_DEP_1) | instskip(NEXT) | instid1(VALU_DEP_1)
	v_cndmask_b32_e32 v1, v4, v5, vcc_lo
	v_and_or_b32 v0, 0x80000000, v0, v1
	s_delay_alu instid0(VALU_DEP_1) | instskip(NEXT) | instid1(VALU_DEP_1)
	v_trunc_f32_e32 v0, v0
	v_mul_f32_e64 v1, 0x2f800000, |v0|
	s_delay_alu instid0(VALU_DEP_1) | instskip(NEXT) | instid1(VALU_DEP_1)
	v_floor_f32_e32 v1, v1
	v_fma_f32 v4, 0xcf800000, v1, |v0|
	v_ashrrev_i32_e32 v0, 31, v0
	v_cvt_u32_f32_e32 v5, v1
	s_delay_alu instid0(VALU_DEP_3) | instskip(NEXT) | instid1(VALU_DEP_2)
	v_cvt_u32_f32_e32 v4, v4
	v_dual_mov_b32 v1, v0 :: v_dual_bitop2_b32 v5, v5, v0 bitop3:0x14
	s_delay_alu instid0(VALU_DEP_2) | instskip(NEXT) | instid1(VALU_DEP_1)
	v_xor_b32_e32 v4, v4, v0
	v_sub_nc_u64_e32 v[0:1], v[4:5], v[0:1]
.LBB70_100:
	s_mov_b32 s21, 0
	s_mov_b32 s17, -1
.LBB70_101:
	s_and_not1_b32 vcc_lo, exec_lo, s21
	s_cbranch_vccnz .LBB70_114
; %bb.102:
	s_cmp_gt_i32 s15, 14
	s_cbranch_scc0 .LBB70_105
; %bb.103:
	s_cmp_eq_u32 s15, 15
	s_cbranch_scc0 .LBB70_108
; %bb.104:
	s_wait_loadcnt 0x0
	global_load_u16 v0, v[2:3], off
	s_mov_b32 s17, -1
	s_mov_b32 s18, 0
	s_wait_loadcnt 0x0
	v_lshlrev_b32_e32 v0, 16, v0
	s_delay_alu instid0(VALU_DEP_1) | instskip(NEXT) | instid1(VALU_DEP_1)
	v_trunc_f32_e32 v0, v0
	v_mul_f32_e64 v1, 0x2f800000, |v0|
	s_delay_alu instid0(VALU_DEP_1) | instskip(NEXT) | instid1(VALU_DEP_1)
	v_floor_f32_e32 v1, v1
	v_fma_f32 v4, 0xcf800000, v1, |v0|
	v_ashrrev_i32_e32 v0, 31, v0
	v_cvt_u32_f32_e32 v5, v1
	s_delay_alu instid0(VALU_DEP_3) | instskip(NEXT) | instid1(VALU_DEP_2)
	v_cvt_u32_f32_e32 v4, v4
	v_dual_mov_b32 v1, v0 :: v_dual_bitop2_b32 v5, v5, v0 bitop3:0x14
	s_delay_alu instid0(VALU_DEP_2) | instskip(NEXT) | instid1(VALU_DEP_1)
	v_xor_b32_e32 v4, v4, v0
	v_sub_nc_u64_e32 v[0:1], v[4:5], v[0:1]
	s_branch .LBB70_109
.LBB70_105:
	s_mov_b32 s21, -1
                                        ; implicit-def: $vgpr0_vgpr1
	s_branch .LBB70_110
.LBB70_106:
	s_and_not1_saveexec_b32 s17, s17
	s_cbranch_execz .LBB70_87
.LBB70_107:
	v_cmp_ne_u16_e32 vcc_lo, 0, v4
	s_and_not1_b32 s21, s21, exec_lo
	s_and_b32 s22, vcc_lo, exec_lo
	s_delay_alu instid0(SALU_CYCLE_1)
	s_or_b32 s21, s21, s22
	s_or_b32 exec_lo, exec_lo, s17
	v_mov_b64_e32 v[0:1], 0
	s_and_saveexec_b32 s17, s21
	s_cbranch_execnz .LBB70_88
	s_branch .LBB70_89
.LBB70_108:
	s_mov_b32 s18, -1
                                        ; implicit-def: $vgpr0_vgpr1
.LBB70_109:
	s_mov_b32 s21, 0
.LBB70_110:
	s_delay_alu instid0(SALU_CYCLE_1)
	s_and_b32 vcc_lo, exec_lo, s21
	s_cbranch_vccz .LBB70_114
; %bb.111:
	s_cmp_eq_u32 s15, 11
	s_cbranch_scc0 .LBB70_113
; %bb.112:
	s_wait_loadcnt 0x0
	global_load_u8 v0, v[2:3], off
	s_mov_b32 s18, 0
	s_mov_b32 s17, -1
	v_mov_b32_e32 v1, s18
	s_wait_loadcnt 0x0
	v_cmp_ne_u16_e32 vcc_lo, 0, v0
	v_cndmask_b32_e64 v0, 0, 1, vcc_lo
	s_branch .LBB70_114
.LBB70_113:
	s_mov_b32 s18, -1
                                        ; implicit-def: $vgpr0_vgpr1
.LBB70_114:
	s_branch .LBB70_10
.LBB70_115:
	s_and_b32 s0, 0xffff, s0
	s_delay_alu instid0(SALU_CYCLE_1)
	s_cmp_lt_i32 s0, 5
	s_cbranch_scc1 .LBB70_120
; %bb.116:
	s_cmp_lt_i32 s0, 8
	s_cbranch_scc1 .LBB70_121
; %bb.117:
	;; [unrolled: 3-line block ×3, first 2 shown]
	s_cmp_gt_i32 s0, 9
	s_cbranch_scc0 .LBB70_123
; %bb.119:
	s_wait_loadcnt 0x0
	global_load_b64 v[0:1], v[2:3], off
	s_mov_b32 s15, 0
	s_wait_loadcnt 0x0
	v_trunc_f64_e32 v[0:1], v[0:1]
	s_delay_alu instid0(VALU_DEP_1) | instskip(NEXT) | instid1(VALU_DEP_1)
	v_ldexp_f64 v[4:5], v[0:1], 0xffffffe0
	v_floor_f64_e32 v[4:5], v[4:5]
	s_delay_alu instid0(VALU_DEP_1) | instskip(SKIP_1) | instid1(VALU_DEP_2)
	v_fmamk_f64 v[6:7], v[4:5], 0xc1f00000, v[0:1]
	v_cvt_i32_f64_e32 v1, v[4:5]
	v_cvt_u32_f64_e32 v0, v[6:7]
	s_branch .LBB70_124
.LBB70_120:
                                        ; implicit-def: $vgpr0_vgpr1
	s_branch .LBB70_142
.LBB70_121:
	s_mov_b32 s15, -1
                                        ; implicit-def: $vgpr0_vgpr1
	s_branch .LBB70_130
.LBB70_122:
	s_mov_b32 s15, -1
                                        ; implicit-def: $vgpr0_vgpr1
	s_branch .LBB70_127
.LBB70_123:
	s_mov_b32 s15, -1
                                        ; implicit-def: $vgpr0_vgpr1
.LBB70_124:
	s_delay_alu instid0(SALU_CYCLE_1)
	s_and_not1_b32 vcc_lo, exec_lo, s15
	s_cbranch_vccnz .LBB70_126
; %bb.125:
	s_wait_loadcnt 0x0
	global_load_b32 v0, v[2:3], off
	s_wait_loadcnt 0x0
	v_trunc_f32_e32 v0, v0
	s_delay_alu instid0(VALU_DEP_1) | instskip(NEXT) | instid1(VALU_DEP_1)
	v_mul_f32_e64 v1, 0x2f800000, |v0|
	v_floor_f32_e32 v1, v1
	s_delay_alu instid0(VALU_DEP_1) | instskip(SKIP_2) | instid1(VALU_DEP_3)
	v_fma_f32 v4, 0xcf800000, v1, |v0|
	v_ashrrev_i32_e32 v0, 31, v0
	v_cvt_u32_f32_e32 v5, v1
	v_cvt_u32_f32_e32 v4, v4
	s_delay_alu instid0(VALU_DEP_2) | instskip(NEXT) | instid1(VALU_DEP_2)
	v_dual_mov_b32 v1, v0 :: v_dual_bitop2_b32 v5, v5, v0 bitop3:0x14
	v_xor_b32_e32 v4, v4, v0
	s_delay_alu instid0(VALU_DEP_1)
	v_sub_nc_u64_e32 v[0:1], v[4:5], v[0:1]
.LBB70_126:
	s_mov_b32 s15, 0
.LBB70_127:
	s_delay_alu instid0(SALU_CYCLE_1)
	s_and_not1_b32 vcc_lo, exec_lo, s15
	s_cbranch_vccnz .LBB70_129
; %bb.128:
	s_wait_loadcnt 0x0
	global_load_b32 v0, v[2:3], off
	s_wait_loadcnt 0x0
	v_cvt_f32_f16_e32 v0, v0
	s_delay_alu instid0(VALU_DEP_1) | instskip(NEXT) | instid1(VALU_DEP_1)
	v_cvt_i32_f32_e32 v0, v0
	v_ashrrev_i32_e32 v1, 31, v0
.LBB70_129:
	s_mov_b32 s15, 0
.LBB70_130:
	s_delay_alu instid0(SALU_CYCLE_1)
	s_and_not1_b32 vcc_lo, exec_lo, s15
	s_cbranch_vccnz .LBB70_141
; %bb.131:
	s_cmp_lt_i32 s0, 6
	s_cbranch_scc1 .LBB70_134
; %bb.132:
	s_cmp_gt_i32 s0, 6
	s_cbranch_scc0 .LBB70_135
; %bb.133:
	s_wait_loadcnt 0x0
	global_load_b64 v[0:1], v[2:3], off
	s_mov_b32 s15, 0
	s_wait_loadcnt 0x0
	v_trunc_f64_e32 v[0:1], v[0:1]
	s_delay_alu instid0(VALU_DEP_1) | instskip(NEXT) | instid1(VALU_DEP_1)
	v_ldexp_f64 v[4:5], v[0:1], 0xffffffe0
	v_floor_f64_e32 v[4:5], v[4:5]
	s_delay_alu instid0(VALU_DEP_1) | instskip(SKIP_1) | instid1(VALU_DEP_2)
	v_fmamk_f64 v[6:7], v[4:5], 0xc1f00000, v[0:1]
	v_cvt_i32_f64_e32 v1, v[4:5]
	v_cvt_u32_f64_e32 v0, v[6:7]
	s_branch .LBB70_136
.LBB70_134:
	s_mov_b32 s15, -1
                                        ; implicit-def: $vgpr0_vgpr1
	s_branch .LBB70_139
.LBB70_135:
	s_mov_b32 s15, -1
                                        ; implicit-def: $vgpr0_vgpr1
.LBB70_136:
	s_delay_alu instid0(SALU_CYCLE_1)
	s_and_not1_b32 vcc_lo, exec_lo, s15
	s_cbranch_vccnz .LBB70_138
; %bb.137:
	s_wait_loadcnt 0x0
	global_load_b32 v0, v[2:3], off
	s_wait_loadcnt 0x0
	v_trunc_f32_e32 v0, v0
	s_delay_alu instid0(VALU_DEP_1) | instskip(NEXT) | instid1(VALU_DEP_1)
	v_mul_f32_e64 v1, 0x2f800000, |v0|
	v_floor_f32_e32 v1, v1
	s_delay_alu instid0(VALU_DEP_1) | instskip(SKIP_2) | instid1(VALU_DEP_3)
	v_fma_f32 v4, 0xcf800000, v1, |v0|
	v_ashrrev_i32_e32 v0, 31, v0
	v_cvt_u32_f32_e32 v5, v1
	v_cvt_u32_f32_e32 v4, v4
	s_delay_alu instid0(VALU_DEP_2) | instskip(NEXT) | instid1(VALU_DEP_2)
	v_dual_mov_b32 v1, v0 :: v_dual_bitop2_b32 v5, v5, v0 bitop3:0x14
	v_xor_b32_e32 v4, v4, v0
	s_delay_alu instid0(VALU_DEP_1)
	v_sub_nc_u64_e32 v[0:1], v[4:5], v[0:1]
.LBB70_138:
	s_mov_b32 s15, 0
.LBB70_139:
	s_delay_alu instid0(SALU_CYCLE_1)
	s_and_not1_b32 vcc_lo, exec_lo, s15
	s_cbranch_vccnz .LBB70_141
; %bb.140:
	s_wait_loadcnt 0x0
	global_load_u16 v0, v[2:3], off
	s_wait_loadcnt 0x0
	v_cvt_f32_f16_e32 v0, v0
	s_delay_alu instid0(VALU_DEP_1) | instskip(NEXT) | instid1(VALU_DEP_1)
	v_cvt_i32_f32_e32 v0, v0
	v_ashrrev_i32_e32 v1, 31, v0
.LBB70_141:
	s_cbranch_execnz .LBB70_161
.LBB70_142:
	s_cmp_lt_i32 s0, 2
	s_cbranch_scc1 .LBB70_146
; %bb.143:
	s_cmp_lt_i32 s0, 3
	s_cbranch_scc1 .LBB70_147
; %bb.144:
	s_cmp_gt_i32 s0, 3
	s_cbranch_scc0 .LBB70_148
; %bb.145:
	s_wait_loadcnt 0x0
	global_load_b64 v[0:1], v[2:3], off
	s_mov_b32 s15, 0
	s_branch .LBB70_149
.LBB70_146:
	s_mov_b32 s15, -1
                                        ; implicit-def: $vgpr0_vgpr1
	s_branch .LBB70_155
.LBB70_147:
	s_mov_b32 s15, -1
                                        ; implicit-def: $vgpr0_vgpr1
	s_branch .LBB70_152
.LBB70_148:
	s_mov_b32 s15, -1
                                        ; implicit-def: $vgpr0_vgpr1
.LBB70_149:
	s_delay_alu instid0(SALU_CYCLE_1)
	s_and_not1_b32 vcc_lo, exec_lo, s15
	s_cbranch_vccnz .LBB70_151
; %bb.150:
	s_wait_loadcnt 0x0
	global_load_b32 v0, v[2:3], off
	s_wait_loadcnt 0x0
	v_ashrrev_i32_e32 v1, 31, v0
.LBB70_151:
	s_mov_b32 s15, 0
.LBB70_152:
	s_delay_alu instid0(SALU_CYCLE_1)
	s_and_not1_b32 vcc_lo, exec_lo, s15
	s_cbranch_vccnz .LBB70_154
; %bb.153:
	s_wait_loadcnt 0x0
	global_load_u16 v0, v[2:3], off
	s_wait_loadcnt 0x0
	v_bfe_i32 v0, v0, 0, 16
	s_delay_alu instid0(VALU_DEP_1)
	v_ashrrev_i32_e32 v1, 31, v0
.LBB70_154:
	s_mov_b32 s15, 0
.LBB70_155:
	s_delay_alu instid0(SALU_CYCLE_1)
	s_and_not1_b32 vcc_lo, exec_lo, s15
	s_cbranch_vccnz .LBB70_161
; %bb.156:
	s_cmp_gt_i32 s0, 0
	s_mov_b32 s0, 0
	s_cbranch_scc0 .LBB70_158
; %bb.157:
	s_wait_loadcnt 0x0
	global_load_i8 v0, v[2:3], off
	s_wait_loadcnt 0x0
	v_bfe_i32 v0, v0, 0, 16
	s_delay_alu instid0(VALU_DEP_1)
	v_ashrrev_i32_e32 v1, 31, v0
	s_branch .LBB70_159
.LBB70_158:
	s_mov_b32 s0, -1
                                        ; implicit-def: $vgpr0_vgpr1
.LBB70_159:
	s_delay_alu instid0(SALU_CYCLE_1)
	s_and_not1_b32 vcc_lo, exec_lo, s0
	s_cbranch_vccnz .LBB70_161
; %bb.160:
	s_wait_loadcnt 0x0
	global_load_u8 v0, v[2:3], off
	s_mov_b32 s0, 0
	s_delay_alu instid0(SALU_CYCLE_1)
	v_mov_b32_e32 v1, s0
	s_wait_loadcnt 0x0
	v_and_b32_e32 v0, 0xffff, v0
.LBB70_161:
	s_branch .LBB70_11
.LBB70_162:
	s_mov_b32 s0, 0
	s_mov_b32 s17, 0
	s_branch .LBB70_386
.LBB70_163:
	s_mov_b32 s17, -1
.LBB70_164:
	s_mov_b32 s21, 0
                                        ; implicit-def: $vgpr2_vgpr3
.LBB70_165:
	s_and_b32 vcc_lo, exec_lo, s22
	s_cbranch_vccz .LBB70_280
; %bb.166:
	s_cmp_eq_u32 s15, 44
	s_cbranch_scc0 .LBB70_279
; %bb.167:
	global_load_u8 v8, v[4:5], off
	s_mov_b32 s17, 0
	s_mov_b32 s21, -1
	s_wait_loadcnt 0x0
	v_cmp_ne_u32_e32 vcc_lo, 0, v8
	v_lshlrev_b32_e32 v2, 23, v8
	s_delay_alu instid0(VALU_DEP_1) | instskip(NEXT) | instid1(VALU_DEP_1)
	v_trunc_f32_e32 v2, v2
	v_mul_f32_e64 v3, 0x2f800000, |v2|
	s_delay_alu instid0(VALU_DEP_1) | instskip(NEXT) | instid1(VALU_DEP_1)
	v_floor_f32_e32 v3, v3
	v_fma_f32 v6, 0xcf800000, v3, |v2|
	v_ashrrev_i32_e32 v2, 31, v2
	v_cvt_u32_f32_e32 v7, v3
	s_delay_alu instid0(VALU_DEP_3) | instskip(NEXT) | instid1(VALU_DEP_2)
	v_cvt_u32_f32_e32 v6, v6
	v_dual_mov_b32 v3, v2 :: v_dual_bitop2_b32 v7, v7, v2 bitop3:0x14
	s_delay_alu instid0(VALU_DEP_2) | instskip(NEXT) | instid1(VALU_DEP_1)
	v_xor_b32_e32 v6, v6, v2
	v_sub_nc_u64_e32 v[2:3], v[6:7], v[2:3]
	s_delay_alu instid0(VALU_DEP_1)
	v_dual_cndmask_b32 v3, 0, v3 :: v_dual_cndmask_b32 v2, 0, v2
	s_branch .LBB70_280
.LBB70_168:
	s_mov_b32 s23, -1
	s_mov_b32 s0, 0
	s_mov_b32 s22, 0
.LBB70_169:
	s_and_b32 vcc_lo, exec_lo, s23
	s_cbranch_vccz .LBB70_174
; %bb.170:
	s_cmp_eq_u32 s21, 44
	s_mov_b32 s0, -1
	s_cbranch_scc0 .LBB70_174
; %bb.171:
	s_wait_xcnt 0x0
	s_delay_alu instid0(VALU_DEP_4) | instskip(SKIP_1) | instid1(VALU_DEP_1)
	v_clz_i32_u32_e32 v2, v5
	s_mov_b32 s22, exec_lo
	v_min_u32_e32 v6, 32, v2
	s_delay_alu instid0(VALU_DEP_1) | instskip(NEXT) | instid1(VALU_DEP_1)
	v_lshlrev_b64_e32 v[2:3], v6, v[4:5]
	v_min_u32_e32 v2, 1, v2
	s_delay_alu instid0(VALU_DEP_1) | instskip(SKIP_1) | instid1(VALU_DEP_2)
	v_or_b32_e32 v2, v3, v2
	v_sub_nc_u32_e32 v3, 32, v6
	v_cvt_f32_u32_e32 v2, v2
	s_delay_alu instid0(VALU_DEP_1) | instskip(NEXT) | instid1(VALU_DEP_1)
	v_ldexp_f32 v6, v2, v3
	v_dual_mov_b32 v3, 0xff :: v_dual_lshrrev_b32 v2, 23, v6
	s_delay_alu instid0(VALU_DEP_1)
	v_cmpx_ne_u32_e32 0xff, v2
; %bb.172:
	v_and_b32_e32 v3, 0x400000, v6
	v_and_or_b32 v6, 0x3fffff, v6, v2
	s_delay_alu instid0(VALU_DEP_2) | instskip(NEXT) | instid1(VALU_DEP_2)
	v_cmp_ne_u32_e32 vcc_lo, 0, v3
	v_cmp_ne_u32_e64 s0, 0, v6
	s_and_b32 s0, vcc_lo, s0
	s_delay_alu instid0(SALU_CYCLE_1) | instskip(NEXT) | instid1(VALU_DEP_1)
	v_cndmask_b32_e64 v3, 0, 1, s0
	v_add_nc_u32_e32 v3, v2, v3
; %bb.173:
	s_or_b32 exec_lo, exec_lo, s22
	s_mov_b32 s22, -1
	s_mov_b32 s0, 0
	global_store_b8 v[0:1], v3, off
.LBB70_174:
	s_mov_b32 s23, 0
.LBB70_175:
	s_delay_alu instid0(SALU_CYCLE_1)
	s_and_b32 vcc_lo, exec_lo, s23
	s_cbranch_vccz .LBB70_178
; %bb.176:
	s_cmp_eq_u32 s21, 29
	s_mov_b32 s0, -1
	s_cbranch_scc0 .LBB70_178
; %bb.177:
	s_mov_b32 s22, -1
	s_mov_b32 s0, 0
	global_store_b64 v[0:1], v[4:5], off
.LBB70_178:
	s_mov_b32 s23, 0
.LBB70_179:
	s_delay_alu instid0(SALU_CYCLE_1)
	s_and_b32 vcc_lo, exec_lo, s23
	s_cbranch_vccz .LBB70_195
; %bb.180:
	s_cmp_lt_i32 s21, 27
	s_mov_b32 s22, -1
	s_cbranch_scc1 .LBB70_186
; %bb.181:
	s_cmp_gt_i32 s21, 27
	s_cbranch_scc0 .LBB70_183
; %bb.182:
	s_mov_b32 s22, 0
	global_store_b32 v[0:1], v4, off
.LBB70_183:
	s_and_not1_b32 vcc_lo, exec_lo, s22
	s_cbranch_vccnz .LBB70_185
; %bb.184:
	global_store_b16 v[0:1], v4, off
.LBB70_185:
	s_mov_b32 s22, 0
.LBB70_186:
	s_delay_alu instid0(SALU_CYCLE_1)
	s_and_not1_b32 vcc_lo, exec_lo, s22
	s_cbranch_vccnz .LBB70_194
; %bb.187:
	s_wait_xcnt 0x0
	s_delay_alu instid0(VALU_DEP_4) | instskip(SKIP_1) | instid1(VALU_DEP_1)
	v_clz_i32_u32_e32 v2, v5
	s_mov_b32 s22, exec_lo
	v_min_u32_e32 v6, 32, v2
	s_delay_alu instid0(VALU_DEP_1) | instskip(NEXT) | instid1(VALU_DEP_1)
	v_lshlrev_b64_e32 v[2:3], v6, v[4:5]
	v_min_u32_e32 v2, 1, v2
	s_delay_alu instid0(VALU_DEP_1) | instskip(SKIP_1) | instid1(VALU_DEP_2)
	v_or_b32_e32 v2, v3, v2
	v_dual_mov_b32 v6, 0x80 :: v_dual_sub_nc_u32 v3, 32, v6
	v_cvt_f32_u32_e32 v2, v2
	s_delay_alu instid0(VALU_DEP_1) | instskip(NEXT) | instid1(VALU_DEP_1)
	v_ldexp_f32 v3, v2, v3
	v_cmpx_gt_u32_e32 0x43800000, v3
	s_cbranch_execz .LBB70_193
; %bb.188:
	s_mov_b32 s23, 0
	s_mov_b32 s24, exec_lo
                                        ; implicit-def: $vgpr2
	v_cmpx_lt_u32_e32 0x3bffffff, v3
	s_xor_b32 s24, exec_lo, s24
	s_cbranch_execz .LBB70_417
; %bb.189:
	v_bfe_u32 v2, v3, 20, 1
	s_mov_b32 s23, exec_lo
	s_delay_alu instid0(VALU_DEP_1) | instskip(NEXT) | instid1(VALU_DEP_1)
	v_add3_u32 v2, v3, v2, 0x487ffff
                                        ; implicit-def: $vgpr3
	v_lshrrev_b32_e32 v2, 20, v2
	s_and_not1_saveexec_b32 s24, s24
	s_cbranch_execnz .LBB70_418
.LBB70_190:
	s_or_b32 exec_lo, exec_lo, s24
	v_mov_b32_e32 v6, 0
	s_and_saveexec_b32 s24, s23
.LBB70_191:
	v_mov_b32_e32 v6, v2
.LBB70_192:
	s_or_b32 exec_lo, exec_lo, s24
.LBB70_193:
	s_delay_alu instid0(SALU_CYCLE_1)
	s_or_b32 exec_lo, exec_lo, s22
	global_store_b8 v[0:1], v6, off
.LBB70_194:
	s_mov_b32 s22, -1
.LBB70_195:
	s_mov_b32 s23, 0
.LBB70_196:
	s_delay_alu instid0(SALU_CYCLE_1)
	s_and_b32 vcc_lo, exec_lo, s23
	s_cbranch_vccz .LBB70_237
; %bb.197:
	s_cmp_gt_i32 s21, 22
	s_mov_b32 s23, -1
	s_cbranch_scc0 .LBB70_229
; %bb.198:
	s_cmp_lt_i32 s21, 24
	s_mov_b32 s22, -1
	s_cbranch_scc1 .LBB70_218
; %bb.199:
	s_cmp_gt_i32 s21, 24
	s_cbranch_scc0 .LBB70_207
; %bb.200:
	s_wait_xcnt 0x0
	s_delay_alu instid0(VALU_DEP_4) | instskip(SKIP_1) | instid1(VALU_DEP_1)
	v_clz_i32_u32_e32 v2, v5
	s_mov_b32 s22, exec_lo
	v_min_u32_e32 v6, 32, v2
	s_delay_alu instid0(VALU_DEP_1) | instskip(NEXT) | instid1(VALU_DEP_1)
	v_lshlrev_b64_e32 v[2:3], v6, v[4:5]
	v_min_u32_e32 v2, 1, v2
	s_delay_alu instid0(VALU_DEP_1) | instskip(SKIP_1) | instid1(VALU_DEP_2)
	v_or_b32_e32 v2, v3, v2
	v_dual_mov_b32 v6, 0x80 :: v_dual_sub_nc_u32 v3, 32, v6
	v_cvt_f32_u32_e32 v2, v2
	s_delay_alu instid0(VALU_DEP_1) | instskip(NEXT) | instid1(VALU_DEP_1)
	v_ldexp_f32 v3, v2, v3
	v_cmpx_gt_u32_e32 0x47800000, v3
	s_cbranch_execz .LBB70_206
; %bb.201:
	s_mov_b32 s23, 0
	s_mov_b32 s24, exec_lo
                                        ; implicit-def: $vgpr2
	v_cmpx_lt_u32_e32 0x37ffffff, v3
	s_xor_b32 s24, exec_lo, s24
	s_cbranch_execz .LBB70_532
; %bb.202:
	v_bfe_u32 v2, v3, 21, 1
	s_mov_b32 s23, exec_lo
	s_delay_alu instid0(VALU_DEP_1) | instskip(NEXT) | instid1(VALU_DEP_1)
	v_add3_u32 v2, v3, v2, 0x88fffff
                                        ; implicit-def: $vgpr3
	v_lshrrev_b32_e32 v2, 21, v2
	s_and_not1_saveexec_b32 s24, s24
	s_cbranch_execnz .LBB70_533
.LBB70_203:
	s_or_b32 exec_lo, exec_lo, s24
	v_mov_b32_e32 v6, 0
	s_and_saveexec_b32 s24, s23
.LBB70_204:
	v_mov_b32_e32 v6, v2
.LBB70_205:
	s_or_b32 exec_lo, exec_lo, s24
.LBB70_206:
	s_delay_alu instid0(SALU_CYCLE_1)
	s_or_b32 exec_lo, exec_lo, s22
	s_mov_b32 s22, 0
	global_store_b8 v[0:1], v6, off
.LBB70_207:
	s_and_b32 vcc_lo, exec_lo, s22
	s_cbranch_vccz .LBB70_217
; %bb.208:
	s_wait_xcnt 0x0
	s_delay_alu instid0(VALU_DEP_4) | instskip(SKIP_1) | instid1(VALU_DEP_1)
	v_clz_i32_u32_e32 v2, v5
	s_mov_b32 s22, exec_lo
	v_min_u32_e32 v6, 32, v2
	s_delay_alu instid0(VALU_DEP_1) | instskip(NEXT) | instid1(VALU_DEP_1)
	v_lshlrev_b64_e32 v[2:3], v6, v[4:5]
	v_min_u32_e32 v2, 1, v2
	s_delay_alu instid0(VALU_DEP_1) | instskip(SKIP_1) | instid1(VALU_DEP_2)
	v_or_b32_e32 v2, v3, v2
	v_sub_nc_u32_e32 v3, 32, v6
	v_cvt_f32_u32_e32 v2, v2
	s_delay_alu instid0(VALU_DEP_1) | instskip(NEXT) | instid1(VALU_DEP_1)
	v_ldexp_f32 v3, v2, v3
                                        ; implicit-def: $vgpr2
	v_cmpx_gt_u32_e32 0x43f00000, v3
	s_xor_b32 s22, exec_lo, s22
	s_cbranch_execz .LBB70_214
; %bb.209:
	s_mov_b32 s23, exec_lo
                                        ; implicit-def: $vgpr2
	v_cmpx_lt_u32_e32 0x3c7fffff, v3
	s_xor_b32 s23, exec_lo, s23
; %bb.210:
	v_bfe_u32 v2, v3, 20, 1
	s_delay_alu instid0(VALU_DEP_1) | instskip(NEXT) | instid1(VALU_DEP_1)
	v_add3_u32 v2, v3, v2, 0x407ffff
	v_and_b32_e32 v3, 0xff00000, v2
	v_lshrrev_b32_e32 v2, 20, v2
	s_delay_alu instid0(VALU_DEP_2) | instskip(NEXT) | instid1(VALU_DEP_2)
	v_cmp_ne_u32_e32 vcc_lo, 0x7f00000, v3
                                        ; implicit-def: $vgpr3
	v_cndmask_b32_e32 v2, 0x7e, v2, vcc_lo
; %bb.211:
	s_and_not1_saveexec_b32 s23, s23
; %bb.212:
	v_add_f32_e32 v2, 0x46800000, v3
; %bb.213:
	s_or_b32 exec_lo, exec_lo, s23
                                        ; implicit-def: $vgpr3
.LBB70_214:
	s_and_not1_saveexec_b32 s22, s22
; %bb.215:
	v_mov_b32_e32 v2, 0x7f
	v_cmp_lt_u32_e32 vcc_lo, 0x7f800000, v3
	s_delay_alu instid0(VALU_DEP_2)
	v_cndmask_b32_e32 v2, 0x7e, v2, vcc_lo
; %bb.216:
	s_or_b32 exec_lo, exec_lo, s22
	global_store_b8 v[0:1], v2, off
.LBB70_217:
	s_mov_b32 s22, 0
.LBB70_218:
	s_delay_alu instid0(SALU_CYCLE_1)
	s_and_not1_b32 vcc_lo, exec_lo, s22
	s_cbranch_vccnz .LBB70_228
; %bb.219:
	s_wait_xcnt 0x0
	s_delay_alu instid0(VALU_DEP_4) | instskip(SKIP_1) | instid1(VALU_DEP_1)
	v_clz_i32_u32_e32 v2, v5
	s_mov_b32 s22, exec_lo
	v_min_u32_e32 v6, 32, v2
	s_delay_alu instid0(VALU_DEP_1) | instskip(NEXT) | instid1(VALU_DEP_1)
	v_lshlrev_b64_e32 v[2:3], v6, v[4:5]
	v_min_u32_e32 v2, 1, v2
	s_delay_alu instid0(VALU_DEP_1) | instskip(SKIP_1) | instid1(VALU_DEP_2)
	v_or_b32_e32 v2, v3, v2
	v_sub_nc_u32_e32 v3, 32, v6
	v_cvt_f32_u32_e32 v2, v2
	s_delay_alu instid0(VALU_DEP_1) | instskip(NEXT) | instid1(VALU_DEP_1)
	v_ldexp_f32 v3, v2, v3
                                        ; implicit-def: $vgpr2
	v_cmpx_gt_u32_e32 0x47800000, v3
	s_xor_b32 s22, exec_lo, s22
	s_cbranch_execz .LBB70_225
; %bb.220:
	s_mov_b32 s23, exec_lo
                                        ; implicit-def: $vgpr2
	v_cmpx_lt_u32_e32 0x387fffff, v3
	s_xor_b32 s23, exec_lo, s23
; %bb.221:
	v_bfe_u32 v2, v3, 21, 1
	s_delay_alu instid0(VALU_DEP_1) | instskip(NEXT) | instid1(VALU_DEP_1)
	v_add3_u32 v2, v3, v2, 0x80fffff
                                        ; implicit-def: $vgpr3
	v_lshrrev_b32_e32 v2, 21, v2
; %bb.222:
	s_and_not1_saveexec_b32 s23, s23
; %bb.223:
	v_add_f32_e32 v2, 0x43000000, v3
; %bb.224:
	s_or_b32 exec_lo, exec_lo, s23
                                        ; implicit-def: $vgpr3
.LBB70_225:
	s_and_not1_saveexec_b32 s22, s22
; %bb.226:
	v_mov_b32_e32 v2, 0x7f
	v_cmp_lt_u32_e32 vcc_lo, 0x7f800000, v3
	s_delay_alu instid0(VALU_DEP_2)
	v_cndmask_b32_e32 v2, 0x7c, v2, vcc_lo
; %bb.227:
	s_or_b32 exec_lo, exec_lo, s22
	global_store_b8 v[0:1], v2, off
.LBB70_228:
	s_mov_b32 s23, 0
	s_mov_b32 s22, -1
.LBB70_229:
	s_and_not1_b32 vcc_lo, exec_lo, s23
	s_cbranch_vccnz .LBB70_237
; %bb.230:
	s_cmp_gt_i32 s21, 14
	s_mov_b32 s23, -1
	s_cbranch_scc0 .LBB70_234
; %bb.231:
	s_cmp_eq_u32 s21, 15
	s_mov_b32 s0, -1
	s_cbranch_scc0 .LBB70_233
; %bb.232:
	s_wait_xcnt 0x0
	s_delay_alu instid0(VALU_DEP_4) | instskip(SKIP_2) | instid1(VALU_DEP_1)
	v_clz_i32_u32_e32 v2, v5
	s_mov_b32 s22, -1
	s_mov_b32 s0, 0
	v_min_u32_e32 v6, 32, v2
	s_delay_alu instid0(VALU_DEP_1) | instskip(NEXT) | instid1(VALU_DEP_1)
	v_lshlrev_b64_e32 v[2:3], v6, v[4:5]
	v_min_u32_e32 v2, 1, v2
	s_delay_alu instid0(VALU_DEP_1) | instskip(SKIP_1) | instid1(VALU_DEP_2)
	v_or_b32_e32 v2, v3, v2
	v_sub_nc_u32_e32 v3, 32, v6
	v_cvt_f32_u32_e32 v2, v2
	s_delay_alu instid0(VALU_DEP_1) | instskip(NEXT) | instid1(VALU_DEP_1)
	v_ldexp_f32 v2, v2, v3
	v_bfe_u32 v3, v2, 16, 1
	s_delay_alu instid0(VALU_DEP_1)
	v_add3_u32 v2, v2, v3, 0x7fff
	global_store_d16_hi_b16 v[0:1], v2, off
.LBB70_233:
	s_mov_b32 s23, 0
.LBB70_234:
	s_delay_alu instid0(SALU_CYCLE_1)
	s_and_b32 vcc_lo, exec_lo, s23
	s_cbranch_vccz .LBB70_237
; %bb.235:
	s_cmp_eq_u32 s21, 11
	s_mov_b32 s0, -1
	s_cbranch_scc0 .LBB70_237
; %bb.236:
	s_delay_alu instid0(VALU_DEP_4)
	v_cmp_ne_u64_e32 vcc_lo, 0, v[4:5]
	s_mov_b32 s22, -1
	s_mov_b32 s0, 0
	s_wait_xcnt 0x0
	v_cndmask_b32_e64 v2, 0, 1, vcc_lo
	global_store_b8 v[0:1], v2, off
.LBB70_237:
	s_mov_b32 s21, 0
.LBB70_238:
	s_delay_alu instid0(SALU_CYCLE_1)
	s_and_b32 vcc_lo, exec_lo, s21
	s_cbranch_vccz .LBB70_277
; %bb.239:
	s_and_b32 s15, 0xffff, s15
	s_mov_b32 s21, -1
	s_cmp_lt_i32 s15, 5
	s_cbranch_scc1 .LBB70_260
; %bb.240:
	s_cmp_lt_i32 s15, 8
	s_cbranch_scc1 .LBB70_250
; %bb.241:
	;; [unrolled: 3-line block ×3, first 2 shown]
	s_cmp_gt_i32 s15, 9
	s_cbranch_scc0 .LBB70_244
; %bb.243:
	s_wait_xcnt 0x0
	s_delay_alu instid0(VALU_DEP_4) | instskip(SKIP_3) | instid1(VALU_DEP_1)
	v_cvt_f64_u32_e32 v[2:3], v5
	v_cvt_f64_u32_e32 v[6:7], v4
	s_mov_b32 s21, 0
	v_mov_b32_e32 v8, 0
	v_mov_b32_e32 v9, v8
	s_delay_alu instid0(VALU_DEP_4) | instskip(NEXT) | instid1(VALU_DEP_1)
	v_ldexp_f64 v[2:3], v[2:3], 32
	v_add_f64_e32 v[6:7], v[2:3], v[6:7]
	global_store_b128 v[0:1], v[6:9], off
.LBB70_244:
	s_and_not1_b32 vcc_lo, exec_lo, s21
	s_cbranch_vccnz .LBB70_246
; %bb.245:
	s_wait_xcnt 0x0
	s_delay_alu instid0(VALU_DEP_4) | instskip(NEXT) | instid1(VALU_DEP_1)
	v_clz_i32_u32_e32 v2, v5
	v_min_u32_e32 v6, 32, v2
	s_delay_alu instid0(VALU_DEP_1) | instskip(NEXT) | instid1(VALU_DEP_1)
	v_lshlrev_b64_e32 v[2:3], v6, v[4:5]
	v_min_u32_e32 v2, 1, v2
	s_delay_alu instid0(VALU_DEP_1) | instskip(SKIP_1) | instid1(VALU_DEP_2)
	v_or_b32_e32 v2, v3, v2
	v_sub_nc_u32_e32 v3, 32, v6
	v_cvt_f32_u32_e32 v2, v2
	s_delay_alu instid0(VALU_DEP_1)
	v_ldexp_f32 v2, v2, v3
	v_mov_b32_e32 v3, 0
	global_store_b64 v[0:1], v[2:3], off
.LBB70_246:
	s_mov_b32 s21, 0
.LBB70_247:
	s_delay_alu instid0(SALU_CYCLE_1)
	s_and_not1_b32 vcc_lo, exec_lo, s21
	s_cbranch_vccnz .LBB70_249
; %bb.248:
	s_wait_xcnt 0x0
	s_delay_alu instid0(VALU_DEP_4) | instskip(NEXT) | instid1(VALU_DEP_1)
	v_clz_i32_u32_e32 v2, v5
	v_min_u32_e32 v6, 32, v2
	s_delay_alu instid0(VALU_DEP_1) | instskip(NEXT) | instid1(VALU_DEP_1)
	v_lshlrev_b64_e32 v[2:3], v6, v[4:5]
	v_min_u32_e32 v2, 1, v2
	s_delay_alu instid0(VALU_DEP_1) | instskip(SKIP_1) | instid1(VALU_DEP_2)
	v_or_b32_e32 v2, v3, v2
	v_sub_nc_u32_e32 v3, 32, v6
	v_cvt_f32_u32_e32 v2, v2
	s_delay_alu instid0(VALU_DEP_1) | instskip(NEXT) | instid1(VALU_DEP_1)
	v_ldexp_f32 v2, v2, v3
	v_cvt_f16_f32_e32 v2, v2
	s_delay_alu instid0(VALU_DEP_1)
	v_and_b32_e32 v2, 0xffff, v2
	global_store_b32 v[0:1], v2, off
.LBB70_249:
	s_mov_b32 s21, 0
.LBB70_250:
	s_delay_alu instid0(SALU_CYCLE_1)
	s_and_not1_b32 vcc_lo, exec_lo, s21
	s_cbranch_vccnz .LBB70_259
; %bb.251:
	s_cmp_lt_i32 s15, 6
	s_mov_b32 s21, -1
	s_cbranch_scc1 .LBB70_257
; %bb.252:
	s_cmp_gt_i32 s15, 6
	s_cbranch_scc0 .LBB70_254
; %bb.253:
	s_wait_xcnt 0x0
	s_delay_alu instid0(VALU_DEP_4) | instskip(SKIP_2) | instid1(VALU_DEP_2)
	v_cvt_f64_u32_e32 v[2:3], v5
	v_cvt_f64_u32_e32 v[6:7], v4
	s_mov_b32 s21, 0
	v_ldexp_f64 v[2:3], v[2:3], 32
	s_delay_alu instid0(VALU_DEP_1)
	v_add_f64_e32 v[2:3], v[2:3], v[6:7]
	global_store_b64 v[0:1], v[2:3], off
.LBB70_254:
	s_and_not1_b32 vcc_lo, exec_lo, s21
	s_cbranch_vccnz .LBB70_256
; %bb.255:
	s_wait_xcnt 0x0
	s_delay_alu instid0(VALU_DEP_4) | instskip(NEXT) | instid1(VALU_DEP_1)
	v_clz_i32_u32_e32 v2, v5
	v_min_u32_e32 v6, 32, v2
	s_delay_alu instid0(VALU_DEP_1) | instskip(NEXT) | instid1(VALU_DEP_1)
	v_lshlrev_b64_e32 v[2:3], v6, v[4:5]
	v_min_u32_e32 v2, 1, v2
	s_delay_alu instid0(VALU_DEP_1) | instskip(SKIP_1) | instid1(VALU_DEP_2)
	v_or_b32_e32 v2, v3, v2
	v_sub_nc_u32_e32 v3, 32, v6
	v_cvt_f32_u32_e32 v2, v2
	s_delay_alu instid0(VALU_DEP_1)
	v_ldexp_f32 v2, v2, v3
	global_store_b32 v[0:1], v2, off
.LBB70_256:
	s_mov_b32 s21, 0
.LBB70_257:
	s_delay_alu instid0(SALU_CYCLE_1)
	s_and_not1_b32 vcc_lo, exec_lo, s21
	s_cbranch_vccnz .LBB70_259
; %bb.258:
	s_wait_xcnt 0x0
	s_delay_alu instid0(VALU_DEP_4) | instskip(NEXT) | instid1(VALU_DEP_1)
	v_clz_i32_u32_e32 v2, v5
	v_min_u32_e32 v6, 32, v2
	s_delay_alu instid0(VALU_DEP_1) | instskip(NEXT) | instid1(VALU_DEP_1)
	v_lshlrev_b64_e32 v[2:3], v6, v[4:5]
	v_min_u32_e32 v2, 1, v2
	s_delay_alu instid0(VALU_DEP_1) | instskip(SKIP_1) | instid1(VALU_DEP_2)
	v_or_b32_e32 v2, v3, v2
	v_sub_nc_u32_e32 v3, 32, v6
	v_cvt_f32_u32_e32 v2, v2
	s_delay_alu instid0(VALU_DEP_1) | instskip(NEXT) | instid1(VALU_DEP_1)
	v_ldexp_f32 v2, v2, v3
	v_cvt_f16_f32_e32 v2, v2
	global_store_b16 v[0:1], v2, off
.LBB70_259:
	s_mov_b32 s21, 0
.LBB70_260:
	s_delay_alu instid0(SALU_CYCLE_1)
	s_and_not1_b32 vcc_lo, exec_lo, s21
	s_cbranch_vccnz .LBB70_276
; %bb.261:
	s_cmp_lt_i32 s15, 2
	s_mov_b32 s21, -1
	s_cbranch_scc1 .LBB70_271
; %bb.262:
	s_cmp_lt_i32 s15, 3
	s_cbranch_scc1 .LBB70_268
; %bb.263:
	s_cmp_gt_i32 s15, 3
	s_cbranch_scc0 .LBB70_265
; %bb.264:
	s_mov_b32 s21, 0
	global_store_b64 v[0:1], v[4:5], off
.LBB70_265:
	s_and_not1_b32 vcc_lo, exec_lo, s21
	s_cbranch_vccnz .LBB70_267
; %bb.266:
	global_store_b32 v[0:1], v4, off
.LBB70_267:
	s_mov_b32 s21, 0
.LBB70_268:
	s_delay_alu instid0(SALU_CYCLE_1)
	s_and_not1_b32 vcc_lo, exec_lo, s21
	s_cbranch_vccnz .LBB70_270
; %bb.269:
	global_store_b16 v[0:1], v4, off
.LBB70_270:
	s_mov_b32 s21, 0
.LBB70_271:
	s_delay_alu instid0(SALU_CYCLE_1)
	s_and_not1_b32 vcc_lo, exec_lo, s21
	s_cbranch_vccnz .LBB70_276
; %bb.272:
	s_cmp_gt_i32 s15, 0
	s_mov_b32 s15, -1
	s_cbranch_scc0 .LBB70_274
; %bb.273:
	s_mov_b32 s15, 0
	global_store_b8 v[0:1], v4, off
.LBB70_274:
	s_and_not1_b32 vcc_lo, exec_lo, s15
	s_cbranch_vccnz .LBB70_276
; %bb.275:
	global_store_b8 v[0:1], v4, off
.LBB70_276:
	s_mov_b32 s22, -1
.LBB70_277:
	s_delay_alu instid0(SALU_CYCLE_1)
	s_and_not1_b32 vcc_lo, exec_lo, s22
	s_cbranch_vccnz .LBB70_386
; %bb.278:
	v_add_nc_u32_e32 v20, 0x80, v20
	s_mov_b32 s21, -1
	s_branch .LBB70_387
.LBB70_279:
	s_mov_b32 s17, -1
                                        ; implicit-def: $vgpr2_vgpr3
.LBB70_280:
	s_mov_b32 s22, 0
.LBB70_281:
	s_delay_alu instid0(SALU_CYCLE_1)
	s_and_b32 vcc_lo, exec_lo, s22
	s_cbranch_vccz .LBB70_285
; %bb.282:
	s_cmp_eq_u32 s15, 29
	s_cbranch_scc0 .LBB70_284
; %bb.283:
	global_load_b64 v[2:3], v[4:5], off
	s_mov_b32 s21, -1
	s_mov_b32 s17, 0
	s_branch .LBB70_285
.LBB70_284:
	s_mov_b32 s17, -1
                                        ; implicit-def: $vgpr2_vgpr3
.LBB70_285:
	s_mov_b32 s22, 0
.LBB70_286:
	s_delay_alu instid0(SALU_CYCLE_1)
	s_and_b32 vcc_lo, exec_lo, s22
	s_cbranch_vccz .LBB70_302
; %bb.287:
	s_cmp_lt_i32 s15, 27
	s_cbranch_scc1 .LBB70_290
; %bb.288:
	s_cmp_gt_i32 s15, 27
	s_cbranch_scc0 .LBB70_291
; %bb.289:
	s_wait_loadcnt 0x0
	global_load_b32 v2, v[4:5], off
	v_mov_b32_e32 v3, 0
	s_mov_b32 s21, 0
	s_branch .LBB70_292
.LBB70_290:
	s_mov_b32 s21, -1
                                        ; implicit-def: $vgpr2_vgpr3
	s_branch .LBB70_295
.LBB70_291:
	s_mov_b32 s21, -1
                                        ; implicit-def: $vgpr2_vgpr3
.LBB70_292:
	s_delay_alu instid0(SALU_CYCLE_1)
	s_and_not1_b32 vcc_lo, exec_lo, s21
	s_cbranch_vccnz .LBB70_294
; %bb.293:
	s_wait_loadcnt 0x0
	global_load_u16 v2, v[4:5], off
	s_mov_b32 s21, 0
	s_delay_alu instid0(SALU_CYCLE_1)
	v_mov_b32_e32 v3, s21
	s_wait_loadcnt 0x0
	v_and_b32_e32 v2, 0xffff, v2
.LBB70_294:
	s_mov_b32 s21, 0
.LBB70_295:
	s_delay_alu instid0(SALU_CYCLE_1)
	s_and_not1_b32 vcc_lo, exec_lo, s21
	s_cbranch_vccnz .LBB70_301
; %bb.296:
	global_load_u8 v6, v[4:5], off
	s_mov_b32 s22, 0
	s_mov_b32 s21, exec_lo
	s_wait_loadcnt 0x0
	v_cmpx_lt_i16_e32 0x7f, v6
	s_xor_b32 s21, exec_lo, s21
	s_cbranch_execz .LBB70_313
; %bb.297:
	v_cmp_ne_u16_e32 vcc_lo, 0x80, v6
	s_and_b32 s22, vcc_lo, exec_lo
	s_and_not1_saveexec_b32 s21, s21
	s_cbranch_execnz .LBB70_314
.LBB70_298:
	s_or_b32 exec_lo, exec_lo, s21
	v_mov_b64_e32 v[2:3], 0
	s_and_saveexec_b32 s21, s22
	s_cbranch_execz .LBB70_300
.LBB70_299:
	v_and_b32_e32 v2, 0xffff, v6
	s_delay_alu instid0(VALU_DEP_1) | instskip(SKIP_1) | instid1(VALU_DEP_2)
	v_and_b32_e32 v3, 7, v2
	v_bfe_u32 v9, v2, 3, 4
	v_clz_i32_u32_e32 v7, v3
	s_delay_alu instid0(VALU_DEP_2) | instskip(NEXT) | instid1(VALU_DEP_2)
	v_cmp_eq_u32_e32 vcc_lo, 0, v9
	v_min_u32_e32 v7, 32, v7
	s_delay_alu instid0(VALU_DEP_1) | instskip(NEXT) | instid1(VALU_DEP_1)
	v_subrev_nc_u32_e32 v8, 28, v7
	v_dual_lshlrev_b32 v2, v8, v2 :: v_dual_sub_nc_u32 v7, 29, v7
	s_delay_alu instid0(VALU_DEP_1) | instskip(NEXT) | instid1(VALU_DEP_2)
	v_and_b32_e32 v2, 7, v2
	v_dual_cndmask_b32 v7, v9, v7 :: v_dual_lshlrev_b32 v6, 24, v6
	s_delay_alu instid0(VALU_DEP_2) | instskip(NEXT) | instid1(VALU_DEP_2)
	v_cndmask_b32_e32 v2, v3, v2, vcc_lo
	v_and_b32_e32 v3, 0x80000000, v6
	s_delay_alu instid0(VALU_DEP_3) | instskip(NEXT) | instid1(VALU_DEP_3)
	v_lshl_add_u32 v6, v7, 23, 0x3b800000
	v_lshlrev_b32_e32 v2, 20, v2
	s_delay_alu instid0(VALU_DEP_1) | instskip(NEXT) | instid1(VALU_DEP_1)
	v_or3_b32 v2, v3, v6, v2
	v_trunc_f32_e32 v2, v2
	s_delay_alu instid0(VALU_DEP_1) | instskip(NEXT) | instid1(VALU_DEP_1)
	v_mul_f32_e64 v3, 0x2f800000, |v2|
	v_floor_f32_e32 v3, v3
	s_delay_alu instid0(VALU_DEP_1) | instskip(SKIP_2) | instid1(VALU_DEP_3)
	v_fma_f32 v6, 0xcf800000, v3, |v2|
	v_ashrrev_i32_e32 v2, 31, v2
	v_cvt_u32_f32_e32 v7, v3
	v_cvt_u32_f32_e32 v6, v6
	s_delay_alu instid0(VALU_DEP_2) | instskip(NEXT) | instid1(VALU_DEP_2)
	v_dual_mov_b32 v3, v2 :: v_dual_bitop2_b32 v7, v7, v2 bitop3:0x14
	v_xor_b32_e32 v6, v6, v2
	s_delay_alu instid0(VALU_DEP_1)
	v_sub_nc_u64_e32 v[2:3], v[6:7], v[2:3]
.LBB70_300:
	s_or_b32 exec_lo, exec_lo, s21
.LBB70_301:
	s_mov_b32 s21, -1
.LBB70_302:
	s_mov_b32 s22, 0
.LBB70_303:
	s_delay_alu instid0(SALU_CYCLE_1)
	s_and_b32 vcc_lo, exec_lo, s22
	s_cbranch_vccz .LBB70_336
; %bb.304:
	s_cmp_gt_i32 s15, 22
	s_cbranch_scc0 .LBB70_312
; %bb.305:
	s_cmp_lt_i32 s15, 24
	s_cbranch_scc1 .LBB70_315
; %bb.306:
	s_cmp_gt_i32 s15, 24
	s_cbranch_scc0 .LBB70_316
; %bb.307:
	global_load_u8 v6, v[4:5], off
	s_mov_b32 s22, 0
	s_mov_b32 s21, exec_lo
	s_wait_loadcnt 0x0
	v_cmpx_lt_i16_e32 0x7f, v6
	s_xor_b32 s21, exec_lo, s21
	s_cbranch_execz .LBB70_328
; %bb.308:
	v_cmp_ne_u16_e32 vcc_lo, 0x80, v6
	s_and_b32 s22, vcc_lo, exec_lo
	s_and_not1_saveexec_b32 s21, s21
	s_cbranch_execnz .LBB70_329
.LBB70_309:
	s_or_b32 exec_lo, exec_lo, s21
	v_mov_b64_e32 v[2:3], 0
	s_and_saveexec_b32 s21, s22
	s_cbranch_execz .LBB70_311
.LBB70_310:
	v_and_b32_e32 v2, 0xffff, v6
	s_delay_alu instid0(VALU_DEP_1) | instskip(SKIP_1) | instid1(VALU_DEP_2)
	v_and_b32_e32 v3, 3, v2
	v_bfe_u32 v9, v2, 2, 5
	v_clz_i32_u32_e32 v7, v3
	s_delay_alu instid0(VALU_DEP_2) | instskip(NEXT) | instid1(VALU_DEP_2)
	v_cmp_eq_u32_e32 vcc_lo, 0, v9
	v_min_u32_e32 v7, 32, v7
	s_delay_alu instid0(VALU_DEP_1) | instskip(NEXT) | instid1(VALU_DEP_1)
	v_subrev_nc_u32_e32 v8, 29, v7
	v_dual_lshlrev_b32 v2, v8, v2 :: v_dual_sub_nc_u32 v7, 30, v7
	s_delay_alu instid0(VALU_DEP_1) | instskip(NEXT) | instid1(VALU_DEP_2)
	v_and_b32_e32 v2, 3, v2
	v_dual_cndmask_b32 v7, v9, v7 :: v_dual_lshlrev_b32 v6, 24, v6
	s_delay_alu instid0(VALU_DEP_2) | instskip(NEXT) | instid1(VALU_DEP_2)
	v_cndmask_b32_e32 v2, v3, v2, vcc_lo
	v_and_b32_e32 v3, 0x80000000, v6
	s_delay_alu instid0(VALU_DEP_3) | instskip(NEXT) | instid1(VALU_DEP_3)
	v_lshl_add_u32 v6, v7, 23, 0x37800000
	v_lshlrev_b32_e32 v2, 21, v2
	s_delay_alu instid0(VALU_DEP_1) | instskip(NEXT) | instid1(VALU_DEP_1)
	v_or3_b32 v2, v3, v6, v2
	v_trunc_f32_e32 v2, v2
	s_delay_alu instid0(VALU_DEP_1) | instskip(NEXT) | instid1(VALU_DEP_1)
	v_mul_f32_e64 v3, 0x2f800000, |v2|
	v_floor_f32_e32 v3, v3
	s_delay_alu instid0(VALU_DEP_1) | instskip(SKIP_2) | instid1(VALU_DEP_3)
	v_fma_f32 v6, 0xcf800000, v3, |v2|
	v_ashrrev_i32_e32 v2, 31, v2
	v_cvt_u32_f32_e32 v7, v3
	v_cvt_u32_f32_e32 v6, v6
	s_delay_alu instid0(VALU_DEP_2) | instskip(NEXT) | instid1(VALU_DEP_2)
	v_dual_mov_b32 v3, v2 :: v_dual_bitop2_b32 v7, v7, v2 bitop3:0x14
	v_xor_b32_e32 v6, v6, v2
	s_delay_alu instid0(VALU_DEP_1)
	v_sub_nc_u64_e32 v[2:3], v[6:7], v[2:3]
.LBB70_311:
	s_or_b32 exec_lo, exec_lo, s21
	s_mov_b32 s21, 0
	s_branch .LBB70_317
.LBB70_312:
	s_mov_b32 s22, -1
                                        ; implicit-def: $vgpr2_vgpr3
	s_branch .LBB70_323
.LBB70_313:
	s_and_not1_saveexec_b32 s21, s21
	s_cbranch_execz .LBB70_298
.LBB70_314:
	v_cmp_ne_u16_e32 vcc_lo, 0, v6
	s_and_not1_b32 s22, s22, exec_lo
	s_and_b32 s23, vcc_lo, exec_lo
	s_delay_alu instid0(SALU_CYCLE_1)
	s_or_b32 s22, s22, s23
	s_or_b32 exec_lo, exec_lo, s21
	v_mov_b64_e32 v[2:3], 0
	s_and_saveexec_b32 s21, s22
	s_cbranch_execnz .LBB70_299
	s_branch .LBB70_300
.LBB70_315:
	s_mov_b32 s21, -1
                                        ; implicit-def: $vgpr2_vgpr3
	s_branch .LBB70_320
.LBB70_316:
	s_mov_b32 s21, -1
                                        ; implicit-def: $vgpr2_vgpr3
.LBB70_317:
	s_delay_alu instid0(SALU_CYCLE_1)
	s_and_b32 vcc_lo, exec_lo, s21
	s_cbranch_vccz .LBB70_319
; %bb.318:
	s_wait_loadcnt 0x0
	global_load_u8 v2, v[4:5], off
	s_wait_loadcnt 0x0
	v_lshlrev_b32_e32 v2, 24, v2
	s_delay_alu instid0(VALU_DEP_1) | instskip(NEXT) | instid1(VALU_DEP_1)
	v_and_b32_e32 v3, 0x7f000000, v2
	v_clz_i32_u32_e32 v6, v3
	v_cmp_ne_u32_e32 vcc_lo, 0, v3
	v_add_nc_u32_e32 v8, 0x1000000, v3
	s_delay_alu instid0(VALU_DEP_3) | instskip(NEXT) | instid1(VALU_DEP_1)
	v_min_u32_e32 v6, 32, v6
	v_sub_nc_u32_e64 v6, v6, 4 clamp
	s_delay_alu instid0(VALU_DEP_1) | instskip(NEXT) | instid1(VALU_DEP_1)
	v_dual_lshlrev_b32 v7, v6, v3 :: v_dual_lshlrev_b32 v6, 23, v6
	v_lshrrev_b32_e32 v7, 4, v7
	s_delay_alu instid0(VALU_DEP_1) | instskip(NEXT) | instid1(VALU_DEP_1)
	v_dual_sub_nc_u32 v6, v7, v6 :: v_dual_ashrrev_i32 v7, 8, v8
	v_add_nc_u32_e32 v6, 0x3c000000, v6
	s_delay_alu instid0(VALU_DEP_1) | instskip(NEXT) | instid1(VALU_DEP_1)
	v_and_or_b32 v6, 0x7f800000, v7, v6
	v_cndmask_b32_e32 v3, 0, v6, vcc_lo
	s_delay_alu instid0(VALU_DEP_1) | instskip(NEXT) | instid1(VALU_DEP_1)
	v_and_or_b32 v2, 0x80000000, v2, v3
	v_trunc_f32_e32 v2, v2
	s_delay_alu instid0(VALU_DEP_1) | instskip(NEXT) | instid1(VALU_DEP_1)
	v_mul_f32_e64 v3, 0x2f800000, |v2|
	v_floor_f32_e32 v3, v3
	s_delay_alu instid0(VALU_DEP_1) | instskip(SKIP_2) | instid1(VALU_DEP_3)
	v_fma_f32 v6, 0xcf800000, v3, |v2|
	v_ashrrev_i32_e32 v2, 31, v2
	v_cvt_u32_f32_e32 v7, v3
	v_cvt_u32_f32_e32 v6, v6
	s_delay_alu instid0(VALU_DEP_2) | instskip(NEXT) | instid1(VALU_DEP_2)
	v_dual_mov_b32 v3, v2 :: v_dual_bitop2_b32 v7, v7, v2 bitop3:0x14
	v_xor_b32_e32 v6, v6, v2
	s_delay_alu instid0(VALU_DEP_1)
	v_sub_nc_u64_e32 v[2:3], v[6:7], v[2:3]
.LBB70_319:
	s_mov_b32 s21, 0
.LBB70_320:
	s_delay_alu instid0(SALU_CYCLE_1)
	s_and_not1_b32 vcc_lo, exec_lo, s21
	s_cbranch_vccnz .LBB70_322
; %bb.321:
	s_wait_loadcnt 0x0
	global_load_u8 v2, v[4:5], off
	s_wait_loadcnt 0x0
	v_lshlrev_b32_e32 v3, 25, v2
	v_lshlrev_b16 v2, 8, v2
	s_delay_alu instid0(VALU_DEP_1) | instskip(SKIP_1) | instid1(VALU_DEP_2)
	v_and_or_b32 v7, 0x7f00, v2, 0.5
	v_bfe_i32 v2, v2, 0, 16
	v_add_f32_e32 v7, -0.5, v7
	v_lshrrev_b32_e32 v6, 4, v3
	v_cmp_gt_u32_e32 vcc_lo, 0x8000000, v3
	s_delay_alu instid0(VALU_DEP_2) | instskip(NEXT) | instid1(VALU_DEP_1)
	v_or_b32_e32 v6, 0x70000000, v6
	v_mul_f32_e32 v6, 0x7800000, v6
	s_delay_alu instid0(VALU_DEP_1) | instskip(NEXT) | instid1(VALU_DEP_1)
	v_cndmask_b32_e32 v3, v6, v7, vcc_lo
	v_and_or_b32 v2, 0x80000000, v2, v3
	s_delay_alu instid0(VALU_DEP_1) | instskip(NEXT) | instid1(VALU_DEP_1)
	v_trunc_f32_e32 v2, v2
	v_mul_f32_e64 v3, 0x2f800000, |v2|
	s_delay_alu instid0(VALU_DEP_1) | instskip(NEXT) | instid1(VALU_DEP_1)
	v_floor_f32_e32 v3, v3
	v_fma_f32 v6, 0xcf800000, v3, |v2|
	v_ashrrev_i32_e32 v2, 31, v2
	v_cvt_u32_f32_e32 v7, v3
	s_delay_alu instid0(VALU_DEP_3) | instskip(NEXT) | instid1(VALU_DEP_2)
	v_cvt_u32_f32_e32 v6, v6
	v_dual_mov_b32 v3, v2 :: v_dual_bitop2_b32 v7, v7, v2 bitop3:0x14
	s_delay_alu instid0(VALU_DEP_2) | instskip(NEXT) | instid1(VALU_DEP_1)
	v_xor_b32_e32 v6, v6, v2
	v_sub_nc_u64_e32 v[2:3], v[6:7], v[2:3]
.LBB70_322:
	s_mov_b32 s22, 0
	s_mov_b32 s21, -1
.LBB70_323:
	s_and_not1_b32 vcc_lo, exec_lo, s22
	s_cbranch_vccnz .LBB70_336
; %bb.324:
	s_cmp_gt_i32 s15, 14
	s_cbranch_scc0 .LBB70_327
; %bb.325:
	s_cmp_eq_u32 s15, 15
	s_cbranch_scc0 .LBB70_330
; %bb.326:
	s_wait_loadcnt 0x0
	global_load_u16 v2, v[4:5], off
	s_mov_b32 s21, -1
	s_mov_b32 s17, 0
	s_wait_loadcnt 0x0
	v_lshlrev_b32_e32 v2, 16, v2
	s_delay_alu instid0(VALU_DEP_1) | instskip(NEXT) | instid1(VALU_DEP_1)
	v_trunc_f32_e32 v2, v2
	v_mul_f32_e64 v3, 0x2f800000, |v2|
	s_delay_alu instid0(VALU_DEP_1) | instskip(NEXT) | instid1(VALU_DEP_1)
	v_floor_f32_e32 v3, v3
	v_fma_f32 v6, 0xcf800000, v3, |v2|
	v_ashrrev_i32_e32 v2, 31, v2
	v_cvt_u32_f32_e32 v7, v3
	s_delay_alu instid0(VALU_DEP_3) | instskip(NEXT) | instid1(VALU_DEP_2)
	v_cvt_u32_f32_e32 v6, v6
	v_dual_mov_b32 v3, v2 :: v_dual_bitop2_b32 v7, v7, v2 bitop3:0x14
	s_delay_alu instid0(VALU_DEP_2) | instskip(NEXT) | instid1(VALU_DEP_1)
	v_xor_b32_e32 v6, v6, v2
	v_sub_nc_u64_e32 v[2:3], v[6:7], v[2:3]
	s_branch .LBB70_331
.LBB70_327:
	s_mov_b32 s22, -1
                                        ; implicit-def: $vgpr2_vgpr3
	s_branch .LBB70_332
.LBB70_328:
	s_and_not1_saveexec_b32 s21, s21
	s_cbranch_execz .LBB70_309
.LBB70_329:
	v_cmp_ne_u16_e32 vcc_lo, 0, v6
	s_and_not1_b32 s22, s22, exec_lo
	s_and_b32 s23, vcc_lo, exec_lo
	s_delay_alu instid0(SALU_CYCLE_1)
	s_or_b32 s22, s22, s23
	s_or_b32 exec_lo, exec_lo, s21
	v_mov_b64_e32 v[2:3], 0
	s_and_saveexec_b32 s21, s22
	s_cbranch_execnz .LBB70_310
	s_branch .LBB70_311
.LBB70_330:
	s_mov_b32 s17, -1
                                        ; implicit-def: $vgpr2_vgpr3
.LBB70_331:
	s_mov_b32 s22, 0
.LBB70_332:
	s_delay_alu instid0(SALU_CYCLE_1)
	s_and_b32 vcc_lo, exec_lo, s22
	s_cbranch_vccz .LBB70_336
; %bb.333:
	s_cmp_eq_u32 s15, 11
	s_cbranch_scc0 .LBB70_335
; %bb.334:
	s_wait_loadcnt 0x0
	global_load_u8 v2, v[4:5], off
	s_mov_b32 s17, 0
	s_mov_b32 s21, -1
	v_mov_b32_e32 v3, s17
	s_wait_loadcnt 0x0
	v_cmp_ne_u16_e32 vcc_lo, 0, v2
	v_cndmask_b32_e64 v2, 0, 1, vcc_lo
	s_branch .LBB70_336
.LBB70_335:
	s_mov_b32 s17, -1
                                        ; implicit-def: $vgpr2_vgpr3
.LBB70_336:
	s_branch .LBB70_20
.LBB70_337:
	s_and_b32 s0, 0xffff, s0
	s_delay_alu instid0(SALU_CYCLE_1)
	s_cmp_lt_i32 s0, 5
	s_cbranch_scc1 .LBB70_342
; %bb.338:
	s_cmp_lt_i32 s0, 8
	s_cbranch_scc1 .LBB70_343
; %bb.339:
	;; [unrolled: 3-line block ×3, first 2 shown]
	s_cmp_gt_i32 s0, 9
	s_cbranch_scc0 .LBB70_345
; %bb.341:
	s_wait_loadcnt 0x0
	global_load_b64 v[2:3], v[4:5], off
	s_mov_b32 s15, 0
	s_wait_loadcnt 0x0
	v_trunc_f64_e32 v[2:3], v[2:3]
	s_delay_alu instid0(VALU_DEP_1) | instskip(NEXT) | instid1(VALU_DEP_1)
	v_ldexp_f64 v[6:7], v[2:3], 0xffffffe0
	v_floor_f64_e32 v[6:7], v[6:7]
	s_delay_alu instid0(VALU_DEP_1) | instskip(SKIP_1) | instid1(VALU_DEP_2)
	v_fmamk_f64 v[8:9], v[6:7], 0xc1f00000, v[2:3]
	v_cvt_i32_f64_e32 v3, v[6:7]
	v_cvt_u32_f64_e32 v2, v[8:9]
	s_branch .LBB70_346
.LBB70_342:
	s_mov_b32 s15, -1
                                        ; implicit-def: $vgpr2_vgpr3
	s_branch .LBB70_364
.LBB70_343:
	s_mov_b32 s15, -1
                                        ; implicit-def: $vgpr2_vgpr3
	s_branch .LBB70_352
.LBB70_344:
	s_mov_b32 s15, -1
                                        ; implicit-def: $vgpr2_vgpr3
	s_branch .LBB70_349
.LBB70_345:
	s_mov_b32 s15, -1
                                        ; implicit-def: $vgpr2_vgpr3
.LBB70_346:
	s_delay_alu instid0(SALU_CYCLE_1)
	s_and_not1_b32 vcc_lo, exec_lo, s15
	s_cbranch_vccnz .LBB70_348
; %bb.347:
	s_wait_loadcnt 0x0
	global_load_b32 v2, v[4:5], off
	s_wait_loadcnt 0x0
	v_trunc_f32_e32 v2, v2
	s_delay_alu instid0(VALU_DEP_1) | instskip(NEXT) | instid1(VALU_DEP_1)
	v_mul_f32_e64 v3, 0x2f800000, |v2|
	v_floor_f32_e32 v3, v3
	s_delay_alu instid0(VALU_DEP_1) | instskip(SKIP_2) | instid1(VALU_DEP_3)
	v_fma_f32 v6, 0xcf800000, v3, |v2|
	v_ashrrev_i32_e32 v2, 31, v2
	v_cvt_u32_f32_e32 v7, v3
	v_cvt_u32_f32_e32 v6, v6
	s_delay_alu instid0(VALU_DEP_2) | instskip(NEXT) | instid1(VALU_DEP_2)
	v_dual_mov_b32 v3, v2 :: v_dual_bitop2_b32 v7, v7, v2 bitop3:0x14
	v_xor_b32_e32 v6, v6, v2
	s_delay_alu instid0(VALU_DEP_1)
	v_sub_nc_u64_e32 v[2:3], v[6:7], v[2:3]
.LBB70_348:
	s_mov_b32 s15, 0
.LBB70_349:
	s_delay_alu instid0(SALU_CYCLE_1)
	s_and_not1_b32 vcc_lo, exec_lo, s15
	s_cbranch_vccnz .LBB70_351
; %bb.350:
	s_wait_loadcnt 0x0
	global_load_b32 v2, v[4:5], off
	s_wait_loadcnt 0x0
	v_cvt_f32_f16_e32 v2, v2
	s_delay_alu instid0(VALU_DEP_1) | instskip(NEXT) | instid1(VALU_DEP_1)
	v_cvt_i32_f32_e32 v2, v2
	v_ashrrev_i32_e32 v3, 31, v2
.LBB70_351:
	s_mov_b32 s15, 0
.LBB70_352:
	s_delay_alu instid0(SALU_CYCLE_1)
	s_and_not1_b32 vcc_lo, exec_lo, s15
	s_cbranch_vccnz .LBB70_363
; %bb.353:
	s_cmp_lt_i32 s0, 6
	s_cbranch_scc1 .LBB70_356
; %bb.354:
	s_cmp_gt_i32 s0, 6
	s_cbranch_scc0 .LBB70_357
; %bb.355:
	s_wait_loadcnt 0x0
	global_load_b64 v[2:3], v[4:5], off
	s_mov_b32 s15, 0
	s_wait_loadcnt 0x0
	v_trunc_f64_e32 v[2:3], v[2:3]
	s_delay_alu instid0(VALU_DEP_1) | instskip(NEXT) | instid1(VALU_DEP_1)
	v_ldexp_f64 v[6:7], v[2:3], 0xffffffe0
	v_floor_f64_e32 v[6:7], v[6:7]
	s_delay_alu instid0(VALU_DEP_1) | instskip(SKIP_1) | instid1(VALU_DEP_2)
	v_fmamk_f64 v[8:9], v[6:7], 0xc1f00000, v[2:3]
	v_cvt_i32_f64_e32 v3, v[6:7]
	v_cvt_u32_f64_e32 v2, v[8:9]
	s_branch .LBB70_358
.LBB70_356:
	s_mov_b32 s15, -1
                                        ; implicit-def: $vgpr2_vgpr3
	s_branch .LBB70_361
.LBB70_357:
	s_mov_b32 s15, -1
                                        ; implicit-def: $vgpr2_vgpr3
.LBB70_358:
	s_delay_alu instid0(SALU_CYCLE_1)
	s_and_not1_b32 vcc_lo, exec_lo, s15
	s_cbranch_vccnz .LBB70_360
; %bb.359:
	s_wait_loadcnt 0x0
	global_load_b32 v2, v[4:5], off
	s_wait_loadcnt 0x0
	v_trunc_f32_e32 v2, v2
	s_delay_alu instid0(VALU_DEP_1) | instskip(NEXT) | instid1(VALU_DEP_1)
	v_mul_f32_e64 v3, 0x2f800000, |v2|
	v_floor_f32_e32 v3, v3
	s_delay_alu instid0(VALU_DEP_1) | instskip(SKIP_2) | instid1(VALU_DEP_3)
	v_fma_f32 v6, 0xcf800000, v3, |v2|
	v_ashrrev_i32_e32 v2, 31, v2
	v_cvt_u32_f32_e32 v7, v3
	v_cvt_u32_f32_e32 v6, v6
	s_delay_alu instid0(VALU_DEP_2) | instskip(NEXT) | instid1(VALU_DEP_2)
	v_dual_mov_b32 v3, v2 :: v_dual_bitop2_b32 v7, v7, v2 bitop3:0x14
	v_xor_b32_e32 v6, v6, v2
	s_delay_alu instid0(VALU_DEP_1)
	v_sub_nc_u64_e32 v[2:3], v[6:7], v[2:3]
.LBB70_360:
	s_mov_b32 s15, 0
.LBB70_361:
	s_delay_alu instid0(SALU_CYCLE_1)
	s_and_not1_b32 vcc_lo, exec_lo, s15
	s_cbranch_vccnz .LBB70_363
; %bb.362:
	s_wait_loadcnt 0x0
	global_load_u16 v2, v[4:5], off
	s_wait_loadcnt 0x0
	v_cvt_f32_f16_e32 v2, v2
	s_delay_alu instid0(VALU_DEP_1) | instskip(NEXT) | instid1(VALU_DEP_1)
	v_cvt_i32_f32_e32 v2, v2
	v_ashrrev_i32_e32 v3, 31, v2
.LBB70_363:
	s_mov_b32 s15, 0
.LBB70_364:
	s_delay_alu instid0(SALU_CYCLE_1)
	s_and_not1_b32 vcc_lo, exec_lo, s15
	s_cbranch_vccnz .LBB70_384
; %bb.365:
	s_cmp_lt_i32 s0, 2
	s_cbranch_scc1 .LBB70_369
; %bb.366:
	s_cmp_lt_i32 s0, 3
	s_cbranch_scc1 .LBB70_370
; %bb.367:
	s_cmp_gt_i32 s0, 3
	s_cbranch_scc0 .LBB70_371
; %bb.368:
	s_wait_loadcnt 0x0
	global_load_b64 v[2:3], v[4:5], off
	s_mov_b32 s15, 0
	s_branch .LBB70_372
.LBB70_369:
	s_mov_b32 s15, -1
                                        ; implicit-def: $vgpr2_vgpr3
	s_branch .LBB70_378
.LBB70_370:
	s_mov_b32 s15, -1
                                        ; implicit-def: $vgpr2_vgpr3
	s_branch .LBB70_375
.LBB70_371:
	s_mov_b32 s15, -1
                                        ; implicit-def: $vgpr2_vgpr3
.LBB70_372:
	s_delay_alu instid0(SALU_CYCLE_1)
	s_and_not1_b32 vcc_lo, exec_lo, s15
	s_cbranch_vccnz .LBB70_374
; %bb.373:
	s_wait_loadcnt 0x0
	global_load_b32 v2, v[4:5], off
	s_wait_loadcnt 0x0
	v_ashrrev_i32_e32 v3, 31, v2
.LBB70_374:
	s_mov_b32 s15, 0
.LBB70_375:
	s_delay_alu instid0(SALU_CYCLE_1)
	s_and_not1_b32 vcc_lo, exec_lo, s15
	s_cbranch_vccnz .LBB70_377
; %bb.376:
	s_wait_loadcnt 0x0
	global_load_u16 v2, v[4:5], off
	s_wait_loadcnt 0x0
	v_bfe_i32 v2, v2, 0, 16
	s_delay_alu instid0(VALU_DEP_1)
	v_ashrrev_i32_e32 v3, 31, v2
.LBB70_377:
	s_mov_b32 s15, 0
.LBB70_378:
	s_delay_alu instid0(SALU_CYCLE_1)
	s_and_not1_b32 vcc_lo, exec_lo, s15
	s_cbranch_vccnz .LBB70_384
; %bb.379:
	s_cmp_gt_i32 s0, 0
	s_mov_b32 s0, 0
	s_cbranch_scc0 .LBB70_381
; %bb.380:
	s_wait_loadcnt 0x0
	global_load_i8 v2, v[4:5], off
	s_wait_loadcnt 0x0
	v_bfe_i32 v2, v2, 0, 16
	s_delay_alu instid0(VALU_DEP_1)
	v_ashrrev_i32_e32 v3, 31, v2
	s_branch .LBB70_382
.LBB70_381:
	s_mov_b32 s0, -1
                                        ; implicit-def: $vgpr2_vgpr3
.LBB70_382:
	s_delay_alu instid0(SALU_CYCLE_1)
	s_and_not1_b32 vcc_lo, exec_lo, s0
	s_cbranch_vccnz .LBB70_384
; %bb.383:
	s_wait_loadcnt 0x0
	global_load_u8 v2, v[4:5], off
	s_mov_b32 s0, 0
	s_delay_alu instid0(SALU_CYCLE_1)
	v_mov_b32_e32 v3, s0
	s_wait_loadcnt 0x0
	v_and_b32_e32 v2, 0xffff, v2
.LBB70_384:
	s_branch .LBB70_21
.LBB70_385:
	s_mov_b32 s0, 0
.LBB70_386:
	s_mov_b32 s21, 0
                                        ; implicit-def: $vgpr20
.LBB70_387:
	s_and_b32 s15, s0, exec_lo
	s_and_b32 s17, s17, exec_lo
	;; [unrolled: 1-line block ×3, first 2 shown]
	s_or_not1_b32 s23, s21, exec_lo
.LBB70_388:
	s_wait_xcnt 0x0
	s_or_b32 exec_lo, exec_lo, s19
	s_mov_b32 s22, 0
	s_mov_b32 s21, 0
                                        ; implicit-def: $sgpr0
                                        ; implicit-def: $vgpr2_vgpr3
                                        ; implicit-def: $vgpr0_vgpr1
	s_and_saveexec_b32 s19, s23
	s_cbranch_execz .LBB70_397
; %bb.389:
	s_mov_b32 s25, -1
	s_mov_b32 s20, s18
	s_mov_b32 s22, s17
	;; [unrolled: 1-line block ×3, first 2 shown]
	s_mov_b32 s23, exec_lo
	v_cmpx_gt_i32_e64 s16, v20
	s_cbranch_execz .LBB70_787
; %bb.390:
	s_wait_loadcnt 0x0
	v_mul_lo_u32 v0, v20, s9
	s_and_b32 s0, s13, 0xff
	s_delay_alu instid0(SALU_CYCLE_1) | instskip(NEXT) | instid1(VALU_DEP_1)
	s_cmp_lt_i32 s0, 11
	v_ashrrev_i32_e32 v1, 31, v0
	s_delay_alu instid0(VALU_DEP_1)
	v_add_nc_u64_e32 v[2:3], s[6:7], v[0:1]
	s_cbranch_scc1 .LBB70_400
; %bb.391:
	s_and_b32 s21, 0xffff, s0
	s_delay_alu instid0(SALU_CYCLE_1)
	s_cmp_gt_i32 s21, 25
	s_cbranch_scc0 .LBB70_409
; %bb.392:
	s_cmp_gt_i32 s21, 28
	s_cbranch_scc0 .LBB70_411
; %bb.393:
	;; [unrolled: 3-line block ×4, first 2 shown]
	s_cmp_eq_u32 s21, 46
	s_mov_b32 s24, 0
	s_cbranch_scc0 .LBB70_419
; %bb.396:
	global_load_b32 v0, v[2:3], off
	s_mov_b32 s22, -1
	s_mov_b32 s20, 0
	s_wait_loadcnt 0x0
	v_lshlrev_b32_e32 v0, 16, v0
	s_delay_alu instid0(VALU_DEP_1) | instskip(NEXT) | instid1(VALU_DEP_1)
	v_trunc_f32_e32 v0, v0
	v_mul_f32_e64 v1, 0x2f800000, |v0|
	s_delay_alu instid0(VALU_DEP_1) | instskip(NEXT) | instid1(VALU_DEP_1)
	v_floor_f32_e32 v1, v1
	v_fma_f32 v4, 0xcf800000, v1, |v0|
	v_ashrrev_i32_e32 v0, 31, v0
	v_cvt_u32_f32_e32 v5, v1
	s_delay_alu instid0(VALU_DEP_3) | instskip(NEXT) | instid1(VALU_DEP_2)
	v_cvt_u32_f32_e32 v4, v4
	v_dual_mov_b32 v1, v0 :: v_dual_bitop2_b32 v5, v5, v0 bitop3:0x14
	s_delay_alu instid0(VALU_DEP_2) | instskip(NEXT) | instid1(VALU_DEP_1)
	v_xor_b32_e32 v4, v4, v0
	v_sub_nc_u64_e32 v[0:1], v[4:5], v[0:1]
	s_branch .LBB70_421
.LBB70_397:
	s_or_b32 exec_lo, exec_lo, s19
	s_mov_b32 s16, 0
	s_and_saveexec_b32 s19, s18
	s_cbranch_execnz .LBB70_1265
.LBB70_398:
	s_or_b32 exec_lo, exec_lo, s19
	s_and_saveexec_b32 s18, s20
	s_delay_alu instid0(SALU_CYCLE_1)
	s_xor_b32 s18, exec_lo, s18
	s_cbranch_execz .LBB70_1266
.LBB70_399:
	s_wait_loadcnt 0x0
	global_load_u8 v0, v[2:3], off
	s_mov_b32 s19, 0
	s_or_b32 s21, s21, exec_lo
	v_mov_b32_e32 v1, s19
	s_wait_loadcnt 0x0
	v_cmp_ne_u16_e32 vcc_lo, 0, v0
	v_cndmask_b32_e64 v0, 0, 1, vcc_lo
	s_wait_xcnt 0x0
	s_or_b32 exec_lo, exec_lo, s18
	s_and_saveexec_b32 s18, s22
	s_cbranch_execz .LBB70_1312
	s_branch .LBB70_1267
.LBB70_400:
	s_mov_b32 s22, 0
	s_mov_b32 s20, s18
                                        ; implicit-def: $vgpr0_vgpr1
	s_cbranch_execnz .LBB70_483
.LBB70_401:
	s_and_not1_b32 vcc_lo, exec_lo, s22
	s_cbranch_vccnz .LBB70_531
.LBB70_402:
	s_wait_xcnt 0x0
	v_mul_lo_u32 v2, v20, s10
	s_and_b32 s0, s1, 0xff
	s_delay_alu instid0(SALU_CYCLE_1) | instskip(NEXT) | instid1(VALU_DEP_1)
	s_cmp_lt_i32 s0, 11
	v_ashrrev_i32_e32 v3, 31, v2
	s_delay_alu instid0(VALU_DEP_1)
	v_add_nc_u64_e32 v[4:5], s[2:3], v[2:3]
	s_cbranch_scc1 .LBB70_410
; %bb.403:
	s_and_b32 s21, 0xffff, s0
	s_delay_alu instid0(SALU_CYCLE_1)
	s_cmp_gt_i32 s21, 25
	s_cbranch_scc0 .LBB70_412
; %bb.404:
	s_cmp_gt_i32 s21, 28
	s_cbranch_scc0 .LBB70_414
; %bb.405:
	;; [unrolled: 3-line block ×4, first 2 shown]
	s_cmp_eq_u32 s21, 46
	s_mov_b32 s25, 0
	s_cbranch_scc0 .LBB70_534
; %bb.408:
	global_load_b32 v2, v[4:5], off
	s_mov_b32 s24, -1
	s_mov_b32 s22, 0
	s_wait_loadcnt 0x0
	v_lshlrev_b32_e32 v2, 16, v2
	s_delay_alu instid0(VALU_DEP_1) | instskip(NEXT) | instid1(VALU_DEP_1)
	v_trunc_f32_e32 v2, v2
	v_mul_f32_e64 v3, 0x2f800000, |v2|
	s_delay_alu instid0(VALU_DEP_1) | instskip(NEXT) | instid1(VALU_DEP_1)
	v_floor_f32_e32 v3, v3
	v_fma_f32 v6, 0xcf800000, v3, |v2|
	v_ashrrev_i32_e32 v2, 31, v2
	v_cvt_u32_f32_e32 v7, v3
	s_delay_alu instid0(VALU_DEP_3) | instskip(NEXT) | instid1(VALU_DEP_2)
	v_cvt_u32_f32_e32 v6, v6
	v_dual_mov_b32 v3, v2 :: v_dual_bitop2_b32 v7, v7, v2 bitop3:0x14
	s_delay_alu instid0(VALU_DEP_2) | instskip(NEXT) | instid1(VALU_DEP_1)
	v_xor_b32_e32 v6, v6, v2
	v_sub_nc_u64_e32 v[2:3], v[6:7], v[2:3]
	s_branch .LBB70_536
.LBB70_409:
	s_mov_b32 s24, -1
	s_mov_b32 s22, 0
	s_mov_b32 s20, s18
                                        ; implicit-def: $vgpr0_vgpr1
	s_branch .LBB70_449
.LBB70_410:
	s_mov_b32 s21, -1
	s_mov_b32 s24, 0
	s_mov_b32 s22, s17
                                        ; implicit-def: $vgpr2_vgpr3
	s_branch .LBB70_597
.LBB70_411:
	s_mov_b32 s24, -1
	s_mov_b32 s22, 0
	s_mov_b32 s20, s18
                                        ; implicit-def: $vgpr0_vgpr1
	s_branch .LBB70_432
.LBB70_412:
	s_mov_b32 s25, -1
	s_mov_b32 s24, 0
	s_mov_b32 s22, s17
                                        ; implicit-def: $vgpr2_vgpr3
	s_branch .LBB70_563
.LBB70_413:
	s_mov_b32 s24, -1
	s_mov_b32 s22, 0
	s_mov_b32 s20, s18
                                        ; implicit-def: $vgpr0_vgpr1
	s_branch .LBB70_427
.LBB70_414:
	s_mov_b32 s25, -1
	s_mov_b32 s24, 0
	s_mov_b32 s22, s17
                                        ; implicit-def: $vgpr2_vgpr3
	s_branch .LBB70_546
.LBB70_415:
	s_mov_b32 s24, -1
	s_mov_b32 s22, 0
	s_mov_b32 s20, s18
	s_branch .LBB70_420
.LBB70_416:
	s_mov_b32 s25, -1
	s_mov_b32 s24, 0
	s_mov_b32 s22, s17
                                        ; implicit-def: $vgpr2_vgpr3
	s_branch .LBB70_541
.LBB70_417:
	s_and_not1_saveexec_b32 s24, s24
	s_cbranch_execz .LBB70_190
.LBB70_418:
	v_add_f32_e32 v2, 0x46000000, v3
	s_and_not1_b32 s23, s23, exec_lo
	s_delay_alu instid0(VALU_DEP_1) | instskip(NEXT) | instid1(VALU_DEP_1)
	v_and_b32_e32 v2, 0xff, v2
	v_cmp_ne_u32_e32 vcc_lo, 0, v2
	s_and_b32 s25, vcc_lo, exec_lo
	s_delay_alu instid0(SALU_CYCLE_1)
	s_or_b32 s23, s23, s25
	s_or_b32 exec_lo, exec_lo, s24
	v_mov_b32_e32 v6, 0
	s_and_saveexec_b32 s24, s23
	s_cbranch_execnz .LBB70_191
	s_branch .LBB70_192
.LBB70_419:
	s_mov_b32 s20, -1
	s_mov_b32 s22, 0
.LBB70_420:
                                        ; implicit-def: $vgpr0_vgpr1
.LBB70_421:
	s_and_b32 vcc_lo, exec_lo, s24
	s_cbranch_vccz .LBB70_426
; %bb.422:
	s_cmp_eq_u32 s21, 44
	s_cbranch_scc0 .LBB70_425
; %bb.423:
	global_load_u8 v6, v[2:3], off
	s_mov_b32 s20, 0
	s_mov_b32 s22, -1
	s_wait_loadcnt 0x0
	v_cmp_ne_u32_e32 vcc_lo, 0, v6
	v_lshlrev_b32_e32 v0, 23, v6
	s_delay_alu instid0(VALU_DEP_1) | instskip(NEXT) | instid1(VALU_DEP_1)
	v_trunc_f32_e32 v0, v0
	v_mul_f32_e64 v1, 0x2f800000, |v0|
	s_delay_alu instid0(VALU_DEP_1) | instskip(NEXT) | instid1(VALU_DEP_1)
	v_floor_f32_e32 v1, v1
	v_fma_f32 v4, 0xcf800000, v1, |v0|
	v_ashrrev_i32_e32 v0, 31, v0
	v_cvt_u32_f32_e32 v5, v1
	s_delay_alu instid0(VALU_DEP_3) | instskip(NEXT) | instid1(VALU_DEP_2)
	v_cvt_u32_f32_e32 v4, v4
	v_dual_mov_b32 v1, v0 :: v_dual_bitop2_b32 v5, v5, v0 bitop3:0x14
	s_delay_alu instid0(VALU_DEP_2) | instskip(NEXT) | instid1(VALU_DEP_1)
	v_xor_b32_e32 v4, v4, v0
	v_sub_nc_u64_e32 v[0:1], v[4:5], v[0:1]
	s_delay_alu instid0(VALU_DEP_1)
	v_dual_cndmask_b32 v1, 0, v1 :: v_dual_cndmask_b32 v0, 0, v0
	s_branch .LBB70_426
.LBB70_424:
	s_mov_b32 s25, -1
	s_mov_b32 s24, 0
	s_mov_b32 s22, s17
	s_branch .LBB70_535
.LBB70_425:
	s_mov_b32 s20, -1
                                        ; implicit-def: $vgpr0_vgpr1
.LBB70_426:
	s_mov_b32 s24, 0
.LBB70_427:
	s_delay_alu instid0(SALU_CYCLE_1)
	s_and_b32 vcc_lo, exec_lo, s24
	s_cbranch_vccz .LBB70_431
; %bb.428:
	s_cmp_eq_u32 s21, 29
	s_cbranch_scc0 .LBB70_430
; %bb.429:
	global_load_b64 v[0:1], v[2:3], off
	s_mov_b32 s22, -1
	s_mov_b32 s20, 0
	s_branch .LBB70_431
.LBB70_430:
	s_mov_b32 s20, -1
                                        ; implicit-def: $vgpr0_vgpr1
.LBB70_431:
	s_mov_b32 s24, 0
.LBB70_432:
	s_delay_alu instid0(SALU_CYCLE_1)
	s_and_b32 vcc_lo, exec_lo, s24
	s_cbranch_vccz .LBB70_448
; %bb.433:
	s_cmp_lt_i32 s21, 27
	s_cbranch_scc1 .LBB70_436
; %bb.434:
	s_cmp_gt_i32 s21, 27
	s_cbranch_scc0 .LBB70_437
; %bb.435:
	s_wait_loadcnt 0x0
	global_load_b32 v0, v[2:3], off
	v_mov_b32_e32 v1, 0
	s_mov_b32 s22, 0
	s_branch .LBB70_438
.LBB70_436:
	s_mov_b32 s22, -1
                                        ; implicit-def: $vgpr0_vgpr1
	s_branch .LBB70_441
.LBB70_437:
	s_mov_b32 s22, -1
                                        ; implicit-def: $vgpr0_vgpr1
.LBB70_438:
	s_delay_alu instid0(SALU_CYCLE_1)
	s_and_not1_b32 vcc_lo, exec_lo, s22
	s_cbranch_vccnz .LBB70_440
; %bb.439:
	s_wait_loadcnt 0x0
	global_load_u16 v0, v[2:3], off
	s_mov_b32 s22, 0
	s_delay_alu instid0(SALU_CYCLE_1)
	v_mov_b32_e32 v1, s22
	s_wait_loadcnt 0x0
	v_and_b32_e32 v0, 0xffff, v0
.LBB70_440:
	s_mov_b32 s22, 0
.LBB70_441:
	s_delay_alu instid0(SALU_CYCLE_1)
	s_and_not1_b32 vcc_lo, exec_lo, s22
	s_cbranch_vccnz .LBB70_447
; %bb.442:
	global_load_u8 v4, v[2:3], off
	s_mov_b32 s24, 0
	s_mov_b32 s22, exec_lo
	s_wait_loadcnt 0x0
	v_cmpx_lt_i16_e32 0x7f, v4
	s_xor_b32 s22, exec_lo, s22
	s_cbranch_execz .LBB70_459
; %bb.443:
	v_cmp_ne_u16_e32 vcc_lo, 0x80, v4
	s_and_b32 s24, vcc_lo, exec_lo
	s_and_not1_saveexec_b32 s22, s22
	s_cbranch_execnz .LBB70_460
.LBB70_444:
	s_or_b32 exec_lo, exec_lo, s22
	v_mov_b64_e32 v[0:1], 0
	s_and_saveexec_b32 s22, s24
	s_cbranch_execz .LBB70_446
.LBB70_445:
	v_and_b32_e32 v0, 0xffff, v4
	s_delay_alu instid0(VALU_DEP_1) | instskip(SKIP_1) | instid1(VALU_DEP_2)
	v_and_b32_e32 v1, 7, v0
	v_bfe_u32 v7, v0, 3, 4
	v_clz_i32_u32_e32 v5, v1
	s_delay_alu instid0(VALU_DEP_2) | instskip(NEXT) | instid1(VALU_DEP_2)
	v_cmp_eq_u32_e32 vcc_lo, 0, v7
	v_min_u32_e32 v5, 32, v5
	s_delay_alu instid0(VALU_DEP_1) | instskip(NEXT) | instid1(VALU_DEP_1)
	v_subrev_nc_u32_e32 v6, 28, v5
	v_dual_lshlrev_b32 v0, v6, v0 :: v_dual_sub_nc_u32 v5, 29, v5
	s_delay_alu instid0(VALU_DEP_1) | instskip(NEXT) | instid1(VALU_DEP_2)
	v_and_b32_e32 v0, 7, v0
	v_dual_cndmask_b32 v5, v7, v5 :: v_dual_lshlrev_b32 v4, 24, v4
	s_delay_alu instid0(VALU_DEP_2) | instskip(NEXT) | instid1(VALU_DEP_2)
	v_cndmask_b32_e32 v0, v1, v0, vcc_lo
	v_and_b32_e32 v1, 0x80000000, v4
	s_delay_alu instid0(VALU_DEP_3) | instskip(NEXT) | instid1(VALU_DEP_3)
	v_lshl_add_u32 v4, v5, 23, 0x3b800000
	v_lshlrev_b32_e32 v0, 20, v0
	s_delay_alu instid0(VALU_DEP_1) | instskip(NEXT) | instid1(VALU_DEP_1)
	v_or3_b32 v0, v1, v4, v0
	v_trunc_f32_e32 v0, v0
	s_delay_alu instid0(VALU_DEP_1) | instskip(NEXT) | instid1(VALU_DEP_1)
	v_mul_f32_e64 v1, 0x2f800000, |v0|
	v_floor_f32_e32 v1, v1
	s_delay_alu instid0(VALU_DEP_1) | instskip(SKIP_2) | instid1(VALU_DEP_3)
	v_fma_f32 v4, 0xcf800000, v1, |v0|
	v_ashrrev_i32_e32 v0, 31, v0
	v_cvt_u32_f32_e32 v5, v1
	v_cvt_u32_f32_e32 v4, v4
	s_delay_alu instid0(VALU_DEP_2) | instskip(NEXT) | instid1(VALU_DEP_2)
	v_dual_mov_b32 v1, v0 :: v_dual_bitop2_b32 v5, v5, v0 bitop3:0x14
	v_xor_b32_e32 v4, v4, v0
	s_delay_alu instid0(VALU_DEP_1)
	v_sub_nc_u64_e32 v[0:1], v[4:5], v[0:1]
.LBB70_446:
	s_or_b32 exec_lo, exec_lo, s22
.LBB70_447:
	s_mov_b32 s22, -1
.LBB70_448:
	s_mov_b32 s24, 0
.LBB70_449:
	s_delay_alu instid0(SALU_CYCLE_1)
	s_and_b32 vcc_lo, exec_lo, s24
	s_cbranch_vccz .LBB70_482
; %bb.450:
	s_cmp_gt_i32 s21, 22
	s_cbranch_scc0 .LBB70_458
; %bb.451:
	s_cmp_lt_i32 s21, 24
	s_cbranch_scc1 .LBB70_461
; %bb.452:
	s_cmp_gt_i32 s21, 24
	s_cbranch_scc0 .LBB70_462
; %bb.453:
	global_load_u8 v4, v[2:3], off
	s_mov_b32 s24, 0
	s_mov_b32 s22, exec_lo
	s_wait_loadcnt 0x0
	v_cmpx_lt_i16_e32 0x7f, v4
	s_xor_b32 s22, exec_lo, s22
	s_cbranch_execz .LBB70_474
; %bb.454:
	v_cmp_ne_u16_e32 vcc_lo, 0x80, v4
	s_and_b32 s24, vcc_lo, exec_lo
	s_and_not1_saveexec_b32 s22, s22
	s_cbranch_execnz .LBB70_475
.LBB70_455:
	s_or_b32 exec_lo, exec_lo, s22
	v_mov_b64_e32 v[0:1], 0
	s_and_saveexec_b32 s22, s24
	s_cbranch_execz .LBB70_457
.LBB70_456:
	v_and_b32_e32 v0, 0xffff, v4
	s_delay_alu instid0(VALU_DEP_1) | instskip(SKIP_1) | instid1(VALU_DEP_2)
	v_and_b32_e32 v1, 3, v0
	v_bfe_u32 v7, v0, 2, 5
	v_clz_i32_u32_e32 v5, v1
	s_delay_alu instid0(VALU_DEP_2) | instskip(NEXT) | instid1(VALU_DEP_2)
	v_cmp_eq_u32_e32 vcc_lo, 0, v7
	v_min_u32_e32 v5, 32, v5
	s_delay_alu instid0(VALU_DEP_1) | instskip(NEXT) | instid1(VALU_DEP_1)
	v_subrev_nc_u32_e32 v6, 29, v5
	v_dual_lshlrev_b32 v0, v6, v0 :: v_dual_sub_nc_u32 v5, 30, v5
	s_delay_alu instid0(VALU_DEP_1) | instskip(NEXT) | instid1(VALU_DEP_2)
	v_and_b32_e32 v0, 3, v0
	v_dual_cndmask_b32 v5, v7, v5 :: v_dual_lshlrev_b32 v4, 24, v4
	s_delay_alu instid0(VALU_DEP_2) | instskip(NEXT) | instid1(VALU_DEP_2)
	v_cndmask_b32_e32 v0, v1, v0, vcc_lo
	v_and_b32_e32 v1, 0x80000000, v4
	s_delay_alu instid0(VALU_DEP_3) | instskip(NEXT) | instid1(VALU_DEP_3)
	v_lshl_add_u32 v4, v5, 23, 0x37800000
	v_lshlrev_b32_e32 v0, 21, v0
	s_delay_alu instid0(VALU_DEP_1) | instskip(NEXT) | instid1(VALU_DEP_1)
	v_or3_b32 v0, v1, v4, v0
	v_trunc_f32_e32 v0, v0
	s_delay_alu instid0(VALU_DEP_1) | instskip(NEXT) | instid1(VALU_DEP_1)
	v_mul_f32_e64 v1, 0x2f800000, |v0|
	v_floor_f32_e32 v1, v1
	s_delay_alu instid0(VALU_DEP_1) | instskip(SKIP_2) | instid1(VALU_DEP_3)
	v_fma_f32 v4, 0xcf800000, v1, |v0|
	v_ashrrev_i32_e32 v0, 31, v0
	v_cvt_u32_f32_e32 v5, v1
	v_cvt_u32_f32_e32 v4, v4
	s_delay_alu instid0(VALU_DEP_2) | instskip(NEXT) | instid1(VALU_DEP_2)
	v_dual_mov_b32 v1, v0 :: v_dual_bitop2_b32 v5, v5, v0 bitop3:0x14
	v_xor_b32_e32 v4, v4, v0
	s_delay_alu instid0(VALU_DEP_1)
	v_sub_nc_u64_e32 v[0:1], v[4:5], v[0:1]
.LBB70_457:
	s_or_b32 exec_lo, exec_lo, s22
	s_mov_b32 s22, 0
	s_branch .LBB70_463
.LBB70_458:
	s_mov_b32 s24, -1
                                        ; implicit-def: $vgpr0_vgpr1
	s_branch .LBB70_469
.LBB70_459:
	s_and_not1_saveexec_b32 s22, s22
	s_cbranch_execz .LBB70_444
.LBB70_460:
	v_cmp_ne_u16_e32 vcc_lo, 0, v4
	s_and_not1_b32 s24, s24, exec_lo
	s_and_b32 s25, vcc_lo, exec_lo
	s_delay_alu instid0(SALU_CYCLE_1)
	s_or_b32 s24, s24, s25
	s_or_b32 exec_lo, exec_lo, s22
	v_mov_b64_e32 v[0:1], 0
	s_and_saveexec_b32 s22, s24
	s_cbranch_execnz .LBB70_445
	s_branch .LBB70_446
.LBB70_461:
	s_mov_b32 s22, -1
                                        ; implicit-def: $vgpr0_vgpr1
	s_branch .LBB70_466
.LBB70_462:
	s_mov_b32 s22, -1
                                        ; implicit-def: $vgpr0_vgpr1
.LBB70_463:
	s_delay_alu instid0(SALU_CYCLE_1)
	s_and_b32 vcc_lo, exec_lo, s22
	s_cbranch_vccz .LBB70_465
; %bb.464:
	s_wait_loadcnt 0x0
	global_load_u8 v0, v[2:3], off
	s_wait_loadcnt 0x0
	v_lshlrev_b32_e32 v0, 24, v0
	s_delay_alu instid0(VALU_DEP_1) | instskip(NEXT) | instid1(VALU_DEP_1)
	v_and_b32_e32 v1, 0x7f000000, v0
	v_clz_i32_u32_e32 v4, v1
	v_cmp_ne_u32_e32 vcc_lo, 0, v1
	v_add_nc_u32_e32 v6, 0x1000000, v1
	s_delay_alu instid0(VALU_DEP_3) | instskip(NEXT) | instid1(VALU_DEP_1)
	v_min_u32_e32 v4, 32, v4
	v_sub_nc_u32_e64 v4, v4, 4 clamp
	s_delay_alu instid0(VALU_DEP_1) | instskip(NEXT) | instid1(VALU_DEP_1)
	v_dual_lshlrev_b32 v5, v4, v1 :: v_dual_lshlrev_b32 v4, 23, v4
	v_lshrrev_b32_e32 v5, 4, v5
	s_delay_alu instid0(VALU_DEP_1) | instskip(NEXT) | instid1(VALU_DEP_1)
	v_dual_sub_nc_u32 v4, v5, v4 :: v_dual_ashrrev_i32 v5, 8, v6
	v_add_nc_u32_e32 v4, 0x3c000000, v4
	s_delay_alu instid0(VALU_DEP_1) | instskip(NEXT) | instid1(VALU_DEP_1)
	v_and_or_b32 v4, 0x7f800000, v5, v4
	v_cndmask_b32_e32 v1, 0, v4, vcc_lo
	s_delay_alu instid0(VALU_DEP_1) | instskip(NEXT) | instid1(VALU_DEP_1)
	v_and_or_b32 v0, 0x80000000, v0, v1
	v_trunc_f32_e32 v0, v0
	s_delay_alu instid0(VALU_DEP_1) | instskip(NEXT) | instid1(VALU_DEP_1)
	v_mul_f32_e64 v1, 0x2f800000, |v0|
	v_floor_f32_e32 v1, v1
	s_delay_alu instid0(VALU_DEP_1) | instskip(SKIP_2) | instid1(VALU_DEP_3)
	v_fma_f32 v4, 0xcf800000, v1, |v0|
	v_ashrrev_i32_e32 v0, 31, v0
	v_cvt_u32_f32_e32 v5, v1
	v_cvt_u32_f32_e32 v4, v4
	s_delay_alu instid0(VALU_DEP_2) | instskip(NEXT) | instid1(VALU_DEP_2)
	v_dual_mov_b32 v1, v0 :: v_dual_bitop2_b32 v5, v5, v0 bitop3:0x14
	v_xor_b32_e32 v4, v4, v0
	s_delay_alu instid0(VALU_DEP_1)
	v_sub_nc_u64_e32 v[0:1], v[4:5], v[0:1]
.LBB70_465:
	s_mov_b32 s22, 0
.LBB70_466:
	s_delay_alu instid0(SALU_CYCLE_1)
	s_and_not1_b32 vcc_lo, exec_lo, s22
	s_cbranch_vccnz .LBB70_468
; %bb.467:
	s_wait_loadcnt 0x0
	global_load_u8 v0, v[2:3], off
	s_wait_loadcnt 0x0
	v_lshlrev_b32_e32 v1, 25, v0
	v_lshlrev_b16 v0, 8, v0
	s_delay_alu instid0(VALU_DEP_1) | instskip(SKIP_1) | instid1(VALU_DEP_2)
	v_and_or_b32 v5, 0x7f00, v0, 0.5
	v_bfe_i32 v0, v0, 0, 16
	v_add_f32_e32 v5, -0.5, v5
	v_lshrrev_b32_e32 v4, 4, v1
	v_cmp_gt_u32_e32 vcc_lo, 0x8000000, v1
	s_delay_alu instid0(VALU_DEP_2) | instskip(NEXT) | instid1(VALU_DEP_1)
	v_or_b32_e32 v4, 0x70000000, v4
	v_mul_f32_e32 v4, 0x7800000, v4
	s_delay_alu instid0(VALU_DEP_1) | instskip(NEXT) | instid1(VALU_DEP_1)
	v_cndmask_b32_e32 v1, v4, v5, vcc_lo
	v_and_or_b32 v0, 0x80000000, v0, v1
	s_delay_alu instid0(VALU_DEP_1) | instskip(NEXT) | instid1(VALU_DEP_1)
	v_trunc_f32_e32 v0, v0
	v_mul_f32_e64 v1, 0x2f800000, |v0|
	s_delay_alu instid0(VALU_DEP_1) | instskip(NEXT) | instid1(VALU_DEP_1)
	v_floor_f32_e32 v1, v1
	v_fma_f32 v4, 0xcf800000, v1, |v0|
	v_ashrrev_i32_e32 v0, 31, v0
	v_cvt_u32_f32_e32 v5, v1
	s_delay_alu instid0(VALU_DEP_3) | instskip(NEXT) | instid1(VALU_DEP_2)
	v_cvt_u32_f32_e32 v4, v4
	v_dual_mov_b32 v1, v0 :: v_dual_bitop2_b32 v5, v5, v0 bitop3:0x14
	s_delay_alu instid0(VALU_DEP_2) | instskip(NEXT) | instid1(VALU_DEP_1)
	v_xor_b32_e32 v4, v4, v0
	v_sub_nc_u64_e32 v[0:1], v[4:5], v[0:1]
.LBB70_468:
	s_mov_b32 s24, 0
	s_mov_b32 s22, -1
.LBB70_469:
	s_and_not1_b32 vcc_lo, exec_lo, s24
	s_cbranch_vccnz .LBB70_482
; %bb.470:
	s_cmp_gt_i32 s21, 14
	s_cbranch_scc0 .LBB70_473
; %bb.471:
	s_cmp_eq_u32 s21, 15
	s_cbranch_scc0 .LBB70_476
; %bb.472:
	s_wait_loadcnt 0x0
	global_load_u16 v0, v[2:3], off
	s_mov_b32 s22, -1
	s_mov_b32 s20, 0
	s_wait_loadcnt 0x0
	v_lshlrev_b32_e32 v0, 16, v0
	s_delay_alu instid0(VALU_DEP_1) | instskip(NEXT) | instid1(VALU_DEP_1)
	v_trunc_f32_e32 v0, v0
	v_mul_f32_e64 v1, 0x2f800000, |v0|
	s_delay_alu instid0(VALU_DEP_1) | instskip(NEXT) | instid1(VALU_DEP_1)
	v_floor_f32_e32 v1, v1
	v_fma_f32 v4, 0xcf800000, v1, |v0|
	v_ashrrev_i32_e32 v0, 31, v0
	v_cvt_u32_f32_e32 v5, v1
	s_delay_alu instid0(VALU_DEP_3) | instskip(NEXT) | instid1(VALU_DEP_2)
	v_cvt_u32_f32_e32 v4, v4
	v_dual_mov_b32 v1, v0 :: v_dual_bitop2_b32 v5, v5, v0 bitop3:0x14
	s_delay_alu instid0(VALU_DEP_2) | instskip(NEXT) | instid1(VALU_DEP_1)
	v_xor_b32_e32 v4, v4, v0
	v_sub_nc_u64_e32 v[0:1], v[4:5], v[0:1]
	s_branch .LBB70_477
.LBB70_473:
	s_mov_b32 s24, -1
                                        ; implicit-def: $vgpr0_vgpr1
	s_branch .LBB70_478
.LBB70_474:
	s_and_not1_saveexec_b32 s22, s22
	s_cbranch_execz .LBB70_455
.LBB70_475:
	v_cmp_ne_u16_e32 vcc_lo, 0, v4
	s_and_not1_b32 s24, s24, exec_lo
	s_and_b32 s25, vcc_lo, exec_lo
	s_delay_alu instid0(SALU_CYCLE_1)
	s_or_b32 s24, s24, s25
	s_or_b32 exec_lo, exec_lo, s22
	v_mov_b64_e32 v[0:1], 0
	s_and_saveexec_b32 s22, s24
	s_cbranch_execnz .LBB70_456
	s_branch .LBB70_457
.LBB70_476:
	s_mov_b32 s20, -1
                                        ; implicit-def: $vgpr0_vgpr1
.LBB70_477:
	s_mov_b32 s24, 0
.LBB70_478:
	s_delay_alu instid0(SALU_CYCLE_1)
	s_and_b32 vcc_lo, exec_lo, s24
	s_cbranch_vccz .LBB70_482
; %bb.479:
	s_cmp_eq_u32 s21, 11
	s_cbranch_scc0 .LBB70_481
; %bb.480:
	s_wait_loadcnt 0x0
	global_load_u8 v0, v[2:3], off
	s_mov_b32 s20, 0
	s_mov_b32 s22, -1
	v_mov_b32_e32 v1, s20
	s_wait_loadcnt 0x0
	v_cmp_ne_u16_e32 vcc_lo, 0, v0
	v_cndmask_b32_e64 v0, 0, 1, vcc_lo
	s_branch .LBB70_482
.LBB70_481:
	s_mov_b32 s20, -1
                                        ; implicit-def: $vgpr0_vgpr1
.LBB70_482:
	s_branch .LBB70_401
.LBB70_483:
	s_and_b32 s0, 0xffff, s0
	s_delay_alu instid0(SALU_CYCLE_1)
	s_cmp_lt_i32 s0, 5
	s_cbranch_scc1 .LBB70_488
; %bb.484:
	s_cmp_lt_i32 s0, 8
	s_cbranch_scc1 .LBB70_489
; %bb.485:
	;; [unrolled: 3-line block ×3, first 2 shown]
	s_cmp_gt_i32 s0, 9
	s_cbranch_scc0 .LBB70_491
; %bb.487:
	s_wait_loadcnt 0x0
	global_load_b64 v[0:1], v[2:3], off
	s_mov_b32 s21, 0
	s_wait_loadcnt 0x0
	v_trunc_f64_e32 v[0:1], v[0:1]
	s_delay_alu instid0(VALU_DEP_1) | instskip(NEXT) | instid1(VALU_DEP_1)
	v_ldexp_f64 v[4:5], v[0:1], 0xffffffe0
	v_floor_f64_e32 v[4:5], v[4:5]
	s_delay_alu instid0(VALU_DEP_1) | instskip(SKIP_1) | instid1(VALU_DEP_2)
	v_fmamk_f64 v[6:7], v[4:5], 0xc1f00000, v[0:1]
	v_cvt_i32_f64_e32 v1, v[4:5]
	v_cvt_u32_f64_e32 v0, v[6:7]
	s_branch .LBB70_492
.LBB70_488:
	s_mov_b32 s21, -1
                                        ; implicit-def: $vgpr0_vgpr1
	s_branch .LBB70_510
.LBB70_489:
	s_mov_b32 s21, -1
                                        ; implicit-def: $vgpr0_vgpr1
	s_branch .LBB70_498
.LBB70_490:
	s_mov_b32 s21, -1
                                        ; implicit-def: $vgpr0_vgpr1
	s_branch .LBB70_495
.LBB70_491:
	s_mov_b32 s21, -1
                                        ; implicit-def: $vgpr0_vgpr1
.LBB70_492:
	s_delay_alu instid0(SALU_CYCLE_1)
	s_and_not1_b32 vcc_lo, exec_lo, s21
	s_cbranch_vccnz .LBB70_494
; %bb.493:
	s_wait_loadcnt 0x0
	global_load_b32 v0, v[2:3], off
	s_wait_loadcnt 0x0
	v_trunc_f32_e32 v0, v0
	s_delay_alu instid0(VALU_DEP_1) | instskip(NEXT) | instid1(VALU_DEP_1)
	v_mul_f32_e64 v1, 0x2f800000, |v0|
	v_floor_f32_e32 v1, v1
	s_delay_alu instid0(VALU_DEP_1) | instskip(SKIP_2) | instid1(VALU_DEP_3)
	v_fma_f32 v4, 0xcf800000, v1, |v0|
	v_ashrrev_i32_e32 v0, 31, v0
	v_cvt_u32_f32_e32 v5, v1
	v_cvt_u32_f32_e32 v4, v4
	s_delay_alu instid0(VALU_DEP_2) | instskip(NEXT) | instid1(VALU_DEP_2)
	v_dual_mov_b32 v1, v0 :: v_dual_bitop2_b32 v5, v5, v0 bitop3:0x14
	v_xor_b32_e32 v4, v4, v0
	s_delay_alu instid0(VALU_DEP_1)
	v_sub_nc_u64_e32 v[0:1], v[4:5], v[0:1]
.LBB70_494:
	s_mov_b32 s21, 0
.LBB70_495:
	s_delay_alu instid0(SALU_CYCLE_1)
	s_and_not1_b32 vcc_lo, exec_lo, s21
	s_cbranch_vccnz .LBB70_497
; %bb.496:
	s_wait_loadcnt 0x0
	global_load_b32 v0, v[2:3], off
	s_wait_loadcnt 0x0
	v_cvt_f32_f16_e32 v0, v0
	s_delay_alu instid0(VALU_DEP_1) | instskip(NEXT) | instid1(VALU_DEP_1)
	v_cvt_i32_f32_e32 v0, v0
	v_ashrrev_i32_e32 v1, 31, v0
.LBB70_497:
	s_mov_b32 s21, 0
.LBB70_498:
	s_delay_alu instid0(SALU_CYCLE_1)
	s_and_not1_b32 vcc_lo, exec_lo, s21
	s_cbranch_vccnz .LBB70_509
; %bb.499:
	s_cmp_lt_i32 s0, 6
	s_cbranch_scc1 .LBB70_502
; %bb.500:
	s_cmp_gt_i32 s0, 6
	s_cbranch_scc0 .LBB70_503
; %bb.501:
	s_wait_loadcnt 0x0
	global_load_b64 v[0:1], v[2:3], off
	s_mov_b32 s21, 0
	s_wait_loadcnt 0x0
	v_trunc_f64_e32 v[0:1], v[0:1]
	s_delay_alu instid0(VALU_DEP_1) | instskip(NEXT) | instid1(VALU_DEP_1)
	v_ldexp_f64 v[4:5], v[0:1], 0xffffffe0
	v_floor_f64_e32 v[4:5], v[4:5]
	s_delay_alu instid0(VALU_DEP_1) | instskip(SKIP_1) | instid1(VALU_DEP_2)
	v_fmamk_f64 v[6:7], v[4:5], 0xc1f00000, v[0:1]
	v_cvt_i32_f64_e32 v1, v[4:5]
	v_cvt_u32_f64_e32 v0, v[6:7]
	s_branch .LBB70_504
.LBB70_502:
	s_mov_b32 s21, -1
                                        ; implicit-def: $vgpr0_vgpr1
	s_branch .LBB70_507
.LBB70_503:
	s_mov_b32 s21, -1
                                        ; implicit-def: $vgpr0_vgpr1
.LBB70_504:
	s_delay_alu instid0(SALU_CYCLE_1)
	s_and_not1_b32 vcc_lo, exec_lo, s21
	s_cbranch_vccnz .LBB70_506
; %bb.505:
	s_wait_loadcnt 0x0
	global_load_b32 v0, v[2:3], off
	s_wait_loadcnt 0x0
	v_trunc_f32_e32 v0, v0
	s_delay_alu instid0(VALU_DEP_1) | instskip(NEXT) | instid1(VALU_DEP_1)
	v_mul_f32_e64 v1, 0x2f800000, |v0|
	v_floor_f32_e32 v1, v1
	s_delay_alu instid0(VALU_DEP_1) | instskip(SKIP_2) | instid1(VALU_DEP_3)
	v_fma_f32 v4, 0xcf800000, v1, |v0|
	v_ashrrev_i32_e32 v0, 31, v0
	v_cvt_u32_f32_e32 v5, v1
	v_cvt_u32_f32_e32 v4, v4
	s_delay_alu instid0(VALU_DEP_2) | instskip(NEXT) | instid1(VALU_DEP_2)
	v_dual_mov_b32 v1, v0 :: v_dual_bitop2_b32 v5, v5, v0 bitop3:0x14
	v_xor_b32_e32 v4, v4, v0
	s_delay_alu instid0(VALU_DEP_1)
	v_sub_nc_u64_e32 v[0:1], v[4:5], v[0:1]
.LBB70_506:
	s_mov_b32 s21, 0
.LBB70_507:
	s_delay_alu instid0(SALU_CYCLE_1)
	s_and_not1_b32 vcc_lo, exec_lo, s21
	s_cbranch_vccnz .LBB70_509
; %bb.508:
	s_wait_loadcnt 0x0
	global_load_u16 v0, v[2:3], off
	s_wait_loadcnt 0x0
	v_cvt_f32_f16_e32 v0, v0
	s_delay_alu instid0(VALU_DEP_1) | instskip(NEXT) | instid1(VALU_DEP_1)
	v_cvt_i32_f32_e32 v0, v0
	v_ashrrev_i32_e32 v1, 31, v0
.LBB70_509:
	s_mov_b32 s21, 0
.LBB70_510:
	s_delay_alu instid0(SALU_CYCLE_1)
	s_and_not1_b32 vcc_lo, exec_lo, s21
	s_cbranch_vccnz .LBB70_530
; %bb.511:
	s_cmp_lt_i32 s0, 2
	s_cbranch_scc1 .LBB70_515
; %bb.512:
	s_cmp_lt_i32 s0, 3
	s_cbranch_scc1 .LBB70_516
; %bb.513:
	s_cmp_gt_i32 s0, 3
	s_cbranch_scc0 .LBB70_517
; %bb.514:
	s_wait_loadcnt 0x0
	global_load_b64 v[0:1], v[2:3], off
	s_mov_b32 s21, 0
	s_branch .LBB70_518
.LBB70_515:
	s_mov_b32 s21, -1
                                        ; implicit-def: $vgpr0_vgpr1
	s_branch .LBB70_524
.LBB70_516:
	s_mov_b32 s21, -1
                                        ; implicit-def: $vgpr0_vgpr1
	s_branch .LBB70_521
.LBB70_517:
	s_mov_b32 s21, -1
                                        ; implicit-def: $vgpr0_vgpr1
.LBB70_518:
	s_delay_alu instid0(SALU_CYCLE_1)
	s_and_not1_b32 vcc_lo, exec_lo, s21
	s_cbranch_vccnz .LBB70_520
; %bb.519:
	s_wait_loadcnt 0x0
	global_load_b32 v0, v[2:3], off
	s_wait_loadcnt 0x0
	v_ashrrev_i32_e32 v1, 31, v0
.LBB70_520:
	s_mov_b32 s21, 0
.LBB70_521:
	s_delay_alu instid0(SALU_CYCLE_1)
	s_and_not1_b32 vcc_lo, exec_lo, s21
	s_cbranch_vccnz .LBB70_523
; %bb.522:
	s_wait_loadcnt 0x0
	global_load_u16 v0, v[2:3], off
	s_wait_loadcnt 0x0
	v_bfe_i32 v0, v0, 0, 16
	s_delay_alu instid0(VALU_DEP_1)
	v_ashrrev_i32_e32 v1, 31, v0
.LBB70_523:
	s_mov_b32 s21, 0
.LBB70_524:
	s_delay_alu instid0(SALU_CYCLE_1)
	s_and_not1_b32 vcc_lo, exec_lo, s21
	s_cbranch_vccnz .LBB70_530
; %bb.525:
	s_cmp_gt_i32 s0, 0
	s_mov_b32 s0, 0
	s_cbranch_scc0 .LBB70_527
; %bb.526:
	s_wait_loadcnt 0x0
	global_load_i8 v0, v[2:3], off
	s_wait_loadcnt 0x0
	v_bfe_i32 v0, v0, 0, 16
	s_delay_alu instid0(VALU_DEP_1)
	v_ashrrev_i32_e32 v1, 31, v0
	s_branch .LBB70_528
.LBB70_527:
	s_mov_b32 s0, -1
                                        ; implicit-def: $vgpr0_vgpr1
.LBB70_528:
	s_delay_alu instid0(SALU_CYCLE_1)
	s_and_not1_b32 vcc_lo, exec_lo, s0
	s_cbranch_vccnz .LBB70_530
; %bb.529:
	s_wait_loadcnt 0x0
	global_load_u8 v0, v[2:3], off
	s_mov_b32 s0, 0
	s_delay_alu instid0(SALU_CYCLE_1)
	v_mov_b32_e32 v1, s0
	s_wait_loadcnt 0x0
	v_and_b32_e32 v0, 0xffff, v0
.LBB70_530:
	s_branch .LBB70_402
.LBB70_531:
	s_mov_b32 s24, 0
	s_mov_b32 s0, s15
	;; [unrolled: 1-line block ×3, first 2 shown]
	s_branch .LBB70_785
.LBB70_532:
	s_and_not1_saveexec_b32 s24, s24
	s_cbranch_execz .LBB70_203
.LBB70_533:
	v_add_f32_e32 v2, 0x42800000, v3
	s_and_not1_b32 s23, s23, exec_lo
	s_delay_alu instid0(VALU_DEP_1) | instskip(NEXT) | instid1(VALU_DEP_1)
	v_and_b32_e32 v2, 0xff, v2
	v_cmp_ne_u32_e32 vcc_lo, 0, v2
	s_and_b32 s25, vcc_lo, exec_lo
	s_delay_alu instid0(SALU_CYCLE_1)
	s_or_b32 s23, s23, s25
	s_or_b32 exec_lo, exec_lo, s24
	v_mov_b32_e32 v6, 0
	s_and_saveexec_b32 s24, s23
	s_cbranch_execnz .LBB70_204
	s_branch .LBB70_205
.LBB70_534:
	s_mov_b32 s22, -1
	s_mov_b32 s24, 0
.LBB70_535:
                                        ; implicit-def: $vgpr2_vgpr3
.LBB70_536:
	s_and_b32 vcc_lo, exec_lo, s25
	s_cbranch_vccz .LBB70_540
; %bb.537:
	s_cmp_eq_u32 s21, 44
	s_cbranch_scc0 .LBB70_539
; %bb.538:
	global_load_u8 v8, v[4:5], off
	s_mov_b32 s22, 0
	s_mov_b32 s24, -1
	s_wait_loadcnt 0x0
	v_cmp_ne_u32_e32 vcc_lo, 0, v8
	v_lshlrev_b32_e32 v2, 23, v8
	s_delay_alu instid0(VALU_DEP_1) | instskip(NEXT) | instid1(VALU_DEP_1)
	v_trunc_f32_e32 v2, v2
	v_mul_f32_e64 v3, 0x2f800000, |v2|
	s_delay_alu instid0(VALU_DEP_1) | instskip(NEXT) | instid1(VALU_DEP_1)
	v_floor_f32_e32 v3, v3
	v_fma_f32 v6, 0xcf800000, v3, |v2|
	v_ashrrev_i32_e32 v2, 31, v2
	v_cvt_u32_f32_e32 v7, v3
	s_delay_alu instid0(VALU_DEP_3) | instskip(NEXT) | instid1(VALU_DEP_2)
	v_cvt_u32_f32_e32 v6, v6
	v_dual_mov_b32 v3, v2 :: v_dual_bitop2_b32 v7, v7, v2 bitop3:0x14
	s_delay_alu instid0(VALU_DEP_2) | instskip(NEXT) | instid1(VALU_DEP_1)
	v_xor_b32_e32 v6, v6, v2
	v_sub_nc_u64_e32 v[2:3], v[6:7], v[2:3]
	s_delay_alu instid0(VALU_DEP_1)
	v_dual_cndmask_b32 v3, 0, v3 :: v_dual_cndmask_b32 v2, 0, v2
	s_branch .LBB70_540
.LBB70_539:
	s_mov_b32 s22, -1
                                        ; implicit-def: $vgpr2_vgpr3
.LBB70_540:
	s_mov_b32 s25, 0
.LBB70_541:
	s_delay_alu instid0(SALU_CYCLE_1)
	s_and_b32 vcc_lo, exec_lo, s25
	s_cbranch_vccz .LBB70_545
; %bb.542:
	s_cmp_eq_u32 s21, 29
	s_cbranch_scc0 .LBB70_544
; %bb.543:
	global_load_b64 v[2:3], v[4:5], off
	s_mov_b32 s24, -1
	s_mov_b32 s22, 0
	s_branch .LBB70_545
.LBB70_544:
	s_mov_b32 s22, -1
                                        ; implicit-def: $vgpr2_vgpr3
.LBB70_545:
	s_mov_b32 s25, 0
.LBB70_546:
	s_delay_alu instid0(SALU_CYCLE_1)
	s_and_b32 vcc_lo, exec_lo, s25
	s_cbranch_vccz .LBB70_562
; %bb.547:
	s_cmp_lt_i32 s21, 27
	s_cbranch_scc1 .LBB70_550
; %bb.548:
	s_cmp_gt_i32 s21, 27
	s_cbranch_scc0 .LBB70_551
; %bb.549:
	s_wait_loadcnt 0x0
	global_load_b32 v2, v[4:5], off
	v_mov_b32_e32 v3, 0
	s_mov_b32 s24, 0
	s_branch .LBB70_552
.LBB70_550:
	s_mov_b32 s24, -1
                                        ; implicit-def: $vgpr2_vgpr3
	s_branch .LBB70_555
.LBB70_551:
	s_mov_b32 s24, -1
                                        ; implicit-def: $vgpr2_vgpr3
.LBB70_552:
	s_delay_alu instid0(SALU_CYCLE_1)
	s_and_not1_b32 vcc_lo, exec_lo, s24
	s_cbranch_vccnz .LBB70_554
; %bb.553:
	s_wait_loadcnt 0x0
	global_load_u16 v2, v[4:5], off
	s_mov_b32 s24, 0
	s_delay_alu instid0(SALU_CYCLE_1)
	v_mov_b32_e32 v3, s24
	s_wait_loadcnt 0x0
	v_and_b32_e32 v2, 0xffff, v2
.LBB70_554:
	s_mov_b32 s24, 0
.LBB70_555:
	s_delay_alu instid0(SALU_CYCLE_1)
	s_and_not1_b32 vcc_lo, exec_lo, s24
	s_cbranch_vccnz .LBB70_561
; %bb.556:
	global_load_u8 v6, v[4:5], off
	s_mov_b32 s25, 0
	s_mov_b32 s24, exec_lo
	s_wait_loadcnt 0x0
	v_cmpx_lt_i16_e32 0x7f, v6
	s_xor_b32 s24, exec_lo, s24
	s_cbranch_execz .LBB70_573
; %bb.557:
	v_cmp_ne_u16_e32 vcc_lo, 0x80, v6
	s_and_b32 s25, vcc_lo, exec_lo
	s_and_not1_saveexec_b32 s24, s24
	s_cbranch_execnz .LBB70_574
.LBB70_558:
	s_or_b32 exec_lo, exec_lo, s24
	v_mov_b64_e32 v[2:3], 0
	s_and_saveexec_b32 s24, s25
	s_cbranch_execz .LBB70_560
.LBB70_559:
	v_and_b32_e32 v2, 0xffff, v6
	s_delay_alu instid0(VALU_DEP_1) | instskip(SKIP_1) | instid1(VALU_DEP_2)
	v_and_b32_e32 v3, 7, v2
	v_bfe_u32 v9, v2, 3, 4
	v_clz_i32_u32_e32 v7, v3
	s_delay_alu instid0(VALU_DEP_2) | instskip(NEXT) | instid1(VALU_DEP_2)
	v_cmp_eq_u32_e32 vcc_lo, 0, v9
	v_min_u32_e32 v7, 32, v7
	s_delay_alu instid0(VALU_DEP_1) | instskip(NEXT) | instid1(VALU_DEP_1)
	v_subrev_nc_u32_e32 v8, 28, v7
	v_dual_lshlrev_b32 v2, v8, v2 :: v_dual_sub_nc_u32 v7, 29, v7
	s_delay_alu instid0(VALU_DEP_1) | instskip(NEXT) | instid1(VALU_DEP_2)
	v_and_b32_e32 v2, 7, v2
	v_dual_cndmask_b32 v7, v9, v7 :: v_dual_lshlrev_b32 v6, 24, v6
	s_delay_alu instid0(VALU_DEP_2) | instskip(NEXT) | instid1(VALU_DEP_2)
	v_cndmask_b32_e32 v2, v3, v2, vcc_lo
	v_and_b32_e32 v3, 0x80000000, v6
	s_delay_alu instid0(VALU_DEP_3) | instskip(NEXT) | instid1(VALU_DEP_3)
	v_lshl_add_u32 v6, v7, 23, 0x3b800000
	v_lshlrev_b32_e32 v2, 20, v2
	s_delay_alu instid0(VALU_DEP_1) | instskip(NEXT) | instid1(VALU_DEP_1)
	v_or3_b32 v2, v3, v6, v2
	v_trunc_f32_e32 v2, v2
	s_delay_alu instid0(VALU_DEP_1) | instskip(NEXT) | instid1(VALU_DEP_1)
	v_mul_f32_e64 v3, 0x2f800000, |v2|
	v_floor_f32_e32 v3, v3
	s_delay_alu instid0(VALU_DEP_1) | instskip(SKIP_2) | instid1(VALU_DEP_3)
	v_fma_f32 v6, 0xcf800000, v3, |v2|
	v_ashrrev_i32_e32 v2, 31, v2
	v_cvt_u32_f32_e32 v7, v3
	v_cvt_u32_f32_e32 v6, v6
	s_delay_alu instid0(VALU_DEP_2) | instskip(NEXT) | instid1(VALU_DEP_2)
	v_dual_mov_b32 v3, v2 :: v_dual_bitop2_b32 v7, v7, v2 bitop3:0x14
	v_xor_b32_e32 v6, v6, v2
	s_delay_alu instid0(VALU_DEP_1)
	v_sub_nc_u64_e32 v[2:3], v[6:7], v[2:3]
.LBB70_560:
	s_or_b32 exec_lo, exec_lo, s24
.LBB70_561:
	s_mov_b32 s24, -1
.LBB70_562:
	s_mov_b32 s25, 0
.LBB70_563:
	s_delay_alu instid0(SALU_CYCLE_1)
	s_and_b32 vcc_lo, exec_lo, s25
	s_cbranch_vccz .LBB70_596
; %bb.564:
	s_cmp_gt_i32 s21, 22
	s_cbranch_scc0 .LBB70_572
; %bb.565:
	s_cmp_lt_i32 s21, 24
	s_cbranch_scc1 .LBB70_575
; %bb.566:
	s_cmp_gt_i32 s21, 24
	s_cbranch_scc0 .LBB70_576
; %bb.567:
	global_load_u8 v6, v[4:5], off
	s_mov_b32 s25, 0
	s_mov_b32 s24, exec_lo
	s_wait_loadcnt 0x0
	v_cmpx_lt_i16_e32 0x7f, v6
	s_xor_b32 s24, exec_lo, s24
	s_cbranch_execz .LBB70_588
; %bb.568:
	v_cmp_ne_u16_e32 vcc_lo, 0x80, v6
	s_and_b32 s25, vcc_lo, exec_lo
	s_and_not1_saveexec_b32 s24, s24
	s_cbranch_execnz .LBB70_589
.LBB70_569:
	s_or_b32 exec_lo, exec_lo, s24
	v_mov_b64_e32 v[2:3], 0
	s_and_saveexec_b32 s24, s25
	s_cbranch_execz .LBB70_571
.LBB70_570:
	v_and_b32_e32 v2, 0xffff, v6
	s_delay_alu instid0(VALU_DEP_1) | instskip(SKIP_1) | instid1(VALU_DEP_2)
	v_and_b32_e32 v3, 3, v2
	v_bfe_u32 v9, v2, 2, 5
	v_clz_i32_u32_e32 v7, v3
	s_delay_alu instid0(VALU_DEP_2) | instskip(NEXT) | instid1(VALU_DEP_2)
	v_cmp_eq_u32_e32 vcc_lo, 0, v9
	v_min_u32_e32 v7, 32, v7
	s_delay_alu instid0(VALU_DEP_1) | instskip(NEXT) | instid1(VALU_DEP_1)
	v_subrev_nc_u32_e32 v8, 29, v7
	v_dual_lshlrev_b32 v2, v8, v2 :: v_dual_sub_nc_u32 v7, 30, v7
	s_delay_alu instid0(VALU_DEP_1) | instskip(NEXT) | instid1(VALU_DEP_2)
	v_and_b32_e32 v2, 3, v2
	v_dual_cndmask_b32 v7, v9, v7 :: v_dual_lshlrev_b32 v6, 24, v6
	s_delay_alu instid0(VALU_DEP_2) | instskip(NEXT) | instid1(VALU_DEP_2)
	v_cndmask_b32_e32 v2, v3, v2, vcc_lo
	v_and_b32_e32 v3, 0x80000000, v6
	s_delay_alu instid0(VALU_DEP_3) | instskip(NEXT) | instid1(VALU_DEP_3)
	v_lshl_add_u32 v6, v7, 23, 0x37800000
	v_lshlrev_b32_e32 v2, 21, v2
	s_delay_alu instid0(VALU_DEP_1) | instskip(NEXT) | instid1(VALU_DEP_1)
	v_or3_b32 v2, v3, v6, v2
	v_trunc_f32_e32 v2, v2
	s_delay_alu instid0(VALU_DEP_1) | instskip(NEXT) | instid1(VALU_DEP_1)
	v_mul_f32_e64 v3, 0x2f800000, |v2|
	v_floor_f32_e32 v3, v3
	s_delay_alu instid0(VALU_DEP_1) | instskip(SKIP_2) | instid1(VALU_DEP_3)
	v_fma_f32 v6, 0xcf800000, v3, |v2|
	v_ashrrev_i32_e32 v2, 31, v2
	v_cvt_u32_f32_e32 v7, v3
	v_cvt_u32_f32_e32 v6, v6
	s_delay_alu instid0(VALU_DEP_2) | instskip(NEXT) | instid1(VALU_DEP_2)
	v_dual_mov_b32 v3, v2 :: v_dual_bitop2_b32 v7, v7, v2 bitop3:0x14
	v_xor_b32_e32 v6, v6, v2
	s_delay_alu instid0(VALU_DEP_1)
	v_sub_nc_u64_e32 v[2:3], v[6:7], v[2:3]
.LBB70_571:
	s_or_b32 exec_lo, exec_lo, s24
	s_mov_b32 s24, 0
	s_branch .LBB70_577
.LBB70_572:
	s_mov_b32 s25, -1
                                        ; implicit-def: $vgpr2_vgpr3
	s_branch .LBB70_583
.LBB70_573:
	s_and_not1_saveexec_b32 s24, s24
	s_cbranch_execz .LBB70_558
.LBB70_574:
	v_cmp_ne_u16_e32 vcc_lo, 0, v6
	s_and_not1_b32 s25, s25, exec_lo
	s_and_b32 s26, vcc_lo, exec_lo
	s_delay_alu instid0(SALU_CYCLE_1)
	s_or_b32 s25, s25, s26
	s_or_b32 exec_lo, exec_lo, s24
	v_mov_b64_e32 v[2:3], 0
	s_and_saveexec_b32 s24, s25
	s_cbranch_execnz .LBB70_559
	s_branch .LBB70_560
.LBB70_575:
	s_mov_b32 s24, -1
                                        ; implicit-def: $vgpr2_vgpr3
	s_branch .LBB70_580
.LBB70_576:
	s_mov_b32 s24, -1
                                        ; implicit-def: $vgpr2_vgpr3
.LBB70_577:
	s_delay_alu instid0(SALU_CYCLE_1)
	s_and_b32 vcc_lo, exec_lo, s24
	s_cbranch_vccz .LBB70_579
; %bb.578:
	s_wait_loadcnt 0x0
	global_load_u8 v2, v[4:5], off
	s_wait_loadcnt 0x0
	v_lshlrev_b32_e32 v2, 24, v2
	s_delay_alu instid0(VALU_DEP_1) | instskip(NEXT) | instid1(VALU_DEP_1)
	v_and_b32_e32 v3, 0x7f000000, v2
	v_clz_i32_u32_e32 v6, v3
	v_cmp_ne_u32_e32 vcc_lo, 0, v3
	v_add_nc_u32_e32 v8, 0x1000000, v3
	s_delay_alu instid0(VALU_DEP_3) | instskip(NEXT) | instid1(VALU_DEP_1)
	v_min_u32_e32 v6, 32, v6
	v_sub_nc_u32_e64 v6, v6, 4 clamp
	s_delay_alu instid0(VALU_DEP_1) | instskip(NEXT) | instid1(VALU_DEP_1)
	v_dual_lshlrev_b32 v7, v6, v3 :: v_dual_lshlrev_b32 v6, 23, v6
	v_lshrrev_b32_e32 v7, 4, v7
	s_delay_alu instid0(VALU_DEP_1) | instskip(NEXT) | instid1(VALU_DEP_1)
	v_dual_sub_nc_u32 v6, v7, v6 :: v_dual_ashrrev_i32 v7, 8, v8
	v_add_nc_u32_e32 v6, 0x3c000000, v6
	s_delay_alu instid0(VALU_DEP_1) | instskip(NEXT) | instid1(VALU_DEP_1)
	v_and_or_b32 v6, 0x7f800000, v7, v6
	v_cndmask_b32_e32 v3, 0, v6, vcc_lo
	s_delay_alu instid0(VALU_DEP_1) | instskip(NEXT) | instid1(VALU_DEP_1)
	v_and_or_b32 v2, 0x80000000, v2, v3
	v_trunc_f32_e32 v2, v2
	s_delay_alu instid0(VALU_DEP_1) | instskip(NEXT) | instid1(VALU_DEP_1)
	v_mul_f32_e64 v3, 0x2f800000, |v2|
	v_floor_f32_e32 v3, v3
	s_delay_alu instid0(VALU_DEP_1) | instskip(SKIP_2) | instid1(VALU_DEP_3)
	v_fma_f32 v6, 0xcf800000, v3, |v2|
	v_ashrrev_i32_e32 v2, 31, v2
	v_cvt_u32_f32_e32 v7, v3
	v_cvt_u32_f32_e32 v6, v6
	s_delay_alu instid0(VALU_DEP_2) | instskip(NEXT) | instid1(VALU_DEP_2)
	v_dual_mov_b32 v3, v2 :: v_dual_bitop2_b32 v7, v7, v2 bitop3:0x14
	v_xor_b32_e32 v6, v6, v2
	s_delay_alu instid0(VALU_DEP_1)
	v_sub_nc_u64_e32 v[2:3], v[6:7], v[2:3]
.LBB70_579:
	s_mov_b32 s24, 0
.LBB70_580:
	s_delay_alu instid0(SALU_CYCLE_1)
	s_and_not1_b32 vcc_lo, exec_lo, s24
	s_cbranch_vccnz .LBB70_582
; %bb.581:
	s_wait_loadcnt 0x0
	global_load_u8 v2, v[4:5], off
	s_wait_loadcnt 0x0
	v_lshlrev_b32_e32 v3, 25, v2
	v_lshlrev_b16 v2, 8, v2
	s_delay_alu instid0(VALU_DEP_1) | instskip(SKIP_1) | instid1(VALU_DEP_2)
	v_and_or_b32 v7, 0x7f00, v2, 0.5
	v_bfe_i32 v2, v2, 0, 16
	v_add_f32_e32 v7, -0.5, v7
	v_lshrrev_b32_e32 v6, 4, v3
	v_cmp_gt_u32_e32 vcc_lo, 0x8000000, v3
	s_delay_alu instid0(VALU_DEP_2) | instskip(NEXT) | instid1(VALU_DEP_1)
	v_or_b32_e32 v6, 0x70000000, v6
	v_mul_f32_e32 v6, 0x7800000, v6
	s_delay_alu instid0(VALU_DEP_1) | instskip(NEXT) | instid1(VALU_DEP_1)
	v_cndmask_b32_e32 v3, v6, v7, vcc_lo
	v_and_or_b32 v2, 0x80000000, v2, v3
	s_delay_alu instid0(VALU_DEP_1) | instskip(NEXT) | instid1(VALU_DEP_1)
	v_trunc_f32_e32 v2, v2
	v_mul_f32_e64 v3, 0x2f800000, |v2|
	s_delay_alu instid0(VALU_DEP_1) | instskip(NEXT) | instid1(VALU_DEP_1)
	v_floor_f32_e32 v3, v3
	v_fma_f32 v6, 0xcf800000, v3, |v2|
	v_ashrrev_i32_e32 v2, 31, v2
	v_cvt_u32_f32_e32 v7, v3
	s_delay_alu instid0(VALU_DEP_3) | instskip(NEXT) | instid1(VALU_DEP_2)
	v_cvt_u32_f32_e32 v6, v6
	v_dual_mov_b32 v3, v2 :: v_dual_bitop2_b32 v7, v7, v2 bitop3:0x14
	s_delay_alu instid0(VALU_DEP_2) | instskip(NEXT) | instid1(VALU_DEP_1)
	v_xor_b32_e32 v6, v6, v2
	v_sub_nc_u64_e32 v[2:3], v[6:7], v[2:3]
.LBB70_582:
	s_mov_b32 s25, 0
	s_mov_b32 s24, -1
.LBB70_583:
	s_and_not1_b32 vcc_lo, exec_lo, s25
	s_cbranch_vccnz .LBB70_596
; %bb.584:
	s_cmp_gt_i32 s21, 14
	s_cbranch_scc0 .LBB70_587
; %bb.585:
	s_cmp_eq_u32 s21, 15
	s_cbranch_scc0 .LBB70_590
; %bb.586:
	s_wait_loadcnt 0x0
	global_load_u16 v2, v[4:5], off
	s_mov_b32 s24, -1
	s_mov_b32 s22, 0
	s_wait_loadcnt 0x0
	v_lshlrev_b32_e32 v2, 16, v2
	s_delay_alu instid0(VALU_DEP_1) | instskip(NEXT) | instid1(VALU_DEP_1)
	v_trunc_f32_e32 v2, v2
	v_mul_f32_e64 v3, 0x2f800000, |v2|
	s_delay_alu instid0(VALU_DEP_1) | instskip(NEXT) | instid1(VALU_DEP_1)
	v_floor_f32_e32 v3, v3
	v_fma_f32 v6, 0xcf800000, v3, |v2|
	v_ashrrev_i32_e32 v2, 31, v2
	v_cvt_u32_f32_e32 v7, v3
	s_delay_alu instid0(VALU_DEP_3) | instskip(NEXT) | instid1(VALU_DEP_2)
	v_cvt_u32_f32_e32 v6, v6
	v_dual_mov_b32 v3, v2 :: v_dual_bitop2_b32 v7, v7, v2 bitop3:0x14
	s_delay_alu instid0(VALU_DEP_2) | instskip(NEXT) | instid1(VALU_DEP_1)
	v_xor_b32_e32 v6, v6, v2
	v_sub_nc_u64_e32 v[2:3], v[6:7], v[2:3]
	s_branch .LBB70_591
.LBB70_587:
	s_mov_b32 s25, -1
                                        ; implicit-def: $vgpr2_vgpr3
	s_branch .LBB70_592
.LBB70_588:
	s_and_not1_saveexec_b32 s24, s24
	s_cbranch_execz .LBB70_569
.LBB70_589:
	v_cmp_ne_u16_e32 vcc_lo, 0, v6
	s_and_not1_b32 s25, s25, exec_lo
	s_and_b32 s26, vcc_lo, exec_lo
	s_delay_alu instid0(SALU_CYCLE_1)
	s_or_b32 s25, s25, s26
	s_or_b32 exec_lo, exec_lo, s24
	v_mov_b64_e32 v[2:3], 0
	s_and_saveexec_b32 s24, s25
	s_cbranch_execnz .LBB70_570
	s_branch .LBB70_571
.LBB70_590:
	s_mov_b32 s22, -1
                                        ; implicit-def: $vgpr2_vgpr3
.LBB70_591:
	s_mov_b32 s25, 0
.LBB70_592:
	s_delay_alu instid0(SALU_CYCLE_1)
	s_and_b32 vcc_lo, exec_lo, s25
	s_cbranch_vccz .LBB70_596
; %bb.593:
	s_cmp_eq_u32 s21, 11
	s_cbranch_scc0 .LBB70_595
; %bb.594:
	s_wait_loadcnt 0x0
	global_load_u8 v2, v[4:5], off
	s_mov_b32 s22, 0
	s_mov_b32 s24, -1
	v_mov_b32_e32 v3, s22
	s_wait_loadcnt 0x0
	v_cmp_ne_u16_e32 vcc_lo, 0, v2
	v_cndmask_b32_e64 v2, 0, 1, vcc_lo
	s_branch .LBB70_596
.LBB70_595:
	s_mov_b32 s22, -1
                                        ; implicit-def: $vgpr2_vgpr3
.LBB70_596:
	s_mov_b32 s21, 0
.LBB70_597:
	s_delay_alu instid0(SALU_CYCLE_1)
	s_and_b32 vcc_lo, exec_lo, s21
	s_cbranch_vccz .LBB70_646
; %bb.598:
	s_and_b32 s0, 0xffff, s0
	s_delay_alu instid0(SALU_CYCLE_1)
	s_cmp_lt_i32 s0, 5
	s_cbranch_scc1 .LBB70_603
; %bb.599:
	s_cmp_lt_i32 s0, 8
	s_cbranch_scc1 .LBB70_604
; %bb.600:
	;; [unrolled: 3-line block ×3, first 2 shown]
	s_cmp_gt_i32 s0, 9
	s_cbranch_scc0 .LBB70_606
; %bb.602:
	s_wait_loadcnt 0x0
	global_load_b64 v[2:3], v[4:5], off
	s_mov_b32 s21, 0
	s_wait_loadcnt 0x0
	v_trunc_f64_e32 v[2:3], v[2:3]
	s_delay_alu instid0(VALU_DEP_1) | instskip(NEXT) | instid1(VALU_DEP_1)
	v_ldexp_f64 v[6:7], v[2:3], 0xffffffe0
	v_floor_f64_e32 v[6:7], v[6:7]
	s_delay_alu instid0(VALU_DEP_1) | instskip(SKIP_1) | instid1(VALU_DEP_2)
	v_fmamk_f64 v[8:9], v[6:7], 0xc1f00000, v[2:3]
	v_cvt_i32_f64_e32 v3, v[6:7]
	v_cvt_u32_f64_e32 v2, v[8:9]
	s_branch .LBB70_607
.LBB70_603:
	s_mov_b32 s21, -1
                                        ; implicit-def: $vgpr2_vgpr3
	s_branch .LBB70_625
.LBB70_604:
	s_mov_b32 s21, -1
                                        ; implicit-def: $vgpr2_vgpr3
	s_branch .LBB70_613
.LBB70_605:
	s_mov_b32 s21, -1
                                        ; implicit-def: $vgpr2_vgpr3
	s_branch .LBB70_610
.LBB70_606:
	s_mov_b32 s21, -1
                                        ; implicit-def: $vgpr2_vgpr3
.LBB70_607:
	s_delay_alu instid0(SALU_CYCLE_1)
	s_and_not1_b32 vcc_lo, exec_lo, s21
	s_cbranch_vccnz .LBB70_609
; %bb.608:
	s_wait_loadcnt 0x0
	global_load_b32 v2, v[4:5], off
	s_wait_loadcnt 0x0
	v_trunc_f32_e32 v2, v2
	s_delay_alu instid0(VALU_DEP_1) | instskip(NEXT) | instid1(VALU_DEP_1)
	v_mul_f32_e64 v3, 0x2f800000, |v2|
	v_floor_f32_e32 v3, v3
	s_delay_alu instid0(VALU_DEP_1) | instskip(SKIP_2) | instid1(VALU_DEP_3)
	v_fma_f32 v6, 0xcf800000, v3, |v2|
	v_ashrrev_i32_e32 v2, 31, v2
	v_cvt_u32_f32_e32 v7, v3
	v_cvt_u32_f32_e32 v6, v6
	s_delay_alu instid0(VALU_DEP_2) | instskip(NEXT) | instid1(VALU_DEP_2)
	v_dual_mov_b32 v3, v2 :: v_dual_bitop2_b32 v7, v7, v2 bitop3:0x14
	v_xor_b32_e32 v6, v6, v2
	s_delay_alu instid0(VALU_DEP_1)
	v_sub_nc_u64_e32 v[2:3], v[6:7], v[2:3]
.LBB70_609:
	s_mov_b32 s21, 0
.LBB70_610:
	s_delay_alu instid0(SALU_CYCLE_1)
	s_and_not1_b32 vcc_lo, exec_lo, s21
	s_cbranch_vccnz .LBB70_612
; %bb.611:
	s_wait_loadcnt 0x0
	global_load_b32 v2, v[4:5], off
	s_wait_loadcnt 0x0
	v_cvt_f32_f16_e32 v2, v2
	s_delay_alu instid0(VALU_DEP_1) | instskip(NEXT) | instid1(VALU_DEP_1)
	v_cvt_i32_f32_e32 v2, v2
	v_ashrrev_i32_e32 v3, 31, v2
.LBB70_612:
	s_mov_b32 s21, 0
.LBB70_613:
	s_delay_alu instid0(SALU_CYCLE_1)
	s_and_not1_b32 vcc_lo, exec_lo, s21
	s_cbranch_vccnz .LBB70_624
; %bb.614:
	s_cmp_lt_i32 s0, 6
	s_cbranch_scc1 .LBB70_617
; %bb.615:
	s_cmp_gt_i32 s0, 6
	s_cbranch_scc0 .LBB70_618
; %bb.616:
	s_wait_loadcnt 0x0
	global_load_b64 v[2:3], v[4:5], off
	s_mov_b32 s21, 0
	s_wait_loadcnt 0x0
	v_trunc_f64_e32 v[2:3], v[2:3]
	s_delay_alu instid0(VALU_DEP_1) | instskip(NEXT) | instid1(VALU_DEP_1)
	v_ldexp_f64 v[6:7], v[2:3], 0xffffffe0
	v_floor_f64_e32 v[6:7], v[6:7]
	s_delay_alu instid0(VALU_DEP_1) | instskip(SKIP_1) | instid1(VALU_DEP_2)
	v_fmamk_f64 v[8:9], v[6:7], 0xc1f00000, v[2:3]
	v_cvt_i32_f64_e32 v3, v[6:7]
	v_cvt_u32_f64_e32 v2, v[8:9]
	s_branch .LBB70_619
.LBB70_617:
	s_mov_b32 s21, -1
                                        ; implicit-def: $vgpr2_vgpr3
	s_branch .LBB70_622
.LBB70_618:
	s_mov_b32 s21, -1
                                        ; implicit-def: $vgpr2_vgpr3
.LBB70_619:
	s_delay_alu instid0(SALU_CYCLE_1)
	s_and_not1_b32 vcc_lo, exec_lo, s21
	s_cbranch_vccnz .LBB70_621
; %bb.620:
	s_wait_loadcnt 0x0
	global_load_b32 v2, v[4:5], off
	s_wait_loadcnt 0x0
	v_trunc_f32_e32 v2, v2
	s_delay_alu instid0(VALU_DEP_1) | instskip(NEXT) | instid1(VALU_DEP_1)
	v_mul_f32_e64 v3, 0x2f800000, |v2|
	v_floor_f32_e32 v3, v3
	s_delay_alu instid0(VALU_DEP_1) | instskip(SKIP_2) | instid1(VALU_DEP_3)
	v_fma_f32 v6, 0xcf800000, v3, |v2|
	v_ashrrev_i32_e32 v2, 31, v2
	v_cvt_u32_f32_e32 v7, v3
	v_cvt_u32_f32_e32 v6, v6
	s_delay_alu instid0(VALU_DEP_2) | instskip(NEXT) | instid1(VALU_DEP_2)
	v_dual_mov_b32 v3, v2 :: v_dual_bitop2_b32 v7, v7, v2 bitop3:0x14
	v_xor_b32_e32 v6, v6, v2
	s_delay_alu instid0(VALU_DEP_1)
	v_sub_nc_u64_e32 v[2:3], v[6:7], v[2:3]
.LBB70_621:
	s_mov_b32 s21, 0
.LBB70_622:
	s_delay_alu instid0(SALU_CYCLE_1)
	s_and_not1_b32 vcc_lo, exec_lo, s21
	s_cbranch_vccnz .LBB70_624
; %bb.623:
	s_wait_loadcnt 0x0
	global_load_u16 v2, v[4:5], off
	s_wait_loadcnt 0x0
	v_cvt_f32_f16_e32 v2, v2
	s_delay_alu instid0(VALU_DEP_1) | instskip(NEXT) | instid1(VALU_DEP_1)
	v_cvt_i32_f32_e32 v2, v2
	v_ashrrev_i32_e32 v3, 31, v2
.LBB70_624:
	s_mov_b32 s21, 0
.LBB70_625:
	s_delay_alu instid0(SALU_CYCLE_1)
	s_and_not1_b32 vcc_lo, exec_lo, s21
	s_cbranch_vccnz .LBB70_645
; %bb.626:
	s_cmp_lt_i32 s0, 2
	s_cbranch_scc1 .LBB70_630
; %bb.627:
	s_cmp_lt_i32 s0, 3
	s_cbranch_scc1 .LBB70_631
; %bb.628:
	s_cmp_gt_i32 s0, 3
	s_cbranch_scc0 .LBB70_632
; %bb.629:
	s_wait_loadcnt 0x0
	global_load_b64 v[2:3], v[4:5], off
	s_mov_b32 s21, 0
	s_branch .LBB70_633
.LBB70_630:
	s_mov_b32 s21, -1
                                        ; implicit-def: $vgpr2_vgpr3
	s_branch .LBB70_639
.LBB70_631:
	s_mov_b32 s21, -1
                                        ; implicit-def: $vgpr2_vgpr3
	s_branch .LBB70_636
.LBB70_632:
	s_mov_b32 s21, -1
                                        ; implicit-def: $vgpr2_vgpr3
.LBB70_633:
	s_delay_alu instid0(SALU_CYCLE_1)
	s_and_not1_b32 vcc_lo, exec_lo, s21
	s_cbranch_vccnz .LBB70_635
; %bb.634:
	s_wait_loadcnt 0x0
	global_load_b32 v2, v[4:5], off
	s_wait_loadcnt 0x0
	v_ashrrev_i32_e32 v3, 31, v2
.LBB70_635:
	s_mov_b32 s21, 0
.LBB70_636:
	s_delay_alu instid0(SALU_CYCLE_1)
	s_and_not1_b32 vcc_lo, exec_lo, s21
	s_cbranch_vccnz .LBB70_638
; %bb.637:
	s_wait_loadcnt 0x0
	global_load_u16 v2, v[4:5], off
	s_wait_loadcnt 0x0
	v_bfe_i32 v2, v2, 0, 16
	s_delay_alu instid0(VALU_DEP_1)
	v_ashrrev_i32_e32 v3, 31, v2
.LBB70_638:
	s_mov_b32 s21, 0
.LBB70_639:
	s_delay_alu instid0(SALU_CYCLE_1)
	s_and_not1_b32 vcc_lo, exec_lo, s21
	s_cbranch_vccnz .LBB70_645
; %bb.640:
	s_cmp_gt_i32 s0, 0
	s_mov_b32 s0, 0
	s_cbranch_scc0 .LBB70_642
; %bb.641:
	s_wait_loadcnt 0x0
	global_load_i8 v2, v[4:5], off
	s_wait_loadcnt 0x0
	v_bfe_i32 v2, v2, 0, 16
	s_delay_alu instid0(VALU_DEP_1)
	v_ashrrev_i32_e32 v3, 31, v2
	s_branch .LBB70_643
.LBB70_642:
	s_mov_b32 s0, -1
                                        ; implicit-def: $vgpr2_vgpr3
.LBB70_643:
	s_delay_alu instid0(SALU_CYCLE_1)
	s_and_not1_b32 vcc_lo, exec_lo, s0
	s_cbranch_vccnz .LBB70_645
; %bb.644:
	s_wait_loadcnt 0x0
	global_load_u8 v2, v[4:5], off
	s_mov_b32 s0, 0
	s_delay_alu instid0(SALU_CYCLE_1)
	v_mov_b32_e32 v3, s0
	s_wait_loadcnt 0x0
	v_and_b32_e32 v2, 0xffff, v2
.LBB70_645:
	s_mov_b32 s24, -1
.LBB70_646:
	s_delay_alu instid0(SALU_CYCLE_1)
	s_and_not1_b32 vcc_lo, exec_lo, s24
	s_cbranch_vccnz .LBB70_654
; %bb.647:
	s_wait_loadcnt 0x0
	s_delay_alu instid0(VALU_DEP_1) | instskip(SKIP_1) | instid1(VALU_DEP_1)
	v_sub_nc_u64_e32 v[4:5], 0, v[2:3]
	s_mov_b32 s21, exec_lo
	v_max_i64 v[6:7], v[2:3], v[4:5]
	v_cmpx_ne_u64_e32 0, v[0:1]
	s_cbranch_execz .LBB70_656
; %bb.648:
	v_sub_nc_u64_e32 v[4:5], 0, v[0:1]
	s_mov_b32 s24, 0
	s_delay_alu instid0(VALU_DEP_1)
	v_max_i64 v[10:11], v[0:1], v[4:5]
	v_mov_b32_e32 v4, 0
	s_branch .LBB70_650
.LBB70_649:                             ;   in Loop: Header=BB70_650 Depth=1
	s_or_b32 exec_lo, exec_lo, s0
	s_delay_alu instid0(VALU_DEP_1) | instskip(SKIP_2) | instid1(SALU_CYCLE_1)
	v_cmp_eq_u64_e32 vcc_lo, 0, v[10:11]
	v_mov_b64_e32 v[6:7], v[8:9]
	s_or_b32 s24, vcc_lo, s24
	s_and_not1_b32 exec_lo, exec_lo, s24
	s_cbranch_execz .LBB70_655
.LBB70_650:                             ; =>This Inner Loop Header: Depth=1
	s_delay_alu instid0(VALU_DEP_2) | instskip(SKIP_1) | instid1(VALU_DEP_1)
	v_mov_b64_e32 v[8:9], v[10:11]
                                        ; implicit-def: $vgpr10_vgpr11
	s_mov_b32 s0, exec_lo
	v_or_b32_e32 v5, v7, v9
	s_delay_alu instid0(VALU_DEP_1)
	v_cmpx_ne_u64_e32 0, v[4:5]
	s_xor_b32 s25, exec_lo, s0
	s_cbranch_execz .LBB70_652
; %bb.651:                              ;   in Loop: Header=BB70_650 Depth=1
	s_delay_alu instid0(VALU_DEP_3) | instskip(SKIP_3) | instid1(VALU_DEP_3)
	v_cvt_f32_u32_e32 v5, v8
	v_cvt_f32_u32_e32 v10, v9
	v_sub_nc_u64_e32 v[12:13], 0, v[8:9]
	v_dual_mov_b32 v19, v4 :: v_dual_mov_b32 v23, v4
	v_fmac_f32_e32 v5, 0x4f800000, v10
	s_delay_alu instid0(VALU_DEP_1) | instskip(SKIP_1) | instid1(TRANS32_DEP_1)
	v_rcp_f32_e32 v5, v5
	v_nop
	v_mul_f32_e32 v5, 0x5f7ffffc, v5
	s_delay_alu instid0(VALU_DEP_1) | instskip(NEXT) | instid1(VALU_DEP_1)
	v_mul_f32_e32 v10, 0x2f800000, v5
	v_trunc_f32_e32 v11, v10
	s_delay_alu instid0(VALU_DEP_1) | instskip(SKIP_1) | instid1(VALU_DEP_2)
	v_cvt_u32_f32_e32 v15, v11
	v_fmac_f32_e32 v5, 0xcf800000, v11
	v_dual_mov_b32 v11, v4 :: v_dual_mov_b32 v22, v15
	s_delay_alu instid0(VALU_DEP_2) | instskip(NEXT) | instid1(VALU_DEP_1)
	v_cvt_u32_f32_e32 v10, v5
	v_mov_b32_e32 v14, v10
	s_delay_alu instid0(VALU_DEP_1) | instskip(NEXT) | instid1(VALU_DEP_1)
	v_mul_u64_e32 v[16:17], v[12:13], v[14:15]
	v_dual_mov_b32 v18, v17 :: v_dual_mov_b32 v17, v4
	s_delay_alu instid0(VALU_DEP_1) | instskip(NEXT) | instid1(VALU_DEP_2)
	v_mul_u64_e32 v[24:25], v[10:11], v[18:19]
	v_mul_u64_e32 v[26:27], v[22:23], v[16:17]
	;; [unrolled: 1-line block ×3, first 2 shown]
	v_mul_hi_u32 v16, v10, v16
	s_delay_alu instid0(VALU_DEP_1) | instskip(NEXT) | instid1(VALU_DEP_1)
	v_add_nc_u64_e32 v[16:17], v[16:17], v[24:25]
	v_add_co_u32 v5, vcc_lo, v16, v26
	s_delay_alu instid0(VALU_DEP_2) | instskip(SKIP_1) | instid1(VALU_DEP_1)
	v_add_co_ci_u32_e32 v22, vcc_lo, v17, v27, vcc_lo
	v_add_co_ci_u32_e32 v19, vcc_lo, 0, v19, vcc_lo
	v_add_nc_u64_e32 v[16:17], v[22:23], v[18:19]
	s_delay_alu instid0(VALU_DEP_1) | instskip(NEXT) | instid1(VALU_DEP_1)
	v_add_co_u32 v10, vcc_lo, v10, v16
	v_add_co_ci_u32_e64 v14, null, v15, v17, vcc_lo
	v_dual_mov_b32 v17, v4 :: v_dual_mov_b32 v15, v4
	s_delay_alu instid0(VALU_DEP_2) | instskip(NEXT) | instid1(VALU_DEP_1)
	v_mov_b32_e32 v11, v14
	v_mul_u64_e32 v[12:13], v[12:13], v[10:11]
	s_delay_alu instid0(VALU_DEP_1) | instskip(NEXT) | instid1(VALU_DEP_2)
	v_dual_mov_b32 v11, v4 :: v_dual_mov_b32 v16, v13
	v_dual_mov_b32 v22, v12 :: v_dual_mov_b32 v13, v4
	v_mul_hi_u32 v12, v10, v12
	s_delay_alu instid0(VALU_DEP_3) | instskip(NEXT) | instid1(VALU_DEP_3)
	v_mul_u64_e32 v[18:19], v[10:11], v[16:17]
	v_mul_u64_e32 v[22:23], v[14:15], v[22:23]
	v_mul_u64_e32 v[16:17], v[14:15], v[16:17]
	s_delay_alu instid0(VALU_DEP_3) | instskip(SKIP_1) | instid1(VALU_DEP_2)
	v_add_nc_u64_e32 v[12:13], v[12:13], v[18:19]
	v_mov_b32_e32 v19, v4
	v_add_co_u32 v5, vcc_lo, v12, v22
	s_delay_alu instid0(VALU_DEP_3) | instskip(SKIP_1) | instid1(VALU_DEP_1)
	v_add_co_ci_u32_e32 v18, vcc_lo, v13, v23, vcc_lo
	v_add_co_ci_u32_e32 v17, vcc_lo, 0, v17, vcc_lo
	v_add_nc_u64_e32 v[12:13], v[18:19], v[16:17]
	v_dual_mov_b32 v16, v6 :: v_dual_mov_b32 v17, v4
	s_delay_alu instid0(VALU_DEP_2) | instskip(NEXT) | instid1(VALU_DEP_1)
	v_add_co_u32 v12, vcc_lo, v10, v12
	v_add_co_ci_u32_e64 v10, null, v14, v13, vcc_lo
	v_dual_mov_b32 v14, v7 :: v_dual_mov_b32 v13, v4
	s_delay_alu instid0(VALU_DEP_2) | instskip(NEXT) | instid1(VALU_DEP_2)
	v_mul_u64_e32 v[16:17], v[16:17], v[10:11]
	v_mul_u64_e32 v[10:11], v[14:15], v[10:11]
	s_delay_alu instid0(VALU_DEP_3) | instskip(SKIP_1) | instid1(VALU_DEP_1)
	v_mul_u64_e32 v[18:19], v[14:15], v[12:13]
	v_mul_hi_u32 v12, v6, v12
	v_add_nc_u64_e32 v[12:13], v[12:13], v[16:17]
	s_delay_alu instid0(VALU_DEP_1) | instskip(NEXT) | instid1(VALU_DEP_2)
	v_add_co_u32 v5, vcc_lo, v12, v18
	v_add_co_ci_u32_e32 v14, vcc_lo, v13, v19, vcc_lo
	v_add_co_ci_u32_e32 v11, vcc_lo, 0, v11, vcc_lo
	s_delay_alu instid0(VALU_DEP_1) | instskip(NEXT) | instid1(VALU_DEP_1)
	v_add_nc_u64_e32 v[10:11], v[14:15], v[10:11]
	v_mul_u64_e32 v[10:11], v[8:9], v[10:11]
	s_delay_alu instid0(VALU_DEP_1) | instskip(NEXT) | instid1(VALU_DEP_2)
	v_sub_nc_u32_e32 v5, v7, v11
	v_sub_co_u32 v6, vcc_lo, v6, v10
	s_delay_alu instid0(VALU_DEP_1) | instskip(NEXT) | instid1(VALU_DEP_3)
	v_sub_co_ci_u32_e64 v7, null, v7, v11, vcc_lo
	v_sub_co_ci_u32_e64 v5, null, v5, v9, vcc_lo
	s_delay_alu instid0(VALU_DEP_3) | instskip(SKIP_1) | instid1(VALU_DEP_3)
	v_sub_co_u32 v10, vcc_lo, v6, v8
	v_cmp_ge_u32_e64 s0, v6, v8
	v_subrev_co_ci_u32_e64 v11, null, 0, v5, vcc_lo
	v_sub_co_ci_u32_e64 v5, null, v5, v9, vcc_lo
	s_delay_alu instid0(VALU_DEP_3) | instskip(SKIP_2) | instid1(VALU_DEP_2)
	v_cndmask_b32_e64 v12, 0, -1, s0
	v_cmp_ge_u32_e64 s0, v10, v8
	v_cmp_ge_u32_e32 vcc_lo, v7, v9
	v_cndmask_b32_e64 v13, 0, -1, s0
	v_cmp_ge_u32_e64 s0, v11, v9
	v_cndmask_b32_e64 v15, 0, -1, vcc_lo
	v_cmp_eq_u32_e32 vcc_lo, v11, v9
	s_delay_alu instid0(VALU_DEP_3) | instskip(SKIP_1) | instid1(VALU_DEP_1)
	v_cndmask_b32_e64 v14, 0, -1, s0
	v_cmp_eq_u32_e64 s0, v7, v9
	v_dual_cndmask_b32 v13, v14, v13, vcc_lo :: v_dual_cndmask_b32 v12, v15, v12, s0
	v_sub_co_u32 v14, vcc_lo, v10, v8
	s_delay_alu instid0(VALU_DEP_1) | instskip(NEXT) | instid1(VALU_DEP_3)
	v_subrev_co_ci_u32_e64 v5, null, 0, v5, vcc_lo
	v_cmp_ne_u32_e32 vcc_lo, 0, v13
	s_delay_alu instid0(VALU_DEP_2) | instskip(SKIP_1) | instid1(VALU_DEP_2)
	v_dual_cndmask_b32 v5, v11, v5 :: v_dual_cndmask_b32 v10, v10, v14
	v_cmp_ne_u32_e32 vcc_lo, 0, v12
	v_dual_cndmask_b32 v11, v7, v5 :: v_dual_cndmask_b32 v10, v6, v10
                                        ; implicit-def: $vgpr6_vgpr7
.LBB70_652:                             ;   in Loop: Header=BB70_650 Depth=1
	s_and_not1_saveexec_b32 s0, s25
	s_cbranch_execz .LBB70_649
; %bb.653:                              ;   in Loop: Header=BB70_650 Depth=1
	v_cvt_f32_u32_e32 v5, v8
	v_dual_sub_nc_u32 v7, 0, v8 :: v_dual_mov_b32 v11, v4
	s_delay_alu instid0(VALU_DEP_2) | instskip(SKIP_1) | instid1(TRANS32_DEP_1)
	v_rcp_iflag_f32_e32 v5, v5
	v_nop
	v_mul_f32_e32 v5, 0x4f7ffffe, v5
	s_delay_alu instid0(VALU_DEP_1) | instskip(NEXT) | instid1(VALU_DEP_1)
	v_cvt_u32_f32_e32 v5, v5
	v_mul_lo_u32 v7, v7, v5
	s_delay_alu instid0(VALU_DEP_1) | instskip(NEXT) | instid1(VALU_DEP_1)
	v_mul_hi_u32 v7, v5, v7
	v_add_nc_u32_e32 v5, v5, v7
	s_delay_alu instid0(VALU_DEP_1) | instskip(NEXT) | instid1(VALU_DEP_1)
	v_mul_hi_u32 v5, v6, v5
	v_mul_lo_u32 v5, v5, v8
	s_delay_alu instid0(VALU_DEP_1) | instskip(NEXT) | instid1(VALU_DEP_1)
	v_sub_nc_u32_e32 v5, v6, v5
	v_sub_nc_u32_e32 v6, v5, v8
	v_cmp_ge_u32_e32 vcc_lo, v5, v8
	s_delay_alu instid0(VALU_DEP_2) | instskip(NEXT) | instid1(VALU_DEP_1)
	v_cndmask_b32_e32 v5, v5, v6, vcc_lo
	v_sub_nc_u32_e32 v6, v5, v8
	v_cmp_ge_u32_e32 vcc_lo, v5, v8
	s_delay_alu instid0(VALU_DEP_2)
	v_cndmask_b32_e32 v10, v5, v6, vcc_lo
	s_branch .LBB70_649
.LBB70_654:
	s_mov_b32 s24, 0
	s_mov_b32 s0, s15
	s_branch .LBB70_785
.LBB70_655:
	s_or_b32 exec_lo, exec_lo, s24
	v_mov_b64_e32 v[6:7], v[8:9]
.LBB70_656:
	s_or_b32 exec_lo, exec_lo, s21
	v_mov_b64_e32 v[4:5], 0
	s_mov_b32 s21, exec_lo
	s_delay_alu instid0(VALU_DEP_2)
	v_cmpx_ne_u64_e32 0, v[6:7]
	s_cbranch_execz .LBB70_662
; %bb.657:
	v_dual_mov_b32 v4, 0 :: v_dual_bitop2_b32 v5, v1, v7 bitop3:0x54
                                        ; implicit-def: $vgpr8_vgpr9
	s_mov_b32 s0, exec_lo
	s_delay_alu instid0(VALU_DEP_1)
	v_cmpx_ne_u64_e32 0, v[4:5]
	s_xor_b32 s24, exec_lo, s0
	s_cbranch_execz .LBB70_659
; %bb.658:
	v_dual_mov_b32 v11, v4 :: v_dual_ashrrev_i32 v8, 31, v7
	v_dual_mov_b32 v19, v4 :: v_dual_mov_b32 v23, v4
	s_delay_alu instid0(VALU_DEP_2) | instskip(NEXT) | instid1(VALU_DEP_1)
	v_mov_b32_e32 v9, v8
	v_add_nc_u64_e32 v[6:7], v[6:7], v[8:9]
	s_delay_alu instid0(VALU_DEP_1) | instskip(NEXT) | instid1(VALU_DEP_2)
	v_xor_b32_e32 v6, v6, v8
	v_xor_b32_e32 v7, v7, v8
	s_delay_alu instid0(VALU_DEP_2) | instskip(NEXT) | instid1(VALU_DEP_2)
	v_cvt_f32_u32_e32 v5, v6
	v_cvt_f32_u32_e32 v9, v7
	s_delay_alu instid0(VALU_DEP_1) | instskip(NEXT) | instid1(VALU_DEP_1)
	v_fmamk_f32 v5, v9, 0x4f800000, v5
	v_rcp_f32_e32 v5, v5
	v_nop
	s_delay_alu instid0(TRANS32_DEP_1) | instskip(NEXT) | instid1(VALU_DEP_1)
	v_mul_f32_e32 v5, 0x5f7ffffc, v5
	v_mul_f32_e32 v9, 0x2f800000, v5
	s_delay_alu instid0(VALU_DEP_1) | instskip(NEXT) | instid1(VALU_DEP_1)
	v_trunc_f32_e32 v9, v9
	v_fmamk_f32 v5, v9, 0xcf800000, v5
	v_cvt_u32_f32_e32 v15, v9
	s_delay_alu instid0(VALU_DEP_2) | instskip(NEXT) | instid1(VALU_DEP_1)
	v_cvt_u32_f32_e32 v10, v5
	v_dual_mov_b32 v22, v15 :: v_dual_mov_b32 v14, v10
	v_sub_nc_u64_e32 v[12:13], 0, v[6:7]
	s_delay_alu instid0(VALU_DEP_1) | instskip(NEXT) | instid1(VALU_DEP_1)
	v_mul_u64_e32 v[16:17], v[12:13], v[14:15]
	v_dual_mov_b32 v18, v17 :: v_dual_mov_b32 v17, v4
	s_delay_alu instid0(VALU_DEP_1) | instskip(NEXT) | instid1(VALU_DEP_2)
	v_mul_u64_e32 v[24:25], v[10:11], v[18:19]
	v_mul_u64_e32 v[26:27], v[22:23], v[16:17]
	;; [unrolled: 1-line block ×3, first 2 shown]
	v_mul_hi_u32 v16, v10, v16
	s_delay_alu instid0(VALU_DEP_1) | instskip(SKIP_1) | instid1(VALU_DEP_2)
	v_add_nc_u64_e32 v[16:17], v[16:17], v[24:25]
	v_ashrrev_i32_e32 v24, 31, v1
	v_add_co_u32 v5, vcc_lo, v16, v26
	s_delay_alu instid0(VALU_DEP_3) | instskip(SKIP_1) | instid1(VALU_DEP_1)
	v_add_co_ci_u32_e32 v22, vcc_lo, v17, v27, vcc_lo
	v_add_co_ci_u32_e32 v19, vcc_lo, 0, v19, vcc_lo
	v_add_nc_u64_e32 v[16:17], v[22:23], v[18:19]
	s_delay_alu instid0(VALU_DEP_1) | instskip(NEXT) | instid1(VALU_DEP_1)
	v_add_co_u32 v10, vcc_lo, v10, v16
	v_add_co_ci_u32_e64 v14, null, v15, v17, vcc_lo
	v_dual_mov_b32 v15, v4 :: v_dual_mov_b32 v17, v4
	s_delay_alu instid0(VALU_DEP_2) | instskip(NEXT) | instid1(VALU_DEP_1)
	v_mov_b32_e32 v11, v14
	v_mul_u64_e32 v[12:13], v[12:13], v[10:11]
	s_delay_alu instid0(VALU_DEP_1) | instskip(NEXT) | instid1(VALU_DEP_2)
	v_dual_mov_b32 v11, v4 :: v_dual_mov_b32 v16, v13
	v_dual_mov_b32 v22, v12 :: v_dual_mov_b32 v13, v4
	v_mul_hi_u32 v12, v10, v12
	s_delay_alu instid0(VALU_DEP_3) | instskip(NEXT) | instid1(VALU_DEP_3)
	v_mul_u64_e32 v[18:19], v[10:11], v[16:17]
	v_mul_u64_e32 v[22:23], v[14:15], v[22:23]
	;; [unrolled: 1-line block ×3, first 2 shown]
	s_delay_alu instid0(VALU_DEP_3) | instskip(SKIP_1) | instid1(VALU_DEP_2)
	v_add_nc_u64_e32 v[12:13], v[12:13], v[18:19]
	v_dual_mov_b32 v19, v4 :: v_dual_mov_b32 v25, v24
	v_add_co_u32 v5, vcc_lo, v12, v22
	s_delay_alu instid0(VALU_DEP_3) | instskip(SKIP_2) | instid1(VALU_DEP_2)
	v_add_co_ci_u32_e32 v18, vcc_lo, v13, v23, vcc_lo
	v_add_co_ci_u32_e32 v17, vcc_lo, 0, v17, vcc_lo
	v_mov_b32_e32 v5, v4
	v_add_nc_u64_e32 v[12:13], v[18:19], v[16:17]
	v_mov_b32_e32 v17, v4
	v_add_nc_u64_e32 v[0:1], v[0:1], v[24:25]
	s_delay_alu instid0(VALU_DEP_3) | instskip(NEXT) | instid1(VALU_DEP_1)
	v_add_co_u32 v12, vcc_lo, v10, v12
	v_add_co_ci_u32_e64 v10, null, v14, v13, vcc_lo
	s_delay_alu instid0(VALU_DEP_3) | instskip(NEXT) | instid1(VALU_DEP_4)
	v_dual_mov_b32 v13, v4 :: v_dual_bitop2_b32 v14, v1, v24 bitop3:0x14
	v_xor_b32_e32 v16, v0, v24
	s_delay_alu instid0(VALU_DEP_2) | instskip(NEXT) | instid1(VALU_DEP_2)
	v_mul_u64_e32 v[0:1], v[14:15], v[12:13]
	v_mul_u64_e32 v[18:19], v[16:17], v[10:11]
	;; [unrolled: 1-line block ×3, first 2 shown]
	v_mul_hi_u32 v12, v16, v12
	s_delay_alu instid0(VALU_DEP_1) | instskip(NEXT) | instid1(VALU_DEP_1)
	v_add_nc_u64_e32 v[12:13], v[12:13], v[18:19]
	v_add_co_u32 v0, vcc_lo, v12, v0
	s_delay_alu instid0(VALU_DEP_2) | instskip(SKIP_1) | instid1(VALU_DEP_1)
	v_add_co_ci_u32_e32 v4, vcc_lo, v13, v1, vcc_lo
	v_add_co_ci_u32_e32 v11, vcc_lo, 0, v11, vcc_lo
	v_add_nc_u64_e32 v[0:1], v[4:5], v[10:11]
	s_delay_alu instid0(VALU_DEP_1) | instskip(NEXT) | instid1(VALU_DEP_1)
	v_mul_u64_e32 v[4:5], v[6:7], v[0:1]
	v_sub_nc_u32_e32 v9, v14, v5
	s_delay_alu instid0(VALU_DEP_2) | instskip(NEXT) | instid1(VALU_DEP_1)
	v_sub_co_u32 v4, vcc_lo, v16, v4
	v_sub_co_ci_u32_e64 v12, null, v14, v5, vcc_lo
	s_delay_alu instid0(VALU_DEP_3) | instskip(NEXT) | instid1(VALU_DEP_3)
	v_sub_co_ci_u32_e64 v9, null, v9, v7, vcc_lo
	v_sub_co_u32 v10, s0, v4, v6
	s_delay_alu instid0(VALU_DEP_1) | instskip(NEXT) | instid1(VALU_DEP_2)
	v_subrev_co_ci_u32_e64 v9, null, 0, v9, s0
	v_cmp_ge_u32_e32 vcc_lo, v10, v6
	v_cndmask_b32_e64 v5, 0, -1, vcc_lo
	s_delay_alu instid0(VALU_DEP_3)
	v_cmp_ge_u32_e32 vcc_lo, v9, v7
	v_cndmask_b32_e64 v10, 0, -1, vcc_lo
	v_cmp_ge_u32_e32 vcc_lo, v4, v6
	v_cndmask_b32_e64 v6, 0, -1, vcc_lo
	;; [unrolled: 2-line block ×3, first 2 shown]
	v_cmp_eq_u32_e32 vcc_lo, v9, v7
	v_cndmask_b32_e32 v9, v10, v5, vcc_lo
	v_cmp_eq_u32_e32 vcc_lo, v12, v7
	v_add_nc_u64_e32 v[4:5], 2, v[0:1]
	v_add_nc_u64_e32 v[10:11], 1, v[0:1]
	v_cndmask_b32_e32 v6, v13, v6, vcc_lo
	v_cmp_ne_u32_e32 vcc_lo, 0, v9
	s_delay_alu instid0(VALU_DEP_2) | instskip(NEXT) | instid1(VALU_DEP_4)
	v_cmp_ne_u32_e64 s0, 0, v6
	v_dual_cndmask_b32 v5, v11, v5 :: v_dual_cndmask_b32 v6, v10, v4
	s_delay_alu instid0(VALU_DEP_1) | instskip(NEXT) | instid1(VALU_DEP_2)
	v_dual_cndmask_b32 v1, v1, v5, s0 :: v_dual_bitop2_b32 v4, v24, v8 bitop3:0x14
	v_cndmask_b32_e64 v0, v0, v6, s0
	s_delay_alu instid0(VALU_DEP_2) | instskip(NEXT) | instid1(VALU_DEP_3)
	v_mov_b32_e32 v5, v4
                                        ; implicit-def: $vgpr6_vgpr7
	v_xor_b32_e32 v1, v1, v4
	s_delay_alu instid0(VALU_DEP_3) | instskip(NEXT) | instid1(VALU_DEP_1)
	v_xor_b32_e32 v0, v0, v4
	v_sub_nc_u64_e32 v[8:9], v[0:1], v[4:5]
                                        ; implicit-def: $vgpr0_vgpr1
.LBB70_659:
	s_and_not1_saveexec_b32 s0, s24
	s_cbranch_execz .LBB70_661
; %bb.660:
	v_cvt_f32_u32_e32 v1, v6
	v_dual_mov_b32 v9, 0 :: v_dual_sub_nc_u32 v4, 0, v6
	s_delay_alu instid0(VALU_DEP_2) | instskip(SKIP_1) | instid1(TRANS32_DEP_1)
	v_rcp_iflag_f32_e32 v1, v1
	v_nop
	v_mul_f32_e32 v1, 0x4f7ffffe, v1
	s_delay_alu instid0(VALU_DEP_1) | instskip(NEXT) | instid1(VALU_DEP_1)
	v_cvt_u32_f32_e32 v1, v1
	v_mul_lo_u32 v4, v4, v1
	s_delay_alu instid0(VALU_DEP_1) | instskip(NEXT) | instid1(VALU_DEP_1)
	v_mul_hi_u32 v4, v1, v4
	v_add_nc_u32_e32 v1, v1, v4
	s_delay_alu instid0(VALU_DEP_1) | instskip(NEXT) | instid1(VALU_DEP_1)
	v_mul_hi_u32 v1, v0, v1
	v_mul_lo_u32 v4, v1, v6
	s_delay_alu instid0(VALU_DEP_1) | instskip(NEXT) | instid1(VALU_DEP_1)
	v_dual_sub_nc_u32 v0, v0, v4 :: v_dual_add_nc_u32 v4, 1, v1
	v_sub_nc_u32_e32 v5, v0, v6
	v_cmp_ge_u32_e32 vcc_lo, v0, v6
	s_delay_alu instid0(VALU_DEP_2) | instskip(NEXT) | instid1(VALU_DEP_1)
	v_dual_cndmask_b32 v0, v0, v5 :: v_dual_cndmask_b32 v1, v1, v4
	v_cmp_ge_u32_e32 vcc_lo, v0, v6
	s_delay_alu instid0(VALU_DEP_2) | instskip(NEXT) | instid1(VALU_DEP_1)
	v_add_nc_u32_e32 v4, 1, v1
	v_cndmask_b32_e32 v8, v1, v4, vcc_lo
.LBB70_661:
	s_or_b32 exec_lo, exec_lo, s0
	s_delay_alu instid0(VALU_DEP_1) | instskip(NEXT) | instid1(VALU_DEP_1)
	v_mul_u64_e32 v[0:1], v[8:9], v[2:3]
	v_sub_nc_u64_e32 v[2:3], 0, v[0:1]
	s_delay_alu instid0(VALU_DEP_1)
	v_max_i64 v[4:5], v[0:1], v[2:3]
.LBB70_662:
	s_or_b32 exec_lo, exec_lo, s21
	v_mul_lo_u32 v0, v20, s8
	s_and_b32 s21, s11, 0xff
	s_delay_alu instid0(SALU_CYCLE_1) | instskip(NEXT) | instid1(VALU_DEP_1)
	s_cmp_lt_i32 s21, 11
	v_ashrrev_i32_e32 v1, 31, v0
	s_delay_alu instid0(VALU_DEP_1)
	v_add_nc_u64_e32 v[0:1], s[4:5], v[0:1]
	s_cbranch_scc1 .LBB70_669
; %bb.663:
	s_and_b32 s24, 0xffff, s21
	s_delay_alu instid0(SALU_CYCLE_1)
	s_cmp_gt_i32 s24, 25
	s_cbranch_scc0 .LBB70_670
; %bb.664:
	s_cmp_gt_i32 s24, 28
	s_cbranch_scc0 .LBB70_671
; %bb.665:
	;; [unrolled: 3-line block ×4, first 2 shown]
	s_mov_b32 s26, 0
	s_mov_b32 s0, -1
	s_cmp_eq_u32 s24, 46
	s_mov_b32 s25, 0
	s_cbranch_scc0 .LBB70_674
; %bb.668:
	s_delay_alu instid0(VALU_DEP_4) | instskip(SKIP_2) | instid1(VALU_DEP_1)
	v_clz_i32_u32_e32 v2, v5
	s_mov_b32 s25, -1
	s_mov_b32 s0, 0
	v_min_u32_e32 v6, 32, v2
	s_delay_alu instid0(VALU_DEP_1) | instskip(NEXT) | instid1(VALU_DEP_1)
	v_lshlrev_b64_e32 v[2:3], v6, v[4:5]
	v_min_u32_e32 v2, 1, v2
	s_delay_alu instid0(VALU_DEP_1) | instskip(SKIP_1) | instid1(VALU_DEP_2)
	v_or_b32_e32 v2, v3, v2
	v_sub_nc_u32_e32 v3, 32, v6
	v_cvt_f32_u32_e32 v2, v2
	s_delay_alu instid0(VALU_DEP_1) | instskip(NEXT) | instid1(VALU_DEP_1)
	v_ldexp_f32 v2, v2, v3
	v_bfe_u32 v3, v2, 16, 1
	s_delay_alu instid0(VALU_DEP_1) | instskip(NEXT) | instid1(VALU_DEP_1)
	v_add3_u32 v2, v2, v3, 0x7fff
	v_lshrrev_b32_e32 v2, 16, v2
	global_store_b32 v[0:1], v2, off
	s_branch .LBB70_674
.LBB70_669:
	s_mov_b32 s24, -1
	s_mov_b32 s25, 0
	s_mov_b32 s0, s15
	s_branch .LBB70_743
.LBB70_670:
	s_mov_b32 s26, -1
	s_mov_b32 s25, 0
	s_mov_b32 s0, s15
	s_branch .LBB70_701
.LBB70_671:
	s_mov_b32 s26, -1
	s_mov_b32 s25, 0
	s_mov_b32 s0, s15
	s_branch .LBB70_684
.LBB70_672:
	s_mov_b32 s26, -1
	s_mov_b32 s25, 0
	s_mov_b32 s0, s15
	s_branch .LBB70_680
.LBB70_673:
	s_mov_b32 s26, -1
	s_mov_b32 s25, 0
	s_mov_b32 s0, s15
.LBB70_674:
	s_and_b32 vcc_lo, exec_lo, s26
	s_cbranch_vccz .LBB70_679
; %bb.675:
	s_cmp_eq_u32 s24, 44
	s_mov_b32 s0, -1
	s_cbranch_scc0 .LBB70_679
; %bb.676:
	s_wait_xcnt 0x0
	s_delay_alu instid0(VALU_DEP_4) | instskip(SKIP_1) | instid1(VALU_DEP_1)
	v_clz_i32_u32_e32 v2, v5
	s_mov_b32 s25, exec_lo
	v_min_u32_e32 v6, 32, v2
	s_delay_alu instid0(VALU_DEP_1) | instskip(NEXT) | instid1(VALU_DEP_1)
	v_lshlrev_b64_e32 v[2:3], v6, v[4:5]
	v_min_u32_e32 v2, 1, v2
	s_delay_alu instid0(VALU_DEP_1) | instskip(SKIP_1) | instid1(VALU_DEP_2)
	v_or_b32_e32 v2, v3, v2
	v_sub_nc_u32_e32 v3, 32, v6
	v_cvt_f32_u32_e32 v2, v2
	s_delay_alu instid0(VALU_DEP_1) | instskip(NEXT) | instid1(VALU_DEP_1)
	v_ldexp_f32 v6, v2, v3
	v_dual_mov_b32 v3, 0xff :: v_dual_lshrrev_b32 v2, 23, v6
	s_delay_alu instid0(VALU_DEP_1)
	v_cmpx_ne_u32_e32 0xff, v2
; %bb.677:
	v_and_b32_e32 v3, 0x400000, v6
	v_and_or_b32 v6, 0x3fffff, v6, v2
	s_delay_alu instid0(VALU_DEP_2) | instskip(NEXT) | instid1(VALU_DEP_2)
	v_cmp_ne_u32_e32 vcc_lo, 0, v3
	v_cmp_ne_u32_e64 s0, 0, v6
	s_and_b32 s0, vcc_lo, s0
	s_delay_alu instid0(SALU_CYCLE_1) | instskip(NEXT) | instid1(VALU_DEP_1)
	v_cndmask_b32_e64 v3, 0, 1, s0
	v_add_nc_u32_e32 v3, v2, v3
; %bb.678:
	s_or_b32 exec_lo, exec_lo, s25
	s_mov_b32 s25, -1
	s_mov_b32 s0, 0
	global_store_b8 v[0:1], v3, off
.LBB70_679:
	s_mov_b32 s26, 0
.LBB70_680:
	s_delay_alu instid0(SALU_CYCLE_1)
	s_and_b32 vcc_lo, exec_lo, s26
	s_cbranch_vccz .LBB70_683
; %bb.681:
	s_cmp_eq_u32 s24, 29
	s_mov_b32 s0, -1
	s_cbranch_scc0 .LBB70_683
; %bb.682:
	s_mov_b32 s25, -1
	s_mov_b32 s0, 0
	global_store_b64 v[0:1], v[4:5], off
.LBB70_683:
	s_mov_b32 s26, 0
.LBB70_684:
	s_delay_alu instid0(SALU_CYCLE_1)
	s_and_b32 vcc_lo, exec_lo, s26
	s_cbranch_vccz .LBB70_700
; %bb.685:
	s_cmp_lt_i32 s24, 27
	s_mov_b32 s25, -1
	s_cbranch_scc1 .LBB70_691
; %bb.686:
	s_cmp_gt_i32 s24, 27
	s_cbranch_scc0 .LBB70_688
; %bb.687:
	s_mov_b32 s25, 0
	global_store_b32 v[0:1], v4, off
.LBB70_688:
	s_and_not1_b32 vcc_lo, exec_lo, s25
	s_cbranch_vccnz .LBB70_690
; %bb.689:
	global_store_b16 v[0:1], v4, off
.LBB70_690:
	s_mov_b32 s25, 0
.LBB70_691:
	s_delay_alu instid0(SALU_CYCLE_1)
	s_and_not1_b32 vcc_lo, exec_lo, s25
	s_cbranch_vccnz .LBB70_699
; %bb.692:
	s_wait_xcnt 0x0
	s_delay_alu instid0(VALU_DEP_4) | instskip(SKIP_1) | instid1(VALU_DEP_1)
	v_clz_i32_u32_e32 v2, v5
	s_mov_b32 s25, exec_lo
	v_min_u32_e32 v6, 32, v2
	s_delay_alu instid0(VALU_DEP_1) | instskip(NEXT) | instid1(VALU_DEP_1)
	v_lshlrev_b64_e32 v[2:3], v6, v[4:5]
	v_min_u32_e32 v2, 1, v2
	s_delay_alu instid0(VALU_DEP_1) | instskip(SKIP_1) | instid1(VALU_DEP_2)
	v_or_b32_e32 v2, v3, v2
	v_dual_mov_b32 v6, 0x80 :: v_dual_sub_nc_u32 v3, 32, v6
	v_cvt_f32_u32_e32 v2, v2
	s_delay_alu instid0(VALU_DEP_1) | instskip(NEXT) | instid1(VALU_DEP_1)
	v_ldexp_f32 v3, v2, v3
	v_cmpx_gt_u32_e32 0x43800000, v3
	s_cbranch_execz .LBB70_698
; %bb.693:
	s_mov_b32 s26, 0
	s_mov_b32 s27, exec_lo
                                        ; implicit-def: $vgpr2
	v_cmpx_lt_u32_e32 0x3bffffff, v3
	s_xor_b32 s27, exec_lo, s27
	s_cbranch_execz .LBB70_801
; %bb.694:
	v_bfe_u32 v2, v3, 20, 1
	s_mov_b32 s26, exec_lo
	s_delay_alu instid0(VALU_DEP_1) | instskip(NEXT) | instid1(VALU_DEP_1)
	v_add3_u32 v2, v3, v2, 0x487ffff
                                        ; implicit-def: $vgpr3
	v_lshrrev_b32_e32 v2, 20, v2
	s_and_not1_saveexec_b32 s27, s27
	s_cbranch_execnz .LBB70_802
.LBB70_695:
	s_or_b32 exec_lo, exec_lo, s27
	v_mov_b32_e32 v6, 0
	s_and_saveexec_b32 s27, s26
.LBB70_696:
	v_mov_b32_e32 v6, v2
.LBB70_697:
	s_or_b32 exec_lo, exec_lo, s27
.LBB70_698:
	s_delay_alu instid0(SALU_CYCLE_1)
	s_or_b32 exec_lo, exec_lo, s25
	global_store_b8 v[0:1], v6, off
.LBB70_699:
	s_mov_b32 s25, -1
.LBB70_700:
	s_mov_b32 s26, 0
.LBB70_701:
	s_delay_alu instid0(SALU_CYCLE_1)
	s_and_b32 vcc_lo, exec_lo, s26
	s_cbranch_vccz .LBB70_742
; %bb.702:
	s_cmp_gt_i32 s24, 22
	s_mov_b32 s26, -1
	s_cbranch_scc0 .LBB70_734
; %bb.703:
	s_cmp_lt_i32 s24, 24
	s_mov_b32 s25, -1
	s_cbranch_scc1 .LBB70_723
; %bb.704:
	s_cmp_gt_i32 s24, 24
	s_cbranch_scc0 .LBB70_712
; %bb.705:
	s_wait_xcnt 0x0
	s_delay_alu instid0(VALU_DEP_4) | instskip(SKIP_1) | instid1(VALU_DEP_1)
	v_clz_i32_u32_e32 v2, v5
	s_mov_b32 s25, exec_lo
	v_min_u32_e32 v6, 32, v2
	s_delay_alu instid0(VALU_DEP_1) | instskip(NEXT) | instid1(VALU_DEP_1)
	v_lshlrev_b64_e32 v[2:3], v6, v[4:5]
	v_min_u32_e32 v2, 1, v2
	s_delay_alu instid0(VALU_DEP_1) | instskip(SKIP_1) | instid1(VALU_DEP_2)
	v_or_b32_e32 v2, v3, v2
	v_dual_mov_b32 v6, 0x80 :: v_dual_sub_nc_u32 v3, 32, v6
	v_cvt_f32_u32_e32 v2, v2
	s_delay_alu instid0(VALU_DEP_1) | instskip(NEXT) | instid1(VALU_DEP_1)
	v_ldexp_f32 v3, v2, v3
	v_cmpx_gt_u32_e32 0x47800000, v3
	s_cbranch_execz .LBB70_711
; %bb.706:
	s_mov_b32 s26, 0
	s_mov_b32 s27, exec_lo
                                        ; implicit-def: $vgpr2
	v_cmpx_lt_u32_e32 0x37ffffff, v3
	s_xor_b32 s27, exec_lo, s27
	s_cbranch_execz .LBB70_929
; %bb.707:
	v_bfe_u32 v2, v3, 21, 1
	s_mov_b32 s26, exec_lo
	s_delay_alu instid0(VALU_DEP_1) | instskip(NEXT) | instid1(VALU_DEP_1)
	v_add3_u32 v2, v3, v2, 0x88fffff
                                        ; implicit-def: $vgpr3
	v_lshrrev_b32_e32 v2, 21, v2
	s_and_not1_saveexec_b32 s27, s27
	s_cbranch_execnz .LBB70_930
.LBB70_708:
	s_or_b32 exec_lo, exec_lo, s27
	v_mov_b32_e32 v6, 0
	s_and_saveexec_b32 s27, s26
.LBB70_709:
	v_mov_b32_e32 v6, v2
.LBB70_710:
	s_or_b32 exec_lo, exec_lo, s27
.LBB70_711:
	s_delay_alu instid0(SALU_CYCLE_1)
	s_or_b32 exec_lo, exec_lo, s25
	s_mov_b32 s25, 0
	global_store_b8 v[0:1], v6, off
.LBB70_712:
	s_and_b32 vcc_lo, exec_lo, s25
	s_cbranch_vccz .LBB70_722
; %bb.713:
	s_wait_xcnt 0x0
	s_delay_alu instid0(VALU_DEP_4) | instskip(SKIP_1) | instid1(VALU_DEP_1)
	v_clz_i32_u32_e32 v2, v5
	s_mov_b32 s25, exec_lo
	v_min_u32_e32 v6, 32, v2
	s_delay_alu instid0(VALU_DEP_1) | instskip(NEXT) | instid1(VALU_DEP_1)
	v_lshlrev_b64_e32 v[2:3], v6, v[4:5]
	v_min_u32_e32 v2, 1, v2
	s_delay_alu instid0(VALU_DEP_1) | instskip(SKIP_1) | instid1(VALU_DEP_2)
	v_or_b32_e32 v2, v3, v2
	v_sub_nc_u32_e32 v3, 32, v6
	v_cvt_f32_u32_e32 v2, v2
	s_delay_alu instid0(VALU_DEP_1) | instskip(NEXT) | instid1(VALU_DEP_1)
	v_ldexp_f32 v3, v2, v3
                                        ; implicit-def: $vgpr2
	v_cmpx_gt_u32_e32 0x43f00000, v3
	s_xor_b32 s25, exec_lo, s25
	s_cbranch_execz .LBB70_719
; %bb.714:
	s_mov_b32 s26, exec_lo
                                        ; implicit-def: $vgpr2
	v_cmpx_lt_u32_e32 0x3c7fffff, v3
	s_xor_b32 s26, exec_lo, s26
; %bb.715:
	v_bfe_u32 v2, v3, 20, 1
	s_delay_alu instid0(VALU_DEP_1) | instskip(NEXT) | instid1(VALU_DEP_1)
	v_add3_u32 v2, v3, v2, 0x407ffff
	v_and_b32_e32 v3, 0xff00000, v2
	v_lshrrev_b32_e32 v2, 20, v2
	s_delay_alu instid0(VALU_DEP_2) | instskip(NEXT) | instid1(VALU_DEP_2)
	v_cmp_ne_u32_e32 vcc_lo, 0x7f00000, v3
                                        ; implicit-def: $vgpr3
	v_cndmask_b32_e32 v2, 0x7e, v2, vcc_lo
; %bb.716:
	s_and_not1_saveexec_b32 s26, s26
; %bb.717:
	v_add_f32_e32 v2, 0x46800000, v3
; %bb.718:
	s_or_b32 exec_lo, exec_lo, s26
                                        ; implicit-def: $vgpr3
.LBB70_719:
	s_and_not1_saveexec_b32 s25, s25
; %bb.720:
	v_mov_b32_e32 v2, 0x7f
	v_cmp_lt_u32_e32 vcc_lo, 0x7f800000, v3
	s_delay_alu instid0(VALU_DEP_2)
	v_cndmask_b32_e32 v2, 0x7e, v2, vcc_lo
; %bb.721:
	s_or_b32 exec_lo, exec_lo, s25
	global_store_b8 v[0:1], v2, off
.LBB70_722:
	s_mov_b32 s25, 0
.LBB70_723:
	s_delay_alu instid0(SALU_CYCLE_1)
	s_and_not1_b32 vcc_lo, exec_lo, s25
	s_cbranch_vccnz .LBB70_733
; %bb.724:
	s_wait_xcnt 0x0
	s_delay_alu instid0(VALU_DEP_4) | instskip(SKIP_1) | instid1(VALU_DEP_1)
	v_clz_i32_u32_e32 v2, v5
	s_mov_b32 s25, exec_lo
	v_min_u32_e32 v6, 32, v2
	s_delay_alu instid0(VALU_DEP_1) | instskip(NEXT) | instid1(VALU_DEP_1)
	v_lshlrev_b64_e32 v[2:3], v6, v[4:5]
	v_min_u32_e32 v2, 1, v2
	s_delay_alu instid0(VALU_DEP_1) | instskip(SKIP_1) | instid1(VALU_DEP_2)
	v_or_b32_e32 v2, v3, v2
	v_sub_nc_u32_e32 v3, 32, v6
	v_cvt_f32_u32_e32 v2, v2
	s_delay_alu instid0(VALU_DEP_1) | instskip(NEXT) | instid1(VALU_DEP_1)
	v_ldexp_f32 v3, v2, v3
                                        ; implicit-def: $vgpr2
	v_cmpx_gt_u32_e32 0x47800000, v3
	s_xor_b32 s25, exec_lo, s25
	s_cbranch_execz .LBB70_730
; %bb.725:
	s_mov_b32 s26, exec_lo
                                        ; implicit-def: $vgpr2
	v_cmpx_lt_u32_e32 0x387fffff, v3
	s_xor_b32 s26, exec_lo, s26
; %bb.726:
	v_bfe_u32 v2, v3, 21, 1
	s_delay_alu instid0(VALU_DEP_1) | instskip(NEXT) | instid1(VALU_DEP_1)
	v_add3_u32 v2, v3, v2, 0x80fffff
                                        ; implicit-def: $vgpr3
	v_lshrrev_b32_e32 v2, 21, v2
; %bb.727:
	s_and_not1_saveexec_b32 s26, s26
; %bb.728:
	v_add_f32_e32 v2, 0x43000000, v3
; %bb.729:
	s_or_b32 exec_lo, exec_lo, s26
                                        ; implicit-def: $vgpr3
.LBB70_730:
	s_and_not1_saveexec_b32 s25, s25
; %bb.731:
	v_mov_b32_e32 v2, 0x7f
	v_cmp_lt_u32_e32 vcc_lo, 0x7f800000, v3
	s_delay_alu instid0(VALU_DEP_2)
	v_cndmask_b32_e32 v2, 0x7c, v2, vcc_lo
; %bb.732:
	s_or_b32 exec_lo, exec_lo, s25
	global_store_b8 v[0:1], v2, off
.LBB70_733:
	s_mov_b32 s26, 0
	s_mov_b32 s25, -1
.LBB70_734:
	s_and_not1_b32 vcc_lo, exec_lo, s26
	s_cbranch_vccnz .LBB70_742
; %bb.735:
	s_cmp_gt_i32 s24, 14
	s_mov_b32 s26, -1
	s_cbranch_scc0 .LBB70_739
; %bb.736:
	s_cmp_eq_u32 s24, 15
	s_mov_b32 s0, -1
	s_cbranch_scc0 .LBB70_738
; %bb.737:
	s_wait_xcnt 0x0
	s_delay_alu instid0(VALU_DEP_4) | instskip(SKIP_2) | instid1(VALU_DEP_1)
	v_clz_i32_u32_e32 v2, v5
	s_mov_b32 s25, -1
	s_mov_b32 s0, 0
	v_min_u32_e32 v6, 32, v2
	s_delay_alu instid0(VALU_DEP_1) | instskip(NEXT) | instid1(VALU_DEP_1)
	v_lshlrev_b64_e32 v[2:3], v6, v[4:5]
	v_min_u32_e32 v2, 1, v2
	s_delay_alu instid0(VALU_DEP_1) | instskip(SKIP_1) | instid1(VALU_DEP_2)
	v_or_b32_e32 v2, v3, v2
	v_sub_nc_u32_e32 v3, 32, v6
	v_cvt_f32_u32_e32 v2, v2
	s_delay_alu instid0(VALU_DEP_1) | instskip(NEXT) | instid1(VALU_DEP_1)
	v_ldexp_f32 v2, v2, v3
	v_bfe_u32 v3, v2, 16, 1
	s_delay_alu instid0(VALU_DEP_1)
	v_add3_u32 v2, v2, v3, 0x7fff
	global_store_d16_hi_b16 v[0:1], v2, off
.LBB70_738:
	s_mov_b32 s26, 0
.LBB70_739:
	s_delay_alu instid0(SALU_CYCLE_1)
	s_and_b32 vcc_lo, exec_lo, s26
	s_cbranch_vccz .LBB70_742
; %bb.740:
	s_cmp_eq_u32 s24, 11
	s_mov_b32 s0, -1
	s_cbranch_scc0 .LBB70_742
; %bb.741:
	s_delay_alu instid0(VALU_DEP_4)
	v_cmp_ne_u64_e32 vcc_lo, 0, v[4:5]
	s_mov_b32 s25, -1
	s_mov_b32 s0, 0
	s_wait_xcnt 0x0
	v_cndmask_b32_e64 v2, 0, 1, vcc_lo
	global_store_b8 v[0:1], v2, off
.LBB70_742:
	s_mov_b32 s24, 0
.LBB70_743:
	s_delay_alu instid0(SALU_CYCLE_1)
	s_and_b32 vcc_lo, exec_lo, s24
	s_cbranch_vccz .LBB70_782
; %bb.744:
	s_and_b32 s21, 0xffff, s21
	s_mov_b32 s24, -1
	s_cmp_lt_i32 s21, 5
	s_cbranch_scc1 .LBB70_765
; %bb.745:
	s_cmp_lt_i32 s21, 8
	s_cbranch_scc1 .LBB70_755
; %bb.746:
	;; [unrolled: 3-line block ×3, first 2 shown]
	s_cmp_gt_i32 s21, 9
	s_cbranch_scc0 .LBB70_749
; %bb.748:
	s_wait_xcnt 0x0
	s_delay_alu instid0(VALU_DEP_4) | instskip(SKIP_3) | instid1(VALU_DEP_1)
	v_cvt_f64_u32_e32 v[2:3], v5
	v_cvt_f64_u32_e32 v[6:7], v4
	s_mov_b32 s24, 0
	v_mov_b32_e32 v8, 0
	v_mov_b32_e32 v9, v8
	s_delay_alu instid0(VALU_DEP_4) | instskip(NEXT) | instid1(VALU_DEP_1)
	v_ldexp_f64 v[2:3], v[2:3], 32
	v_add_f64_e32 v[6:7], v[2:3], v[6:7]
	global_store_b128 v[0:1], v[6:9], off
.LBB70_749:
	s_and_not1_b32 vcc_lo, exec_lo, s24
	s_cbranch_vccnz .LBB70_751
; %bb.750:
	s_wait_xcnt 0x0
	s_delay_alu instid0(VALU_DEP_4) | instskip(NEXT) | instid1(VALU_DEP_1)
	v_clz_i32_u32_e32 v2, v5
	v_min_u32_e32 v6, 32, v2
	s_delay_alu instid0(VALU_DEP_1) | instskip(NEXT) | instid1(VALU_DEP_1)
	v_lshlrev_b64_e32 v[2:3], v6, v[4:5]
	v_min_u32_e32 v2, 1, v2
	s_delay_alu instid0(VALU_DEP_1) | instskip(SKIP_1) | instid1(VALU_DEP_2)
	v_or_b32_e32 v2, v3, v2
	v_sub_nc_u32_e32 v3, 32, v6
	v_cvt_f32_u32_e32 v2, v2
	s_delay_alu instid0(VALU_DEP_1)
	v_ldexp_f32 v2, v2, v3
	v_mov_b32_e32 v3, 0
	global_store_b64 v[0:1], v[2:3], off
.LBB70_751:
	s_mov_b32 s24, 0
.LBB70_752:
	s_delay_alu instid0(SALU_CYCLE_1)
	s_and_not1_b32 vcc_lo, exec_lo, s24
	s_cbranch_vccnz .LBB70_754
; %bb.753:
	s_wait_xcnt 0x0
	s_delay_alu instid0(VALU_DEP_4) | instskip(NEXT) | instid1(VALU_DEP_1)
	v_clz_i32_u32_e32 v2, v5
	v_min_u32_e32 v6, 32, v2
	s_delay_alu instid0(VALU_DEP_1) | instskip(NEXT) | instid1(VALU_DEP_1)
	v_lshlrev_b64_e32 v[2:3], v6, v[4:5]
	v_min_u32_e32 v2, 1, v2
	s_delay_alu instid0(VALU_DEP_1) | instskip(SKIP_1) | instid1(VALU_DEP_2)
	v_or_b32_e32 v2, v3, v2
	v_sub_nc_u32_e32 v3, 32, v6
	v_cvt_f32_u32_e32 v2, v2
	s_delay_alu instid0(VALU_DEP_1) | instskip(NEXT) | instid1(VALU_DEP_1)
	v_ldexp_f32 v2, v2, v3
	v_cvt_f16_f32_e32 v2, v2
	s_delay_alu instid0(VALU_DEP_1)
	v_and_b32_e32 v2, 0xffff, v2
	global_store_b32 v[0:1], v2, off
.LBB70_754:
	s_mov_b32 s24, 0
.LBB70_755:
	s_delay_alu instid0(SALU_CYCLE_1)
	s_and_not1_b32 vcc_lo, exec_lo, s24
	s_cbranch_vccnz .LBB70_764
; %bb.756:
	s_cmp_lt_i32 s21, 6
	s_mov_b32 s24, -1
	s_cbranch_scc1 .LBB70_762
; %bb.757:
	s_cmp_gt_i32 s21, 6
	s_cbranch_scc0 .LBB70_759
; %bb.758:
	s_wait_xcnt 0x0
	s_delay_alu instid0(VALU_DEP_4) | instskip(SKIP_2) | instid1(VALU_DEP_2)
	v_cvt_f64_u32_e32 v[2:3], v5
	v_cvt_f64_u32_e32 v[6:7], v4
	s_mov_b32 s24, 0
	v_ldexp_f64 v[2:3], v[2:3], 32
	s_delay_alu instid0(VALU_DEP_1)
	v_add_f64_e32 v[2:3], v[2:3], v[6:7]
	global_store_b64 v[0:1], v[2:3], off
.LBB70_759:
	s_and_not1_b32 vcc_lo, exec_lo, s24
	s_cbranch_vccnz .LBB70_761
; %bb.760:
	s_wait_xcnt 0x0
	s_delay_alu instid0(VALU_DEP_4) | instskip(NEXT) | instid1(VALU_DEP_1)
	v_clz_i32_u32_e32 v2, v5
	v_min_u32_e32 v6, 32, v2
	s_delay_alu instid0(VALU_DEP_1) | instskip(NEXT) | instid1(VALU_DEP_1)
	v_lshlrev_b64_e32 v[2:3], v6, v[4:5]
	v_min_u32_e32 v2, 1, v2
	s_delay_alu instid0(VALU_DEP_1) | instskip(SKIP_1) | instid1(VALU_DEP_2)
	v_or_b32_e32 v2, v3, v2
	v_sub_nc_u32_e32 v3, 32, v6
	v_cvt_f32_u32_e32 v2, v2
	s_delay_alu instid0(VALU_DEP_1)
	v_ldexp_f32 v2, v2, v3
	global_store_b32 v[0:1], v2, off
.LBB70_761:
	s_mov_b32 s24, 0
.LBB70_762:
	s_delay_alu instid0(SALU_CYCLE_1)
	s_and_not1_b32 vcc_lo, exec_lo, s24
	s_cbranch_vccnz .LBB70_764
; %bb.763:
	s_wait_xcnt 0x0
	s_delay_alu instid0(VALU_DEP_4) | instskip(NEXT) | instid1(VALU_DEP_1)
	v_clz_i32_u32_e32 v2, v5
	v_min_u32_e32 v6, 32, v2
	s_delay_alu instid0(VALU_DEP_1) | instskip(NEXT) | instid1(VALU_DEP_1)
	v_lshlrev_b64_e32 v[2:3], v6, v[4:5]
	v_min_u32_e32 v2, 1, v2
	s_delay_alu instid0(VALU_DEP_1) | instskip(SKIP_1) | instid1(VALU_DEP_2)
	v_or_b32_e32 v2, v3, v2
	v_sub_nc_u32_e32 v3, 32, v6
	v_cvt_f32_u32_e32 v2, v2
	s_delay_alu instid0(VALU_DEP_1) | instskip(NEXT) | instid1(VALU_DEP_1)
	v_ldexp_f32 v2, v2, v3
	v_cvt_f16_f32_e32 v2, v2
	global_store_b16 v[0:1], v2, off
.LBB70_764:
	s_mov_b32 s24, 0
.LBB70_765:
	s_delay_alu instid0(SALU_CYCLE_1)
	s_and_not1_b32 vcc_lo, exec_lo, s24
	s_cbranch_vccnz .LBB70_781
; %bb.766:
	s_cmp_lt_i32 s21, 2
	s_mov_b32 s24, -1
	s_cbranch_scc1 .LBB70_776
; %bb.767:
	s_cmp_lt_i32 s21, 3
	s_cbranch_scc1 .LBB70_773
; %bb.768:
	s_cmp_gt_i32 s21, 3
	s_cbranch_scc0 .LBB70_770
; %bb.769:
	s_mov_b32 s24, 0
	global_store_b64 v[0:1], v[4:5], off
.LBB70_770:
	s_and_not1_b32 vcc_lo, exec_lo, s24
	s_cbranch_vccnz .LBB70_772
; %bb.771:
	global_store_b32 v[0:1], v4, off
.LBB70_772:
	s_mov_b32 s24, 0
.LBB70_773:
	s_delay_alu instid0(SALU_CYCLE_1)
	s_and_not1_b32 vcc_lo, exec_lo, s24
	s_cbranch_vccnz .LBB70_775
; %bb.774:
	global_store_b16 v[0:1], v4, off
.LBB70_775:
	s_mov_b32 s24, 0
.LBB70_776:
	s_delay_alu instid0(SALU_CYCLE_1)
	s_and_not1_b32 vcc_lo, exec_lo, s24
	s_cbranch_vccnz .LBB70_781
; %bb.777:
	s_cmp_gt_i32 s21, 0
	s_mov_b32 s21, -1
	s_cbranch_scc0 .LBB70_779
; %bb.778:
	s_mov_b32 s21, 0
	global_store_b8 v[0:1], v4, off
.LBB70_779:
	s_and_not1_b32 vcc_lo, exec_lo, s21
	s_cbranch_vccnz .LBB70_781
; %bb.780:
	global_store_b8 v[0:1], v4, off
.LBB70_781:
	s_mov_b32 s25, -1
.LBB70_782:
	s_delay_alu instid0(SALU_CYCLE_1)
	s_and_not1_b32 vcc_lo, exec_lo, s25
	s_cbranch_vccnz .LBB70_784
; %bb.783:
	v_add_nc_u32_e32 v20, 0x80, v20
	s_mov_b32 s24, -1
	s_branch .LBB70_786
.LBB70_784:
	s_mov_b32 s24, 0
.LBB70_785:
                                        ; implicit-def: $vgpr20
.LBB70_786:
	s_and_not1_b32 s21, s15, exec_lo
	s_and_b32 s0, s0, exec_lo
	s_and_b32 s22, s22, exec_lo
	s_or_b32 s21, s21, s0
	s_and_not1_b32 s0, s17, exec_lo
	s_and_not1_b32 s25, s18, exec_lo
	s_and_b32 s20, s20, exec_lo
	s_or_b32 s22, s0, s22
	s_or_b32 s20, s25, s20
	s_or_not1_b32 s25, s24, exec_lo
.LBB70_787:
	s_wait_xcnt 0x0
	s_or_b32 exec_lo, exec_lo, s23
	s_mov_b32 s24, 0
	s_mov_b32 s26, 0
	;; [unrolled: 1-line block ×3, first 2 shown]
                                        ; implicit-def: $sgpr0
                                        ; implicit-def: $vgpr2_vgpr3
                                        ; implicit-def: $vgpr0_vgpr1
	s_and_saveexec_b32 s23, s25
	s_cbranch_execz .LBB70_1264
; %bb.788:
	s_mov_b32 s31, -1
	s_mov_b32 s25, s20
	s_mov_b32 s26, s22
	;; [unrolled: 1-line block ×3, first 2 shown]
	s_mov_b32 s24, exec_lo
	v_cmpx_gt_i32_e64 s16, v20
	s_cbranch_execz .LBB70_1184
; %bb.789:
	s_wait_loadcnt 0x0
	v_mul_lo_u32 v0, v20, s9
	s_and_b32 s0, s13, 0xff
	s_delay_alu instid0(SALU_CYCLE_1) | instskip(NEXT) | instid1(VALU_DEP_1)
	s_cmp_lt_i32 s0, 11
	v_ashrrev_i32_e32 v1, 31, v0
	s_delay_alu instid0(VALU_DEP_1)
	v_add_nc_u64_e32 v[2:3], s[6:7], v[0:1]
	s_cbranch_scc1 .LBB70_796
; %bb.790:
	s_and_b32 s26, 0xffff, s0
	s_delay_alu instid0(SALU_CYCLE_1)
	s_cmp_gt_i32 s26, 25
	s_cbranch_scc0 .LBB70_797
; %bb.791:
	s_cmp_gt_i32 s26, 28
	s_cbranch_scc0 .LBB70_798
; %bb.792:
	;; [unrolled: 3-line block ×4, first 2 shown]
	s_cmp_eq_u32 s26, 46
	s_mov_b32 s28, 0
	s_cbranch_scc0 .LBB70_803
; %bb.795:
	global_load_b32 v0, v[2:3], off
	s_mov_b32 s27, -1
	s_mov_b32 s25, 0
	s_wait_loadcnt 0x0
	v_lshlrev_b32_e32 v0, 16, v0
	s_delay_alu instid0(VALU_DEP_1) | instskip(NEXT) | instid1(VALU_DEP_1)
	v_trunc_f32_e32 v0, v0
	v_mul_f32_e64 v1, 0x2f800000, |v0|
	s_delay_alu instid0(VALU_DEP_1) | instskip(NEXT) | instid1(VALU_DEP_1)
	v_floor_f32_e32 v1, v1
	v_fma_f32 v4, 0xcf800000, v1, |v0|
	v_ashrrev_i32_e32 v0, 31, v0
	v_cvt_u32_f32_e32 v5, v1
	s_delay_alu instid0(VALU_DEP_3) | instskip(NEXT) | instid1(VALU_DEP_2)
	v_cvt_u32_f32_e32 v4, v4
	v_dual_mov_b32 v1, v0 :: v_dual_bitop2_b32 v5, v5, v0 bitop3:0x14
	s_delay_alu instid0(VALU_DEP_2) | instskip(NEXT) | instid1(VALU_DEP_1)
	v_xor_b32_e32 v4, v4, v0
	v_sub_nc_u64_e32 v[0:1], v[4:5], v[0:1]
	s_branch .LBB70_805
.LBB70_796:
	s_mov_b32 s26, -1
	s_mov_b32 s27, 0
	s_mov_b32 s25, s20
                                        ; implicit-def: $vgpr0_vgpr1
	s_branch .LBB70_866
.LBB70_797:
	s_mov_b32 s28, -1
	s_mov_b32 s27, 0
	s_mov_b32 s25, s20
                                        ; implicit-def: $vgpr0_vgpr1
	s_branch .LBB70_832
.LBB70_798:
	s_mov_b32 s28, -1
	s_mov_b32 s27, 0
	s_mov_b32 s25, s20
                                        ; implicit-def: $vgpr0_vgpr1
	s_branch .LBB70_815
.LBB70_799:
	s_mov_b32 s28, -1
	s_mov_b32 s27, 0
	s_mov_b32 s25, s20
                                        ; implicit-def: $vgpr0_vgpr1
	s_branch .LBB70_810
.LBB70_800:
	s_mov_b32 s28, -1
	s_mov_b32 s27, 0
	s_mov_b32 s25, s20
	s_branch .LBB70_804
.LBB70_801:
	s_and_not1_saveexec_b32 s27, s27
	s_cbranch_execz .LBB70_695
.LBB70_802:
	v_add_f32_e32 v2, 0x46000000, v3
	s_and_not1_b32 s26, s26, exec_lo
	s_delay_alu instid0(VALU_DEP_1) | instskip(NEXT) | instid1(VALU_DEP_1)
	v_and_b32_e32 v2, 0xff, v2
	v_cmp_ne_u32_e32 vcc_lo, 0, v2
	s_and_b32 s28, vcc_lo, exec_lo
	s_delay_alu instid0(SALU_CYCLE_1)
	s_or_b32 s26, s26, s28
	s_or_b32 exec_lo, exec_lo, s27
	v_mov_b32_e32 v6, 0
	s_and_saveexec_b32 s27, s26
	s_cbranch_execnz .LBB70_696
	s_branch .LBB70_697
.LBB70_803:
	s_mov_b32 s25, -1
	s_mov_b32 s27, 0
.LBB70_804:
                                        ; implicit-def: $vgpr0_vgpr1
.LBB70_805:
	s_and_b32 vcc_lo, exec_lo, s28
	s_cbranch_vccz .LBB70_809
; %bb.806:
	s_cmp_eq_u32 s26, 44
	s_cbranch_scc0 .LBB70_808
; %bb.807:
	global_load_u8 v6, v[2:3], off
	s_mov_b32 s25, 0
	s_mov_b32 s27, -1
	s_wait_loadcnt 0x0
	v_cmp_ne_u32_e32 vcc_lo, 0, v6
	v_lshlrev_b32_e32 v0, 23, v6
	s_delay_alu instid0(VALU_DEP_1) | instskip(NEXT) | instid1(VALU_DEP_1)
	v_trunc_f32_e32 v0, v0
	v_mul_f32_e64 v1, 0x2f800000, |v0|
	s_delay_alu instid0(VALU_DEP_1) | instskip(NEXT) | instid1(VALU_DEP_1)
	v_floor_f32_e32 v1, v1
	v_fma_f32 v4, 0xcf800000, v1, |v0|
	v_ashrrev_i32_e32 v0, 31, v0
	v_cvt_u32_f32_e32 v5, v1
	s_delay_alu instid0(VALU_DEP_3) | instskip(NEXT) | instid1(VALU_DEP_2)
	v_cvt_u32_f32_e32 v4, v4
	v_dual_mov_b32 v1, v0 :: v_dual_bitop2_b32 v5, v5, v0 bitop3:0x14
	s_delay_alu instid0(VALU_DEP_2) | instskip(NEXT) | instid1(VALU_DEP_1)
	v_xor_b32_e32 v4, v4, v0
	v_sub_nc_u64_e32 v[0:1], v[4:5], v[0:1]
	s_delay_alu instid0(VALU_DEP_1)
	v_dual_cndmask_b32 v1, 0, v1 :: v_dual_cndmask_b32 v0, 0, v0
	s_branch .LBB70_809
.LBB70_808:
	s_mov_b32 s25, -1
                                        ; implicit-def: $vgpr0_vgpr1
.LBB70_809:
	s_mov_b32 s28, 0
.LBB70_810:
	s_delay_alu instid0(SALU_CYCLE_1)
	s_and_b32 vcc_lo, exec_lo, s28
	s_cbranch_vccz .LBB70_814
; %bb.811:
	s_cmp_eq_u32 s26, 29
	s_cbranch_scc0 .LBB70_813
; %bb.812:
	global_load_b64 v[0:1], v[2:3], off
	s_mov_b32 s27, -1
	s_mov_b32 s25, 0
	s_branch .LBB70_814
.LBB70_813:
	s_mov_b32 s25, -1
                                        ; implicit-def: $vgpr0_vgpr1
.LBB70_814:
	s_mov_b32 s28, 0
.LBB70_815:
	s_delay_alu instid0(SALU_CYCLE_1)
	s_and_b32 vcc_lo, exec_lo, s28
	s_cbranch_vccz .LBB70_831
; %bb.816:
	s_cmp_lt_i32 s26, 27
	s_cbranch_scc1 .LBB70_819
; %bb.817:
	s_cmp_gt_i32 s26, 27
	s_cbranch_scc0 .LBB70_820
; %bb.818:
	s_wait_loadcnt 0x0
	global_load_b32 v0, v[2:3], off
	v_mov_b32_e32 v1, 0
	s_mov_b32 s27, 0
	s_branch .LBB70_821
.LBB70_819:
	s_mov_b32 s27, -1
                                        ; implicit-def: $vgpr0_vgpr1
	s_branch .LBB70_824
.LBB70_820:
	s_mov_b32 s27, -1
                                        ; implicit-def: $vgpr0_vgpr1
.LBB70_821:
	s_delay_alu instid0(SALU_CYCLE_1)
	s_and_not1_b32 vcc_lo, exec_lo, s27
	s_cbranch_vccnz .LBB70_823
; %bb.822:
	s_wait_loadcnt 0x0
	global_load_u16 v0, v[2:3], off
	s_mov_b32 s27, 0
	s_delay_alu instid0(SALU_CYCLE_1)
	v_mov_b32_e32 v1, s27
	s_wait_loadcnt 0x0
	v_and_b32_e32 v0, 0xffff, v0
.LBB70_823:
	s_mov_b32 s27, 0
.LBB70_824:
	s_delay_alu instid0(SALU_CYCLE_1)
	s_and_not1_b32 vcc_lo, exec_lo, s27
	s_cbranch_vccnz .LBB70_830
; %bb.825:
	global_load_u8 v4, v[2:3], off
	s_mov_b32 s28, 0
	s_mov_b32 s27, exec_lo
	s_wait_loadcnt 0x0
	v_cmpx_lt_i16_e32 0x7f, v4
	s_xor_b32 s27, exec_lo, s27
	s_cbranch_execz .LBB70_842
; %bb.826:
	v_cmp_ne_u16_e32 vcc_lo, 0x80, v4
	s_and_b32 s28, vcc_lo, exec_lo
	s_and_not1_saveexec_b32 s27, s27
	s_cbranch_execnz .LBB70_843
.LBB70_827:
	s_or_b32 exec_lo, exec_lo, s27
	v_mov_b64_e32 v[0:1], 0
	s_and_saveexec_b32 s27, s28
	s_cbranch_execz .LBB70_829
.LBB70_828:
	v_and_b32_e32 v0, 0xffff, v4
	s_delay_alu instid0(VALU_DEP_1) | instskip(SKIP_1) | instid1(VALU_DEP_2)
	v_and_b32_e32 v1, 7, v0
	v_bfe_u32 v7, v0, 3, 4
	v_clz_i32_u32_e32 v5, v1
	s_delay_alu instid0(VALU_DEP_2) | instskip(NEXT) | instid1(VALU_DEP_2)
	v_cmp_eq_u32_e32 vcc_lo, 0, v7
	v_min_u32_e32 v5, 32, v5
	s_delay_alu instid0(VALU_DEP_1) | instskip(NEXT) | instid1(VALU_DEP_1)
	v_subrev_nc_u32_e32 v6, 28, v5
	v_dual_lshlrev_b32 v0, v6, v0 :: v_dual_sub_nc_u32 v5, 29, v5
	s_delay_alu instid0(VALU_DEP_1) | instskip(NEXT) | instid1(VALU_DEP_2)
	v_and_b32_e32 v0, 7, v0
	v_dual_cndmask_b32 v5, v7, v5 :: v_dual_lshlrev_b32 v4, 24, v4
	s_delay_alu instid0(VALU_DEP_2) | instskip(NEXT) | instid1(VALU_DEP_2)
	v_cndmask_b32_e32 v0, v1, v0, vcc_lo
	v_and_b32_e32 v1, 0x80000000, v4
	s_delay_alu instid0(VALU_DEP_3) | instskip(NEXT) | instid1(VALU_DEP_3)
	v_lshl_add_u32 v4, v5, 23, 0x3b800000
	v_lshlrev_b32_e32 v0, 20, v0
	s_delay_alu instid0(VALU_DEP_1) | instskip(NEXT) | instid1(VALU_DEP_1)
	v_or3_b32 v0, v1, v4, v0
	v_trunc_f32_e32 v0, v0
	s_delay_alu instid0(VALU_DEP_1) | instskip(NEXT) | instid1(VALU_DEP_1)
	v_mul_f32_e64 v1, 0x2f800000, |v0|
	v_floor_f32_e32 v1, v1
	s_delay_alu instid0(VALU_DEP_1) | instskip(SKIP_2) | instid1(VALU_DEP_3)
	v_fma_f32 v4, 0xcf800000, v1, |v0|
	v_ashrrev_i32_e32 v0, 31, v0
	v_cvt_u32_f32_e32 v5, v1
	v_cvt_u32_f32_e32 v4, v4
	s_delay_alu instid0(VALU_DEP_2) | instskip(NEXT) | instid1(VALU_DEP_2)
	v_dual_mov_b32 v1, v0 :: v_dual_bitop2_b32 v5, v5, v0 bitop3:0x14
	v_xor_b32_e32 v4, v4, v0
	s_delay_alu instid0(VALU_DEP_1)
	v_sub_nc_u64_e32 v[0:1], v[4:5], v[0:1]
.LBB70_829:
	s_or_b32 exec_lo, exec_lo, s27
.LBB70_830:
	s_mov_b32 s27, -1
.LBB70_831:
	s_mov_b32 s28, 0
.LBB70_832:
	s_delay_alu instid0(SALU_CYCLE_1)
	s_and_b32 vcc_lo, exec_lo, s28
	s_cbranch_vccz .LBB70_865
; %bb.833:
	s_cmp_gt_i32 s26, 22
	s_cbranch_scc0 .LBB70_841
; %bb.834:
	s_cmp_lt_i32 s26, 24
	s_cbranch_scc1 .LBB70_844
; %bb.835:
	s_cmp_gt_i32 s26, 24
	s_cbranch_scc0 .LBB70_845
; %bb.836:
	global_load_u8 v4, v[2:3], off
	s_mov_b32 s28, 0
	s_mov_b32 s27, exec_lo
	s_wait_loadcnt 0x0
	v_cmpx_lt_i16_e32 0x7f, v4
	s_xor_b32 s27, exec_lo, s27
	s_cbranch_execz .LBB70_857
; %bb.837:
	v_cmp_ne_u16_e32 vcc_lo, 0x80, v4
	s_and_b32 s28, vcc_lo, exec_lo
	s_and_not1_saveexec_b32 s27, s27
	s_cbranch_execnz .LBB70_858
.LBB70_838:
	s_or_b32 exec_lo, exec_lo, s27
	v_mov_b64_e32 v[0:1], 0
	s_and_saveexec_b32 s27, s28
	s_cbranch_execz .LBB70_840
.LBB70_839:
	v_and_b32_e32 v0, 0xffff, v4
	s_delay_alu instid0(VALU_DEP_1) | instskip(SKIP_1) | instid1(VALU_DEP_2)
	v_and_b32_e32 v1, 3, v0
	v_bfe_u32 v7, v0, 2, 5
	v_clz_i32_u32_e32 v5, v1
	s_delay_alu instid0(VALU_DEP_2) | instskip(NEXT) | instid1(VALU_DEP_2)
	v_cmp_eq_u32_e32 vcc_lo, 0, v7
	v_min_u32_e32 v5, 32, v5
	s_delay_alu instid0(VALU_DEP_1) | instskip(NEXT) | instid1(VALU_DEP_1)
	v_subrev_nc_u32_e32 v6, 29, v5
	v_dual_lshlrev_b32 v0, v6, v0 :: v_dual_sub_nc_u32 v5, 30, v5
	s_delay_alu instid0(VALU_DEP_1) | instskip(NEXT) | instid1(VALU_DEP_2)
	v_and_b32_e32 v0, 3, v0
	v_dual_cndmask_b32 v5, v7, v5 :: v_dual_lshlrev_b32 v4, 24, v4
	s_delay_alu instid0(VALU_DEP_2) | instskip(NEXT) | instid1(VALU_DEP_2)
	v_cndmask_b32_e32 v0, v1, v0, vcc_lo
	v_and_b32_e32 v1, 0x80000000, v4
	s_delay_alu instid0(VALU_DEP_3) | instskip(NEXT) | instid1(VALU_DEP_3)
	v_lshl_add_u32 v4, v5, 23, 0x37800000
	v_lshlrev_b32_e32 v0, 21, v0
	s_delay_alu instid0(VALU_DEP_1) | instskip(NEXT) | instid1(VALU_DEP_1)
	v_or3_b32 v0, v1, v4, v0
	v_trunc_f32_e32 v0, v0
	s_delay_alu instid0(VALU_DEP_1) | instskip(NEXT) | instid1(VALU_DEP_1)
	v_mul_f32_e64 v1, 0x2f800000, |v0|
	v_floor_f32_e32 v1, v1
	s_delay_alu instid0(VALU_DEP_1) | instskip(SKIP_2) | instid1(VALU_DEP_3)
	v_fma_f32 v4, 0xcf800000, v1, |v0|
	v_ashrrev_i32_e32 v0, 31, v0
	v_cvt_u32_f32_e32 v5, v1
	v_cvt_u32_f32_e32 v4, v4
	s_delay_alu instid0(VALU_DEP_2) | instskip(NEXT) | instid1(VALU_DEP_2)
	v_dual_mov_b32 v1, v0 :: v_dual_bitop2_b32 v5, v5, v0 bitop3:0x14
	v_xor_b32_e32 v4, v4, v0
	s_delay_alu instid0(VALU_DEP_1)
	v_sub_nc_u64_e32 v[0:1], v[4:5], v[0:1]
.LBB70_840:
	s_or_b32 exec_lo, exec_lo, s27
	s_mov_b32 s27, 0
	s_branch .LBB70_846
.LBB70_841:
	s_mov_b32 s28, -1
                                        ; implicit-def: $vgpr0_vgpr1
	s_branch .LBB70_852
.LBB70_842:
	s_and_not1_saveexec_b32 s27, s27
	s_cbranch_execz .LBB70_827
.LBB70_843:
	v_cmp_ne_u16_e32 vcc_lo, 0, v4
	s_and_not1_b32 s28, s28, exec_lo
	s_and_b32 s29, vcc_lo, exec_lo
	s_delay_alu instid0(SALU_CYCLE_1)
	s_or_b32 s28, s28, s29
	s_or_b32 exec_lo, exec_lo, s27
	v_mov_b64_e32 v[0:1], 0
	s_and_saveexec_b32 s27, s28
	s_cbranch_execnz .LBB70_828
	s_branch .LBB70_829
.LBB70_844:
	s_mov_b32 s27, -1
                                        ; implicit-def: $vgpr0_vgpr1
	s_branch .LBB70_849
.LBB70_845:
	s_mov_b32 s27, -1
                                        ; implicit-def: $vgpr0_vgpr1
.LBB70_846:
	s_delay_alu instid0(SALU_CYCLE_1)
	s_and_b32 vcc_lo, exec_lo, s27
	s_cbranch_vccz .LBB70_848
; %bb.847:
	s_wait_loadcnt 0x0
	global_load_u8 v0, v[2:3], off
	s_wait_loadcnt 0x0
	v_lshlrev_b32_e32 v0, 24, v0
	s_delay_alu instid0(VALU_DEP_1) | instskip(NEXT) | instid1(VALU_DEP_1)
	v_and_b32_e32 v1, 0x7f000000, v0
	v_clz_i32_u32_e32 v4, v1
	v_cmp_ne_u32_e32 vcc_lo, 0, v1
	v_add_nc_u32_e32 v6, 0x1000000, v1
	s_delay_alu instid0(VALU_DEP_3) | instskip(NEXT) | instid1(VALU_DEP_1)
	v_min_u32_e32 v4, 32, v4
	v_sub_nc_u32_e64 v4, v4, 4 clamp
	s_delay_alu instid0(VALU_DEP_1) | instskip(NEXT) | instid1(VALU_DEP_1)
	v_dual_lshlrev_b32 v5, v4, v1 :: v_dual_lshlrev_b32 v4, 23, v4
	v_lshrrev_b32_e32 v5, 4, v5
	s_delay_alu instid0(VALU_DEP_1) | instskip(NEXT) | instid1(VALU_DEP_1)
	v_dual_sub_nc_u32 v4, v5, v4 :: v_dual_ashrrev_i32 v5, 8, v6
	v_add_nc_u32_e32 v4, 0x3c000000, v4
	s_delay_alu instid0(VALU_DEP_1) | instskip(NEXT) | instid1(VALU_DEP_1)
	v_and_or_b32 v4, 0x7f800000, v5, v4
	v_cndmask_b32_e32 v1, 0, v4, vcc_lo
	s_delay_alu instid0(VALU_DEP_1) | instskip(NEXT) | instid1(VALU_DEP_1)
	v_and_or_b32 v0, 0x80000000, v0, v1
	v_trunc_f32_e32 v0, v0
	s_delay_alu instid0(VALU_DEP_1) | instskip(NEXT) | instid1(VALU_DEP_1)
	v_mul_f32_e64 v1, 0x2f800000, |v0|
	v_floor_f32_e32 v1, v1
	s_delay_alu instid0(VALU_DEP_1) | instskip(SKIP_2) | instid1(VALU_DEP_3)
	v_fma_f32 v4, 0xcf800000, v1, |v0|
	v_ashrrev_i32_e32 v0, 31, v0
	v_cvt_u32_f32_e32 v5, v1
	v_cvt_u32_f32_e32 v4, v4
	s_delay_alu instid0(VALU_DEP_2) | instskip(NEXT) | instid1(VALU_DEP_2)
	v_dual_mov_b32 v1, v0 :: v_dual_bitop2_b32 v5, v5, v0 bitop3:0x14
	v_xor_b32_e32 v4, v4, v0
	s_delay_alu instid0(VALU_DEP_1)
	v_sub_nc_u64_e32 v[0:1], v[4:5], v[0:1]
.LBB70_848:
	s_mov_b32 s27, 0
.LBB70_849:
	s_delay_alu instid0(SALU_CYCLE_1)
	s_and_not1_b32 vcc_lo, exec_lo, s27
	s_cbranch_vccnz .LBB70_851
; %bb.850:
	s_wait_loadcnt 0x0
	global_load_u8 v0, v[2:3], off
	s_wait_loadcnt 0x0
	v_lshlrev_b32_e32 v1, 25, v0
	v_lshlrev_b16 v0, 8, v0
	s_delay_alu instid0(VALU_DEP_1) | instskip(SKIP_1) | instid1(VALU_DEP_2)
	v_and_or_b32 v5, 0x7f00, v0, 0.5
	v_bfe_i32 v0, v0, 0, 16
	v_add_f32_e32 v5, -0.5, v5
	v_lshrrev_b32_e32 v4, 4, v1
	v_cmp_gt_u32_e32 vcc_lo, 0x8000000, v1
	s_delay_alu instid0(VALU_DEP_2) | instskip(NEXT) | instid1(VALU_DEP_1)
	v_or_b32_e32 v4, 0x70000000, v4
	v_mul_f32_e32 v4, 0x7800000, v4
	s_delay_alu instid0(VALU_DEP_1) | instskip(NEXT) | instid1(VALU_DEP_1)
	v_cndmask_b32_e32 v1, v4, v5, vcc_lo
	v_and_or_b32 v0, 0x80000000, v0, v1
	s_delay_alu instid0(VALU_DEP_1) | instskip(NEXT) | instid1(VALU_DEP_1)
	v_trunc_f32_e32 v0, v0
	v_mul_f32_e64 v1, 0x2f800000, |v0|
	s_delay_alu instid0(VALU_DEP_1) | instskip(NEXT) | instid1(VALU_DEP_1)
	v_floor_f32_e32 v1, v1
	v_fma_f32 v4, 0xcf800000, v1, |v0|
	v_ashrrev_i32_e32 v0, 31, v0
	v_cvt_u32_f32_e32 v5, v1
	s_delay_alu instid0(VALU_DEP_3) | instskip(NEXT) | instid1(VALU_DEP_2)
	v_cvt_u32_f32_e32 v4, v4
	v_dual_mov_b32 v1, v0 :: v_dual_bitop2_b32 v5, v5, v0 bitop3:0x14
	s_delay_alu instid0(VALU_DEP_2) | instskip(NEXT) | instid1(VALU_DEP_1)
	v_xor_b32_e32 v4, v4, v0
	v_sub_nc_u64_e32 v[0:1], v[4:5], v[0:1]
.LBB70_851:
	s_mov_b32 s28, 0
	s_mov_b32 s27, -1
.LBB70_852:
	s_and_not1_b32 vcc_lo, exec_lo, s28
	s_cbranch_vccnz .LBB70_865
; %bb.853:
	s_cmp_gt_i32 s26, 14
	s_cbranch_scc0 .LBB70_856
; %bb.854:
	s_cmp_eq_u32 s26, 15
	s_cbranch_scc0 .LBB70_859
; %bb.855:
	s_wait_loadcnt 0x0
	global_load_u16 v0, v[2:3], off
	s_mov_b32 s27, -1
	s_mov_b32 s25, 0
	s_wait_loadcnt 0x0
	v_lshlrev_b32_e32 v0, 16, v0
	s_delay_alu instid0(VALU_DEP_1) | instskip(NEXT) | instid1(VALU_DEP_1)
	v_trunc_f32_e32 v0, v0
	v_mul_f32_e64 v1, 0x2f800000, |v0|
	s_delay_alu instid0(VALU_DEP_1) | instskip(NEXT) | instid1(VALU_DEP_1)
	v_floor_f32_e32 v1, v1
	v_fma_f32 v4, 0xcf800000, v1, |v0|
	v_ashrrev_i32_e32 v0, 31, v0
	v_cvt_u32_f32_e32 v5, v1
	s_delay_alu instid0(VALU_DEP_3) | instskip(NEXT) | instid1(VALU_DEP_2)
	v_cvt_u32_f32_e32 v4, v4
	v_dual_mov_b32 v1, v0 :: v_dual_bitop2_b32 v5, v5, v0 bitop3:0x14
	s_delay_alu instid0(VALU_DEP_2) | instskip(NEXT) | instid1(VALU_DEP_1)
	v_xor_b32_e32 v4, v4, v0
	v_sub_nc_u64_e32 v[0:1], v[4:5], v[0:1]
	s_branch .LBB70_860
.LBB70_856:
	s_mov_b32 s28, -1
                                        ; implicit-def: $vgpr0_vgpr1
	s_branch .LBB70_861
.LBB70_857:
	s_and_not1_saveexec_b32 s27, s27
	s_cbranch_execz .LBB70_838
.LBB70_858:
	v_cmp_ne_u16_e32 vcc_lo, 0, v4
	s_and_not1_b32 s28, s28, exec_lo
	s_and_b32 s29, vcc_lo, exec_lo
	s_delay_alu instid0(SALU_CYCLE_1)
	s_or_b32 s28, s28, s29
	s_or_b32 exec_lo, exec_lo, s27
	v_mov_b64_e32 v[0:1], 0
	s_and_saveexec_b32 s27, s28
	s_cbranch_execnz .LBB70_839
	s_branch .LBB70_840
.LBB70_859:
	s_mov_b32 s25, -1
                                        ; implicit-def: $vgpr0_vgpr1
.LBB70_860:
	s_mov_b32 s28, 0
.LBB70_861:
	s_delay_alu instid0(SALU_CYCLE_1)
	s_and_b32 vcc_lo, exec_lo, s28
	s_cbranch_vccz .LBB70_865
; %bb.862:
	s_cmp_eq_u32 s26, 11
	s_cbranch_scc0 .LBB70_864
; %bb.863:
	s_wait_loadcnt 0x0
	global_load_u8 v0, v[2:3], off
	s_mov_b32 s25, 0
	s_mov_b32 s27, -1
	v_mov_b32_e32 v1, s25
	s_wait_loadcnt 0x0
	v_cmp_ne_u16_e32 vcc_lo, 0, v0
	v_cndmask_b32_e64 v0, 0, 1, vcc_lo
	s_branch .LBB70_865
.LBB70_864:
	s_mov_b32 s25, -1
                                        ; implicit-def: $vgpr0_vgpr1
.LBB70_865:
	s_mov_b32 s26, 0
.LBB70_866:
	s_delay_alu instid0(SALU_CYCLE_1)
	s_and_b32 vcc_lo, exec_lo, s26
	s_cbranch_vccz .LBB70_915
; %bb.867:
	s_and_b32 s0, 0xffff, s0
	s_delay_alu instid0(SALU_CYCLE_1)
	s_cmp_lt_i32 s0, 5
	s_cbranch_scc1 .LBB70_872
; %bb.868:
	s_cmp_lt_i32 s0, 8
	s_cbranch_scc1 .LBB70_873
; %bb.869:
	s_cmp_lt_i32 s0, 9
	s_cbranch_scc1 .LBB70_874
; %bb.870:
	s_cmp_gt_i32 s0, 9
	s_cbranch_scc0 .LBB70_875
; %bb.871:
	s_wait_loadcnt 0x0
	global_load_b64 v[0:1], v[2:3], off
	s_mov_b32 s26, 0
	s_wait_loadcnt 0x0
	v_trunc_f64_e32 v[0:1], v[0:1]
	s_delay_alu instid0(VALU_DEP_1) | instskip(NEXT) | instid1(VALU_DEP_1)
	v_ldexp_f64 v[4:5], v[0:1], 0xffffffe0
	v_floor_f64_e32 v[4:5], v[4:5]
	s_delay_alu instid0(VALU_DEP_1) | instskip(SKIP_1) | instid1(VALU_DEP_2)
	v_fmamk_f64 v[6:7], v[4:5], 0xc1f00000, v[0:1]
	v_cvt_i32_f64_e32 v1, v[4:5]
	v_cvt_u32_f64_e32 v0, v[6:7]
	s_branch .LBB70_876
.LBB70_872:
	s_mov_b32 s26, -1
                                        ; implicit-def: $vgpr0_vgpr1
	s_branch .LBB70_894
.LBB70_873:
	s_mov_b32 s26, -1
                                        ; implicit-def: $vgpr0_vgpr1
	s_branch .LBB70_882
.LBB70_874:
	s_mov_b32 s26, -1
                                        ; implicit-def: $vgpr0_vgpr1
	s_branch .LBB70_879
.LBB70_875:
	s_mov_b32 s26, -1
                                        ; implicit-def: $vgpr0_vgpr1
.LBB70_876:
	s_delay_alu instid0(SALU_CYCLE_1)
	s_and_not1_b32 vcc_lo, exec_lo, s26
	s_cbranch_vccnz .LBB70_878
; %bb.877:
	s_wait_loadcnt 0x0
	global_load_b32 v0, v[2:3], off
	s_wait_loadcnt 0x0
	v_trunc_f32_e32 v0, v0
	s_delay_alu instid0(VALU_DEP_1) | instskip(NEXT) | instid1(VALU_DEP_1)
	v_mul_f32_e64 v1, 0x2f800000, |v0|
	v_floor_f32_e32 v1, v1
	s_delay_alu instid0(VALU_DEP_1) | instskip(SKIP_2) | instid1(VALU_DEP_3)
	v_fma_f32 v4, 0xcf800000, v1, |v0|
	v_ashrrev_i32_e32 v0, 31, v0
	v_cvt_u32_f32_e32 v5, v1
	v_cvt_u32_f32_e32 v4, v4
	s_delay_alu instid0(VALU_DEP_2) | instskip(NEXT) | instid1(VALU_DEP_2)
	v_dual_mov_b32 v1, v0 :: v_dual_bitop2_b32 v5, v5, v0 bitop3:0x14
	v_xor_b32_e32 v4, v4, v0
	s_delay_alu instid0(VALU_DEP_1)
	v_sub_nc_u64_e32 v[0:1], v[4:5], v[0:1]
.LBB70_878:
	s_mov_b32 s26, 0
.LBB70_879:
	s_delay_alu instid0(SALU_CYCLE_1)
	s_and_not1_b32 vcc_lo, exec_lo, s26
	s_cbranch_vccnz .LBB70_881
; %bb.880:
	s_wait_loadcnt 0x0
	global_load_b32 v0, v[2:3], off
	s_wait_loadcnt 0x0
	v_cvt_f32_f16_e32 v0, v0
	s_delay_alu instid0(VALU_DEP_1) | instskip(NEXT) | instid1(VALU_DEP_1)
	v_cvt_i32_f32_e32 v0, v0
	v_ashrrev_i32_e32 v1, 31, v0
.LBB70_881:
	s_mov_b32 s26, 0
.LBB70_882:
	s_delay_alu instid0(SALU_CYCLE_1)
	s_and_not1_b32 vcc_lo, exec_lo, s26
	s_cbranch_vccnz .LBB70_893
; %bb.883:
	s_cmp_lt_i32 s0, 6
	s_cbranch_scc1 .LBB70_886
; %bb.884:
	s_cmp_gt_i32 s0, 6
	s_cbranch_scc0 .LBB70_887
; %bb.885:
	s_wait_loadcnt 0x0
	global_load_b64 v[0:1], v[2:3], off
	s_mov_b32 s26, 0
	s_wait_loadcnt 0x0
	v_trunc_f64_e32 v[0:1], v[0:1]
	s_delay_alu instid0(VALU_DEP_1) | instskip(NEXT) | instid1(VALU_DEP_1)
	v_ldexp_f64 v[4:5], v[0:1], 0xffffffe0
	v_floor_f64_e32 v[4:5], v[4:5]
	s_delay_alu instid0(VALU_DEP_1) | instskip(SKIP_1) | instid1(VALU_DEP_2)
	v_fmamk_f64 v[6:7], v[4:5], 0xc1f00000, v[0:1]
	v_cvt_i32_f64_e32 v1, v[4:5]
	v_cvt_u32_f64_e32 v0, v[6:7]
	s_branch .LBB70_888
.LBB70_886:
	s_mov_b32 s26, -1
                                        ; implicit-def: $vgpr0_vgpr1
	s_branch .LBB70_891
.LBB70_887:
	s_mov_b32 s26, -1
                                        ; implicit-def: $vgpr0_vgpr1
.LBB70_888:
	s_delay_alu instid0(SALU_CYCLE_1)
	s_and_not1_b32 vcc_lo, exec_lo, s26
	s_cbranch_vccnz .LBB70_890
; %bb.889:
	s_wait_loadcnt 0x0
	global_load_b32 v0, v[2:3], off
	s_wait_loadcnt 0x0
	v_trunc_f32_e32 v0, v0
	s_delay_alu instid0(VALU_DEP_1) | instskip(NEXT) | instid1(VALU_DEP_1)
	v_mul_f32_e64 v1, 0x2f800000, |v0|
	v_floor_f32_e32 v1, v1
	s_delay_alu instid0(VALU_DEP_1) | instskip(SKIP_2) | instid1(VALU_DEP_3)
	v_fma_f32 v4, 0xcf800000, v1, |v0|
	v_ashrrev_i32_e32 v0, 31, v0
	v_cvt_u32_f32_e32 v5, v1
	v_cvt_u32_f32_e32 v4, v4
	s_delay_alu instid0(VALU_DEP_2) | instskip(NEXT) | instid1(VALU_DEP_2)
	v_dual_mov_b32 v1, v0 :: v_dual_bitop2_b32 v5, v5, v0 bitop3:0x14
	v_xor_b32_e32 v4, v4, v0
	s_delay_alu instid0(VALU_DEP_1)
	v_sub_nc_u64_e32 v[0:1], v[4:5], v[0:1]
.LBB70_890:
	s_mov_b32 s26, 0
.LBB70_891:
	s_delay_alu instid0(SALU_CYCLE_1)
	s_and_not1_b32 vcc_lo, exec_lo, s26
	s_cbranch_vccnz .LBB70_893
; %bb.892:
	s_wait_loadcnt 0x0
	global_load_u16 v0, v[2:3], off
	s_wait_loadcnt 0x0
	v_cvt_f32_f16_e32 v0, v0
	s_delay_alu instid0(VALU_DEP_1) | instskip(NEXT) | instid1(VALU_DEP_1)
	v_cvt_i32_f32_e32 v0, v0
	v_ashrrev_i32_e32 v1, 31, v0
.LBB70_893:
	s_mov_b32 s26, 0
.LBB70_894:
	s_delay_alu instid0(SALU_CYCLE_1)
	s_and_not1_b32 vcc_lo, exec_lo, s26
	s_cbranch_vccnz .LBB70_914
; %bb.895:
	s_cmp_lt_i32 s0, 2
	s_cbranch_scc1 .LBB70_899
; %bb.896:
	s_cmp_lt_i32 s0, 3
	s_cbranch_scc1 .LBB70_900
; %bb.897:
	s_cmp_gt_i32 s0, 3
	s_cbranch_scc0 .LBB70_901
; %bb.898:
	s_wait_loadcnt 0x0
	global_load_b64 v[0:1], v[2:3], off
	s_mov_b32 s26, 0
	s_branch .LBB70_902
.LBB70_899:
	s_mov_b32 s26, -1
                                        ; implicit-def: $vgpr0_vgpr1
	s_branch .LBB70_908
.LBB70_900:
	s_mov_b32 s26, -1
                                        ; implicit-def: $vgpr0_vgpr1
	s_branch .LBB70_905
.LBB70_901:
	s_mov_b32 s26, -1
                                        ; implicit-def: $vgpr0_vgpr1
.LBB70_902:
	s_delay_alu instid0(SALU_CYCLE_1)
	s_and_not1_b32 vcc_lo, exec_lo, s26
	s_cbranch_vccnz .LBB70_904
; %bb.903:
	s_wait_loadcnt 0x0
	global_load_b32 v0, v[2:3], off
	s_wait_loadcnt 0x0
	v_ashrrev_i32_e32 v1, 31, v0
.LBB70_904:
	s_mov_b32 s26, 0
.LBB70_905:
	s_delay_alu instid0(SALU_CYCLE_1)
	s_and_not1_b32 vcc_lo, exec_lo, s26
	s_cbranch_vccnz .LBB70_907
; %bb.906:
	s_wait_loadcnt 0x0
	global_load_u16 v0, v[2:3], off
	s_wait_loadcnt 0x0
	v_bfe_i32 v0, v0, 0, 16
	s_delay_alu instid0(VALU_DEP_1)
	v_ashrrev_i32_e32 v1, 31, v0
.LBB70_907:
	s_mov_b32 s26, 0
.LBB70_908:
	s_delay_alu instid0(SALU_CYCLE_1)
	s_and_not1_b32 vcc_lo, exec_lo, s26
	s_cbranch_vccnz .LBB70_914
; %bb.909:
	s_cmp_gt_i32 s0, 0
	s_mov_b32 s0, 0
	s_cbranch_scc0 .LBB70_911
; %bb.910:
	s_wait_loadcnt 0x0
	global_load_i8 v0, v[2:3], off
	s_wait_loadcnt 0x0
	v_bfe_i32 v0, v0, 0, 16
	s_delay_alu instid0(VALU_DEP_1)
	v_ashrrev_i32_e32 v1, 31, v0
	s_branch .LBB70_912
.LBB70_911:
	s_mov_b32 s0, -1
                                        ; implicit-def: $vgpr0_vgpr1
.LBB70_912:
	s_delay_alu instid0(SALU_CYCLE_1)
	s_and_not1_b32 vcc_lo, exec_lo, s0
	s_cbranch_vccnz .LBB70_914
; %bb.913:
	s_wait_loadcnt 0x0
	global_load_u8 v0, v[2:3], off
	s_mov_b32 s0, 0
	s_delay_alu instid0(SALU_CYCLE_1)
	v_mov_b32_e32 v1, s0
	s_wait_loadcnt 0x0
	v_and_b32_e32 v0, 0xffff, v0
.LBB70_914:
	s_mov_b32 s27, -1
.LBB70_915:
	s_delay_alu instid0(SALU_CYCLE_1)
	s_and_not1_b32 vcc_lo, exec_lo, s27
	s_cbranch_vccnz .LBB70_923
; %bb.916:
	s_wait_xcnt 0x0
	v_mul_lo_u32 v2, v20, s10
	s_and_b32 s0, s1, 0xff
	s_delay_alu instid0(SALU_CYCLE_1) | instskip(NEXT) | instid1(VALU_DEP_1)
	s_cmp_lt_i32 s0, 11
	v_ashrrev_i32_e32 v3, 31, v2
	s_delay_alu instid0(VALU_DEP_1)
	v_add_nc_u64_e32 v[4:5], s[2:3], v[2:3]
	s_cbranch_scc1 .LBB70_924
; %bb.917:
	s_and_b32 s27, 0xffff, s0
	s_delay_alu instid0(SALU_CYCLE_1)
	s_cmp_gt_i32 s27, 25
	s_cbranch_scc0 .LBB70_925
; %bb.918:
	s_cmp_gt_i32 s27, 28
	s_cbranch_scc0 .LBB70_926
; %bb.919:
	;; [unrolled: 3-line block ×4, first 2 shown]
	s_cmp_eq_u32 s27, 46
	s_mov_b32 s29, 0
	s_cbranch_scc0 .LBB70_931
; %bb.922:
	global_load_b32 v2, v[4:5], off
	s_mov_b32 s28, -1
	s_mov_b32 s26, 0
	s_wait_loadcnt 0x0
	v_lshlrev_b32_e32 v2, 16, v2
	s_delay_alu instid0(VALU_DEP_1) | instskip(NEXT) | instid1(VALU_DEP_1)
	v_trunc_f32_e32 v2, v2
	v_mul_f32_e64 v3, 0x2f800000, |v2|
	s_delay_alu instid0(VALU_DEP_1) | instskip(NEXT) | instid1(VALU_DEP_1)
	v_floor_f32_e32 v3, v3
	v_fma_f32 v6, 0xcf800000, v3, |v2|
	v_ashrrev_i32_e32 v2, 31, v2
	v_cvt_u32_f32_e32 v7, v3
	s_delay_alu instid0(VALU_DEP_3) | instskip(NEXT) | instid1(VALU_DEP_2)
	v_cvt_u32_f32_e32 v6, v6
	v_dual_mov_b32 v3, v2 :: v_dual_bitop2_b32 v7, v7, v2 bitop3:0x14
	s_delay_alu instid0(VALU_DEP_2) | instskip(NEXT) | instid1(VALU_DEP_1)
	v_xor_b32_e32 v6, v6, v2
	v_sub_nc_u64_e32 v[2:3], v[6:7], v[2:3]
	s_branch .LBB70_933
.LBB70_923:
	s_mov_b32 s28, 0
	s_mov_b32 s0, s21
	;; [unrolled: 1-line block ×3, first 2 shown]
	s_branch .LBB70_1182
.LBB70_924:
	s_mov_b32 s27, -1
	s_mov_b32 s28, 0
	s_mov_b32 s26, s22
                                        ; implicit-def: $vgpr2_vgpr3
	s_branch .LBB70_994
.LBB70_925:
	s_mov_b32 s29, -1
	s_mov_b32 s28, 0
	s_mov_b32 s26, s22
                                        ; implicit-def: $vgpr2_vgpr3
	s_branch .LBB70_960
.LBB70_926:
	s_mov_b32 s29, -1
	s_mov_b32 s28, 0
	s_mov_b32 s26, s22
                                        ; implicit-def: $vgpr2_vgpr3
	s_branch .LBB70_943
.LBB70_927:
	s_mov_b32 s29, -1
	s_mov_b32 s28, 0
	s_mov_b32 s26, s22
                                        ; implicit-def: $vgpr2_vgpr3
	s_branch .LBB70_938
.LBB70_928:
	s_mov_b32 s29, -1
	s_mov_b32 s28, 0
	s_mov_b32 s26, s22
	s_branch .LBB70_932
.LBB70_929:
	s_and_not1_saveexec_b32 s27, s27
	s_cbranch_execz .LBB70_708
.LBB70_930:
	v_add_f32_e32 v2, 0x42800000, v3
	s_and_not1_b32 s26, s26, exec_lo
	s_delay_alu instid0(VALU_DEP_1) | instskip(NEXT) | instid1(VALU_DEP_1)
	v_and_b32_e32 v2, 0xff, v2
	v_cmp_ne_u32_e32 vcc_lo, 0, v2
	s_and_b32 s28, vcc_lo, exec_lo
	s_delay_alu instid0(SALU_CYCLE_1)
	s_or_b32 s26, s26, s28
	s_or_b32 exec_lo, exec_lo, s27
	v_mov_b32_e32 v6, 0
	s_and_saveexec_b32 s27, s26
	s_cbranch_execnz .LBB70_709
	s_branch .LBB70_710
.LBB70_931:
	s_mov_b32 s26, -1
	s_mov_b32 s28, 0
.LBB70_932:
                                        ; implicit-def: $vgpr2_vgpr3
.LBB70_933:
	s_and_b32 vcc_lo, exec_lo, s29
	s_cbranch_vccz .LBB70_937
; %bb.934:
	s_cmp_eq_u32 s27, 44
	s_cbranch_scc0 .LBB70_936
; %bb.935:
	global_load_u8 v8, v[4:5], off
	s_mov_b32 s26, 0
	s_mov_b32 s28, -1
	s_wait_loadcnt 0x0
	v_cmp_ne_u32_e32 vcc_lo, 0, v8
	v_lshlrev_b32_e32 v2, 23, v8
	s_delay_alu instid0(VALU_DEP_1) | instskip(NEXT) | instid1(VALU_DEP_1)
	v_trunc_f32_e32 v2, v2
	v_mul_f32_e64 v3, 0x2f800000, |v2|
	s_delay_alu instid0(VALU_DEP_1) | instskip(NEXT) | instid1(VALU_DEP_1)
	v_floor_f32_e32 v3, v3
	v_fma_f32 v6, 0xcf800000, v3, |v2|
	v_ashrrev_i32_e32 v2, 31, v2
	v_cvt_u32_f32_e32 v7, v3
	s_delay_alu instid0(VALU_DEP_3) | instskip(NEXT) | instid1(VALU_DEP_2)
	v_cvt_u32_f32_e32 v6, v6
	v_dual_mov_b32 v3, v2 :: v_dual_bitop2_b32 v7, v7, v2 bitop3:0x14
	s_delay_alu instid0(VALU_DEP_2) | instskip(NEXT) | instid1(VALU_DEP_1)
	v_xor_b32_e32 v6, v6, v2
	v_sub_nc_u64_e32 v[2:3], v[6:7], v[2:3]
	s_delay_alu instid0(VALU_DEP_1)
	v_dual_cndmask_b32 v3, 0, v3 :: v_dual_cndmask_b32 v2, 0, v2
	s_branch .LBB70_937
.LBB70_936:
	s_mov_b32 s26, -1
                                        ; implicit-def: $vgpr2_vgpr3
.LBB70_937:
	s_mov_b32 s29, 0
.LBB70_938:
	s_delay_alu instid0(SALU_CYCLE_1)
	s_and_b32 vcc_lo, exec_lo, s29
	s_cbranch_vccz .LBB70_942
; %bb.939:
	s_cmp_eq_u32 s27, 29
	s_cbranch_scc0 .LBB70_941
; %bb.940:
	global_load_b64 v[2:3], v[4:5], off
	s_mov_b32 s28, -1
	s_mov_b32 s26, 0
	s_branch .LBB70_942
.LBB70_941:
	s_mov_b32 s26, -1
                                        ; implicit-def: $vgpr2_vgpr3
.LBB70_942:
	s_mov_b32 s29, 0
.LBB70_943:
	s_delay_alu instid0(SALU_CYCLE_1)
	s_and_b32 vcc_lo, exec_lo, s29
	s_cbranch_vccz .LBB70_959
; %bb.944:
	s_cmp_lt_i32 s27, 27
	s_cbranch_scc1 .LBB70_947
; %bb.945:
	s_cmp_gt_i32 s27, 27
	s_cbranch_scc0 .LBB70_948
; %bb.946:
	s_wait_loadcnt 0x0
	global_load_b32 v2, v[4:5], off
	v_mov_b32_e32 v3, 0
	s_mov_b32 s28, 0
	s_branch .LBB70_949
.LBB70_947:
	s_mov_b32 s28, -1
                                        ; implicit-def: $vgpr2_vgpr3
	s_branch .LBB70_952
.LBB70_948:
	s_mov_b32 s28, -1
                                        ; implicit-def: $vgpr2_vgpr3
.LBB70_949:
	s_delay_alu instid0(SALU_CYCLE_1)
	s_and_not1_b32 vcc_lo, exec_lo, s28
	s_cbranch_vccnz .LBB70_951
; %bb.950:
	s_wait_loadcnt 0x0
	global_load_u16 v2, v[4:5], off
	s_mov_b32 s28, 0
	s_delay_alu instid0(SALU_CYCLE_1)
	v_mov_b32_e32 v3, s28
	s_wait_loadcnt 0x0
	v_and_b32_e32 v2, 0xffff, v2
.LBB70_951:
	s_mov_b32 s28, 0
.LBB70_952:
	s_delay_alu instid0(SALU_CYCLE_1)
	s_and_not1_b32 vcc_lo, exec_lo, s28
	s_cbranch_vccnz .LBB70_958
; %bb.953:
	global_load_u8 v6, v[4:5], off
	s_mov_b32 s29, 0
	s_mov_b32 s28, exec_lo
	s_wait_loadcnt 0x0
	v_cmpx_lt_i16_e32 0x7f, v6
	s_xor_b32 s28, exec_lo, s28
	s_cbranch_execz .LBB70_970
; %bb.954:
	v_cmp_ne_u16_e32 vcc_lo, 0x80, v6
	s_and_b32 s29, vcc_lo, exec_lo
	s_and_not1_saveexec_b32 s28, s28
	s_cbranch_execnz .LBB70_971
.LBB70_955:
	s_or_b32 exec_lo, exec_lo, s28
	v_mov_b64_e32 v[2:3], 0
	s_and_saveexec_b32 s28, s29
	s_cbranch_execz .LBB70_957
.LBB70_956:
	v_and_b32_e32 v2, 0xffff, v6
	s_delay_alu instid0(VALU_DEP_1) | instskip(SKIP_1) | instid1(VALU_DEP_2)
	v_and_b32_e32 v3, 7, v2
	v_bfe_u32 v9, v2, 3, 4
	v_clz_i32_u32_e32 v7, v3
	s_delay_alu instid0(VALU_DEP_2) | instskip(NEXT) | instid1(VALU_DEP_2)
	v_cmp_eq_u32_e32 vcc_lo, 0, v9
	v_min_u32_e32 v7, 32, v7
	s_delay_alu instid0(VALU_DEP_1) | instskip(NEXT) | instid1(VALU_DEP_1)
	v_subrev_nc_u32_e32 v8, 28, v7
	v_dual_lshlrev_b32 v2, v8, v2 :: v_dual_sub_nc_u32 v7, 29, v7
	s_delay_alu instid0(VALU_DEP_1) | instskip(NEXT) | instid1(VALU_DEP_2)
	v_and_b32_e32 v2, 7, v2
	v_dual_cndmask_b32 v7, v9, v7 :: v_dual_lshlrev_b32 v6, 24, v6
	s_delay_alu instid0(VALU_DEP_2) | instskip(NEXT) | instid1(VALU_DEP_2)
	v_cndmask_b32_e32 v2, v3, v2, vcc_lo
	v_and_b32_e32 v3, 0x80000000, v6
	s_delay_alu instid0(VALU_DEP_3) | instskip(NEXT) | instid1(VALU_DEP_3)
	v_lshl_add_u32 v6, v7, 23, 0x3b800000
	v_lshlrev_b32_e32 v2, 20, v2
	s_delay_alu instid0(VALU_DEP_1) | instskip(NEXT) | instid1(VALU_DEP_1)
	v_or3_b32 v2, v3, v6, v2
	v_trunc_f32_e32 v2, v2
	s_delay_alu instid0(VALU_DEP_1) | instskip(NEXT) | instid1(VALU_DEP_1)
	v_mul_f32_e64 v3, 0x2f800000, |v2|
	v_floor_f32_e32 v3, v3
	s_delay_alu instid0(VALU_DEP_1) | instskip(SKIP_2) | instid1(VALU_DEP_3)
	v_fma_f32 v6, 0xcf800000, v3, |v2|
	v_ashrrev_i32_e32 v2, 31, v2
	v_cvt_u32_f32_e32 v7, v3
	v_cvt_u32_f32_e32 v6, v6
	s_delay_alu instid0(VALU_DEP_2) | instskip(NEXT) | instid1(VALU_DEP_2)
	v_dual_mov_b32 v3, v2 :: v_dual_bitop2_b32 v7, v7, v2 bitop3:0x14
	v_xor_b32_e32 v6, v6, v2
	s_delay_alu instid0(VALU_DEP_1)
	v_sub_nc_u64_e32 v[2:3], v[6:7], v[2:3]
.LBB70_957:
	s_or_b32 exec_lo, exec_lo, s28
.LBB70_958:
	s_mov_b32 s28, -1
.LBB70_959:
	s_mov_b32 s29, 0
.LBB70_960:
	s_delay_alu instid0(SALU_CYCLE_1)
	s_and_b32 vcc_lo, exec_lo, s29
	s_cbranch_vccz .LBB70_993
; %bb.961:
	s_cmp_gt_i32 s27, 22
	s_cbranch_scc0 .LBB70_969
; %bb.962:
	s_cmp_lt_i32 s27, 24
	s_cbranch_scc1 .LBB70_972
; %bb.963:
	s_cmp_gt_i32 s27, 24
	s_cbranch_scc0 .LBB70_973
; %bb.964:
	global_load_u8 v6, v[4:5], off
	s_mov_b32 s29, 0
	s_mov_b32 s28, exec_lo
	s_wait_loadcnt 0x0
	v_cmpx_lt_i16_e32 0x7f, v6
	s_xor_b32 s28, exec_lo, s28
	s_cbranch_execz .LBB70_985
; %bb.965:
	v_cmp_ne_u16_e32 vcc_lo, 0x80, v6
	s_and_b32 s29, vcc_lo, exec_lo
	s_and_not1_saveexec_b32 s28, s28
	s_cbranch_execnz .LBB70_986
.LBB70_966:
	s_or_b32 exec_lo, exec_lo, s28
	v_mov_b64_e32 v[2:3], 0
	s_and_saveexec_b32 s28, s29
	s_cbranch_execz .LBB70_968
.LBB70_967:
	v_and_b32_e32 v2, 0xffff, v6
	s_delay_alu instid0(VALU_DEP_1) | instskip(SKIP_1) | instid1(VALU_DEP_2)
	v_and_b32_e32 v3, 3, v2
	v_bfe_u32 v9, v2, 2, 5
	v_clz_i32_u32_e32 v7, v3
	s_delay_alu instid0(VALU_DEP_2) | instskip(NEXT) | instid1(VALU_DEP_2)
	v_cmp_eq_u32_e32 vcc_lo, 0, v9
	v_min_u32_e32 v7, 32, v7
	s_delay_alu instid0(VALU_DEP_1) | instskip(NEXT) | instid1(VALU_DEP_1)
	v_subrev_nc_u32_e32 v8, 29, v7
	v_dual_lshlrev_b32 v2, v8, v2 :: v_dual_sub_nc_u32 v7, 30, v7
	s_delay_alu instid0(VALU_DEP_1) | instskip(NEXT) | instid1(VALU_DEP_2)
	v_and_b32_e32 v2, 3, v2
	v_dual_cndmask_b32 v7, v9, v7 :: v_dual_lshlrev_b32 v6, 24, v6
	s_delay_alu instid0(VALU_DEP_2) | instskip(NEXT) | instid1(VALU_DEP_2)
	v_cndmask_b32_e32 v2, v3, v2, vcc_lo
	v_and_b32_e32 v3, 0x80000000, v6
	s_delay_alu instid0(VALU_DEP_3) | instskip(NEXT) | instid1(VALU_DEP_3)
	v_lshl_add_u32 v6, v7, 23, 0x37800000
	v_lshlrev_b32_e32 v2, 21, v2
	s_delay_alu instid0(VALU_DEP_1) | instskip(NEXT) | instid1(VALU_DEP_1)
	v_or3_b32 v2, v3, v6, v2
	v_trunc_f32_e32 v2, v2
	s_delay_alu instid0(VALU_DEP_1) | instskip(NEXT) | instid1(VALU_DEP_1)
	v_mul_f32_e64 v3, 0x2f800000, |v2|
	v_floor_f32_e32 v3, v3
	s_delay_alu instid0(VALU_DEP_1) | instskip(SKIP_2) | instid1(VALU_DEP_3)
	v_fma_f32 v6, 0xcf800000, v3, |v2|
	v_ashrrev_i32_e32 v2, 31, v2
	v_cvt_u32_f32_e32 v7, v3
	v_cvt_u32_f32_e32 v6, v6
	s_delay_alu instid0(VALU_DEP_2) | instskip(NEXT) | instid1(VALU_DEP_2)
	v_dual_mov_b32 v3, v2 :: v_dual_bitop2_b32 v7, v7, v2 bitop3:0x14
	v_xor_b32_e32 v6, v6, v2
	s_delay_alu instid0(VALU_DEP_1)
	v_sub_nc_u64_e32 v[2:3], v[6:7], v[2:3]
.LBB70_968:
	s_or_b32 exec_lo, exec_lo, s28
	s_mov_b32 s28, 0
	s_branch .LBB70_974
.LBB70_969:
	s_mov_b32 s29, -1
                                        ; implicit-def: $vgpr2_vgpr3
	s_branch .LBB70_980
.LBB70_970:
	s_and_not1_saveexec_b32 s28, s28
	s_cbranch_execz .LBB70_955
.LBB70_971:
	v_cmp_ne_u16_e32 vcc_lo, 0, v6
	s_and_not1_b32 s29, s29, exec_lo
	s_and_b32 s30, vcc_lo, exec_lo
	s_delay_alu instid0(SALU_CYCLE_1)
	s_or_b32 s29, s29, s30
	s_or_b32 exec_lo, exec_lo, s28
	v_mov_b64_e32 v[2:3], 0
	s_and_saveexec_b32 s28, s29
	s_cbranch_execnz .LBB70_956
	s_branch .LBB70_957
.LBB70_972:
	s_mov_b32 s28, -1
                                        ; implicit-def: $vgpr2_vgpr3
	s_branch .LBB70_977
.LBB70_973:
	s_mov_b32 s28, -1
                                        ; implicit-def: $vgpr2_vgpr3
.LBB70_974:
	s_delay_alu instid0(SALU_CYCLE_1)
	s_and_b32 vcc_lo, exec_lo, s28
	s_cbranch_vccz .LBB70_976
; %bb.975:
	s_wait_loadcnt 0x0
	global_load_u8 v2, v[4:5], off
	s_wait_loadcnt 0x0
	v_lshlrev_b32_e32 v2, 24, v2
	s_delay_alu instid0(VALU_DEP_1) | instskip(NEXT) | instid1(VALU_DEP_1)
	v_and_b32_e32 v3, 0x7f000000, v2
	v_clz_i32_u32_e32 v6, v3
	v_cmp_ne_u32_e32 vcc_lo, 0, v3
	v_add_nc_u32_e32 v8, 0x1000000, v3
	s_delay_alu instid0(VALU_DEP_3) | instskip(NEXT) | instid1(VALU_DEP_1)
	v_min_u32_e32 v6, 32, v6
	v_sub_nc_u32_e64 v6, v6, 4 clamp
	s_delay_alu instid0(VALU_DEP_1) | instskip(NEXT) | instid1(VALU_DEP_1)
	v_dual_lshlrev_b32 v7, v6, v3 :: v_dual_lshlrev_b32 v6, 23, v6
	v_lshrrev_b32_e32 v7, 4, v7
	s_delay_alu instid0(VALU_DEP_1) | instskip(NEXT) | instid1(VALU_DEP_1)
	v_dual_sub_nc_u32 v6, v7, v6 :: v_dual_ashrrev_i32 v7, 8, v8
	v_add_nc_u32_e32 v6, 0x3c000000, v6
	s_delay_alu instid0(VALU_DEP_1) | instskip(NEXT) | instid1(VALU_DEP_1)
	v_and_or_b32 v6, 0x7f800000, v7, v6
	v_cndmask_b32_e32 v3, 0, v6, vcc_lo
	s_delay_alu instid0(VALU_DEP_1) | instskip(NEXT) | instid1(VALU_DEP_1)
	v_and_or_b32 v2, 0x80000000, v2, v3
	v_trunc_f32_e32 v2, v2
	s_delay_alu instid0(VALU_DEP_1) | instskip(NEXT) | instid1(VALU_DEP_1)
	v_mul_f32_e64 v3, 0x2f800000, |v2|
	v_floor_f32_e32 v3, v3
	s_delay_alu instid0(VALU_DEP_1) | instskip(SKIP_2) | instid1(VALU_DEP_3)
	v_fma_f32 v6, 0xcf800000, v3, |v2|
	v_ashrrev_i32_e32 v2, 31, v2
	v_cvt_u32_f32_e32 v7, v3
	v_cvt_u32_f32_e32 v6, v6
	s_delay_alu instid0(VALU_DEP_2) | instskip(NEXT) | instid1(VALU_DEP_2)
	v_dual_mov_b32 v3, v2 :: v_dual_bitop2_b32 v7, v7, v2 bitop3:0x14
	v_xor_b32_e32 v6, v6, v2
	s_delay_alu instid0(VALU_DEP_1)
	v_sub_nc_u64_e32 v[2:3], v[6:7], v[2:3]
.LBB70_976:
	s_mov_b32 s28, 0
.LBB70_977:
	s_delay_alu instid0(SALU_CYCLE_1)
	s_and_not1_b32 vcc_lo, exec_lo, s28
	s_cbranch_vccnz .LBB70_979
; %bb.978:
	s_wait_loadcnt 0x0
	global_load_u8 v2, v[4:5], off
	s_wait_loadcnt 0x0
	v_lshlrev_b32_e32 v3, 25, v2
	v_lshlrev_b16 v2, 8, v2
	s_delay_alu instid0(VALU_DEP_1) | instskip(SKIP_1) | instid1(VALU_DEP_2)
	v_and_or_b32 v7, 0x7f00, v2, 0.5
	v_bfe_i32 v2, v2, 0, 16
	v_add_f32_e32 v7, -0.5, v7
	v_lshrrev_b32_e32 v6, 4, v3
	v_cmp_gt_u32_e32 vcc_lo, 0x8000000, v3
	s_delay_alu instid0(VALU_DEP_2) | instskip(NEXT) | instid1(VALU_DEP_1)
	v_or_b32_e32 v6, 0x70000000, v6
	v_mul_f32_e32 v6, 0x7800000, v6
	s_delay_alu instid0(VALU_DEP_1) | instskip(NEXT) | instid1(VALU_DEP_1)
	v_cndmask_b32_e32 v3, v6, v7, vcc_lo
	v_and_or_b32 v2, 0x80000000, v2, v3
	s_delay_alu instid0(VALU_DEP_1) | instskip(NEXT) | instid1(VALU_DEP_1)
	v_trunc_f32_e32 v2, v2
	v_mul_f32_e64 v3, 0x2f800000, |v2|
	s_delay_alu instid0(VALU_DEP_1) | instskip(NEXT) | instid1(VALU_DEP_1)
	v_floor_f32_e32 v3, v3
	v_fma_f32 v6, 0xcf800000, v3, |v2|
	v_ashrrev_i32_e32 v2, 31, v2
	v_cvt_u32_f32_e32 v7, v3
	s_delay_alu instid0(VALU_DEP_3) | instskip(NEXT) | instid1(VALU_DEP_2)
	v_cvt_u32_f32_e32 v6, v6
	v_dual_mov_b32 v3, v2 :: v_dual_bitop2_b32 v7, v7, v2 bitop3:0x14
	s_delay_alu instid0(VALU_DEP_2) | instskip(NEXT) | instid1(VALU_DEP_1)
	v_xor_b32_e32 v6, v6, v2
	v_sub_nc_u64_e32 v[2:3], v[6:7], v[2:3]
.LBB70_979:
	s_mov_b32 s29, 0
	s_mov_b32 s28, -1
.LBB70_980:
	s_and_not1_b32 vcc_lo, exec_lo, s29
	s_cbranch_vccnz .LBB70_993
; %bb.981:
	s_cmp_gt_i32 s27, 14
	s_cbranch_scc0 .LBB70_984
; %bb.982:
	s_cmp_eq_u32 s27, 15
	s_cbranch_scc0 .LBB70_987
; %bb.983:
	s_wait_loadcnt 0x0
	global_load_u16 v2, v[4:5], off
	s_mov_b32 s28, -1
	s_mov_b32 s26, 0
	s_wait_loadcnt 0x0
	v_lshlrev_b32_e32 v2, 16, v2
	s_delay_alu instid0(VALU_DEP_1) | instskip(NEXT) | instid1(VALU_DEP_1)
	v_trunc_f32_e32 v2, v2
	v_mul_f32_e64 v3, 0x2f800000, |v2|
	s_delay_alu instid0(VALU_DEP_1) | instskip(NEXT) | instid1(VALU_DEP_1)
	v_floor_f32_e32 v3, v3
	v_fma_f32 v6, 0xcf800000, v3, |v2|
	v_ashrrev_i32_e32 v2, 31, v2
	v_cvt_u32_f32_e32 v7, v3
	s_delay_alu instid0(VALU_DEP_3) | instskip(NEXT) | instid1(VALU_DEP_2)
	v_cvt_u32_f32_e32 v6, v6
	v_dual_mov_b32 v3, v2 :: v_dual_bitop2_b32 v7, v7, v2 bitop3:0x14
	s_delay_alu instid0(VALU_DEP_2) | instskip(NEXT) | instid1(VALU_DEP_1)
	v_xor_b32_e32 v6, v6, v2
	v_sub_nc_u64_e32 v[2:3], v[6:7], v[2:3]
	s_branch .LBB70_988
.LBB70_984:
	s_mov_b32 s29, -1
                                        ; implicit-def: $vgpr2_vgpr3
	s_branch .LBB70_989
.LBB70_985:
	s_and_not1_saveexec_b32 s28, s28
	s_cbranch_execz .LBB70_966
.LBB70_986:
	v_cmp_ne_u16_e32 vcc_lo, 0, v6
	s_and_not1_b32 s29, s29, exec_lo
	s_and_b32 s30, vcc_lo, exec_lo
	s_delay_alu instid0(SALU_CYCLE_1)
	s_or_b32 s29, s29, s30
	s_or_b32 exec_lo, exec_lo, s28
	v_mov_b64_e32 v[2:3], 0
	s_and_saveexec_b32 s28, s29
	s_cbranch_execnz .LBB70_967
	s_branch .LBB70_968
.LBB70_987:
	s_mov_b32 s26, -1
                                        ; implicit-def: $vgpr2_vgpr3
.LBB70_988:
	s_mov_b32 s29, 0
.LBB70_989:
	s_delay_alu instid0(SALU_CYCLE_1)
	s_and_b32 vcc_lo, exec_lo, s29
	s_cbranch_vccz .LBB70_993
; %bb.990:
	s_cmp_eq_u32 s27, 11
	s_cbranch_scc0 .LBB70_992
; %bb.991:
	s_wait_loadcnt 0x0
	global_load_u8 v2, v[4:5], off
	s_mov_b32 s26, 0
	s_mov_b32 s28, -1
	v_mov_b32_e32 v3, s26
	s_wait_loadcnt 0x0
	v_cmp_ne_u16_e32 vcc_lo, 0, v2
	v_cndmask_b32_e64 v2, 0, 1, vcc_lo
	s_branch .LBB70_993
.LBB70_992:
	s_mov_b32 s26, -1
                                        ; implicit-def: $vgpr2_vgpr3
.LBB70_993:
	s_mov_b32 s27, 0
.LBB70_994:
	s_delay_alu instid0(SALU_CYCLE_1)
	s_and_b32 vcc_lo, exec_lo, s27
	s_cbranch_vccz .LBB70_1043
; %bb.995:
	s_and_b32 s0, 0xffff, s0
	s_delay_alu instid0(SALU_CYCLE_1)
	s_cmp_lt_i32 s0, 5
	s_cbranch_scc1 .LBB70_1000
; %bb.996:
	s_cmp_lt_i32 s0, 8
	s_cbranch_scc1 .LBB70_1001
; %bb.997:
	;; [unrolled: 3-line block ×3, first 2 shown]
	s_cmp_gt_i32 s0, 9
	s_cbranch_scc0 .LBB70_1003
; %bb.999:
	s_wait_loadcnt 0x0
	global_load_b64 v[2:3], v[4:5], off
	s_mov_b32 s27, 0
	s_wait_loadcnt 0x0
	v_trunc_f64_e32 v[2:3], v[2:3]
	s_delay_alu instid0(VALU_DEP_1) | instskip(NEXT) | instid1(VALU_DEP_1)
	v_ldexp_f64 v[6:7], v[2:3], 0xffffffe0
	v_floor_f64_e32 v[6:7], v[6:7]
	s_delay_alu instid0(VALU_DEP_1) | instskip(SKIP_1) | instid1(VALU_DEP_2)
	v_fmamk_f64 v[8:9], v[6:7], 0xc1f00000, v[2:3]
	v_cvt_i32_f64_e32 v3, v[6:7]
	v_cvt_u32_f64_e32 v2, v[8:9]
	s_branch .LBB70_1004
.LBB70_1000:
	s_mov_b32 s27, -1
                                        ; implicit-def: $vgpr2_vgpr3
	s_branch .LBB70_1022
.LBB70_1001:
	s_mov_b32 s27, -1
                                        ; implicit-def: $vgpr2_vgpr3
	s_branch .LBB70_1010
.LBB70_1002:
	s_mov_b32 s27, -1
                                        ; implicit-def: $vgpr2_vgpr3
	s_branch .LBB70_1007
.LBB70_1003:
	s_mov_b32 s27, -1
                                        ; implicit-def: $vgpr2_vgpr3
.LBB70_1004:
	s_delay_alu instid0(SALU_CYCLE_1)
	s_and_not1_b32 vcc_lo, exec_lo, s27
	s_cbranch_vccnz .LBB70_1006
; %bb.1005:
	s_wait_loadcnt 0x0
	global_load_b32 v2, v[4:5], off
	s_wait_loadcnt 0x0
	v_trunc_f32_e32 v2, v2
	s_delay_alu instid0(VALU_DEP_1) | instskip(NEXT) | instid1(VALU_DEP_1)
	v_mul_f32_e64 v3, 0x2f800000, |v2|
	v_floor_f32_e32 v3, v3
	s_delay_alu instid0(VALU_DEP_1) | instskip(SKIP_2) | instid1(VALU_DEP_3)
	v_fma_f32 v6, 0xcf800000, v3, |v2|
	v_ashrrev_i32_e32 v2, 31, v2
	v_cvt_u32_f32_e32 v7, v3
	v_cvt_u32_f32_e32 v6, v6
	s_delay_alu instid0(VALU_DEP_2) | instskip(NEXT) | instid1(VALU_DEP_2)
	v_dual_mov_b32 v3, v2 :: v_dual_bitop2_b32 v7, v7, v2 bitop3:0x14
	v_xor_b32_e32 v6, v6, v2
	s_delay_alu instid0(VALU_DEP_1)
	v_sub_nc_u64_e32 v[2:3], v[6:7], v[2:3]
.LBB70_1006:
	s_mov_b32 s27, 0
.LBB70_1007:
	s_delay_alu instid0(SALU_CYCLE_1)
	s_and_not1_b32 vcc_lo, exec_lo, s27
	s_cbranch_vccnz .LBB70_1009
; %bb.1008:
	s_wait_loadcnt 0x0
	global_load_b32 v2, v[4:5], off
	s_wait_loadcnt 0x0
	v_cvt_f32_f16_e32 v2, v2
	s_delay_alu instid0(VALU_DEP_1) | instskip(NEXT) | instid1(VALU_DEP_1)
	v_cvt_i32_f32_e32 v2, v2
	v_ashrrev_i32_e32 v3, 31, v2
.LBB70_1009:
	s_mov_b32 s27, 0
.LBB70_1010:
	s_delay_alu instid0(SALU_CYCLE_1)
	s_and_not1_b32 vcc_lo, exec_lo, s27
	s_cbranch_vccnz .LBB70_1021
; %bb.1011:
	s_cmp_lt_i32 s0, 6
	s_cbranch_scc1 .LBB70_1014
; %bb.1012:
	s_cmp_gt_i32 s0, 6
	s_cbranch_scc0 .LBB70_1015
; %bb.1013:
	s_wait_loadcnt 0x0
	global_load_b64 v[2:3], v[4:5], off
	s_mov_b32 s27, 0
	s_wait_loadcnt 0x0
	v_trunc_f64_e32 v[2:3], v[2:3]
	s_delay_alu instid0(VALU_DEP_1) | instskip(NEXT) | instid1(VALU_DEP_1)
	v_ldexp_f64 v[6:7], v[2:3], 0xffffffe0
	v_floor_f64_e32 v[6:7], v[6:7]
	s_delay_alu instid0(VALU_DEP_1) | instskip(SKIP_1) | instid1(VALU_DEP_2)
	v_fmamk_f64 v[8:9], v[6:7], 0xc1f00000, v[2:3]
	v_cvt_i32_f64_e32 v3, v[6:7]
	v_cvt_u32_f64_e32 v2, v[8:9]
	s_branch .LBB70_1016
.LBB70_1014:
	s_mov_b32 s27, -1
                                        ; implicit-def: $vgpr2_vgpr3
	s_branch .LBB70_1019
.LBB70_1015:
	s_mov_b32 s27, -1
                                        ; implicit-def: $vgpr2_vgpr3
.LBB70_1016:
	s_delay_alu instid0(SALU_CYCLE_1)
	s_and_not1_b32 vcc_lo, exec_lo, s27
	s_cbranch_vccnz .LBB70_1018
; %bb.1017:
	s_wait_loadcnt 0x0
	global_load_b32 v2, v[4:5], off
	s_wait_loadcnt 0x0
	v_trunc_f32_e32 v2, v2
	s_delay_alu instid0(VALU_DEP_1) | instskip(NEXT) | instid1(VALU_DEP_1)
	v_mul_f32_e64 v3, 0x2f800000, |v2|
	v_floor_f32_e32 v3, v3
	s_delay_alu instid0(VALU_DEP_1) | instskip(SKIP_2) | instid1(VALU_DEP_3)
	v_fma_f32 v6, 0xcf800000, v3, |v2|
	v_ashrrev_i32_e32 v2, 31, v2
	v_cvt_u32_f32_e32 v7, v3
	v_cvt_u32_f32_e32 v6, v6
	s_delay_alu instid0(VALU_DEP_2) | instskip(NEXT) | instid1(VALU_DEP_2)
	v_dual_mov_b32 v3, v2 :: v_dual_bitop2_b32 v7, v7, v2 bitop3:0x14
	v_xor_b32_e32 v6, v6, v2
	s_delay_alu instid0(VALU_DEP_1)
	v_sub_nc_u64_e32 v[2:3], v[6:7], v[2:3]
.LBB70_1018:
	s_mov_b32 s27, 0
.LBB70_1019:
	s_delay_alu instid0(SALU_CYCLE_1)
	s_and_not1_b32 vcc_lo, exec_lo, s27
	s_cbranch_vccnz .LBB70_1021
; %bb.1020:
	s_wait_loadcnt 0x0
	global_load_u16 v2, v[4:5], off
	s_wait_loadcnt 0x0
	v_cvt_f32_f16_e32 v2, v2
	s_delay_alu instid0(VALU_DEP_1) | instskip(NEXT) | instid1(VALU_DEP_1)
	v_cvt_i32_f32_e32 v2, v2
	v_ashrrev_i32_e32 v3, 31, v2
.LBB70_1021:
	s_mov_b32 s27, 0
.LBB70_1022:
	s_delay_alu instid0(SALU_CYCLE_1)
	s_and_not1_b32 vcc_lo, exec_lo, s27
	s_cbranch_vccnz .LBB70_1042
; %bb.1023:
	s_cmp_lt_i32 s0, 2
	s_cbranch_scc1 .LBB70_1027
; %bb.1024:
	s_cmp_lt_i32 s0, 3
	s_cbranch_scc1 .LBB70_1028
; %bb.1025:
	s_cmp_gt_i32 s0, 3
	s_cbranch_scc0 .LBB70_1029
; %bb.1026:
	s_wait_loadcnt 0x0
	global_load_b64 v[2:3], v[4:5], off
	s_mov_b32 s27, 0
	s_branch .LBB70_1030
.LBB70_1027:
	s_mov_b32 s27, -1
                                        ; implicit-def: $vgpr2_vgpr3
	s_branch .LBB70_1036
.LBB70_1028:
	s_mov_b32 s27, -1
                                        ; implicit-def: $vgpr2_vgpr3
	s_branch .LBB70_1033
.LBB70_1029:
	s_mov_b32 s27, -1
                                        ; implicit-def: $vgpr2_vgpr3
.LBB70_1030:
	s_delay_alu instid0(SALU_CYCLE_1)
	s_and_not1_b32 vcc_lo, exec_lo, s27
	s_cbranch_vccnz .LBB70_1032
; %bb.1031:
	s_wait_loadcnt 0x0
	global_load_b32 v2, v[4:5], off
	s_wait_loadcnt 0x0
	v_ashrrev_i32_e32 v3, 31, v2
.LBB70_1032:
	s_mov_b32 s27, 0
.LBB70_1033:
	s_delay_alu instid0(SALU_CYCLE_1)
	s_and_not1_b32 vcc_lo, exec_lo, s27
	s_cbranch_vccnz .LBB70_1035
; %bb.1034:
	s_wait_loadcnt 0x0
	global_load_u16 v2, v[4:5], off
	s_wait_loadcnt 0x0
	v_bfe_i32 v2, v2, 0, 16
	s_delay_alu instid0(VALU_DEP_1)
	v_ashrrev_i32_e32 v3, 31, v2
.LBB70_1035:
	s_mov_b32 s27, 0
.LBB70_1036:
	s_delay_alu instid0(SALU_CYCLE_1)
	s_and_not1_b32 vcc_lo, exec_lo, s27
	s_cbranch_vccnz .LBB70_1042
; %bb.1037:
	s_cmp_gt_i32 s0, 0
	s_mov_b32 s0, 0
	s_cbranch_scc0 .LBB70_1039
; %bb.1038:
	s_wait_loadcnt 0x0
	global_load_i8 v2, v[4:5], off
	s_wait_loadcnt 0x0
	v_bfe_i32 v2, v2, 0, 16
	s_delay_alu instid0(VALU_DEP_1)
	v_ashrrev_i32_e32 v3, 31, v2
	s_branch .LBB70_1040
.LBB70_1039:
	s_mov_b32 s0, -1
                                        ; implicit-def: $vgpr2_vgpr3
.LBB70_1040:
	s_delay_alu instid0(SALU_CYCLE_1)
	s_and_not1_b32 vcc_lo, exec_lo, s0
	s_cbranch_vccnz .LBB70_1042
; %bb.1041:
	s_wait_loadcnt 0x0
	global_load_u8 v2, v[4:5], off
	s_mov_b32 s0, 0
	s_delay_alu instid0(SALU_CYCLE_1)
	v_mov_b32_e32 v3, s0
	s_wait_loadcnt 0x0
	v_and_b32_e32 v2, 0xffff, v2
.LBB70_1042:
	s_mov_b32 s28, -1
.LBB70_1043:
	s_delay_alu instid0(SALU_CYCLE_1)
	s_and_not1_b32 vcc_lo, exec_lo, s28
	s_cbranch_vccnz .LBB70_1051
; %bb.1044:
	s_wait_loadcnt 0x0
	s_delay_alu instid0(VALU_DEP_1) | instskip(SKIP_1) | instid1(VALU_DEP_1)
	v_sub_nc_u64_e32 v[4:5], 0, v[2:3]
	s_mov_b32 s27, exec_lo
	v_max_i64 v[6:7], v[2:3], v[4:5]
	v_cmpx_ne_u64_e32 0, v[0:1]
	s_cbranch_execz .LBB70_1053
; %bb.1045:
	v_sub_nc_u64_e32 v[4:5], 0, v[0:1]
	s_mov_b32 s28, 0
	s_delay_alu instid0(VALU_DEP_1)
	v_max_i64 v[10:11], v[0:1], v[4:5]
	v_mov_b32_e32 v4, 0
	s_branch .LBB70_1047
.LBB70_1046:                            ;   in Loop: Header=BB70_1047 Depth=1
	s_or_b32 exec_lo, exec_lo, s0
	s_delay_alu instid0(VALU_DEP_1) | instskip(SKIP_2) | instid1(SALU_CYCLE_1)
	v_cmp_eq_u64_e32 vcc_lo, 0, v[10:11]
	v_mov_b64_e32 v[6:7], v[8:9]
	s_or_b32 s28, vcc_lo, s28
	s_and_not1_b32 exec_lo, exec_lo, s28
	s_cbranch_execz .LBB70_1052
.LBB70_1047:                            ; =>This Inner Loop Header: Depth=1
	s_delay_alu instid0(VALU_DEP_2) | instskip(SKIP_1) | instid1(VALU_DEP_1)
	v_mov_b64_e32 v[8:9], v[10:11]
                                        ; implicit-def: $vgpr10_vgpr11
	s_mov_b32 s0, exec_lo
	v_or_b32_e32 v5, v7, v9
	s_delay_alu instid0(VALU_DEP_1)
	v_cmpx_ne_u64_e32 0, v[4:5]
	s_xor_b32 s29, exec_lo, s0
	s_cbranch_execz .LBB70_1049
; %bb.1048:                             ;   in Loop: Header=BB70_1047 Depth=1
	s_delay_alu instid0(VALU_DEP_3) | instskip(SKIP_3) | instid1(VALU_DEP_3)
	v_cvt_f32_u32_e32 v5, v8
	v_cvt_f32_u32_e32 v10, v9
	v_sub_nc_u64_e32 v[12:13], 0, v[8:9]
	v_dual_mov_b32 v19, v4 :: v_dual_mov_b32 v23, v4
	v_fmac_f32_e32 v5, 0x4f800000, v10
	s_delay_alu instid0(VALU_DEP_1) | instskip(SKIP_1) | instid1(TRANS32_DEP_1)
	v_rcp_f32_e32 v5, v5
	v_nop
	v_mul_f32_e32 v5, 0x5f7ffffc, v5
	s_delay_alu instid0(VALU_DEP_1) | instskip(NEXT) | instid1(VALU_DEP_1)
	v_mul_f32_e32 v10, 0x2f800000, v5
	v_trunc_f32_e32 v11, v10
	s_delay_alu instid0(VALU_DEP_1) | instskip(SKIP_1) | instid1(VALU_DEP_2)
	v_cvt_u32_f32_e32 v15, v11
	v_fmac_f32_e32 v5, 0xcf800000, v11
	v_dual_mov_b32 v11, v4 :: v_dual_mov_b32 v22, v15
	s_delay_alu instid0(VALU_DEP_2) | instskip(NEXT) | instid1(VALU_DEP_1)
	v_cvt_u32_f32_e32 v10, v5
	v_mov_b32_e32 v14, v10
	s_delay_alu instid0(VALU_DEP_1) | instskip(NEXT) | instid1(VALU_DEP_1)
	v_mul_u64_e32 v[16:17], v[12:13], v[14:15]
	v_dual_mov_b32 v18, v17 :: v_dual_mov_b32 v17, v4
	s_delay_alu instid0(VALU_DEP_1) | instskip(NEXT) | instid1(VALU_DEP_2)
	v_mul_u64_e32 v[24:25], v[10:11], v[18:19]
	v_mul_u64_e32 v[26:27], v[22:23], v[16:17]
	;; [unrolled: 1-line block ×3, first 2 shown]
	v_mul_hi_u32 v16, v10, v16
	s_delay_alu instid0(VALU_DEP_1) | instskip(NEXT) | instid1(VALU_DEP_1)
	v_add_nc_u64_e32 v[16:17], v[16:17], v[24:25]
	v_add_co_u32 v5, vcc_lo, v16, v26
	s_delay_alu instid0(VALU_DEP_2) | instskip(SKIP_1) | instid1(VALU_DEP_1)
	v_add_co_ci_u32_e32 v22, vcc_lo, v17, v27, vcc_lo
	v_add_co_ci_u32_e32 v19, vcc_lo, 0, v19, vcc_lo
	v_add_nc_u64_e32 v[16:17], v[22:23], v[18:19]
	s_delay_alu instid0(VALU_DEP_1) | instskip(NEXT) | instid1(VALU_DEP_1)
	v_add_co_u32 v10, vcc_lo, v10, v16
	v_add_co_ci_u32_e64 v14, null, v15, v17, vcc_lo
	v_dual_mov_b32 v17, v4 :: v_dual_mov_b32 v15, v4
	s_delay_alu instid0(VALU_DEP_2) | instskip(NEXT) | instid1(VALU_DEP_1)
	v_mov_b32_e32 v11, v14
	v_mul_u64_e32 v[12:13], v[12:13], v[10:11]
	s_delay_alu instid0(VALU_DEP_1) | instskip(NEXT) | instid1(VALU_DEP_2)
	v_dual_mov_b32 v11, v4 :: v_dual_mov_b32 v16, v13
	v_dual_mov_b32 v22, v12 :: v_dual_mov_b32 v13, v4
	v_mul_hi_u32 v12, v10, v12
	s_delay_alu instid0(VALU_DEP_3) | instskip(NEXT) | instid1(VALU_DEP_3)
	v_mul_u64_e32 v[18:19], v[10:11], v[16:17]
	v_mul_u64_e32 v[22:23], v[14:15], v[22:23]
	;; [unrolled: 1-line block ×3, first 2 shown]
	s_delay_alu instid0(VALU_DEP_3) | instskip(SKIP_1) | instid1(VALU_DEP_2)
	v_add_nc_u64_e32 v[12:13], v[12:13], v[18:19]
	v_mov_b32_e32 v19, v4
	v_add_co_u32 v5, vcc_lo, v12, v22
	s_delay_alu instid0(VALU_DEP_3) | instskip(SKIP_1) | instid1(VALU_DEP_1)
	v_add_co_ci_u32_e32 v18, vcc_lo, v13, v23, vcc_lo
	v_add_co_ci_u32_e32 v17, vcc_lo, 0, v17, vcc_lo
	v_add_nc_u64_e32 v[12:13], v[18:19], v[16:17]
	v_dual_mov_b32 v16, v6 :: v_dual_mov_b32 v17, v4
	s_delay_alu instid0(VALU_DEP_2) | instskip(NEXT) | instid1(VALU_DEP_1)
	v_add_co_u32 v12, vcc_lo, v10, v12
	v_add_co_ci_u32_e64 v10, null, v14, v13, vcc_lo
	v_dual_mov_b32 v14, v7 :: v_dual_mov_b32 v13, v4
	s_delay_alu instid0(VALU_DEP_2) | instskip(NEXT) | instid1(VALU_DEP_2)
	v_mul_u64_e32 v[16:17], v[16:17], v[10:11]
	v_mul_u64_e32 v[10:11], v[14:15], v[10:11]
	s_delay_alu instid0(VALU_DEP_3) | instskip(SKIP_1) | instid1(VALU_DEP_1)
	v_mul_u64_e32 v[18:19], v[14:15], v[12:13]
	v_mul_hi_u32 v12, v6, v12
	v_add_nc_u64_e32 v[12:13], v[12:13], v[16:17]
	s_delay_alu instid0(VALU_DEP_1) | instskip(NEXT) | instid1(VALU_DEP_2)
	v_add_co_u32 v5, vcc_lo, v12, v18
	v_add_co_ci_u32_e32 v14, vcc_lo, v13, v19, vcc_lo
	v_add_co_ci_u32_e32 v11, vcc_lo, 0, v11, vcc_lo
	s_delay_alu instid0(VALU_DEP_1) | instskip(NEXT) | instid1(VALU_DEP_1)
	v_add_nc_u64_e32 v[10:11], v[14:15], v[10:11]
	v_mul_u64_e32 v[10:11], v[8:9], v[10:11]
	s_delay_alu instid0(VALU_DEP_1) | instskip(NEXT) | instid1(VALU_DEP_2)
	v_sub_nc_u32_e32 v5, v7, v11
	v_sub_co_u32 v6, vcc_lo, v6, v10
	s_delay_alu instid0(VALU_DEP_1) | instskip(NEXT) | instid1(VALU_DEP_3)
	v_sub_co_ci_u32_e64 v7, null, v7, v11, vcc_lo
	v_sub_co_ci_u32_e64 v5, null, v5, v9, vcc_lo
	s_delay_alu instid0(VALU_DEP_3) | instskip(SKIP_1) | instid1(VALU_DEP_3)
	v_sub_co_u32 v10, vcc_lo, v6, v8
	v_cmp_ge_u32_e64 s0, v6, v8
	v_subrev_co_ci_u32_e64 v11, null, 0, v5, vcc_lo
	v_sub_co_ci_u32_e64 v5, null, v5, v9, vcc_lo
	s_delay_alu instid0(VALU_DEP_3) | instskip(SKIP_2) | instid1(VALU_DEP_2)
	v_cndmask_b32_e64 v12, 0, -1, s0
	v_cmp_ge_u32_e64 s0, v10, v8
	v_cmp_ge_u32_e32 vcc_lo, v7, v9
	v_cndmask_b32_e64 v13, 0, -1, s0
	v_cmp_ge_u32_e64 s0, v11, v9
	v_cndmask_b32_e64 v15, 0, -1, vcc_lo
	v_cmp_eq_u32_e32 vcc_lo, v11, v9
	s_delay_alu instid0(VALU_DEP_3) | instskip(SKIP_1) | instid1(VALU_DEP_1)
	v_cndmask_b32_e64 v14, 0, -1, s0
	v_cmp_eq_u32_e64 s0, v7, v9
	v_dual_cndmask_b32 v13, v14, v13, vcc_lo :: v_dual_cndmask_b32 v12, v15, v12, s0
	v_sub_co_u32 v14, vcc_lo, v10, v8
	s_delay_alu instid0(VALU_DEP_1) | instskip(NEXT) | instid1(VALU_DEP_3)
	v_subrev_co_ci_u32_e64 v5, null, 0, v5, vcc_lo
	v_cmp_ne_u32_e32 vcc_lo, 0, v13
	s_delay_alu instid0(VALU_DEP_2) | instskip(SKIP_1) | instid1(VALU_DEP_2)
	v_dual_cndmask_b32 v5, v11, v5 :: v_dual_cndmask_b32 v10, v10, v14
	v_cmp_ne_u32_e32 vcc_lo, 0, v12
	v_dual_cndmask_b32 v11, v7, v5 :: v_dual_cndmask_b32 v10, v6, v10
                                        ; implicit-def: $vgpr6_vgpr7
.LBB70_1049:                            ;   in Loop: Header=BB70_1047 Depth=1
	s_and_not1_saveexec_b32 s0, s29
	s_cbranch_execz .LBB70_1046
; %bb.1050:                             ;   in Loop: Header=BB70_1047 Depth=1
	v_cvt_f32_u32_e32 v5, v8
	v_dual_sub_nc_u32 v7, 0, v8 :: v_dual_mov_b32 v11, v4
	s_delay_alu instid0(VALU_DEP_2) | instskip(SKIP_1) | instid1(TRANS32_DEP_1)
	v_rcp_iflag_f32_e32 v5, v5
	v_nop
	v_mul_f32_e32 v5, 0x4f7ffffe, v5
	s_delay_alu instid0(VALU_DEP_1) | instskip(NEXT) | instid1(VALU_DEP_1)
	v_cvt_u32_f32_e32 v5, v5
	v_mul_lo_u32 v7, v7, v5
	s_delay_alu instid0(VALU_DEP_1) | instskip(NEXT) | instid1(VALU_DEP_1)
	v_mul_hi_u32 v7, v5, v7
	v_add_nc_u32_e32 v5, v5, v7
	s_delay_alu instid0(VALU_DEP_1) | instskip(NEXT) | instid1(VALU_DEP_1)
	v_mul_hi_u32 v5, v6, v5
	v_mul_lo_u32 v5, v5, v8
	s_delay_alu instid0(VALU_DEP_1) | instskip(NEXT) | instid1(VALU_DEP_1)
	v_sub_nc_u32_e32 v5, v6, v5
	v_sub_nc_u32_e32 v6, v5, v8
	v_cmp_ge_u32_e32 vcc_lo, v5, v8
	s_delay_alu instid0(VALU_DEP_2) | instskip(NEXT) | instid1(VALU_DEP_1)
	v_cndmask_b32_e32 v5, v5, v6, vcc_lo
	v_sub_nc_u32_e32 v6, v5, v8
	v_cmp_ge_u32_e32 vcc_lo, v5, v8
	s_delay_alu instid0(VALU_DEP_2)
	v_cndmask_b32_e32 v10, v5, v6, vcc_lo
	s_branch .LBB70_1046
.LBB70_1051:
	s_mov_b32 s28, 0
	s_mov_b32 s0, s21
	s_branch .LBB70_1182
.LBB70_1052:
	s_or_b32 exec_lo, exec_lo, s28
	v_mov_b64_e32 v[6:7], v[8:9]
.LBB70_1053:
	s_or_b32 exec_lo, exec_lo, s27
	v_mov_b64_e32 v[4:5], 0
	s_mov_b32 s27, exec_lo
	s_delay_alu instid0(VALU_DEP_2)
	v_cmpx_ne_u64_e32 0, v[6:7]
	s_cbranch_execz .LBB70_1059
; %bb.1054:
	v_dual_mov_b32 v4, 0 :: v_dual_bitop2_b32 v5, v1, v7 bitop3:0x54
                                        ; implicit-def: $vgpr8_vgpr9
	s_mov_b32 s0, exec_lo
	s_delay_alu instid0(VALU_DEP_1)
	v_cmpx_ne_u64_e32 0, v[4:5]
	s_xor_b32 s28, exec_lo, s0
	s_cbranch_execz .LBB70_1056
; %bb.1055:
	v_dual_mov_b32 v11, v4 :: v_dual_ashrrev_i32 v8, 31, v7
	v_dual_mov_b32 v19, v4 :: v_dual_mov_b32 v23, v4
	s_delay_alu instid0(VALU_DEP_2) | instskip(NEXT) | instid1(VALU_DEP_1)
	v_mov_b32_e32 v9, v8
	v_add_nc_u64_e32 v[6:7], v[6:7], v[8:9]
	s_delay_alu instid0(VALU_DEP_1) | instskip(NEXT) | instid1(VALU_DEP_2)
	v_xor_b32_e32 v6, v6, v8
	v_xor_b32_e32 v7, v7, v8
	s_delay_alu instid0(VALU_DEP_2) | instskip(NEXT) | instid1(VALU_DEP_2)
	v_cvt_f32_u32_e32 v5, v6
	v_cvt_f32_u32_e32 v9, v7
	s_delay_alu instid0(VALU_DEP_1) | instskip(NEXT) | instid1(VALU_DEP_1)
	v_fmamk_f32 v5, v9, 0x4f800000, v5
	v_rcp_f32_e32 v5, v5
	v_nop
	s_delay_alu instid0(TRANS32_DEP_1) | instskip(NEXT) | instid1(VALU_DEP_1)
	v_mul_f32_e32 v5, 0x5f7ffffc, v5
	v_mul_f32_e32 v9, 0x2f800000, v5
	s_delay_alu instid0(VALU_DEP_1) | instskip(NEXT) | instid1(VALU_DEP_1)
	v_trunc_f32_e32 v9, v9
	v_fmamk_f32 v5, v9, 0xcf800000, v5
	v_cvt_u32_f32_e32 v15, v9
	s_delay_alu instid0(VALU_DEP_2) | instskip(NEXT) | instid1(VALU_DEP_1)
	v_cvt_u32_f32_e32 v10, v5
	v_dual_mov_b32 v22, v15 :: v_dual_mov_b32 v14, v10
	v_sub_nc_u64_e32 v[12:13], 0, v[6:7]
	s_delay_alu instid0(VALU_DEP_1) | instskip(NEXT) | instid1(VALU_DEP_1)
	v_mul_u64_e32 v[16:17], v[12:13], v[14:15]
	v_dual_mov_b32 v18, v17 :: v_dual_mov_b32 v17, v4
	s_delay_alu instid0(VALU_DEP_1) | instskip(NEXT) | instid1(VALU_DEP_2)
	v_mul_u64_e32 v[24:25], v[10:11], v[18:19]
	v_mul_u64_e32 v[26:27], v[22:23], v[16:17]
	;; [unrolled: 1-line block ×3, first 2 shown]
	v_mul_hi_u32 v16, v10, v16
	s_delay_alu instid0(VALU_DEP_1) | instskip(SKIP_1) | instid1(VALU_DEP_2)
	v_add_nc_u64_e32 v[16:17], v[16:17], v[24:25]
	v_ashrrev_i32_e32 v24, 31, v1
	v_add_co_u32 v5, vcc_lo, v16, v26
	s_delay_alu instid0(VALU_DEP_3) | instskip(SKIP_1) | instid1(VALU_DEP_1)
	v_add_co_ci_u32_e32 v22, vcc_lo, v17, v27, vcc_lo
	v_add_co_ci_u32_e32 v19, vcc_lo, 0, v19, vcc_lo
	v_add_nc_u64_e32 v[16:17], v[22:23], v[18:19]
	s_delay_alu instid0(VALU_DEP_1) | instskip(NEXT) | instid1(VALU_DEP_1)
	v_add_co_u32 v10, vcc_lo, v10, v16
	v_add_co_ci_u32_e64 v14, null, v15, v17, vcc_lo
	v_dual_mov_b32 v15, v4 :: v_dual_mov_b32 v17, v4
	s_delay_alu instid0(VALU_DEP_2) | instskip(NEXT) | instid1(VALU_DEP_1)
	v_mov_b32_e32 v11, v14
	v_mul_u64_e32 v[12:13], v[12:13], v[10:11]
	s_delay_alu instid0(VALU_DEP_1) | instskip(NEXT) | instid1(VALU_DEP_2)
	v_dual_mov_b32 v11, v4 :: v_dual_mov_b32 v16, v13
	v_dual_mov_b32 v22, v12 :: v_dual_mov_b32 v13, v4
	v_mul_hi_u32 v12, v10, v12
	s_delay_alu instid0(VALU_DEP_3) | instskip(NEXT) | instid1(VALU_DEP_3)
	v_mul_u64_e32 v[18:19], v[10:11], v[16:17]
	v_mul_u64_e32 v[22:23], v[14:15], v[22:23]
	;; [unrolled: 1-line block ×3, first 2 shown]
	s_delay_alu instid0(VALU_DEP_3) | instskip(SKIP_1) | instid1(VALU_DEP_2)
	v_add_nc_u64_e32 v[12:13], v[12:13], v[18:19]
	v_dual_mov_b32 v19, v4 :: v_dual_mov_b32 v25, v24
	v_add_co_u32 v5, vcc_lo, v12, v22
	s_delay_alu instid0(VALU_DEP_3) | instskip(SKIP_2) | instid1(VALU_DEP_2)
	v_add_co_ci_u32_e32 v18, vcc_lo, v13, v23, vcc_lo
	v_add_co_ci_u32_e32 v17, vcc_lo, 0, v17, vcc_lo
	v_mov_b32_e32 v5, v4
	v_add_nc_u64_e32 v[12:13], v[18:19], v[16:17]
	v_mov_b32_e32 v17, v4
	v_add_nc_u64_e32 v[0:1], v[0:1], v[24:25]
	s_delay_alu instid0(VALU_DEP_3) | instskip(NEXT) | instid1(VALU_DEP_1)
	v_add_co_u32 v12, vcc_lo, v10, v12
	v_add_co_ci_u32_e64 v10, null, v14, v13, vcc_lo
	s_delay_alu instid0(VALU_DEP_3) | instskip(NEXT) | instid1(VALU_DEP_4)
	v_dual_mov_b32 v13, v4 :: v_dual_bitop2_b32 v14, v1, v24 bitop3:0x14
	v_xor_b32_e32 v16, v0, v24
	s_delay_alu instid0(VALU_DEP_2) | instskip(NEXT) | instid1(VALU_DEP_2)
	v_mul_u64_e32 v[0:1], v[14:15], v[12:13]
	v_mul_u64_e32 v[18:19], v[16:17], v[10:11]
	;; [unrolled: 1-line block ×3, first 2 shown]
	v_mul_hi_u32 v12, v16, v12
	s_delay_alu instid0(VALU_DEP_1) | instskip(NEXT) | instid1(VALU_DEP_1)
	v_add_nc_u64_e32 v[12:13], v[12:13], v[18:19]
	v_add_co_u32 v0, vcc_lo, v12, v0
	s_delay_alu instid0(VALU_DEP_2) | instskip(SKIP_1) | instid1(VALU_DEP_1)
	v_add_co_ci_u32_e32 v4, vcc_lo, v13, v1, vcc_lo
	v_add_co_ci_u32_e32 v11, vcc_lo, 0, v11, vcc_lo
	v_add_nc_u64_e32 v[0:1], v[4:5], v[10:11]
	s_delay_alu instid0(VALU_DEP_1) | instskip(NEXT) | instid1(VALU_DEP_1)
	v_mul_u64_e32 v[4:5], v[6:7], v[0:1]
	v_sub_nc_u32_e32 v9, v14, v5
	s_delay_alu instid0(VALU_DEP_2) | instskip(NEXT) | instid1(VALU_DEP_1)
	v_sub_co_u32 v4, vcc_lo, v16, v4
	v_sub_co_ci_u32_e64 v12, null, v14, v5, vcc_lo
	s_delay_alu instid0(VALU_DEP_3) | instskip(NEXT) | instid1(VALU_DEP_3)
	v_sub_co_ci_u32_e64 v9, null, v9, v7, vcc_lo
	v_sub_co_u32 v10, s0, v4, v6
	s_delay_alu instid0(VALU_DEP_1) | instskip(NEXT) | instid1(VALU_DEP_2)
	v_subrev_co_ci_u32_e64 v9, null, 0, v9, s0
	v_cmp_ge_u32_e32 vcc_lo, v10, v6
	v_cndmask_b32_e64 v5, 0, -1, vcc_lo
	s_delay_alu instid0(VALU_DEP_3)
	v_cmp_ge_u32_e32 vcc_lo, v9, v7
	v_cndmask_b32_e64 v10, 0, -1, vcc_lo
	v_cmp_ge_u32_e32 vcc_lo, v4, v6
	v_cndmask_b32_e64 v6, 0, -1, vcc_lo
	;; [unrolled: 2-line block ×3, first 2 shown]
	v_cmp_eq_u32_e32 vcc_lo, v9, v7
	v_cndmask_b32_e32 v9, v10, v5, vcc_lo
	v_cmp_eq_u32_e32 vcc_lo, v12, v7
	v_add_nc_u64_e32 v[4:5], 2, v[0:1]
	v_add_nc_u64_e32 v[10:11], 1, v[0:1]
	v_cndmask_b32_e32 v6, v13, v6, vcc_lo
	v_cmp_ne_u32_e32 vcc_lo, 0, v9
	s_delay_alu instid0(VALU_DEP_2) | instskip(NEXT) | instid1(VALU_DEP_4)
	v_cmp_ne_u32_e64 s0, 0, v6
	v_dual_cndmask_b32 v5, v11, v5 :: v_dual_cndmask_b32 v6, v10, v4
	s_delay_alu instid0(VALU_DEP_1) | instskip(NEXT) | instid1(VALU_DEP_2)
	v_dual_cndmask_b32 v1, v1, v5, s0 :: v_dual_bitop2_b32 v4, v24, v8 bitop3:0x14
	v_cndmask_b32_e64 v0, v0, v6, s0
	s_delay_alu instid0(VALU_DEP_2) | instskip(NEXT) | instid1(VALU_DEP_3)
	v_mov_b32_e32 v5, v4
                                        ; implicit-def: $vgpr6_vgpr7
	v_xor_b32_e32 v1, v1, v4
	s_delay_alu instid0(VALU_DEP_3) | instskip(NEXT) | instid1(VALU_DEP_1)
	v_xor_b32_e32 v0, v0, v4
	v_sub_nc_u64_e32 v[8:9], v[0:1], v[4:5]
                                        ; implicit-def: $vgpr0_vgpr1
.LBB70_1056:
	s_and_not1_saveexec_b32 s0, s28
	s_cbranch_execz .LBB70_1058
; %bb.1057:
	v_cvt_f32_u32_e32 v1, v6
	v_dual_mov_b32 v9, 0 :: v_dual_sub_nc_u32 v4, 0, v6
	s_delay_alu instid0(VALU_DEP_2) | instskip(SKIP_1) | instid1(TRANS32_DEP_1)
	v_rcp_iflag_f32_e32 v1, v1
	v_nop
	v_mul_f32_e32 v1, 0x4f7ffffe, v1
	s_delay_alu instid0(VALU_DEP_1) | instskip(NEXT) | instid1(VALU_DEP_1)
	v_cvt_u32_f32_e32 v1, v1
	v_mul_lo_u32 v4, v4, v1
	s_delay_alu instid0(VALU_DEP_1) | instskip(NEXT) | instid1(VALU_DEP_1)
	v_mul_hi_u32 v4, v1, v4
	v_add_nc_u32_e32 v1, v1, v4
	s_delay_alu instid0(VALU_DEP_1) | instskip(NEXT) | instid1(VALU_DEP_1)
	v_mul_hi_u32 v1, v0, v1
	v_mul_lo_u32 v4, v1, v6
	s_delay_alu instid0(VALU_DEP_1) | instskip(NEXT) | instid1(VALU_DEP_1)
	v_dual_sub_nc_u32 v0, v0, v4 :: v_dual_add_nc_u32 v4, 1, v1
	v_sub_nc_u32_e32 v5, v0, v6
	v_cmp_ge_u32_e32 vcc_lo, v0, v6
	s_delay_alu instid0(VALU_DEP_2) | instskip(NEXT) | instid1(VALU_DEP_1)
	v_dual_cndmask_b32 v0, v0, v5 :: v_dual_cndmask_b32 v1, v1, v4
	v_cmp_ge_u32_e32 vcc_lo, v0, v6
	s_delay_alu instid0(VALU_DEP_2) | instskip(NEXT) | instid1(VALU_DEP_1)
	v_add_nc_u32_e32 v4, 1, v1
	v_cndmask_b32_e32 v8, v1, v4, vcc_lo
.LBB70_1058:
	s_or_b32 exec_lo, exec_lo, s0
	s_delay_alu instid0(VALU_DEP_1) | instskip(NEXT) | instid1(VALU_DEP_1)
	v_mul_u64_e32 v[0:1], v[8:9], v[2:3]
	v_sub_nc_u64_e32 v[2:3], 0, v[0:1]
	s_delay_alu instid0(VALU_DEP_1)
	v_max_i64 v[4:5], v[0:1], v[2:3]
.LBB70_1059:
	s_or_b32 exec_lo, exec_lo, s27
	v_mul_lo_u32 v0, v20, s8
	s_and_b32 s27, s11, 0xff
	s_delay_alu instid0(SALU_CYCLE_1) | instskip(NEXT) | instid1(VALU_DEP_1)
	s_cmp_lt_i32 s27, 11
	v_ashrrev_i32_e32 v1, 31, v0
	s_delay_alu instid0(VALU_DEP_1)
	v_add_nc_u64_e32 v[0:1], s[4:5], v[0:1]
	s_cbranch_scc1 .LBB70_1066
; %bb.1060:
	s_and_b32 s28, 0xffff, s27
	s_delay_alu instid0(SALU_CYCLE_1)
	s_cmp_gt_i32 s28, 25
	s_cbranch_scc0 .LBB70_1067
; %bb.1061:
	s_cmp_gt_i32 s28, 28
	s_cbranch_scc0 .LBB70_1068
; %bb.1062:
	;; [unrolled: 3-line block ×4, first 2 shown]
	s_mov_b32 s30, 0
	s_mov_b32 s0, -1
	s_cmp_eq_u32 s28, 46
	s_mov_b32 s29, 0
	s_cbranch_scc0 .LBB70_1071
; %bb.1065:
	s_delay_alu instid0(VALU_DEP_4) | instskip(SKIP_2) | instid1(VALU_DEP_1)
	v_clz_i32_u32_e32 v2, v5
	s_mov_b32 s29, -1
	s_mov_b32 s0, 0
	v_min_u32_e32 v6, 32, v2
	s_delay_alu instid0(VALU_DEP_1) | instskip(NEXT) | instid1(VALU_DEP_1)
	v_lshlrev_b64_e32 v[2:3], v6, v[4:5]
	v_min_u32_e32 v2, 1, v2
	s_delay_alu instid0(VALU_DEP_1) | instskip(SKIP_1) | instid1(VALU_DEP_2)
	v_or_b32_e32 v2, v3, v2
	v_sub_nc_u32_e32 v3, 32, v6
	v_cvt_f32_u32_e32 v2, v2
	s_delay_alu instid0(VALU_DEP_1) | instskip(NEXT) | instid1(VALU_DEP_1)
	v_ldexp_f32 v2, v2, v3
	v_bfe_u32 v3, v2, 16, 1
	s_delay_alu instid0(VALU_DEP_1) | instskip(NEXT) | instid1(VALU_DEP_1)
	v_add3_u32 v2, v2, v3, 0x7fff
	v_lshrrev_b32_e32 v2, 16, v2
	global_store_b32 v[0:1], v2, off
	s_branch .LBB70_1071
.LBB70_1066:
	s_mov_b32 s28, -1
	s_mov_b32 s29, 0
	s_mov_b32 s0, s21
	s_branch .LBB70_1140
.LBB70_1067:
	s_mov_b32 s30, -1
	s_mov_b32 s29, 0
	s_mov_b32 s0, s21
	s_branch .LBB70_1098
.LBB70_1068:
	s_mov_b32 s30, -1
	s_mov_b32 s29, 0
	s_mov_b32 s0, s21
	s_branch .LBB70_1081
.LBB70_1069:
	s_mov_b32 s30, -1
	s_mov_b32 s29, 0
	s_mov_b32 s0, s21
	s_branch .LBB70_1077
.LBB70_1070:
	s_mov_b32 s30, -1
	s_mov_b32 s29, 0
	s_mov_b32 s0, s21
.LBB70_1071:
	s_and_b32 vcc_lo, exec_lo, s30
	s_cbranch_vccz .LBB70_1076
; %bb.1072:
	s_cmp_eq_u32 s28, 44
	s_mov_b32 s0, -1
	s_cbranch_scc0 .LBB70_1076
; %bb.1073:
	s_wait_xcnt 0x0
	s_delay_alu instid0(VALU_DEP_4) | instskip(SKIP_1) | instid1(VALU_DEP_1)
	v_clz_i32_u32_e32 v2, v5
	s_mov_b32 s29, exec_lo
	v_min_u32_e32 v6, 32, v2
	s_delay_alu instid0(VALU_DEP_1) | instskip(NEXT) | instid1(VALU_DEP_1)
	v_lshlrev_b64_e32 v[2:3], v6, v[4:5]
	v_min_u32_e32 v2, 1, v2
	s_delay_alu instid0(VALU_DEP_1) | instskip(SKIP_1) | instid1(VALU_DEP_2)
	v_or_b32_e32 v2, v3, v2
	v_sub_nc_u32_e32 v3, 32, v6
	v_cvt_f32_u32_e32 v2, v2
	s_delay_alu instid0(VALU_DEP_1) | instskip(NEXT) | instid1(VALU_DEP_1)
	v_ldexp_f32 v6, v2, v3
	v_dual_mov_b32 v3, 0xff :: v_dual_lshrrev_b32 v2, 23, v6
	s_delay_alu instid0(VALU_DEP_1)
	v_cmpx_ne_u32_e32 0xff, v2
; %bb.1074:
	v_and_b32_e32 v3, 0x400000, v6
	v_and_or_b32 v6, 0x3fffff, v6, v2
	s_delay_alu instid0(VALU_DEP_2) | instskip(NEXT) | instid1(VALU_DEP_2)
	v_cmp_ne_u32_e32 vcc_lo, 0, v3
	v_cmp_ne_u32_e64 s0, 0, v6
	s_and_b32 s0, vcc_lo, s0
	s_delay_alu instid0(SALU_CYCLE_1) | instskip(NEXT) | instid1(VALU_DEP_1)
	v_cndmask_b32_e64 v3, 0, 1, s0
	v_add_nc_u32_e32 v3, v2, v3
; %bb.1075:
	s_or_b32 exec_lo, exec_lo, s29
	s_mov_b32 s29, -1
	s_mov_b32 s0, 0
	global_store_b8 v[0:1], v3, off
.LBB70_1076:
	s_mov_b32 s30, 0
.LBB70_1077:
	s_delay_alu instid0(SALU_CYCLE_1)
	s_and_b32 vcc_lo, exec_lo, s30
	s_cbranch_vccz .LBB70_1080
; %bb.1078:
	s_cmp_eq_u32 s28, 29
	s_mov_b32 s0, -1
	s_cbranch_scc0 .LBB70_1080
; %bb.1079:
	s_mov_b32 s29, -1
	s_mov_b32 s0, 0
	global_store_b64 v[0:1], v[4:5], off
.LBB70_1080:
	s_mov_b32 s30, 0
.LBB70_1081:
	s_delay_alu instid0(SALU_CYCLE_1)
	s_and_b32 vcc_lo, exec_lo, s30
	s_cbranch_vccz .LBB70_1097
; %bb.1082:
	s_cmp_lt_i32 s28, 27
	s_mov_b32 s29, -1
	s_cbranch_scc1 .LBB70_1088
; %bb.1083:
	s_cmp_gt_i32 s28, 27
	s_cbranch_scc0 .LBB70_1085
; %bb.1084:
	s_mov_b32 s29, 0
	global_store_b32 v[0:1], v4, off
.LBB70_1085:
	s_and_not1_b32 vcc_lo, exec_lo, s29
	s_cbranch_vccnz .LBB70_1087
; %bb.1086:
	global_store_b16 v[0:1], v4, off
.LBB70_1087:
	s_mov_b32 s29, 0
.LBB70_1088:
	s_delay_alu instid0(SALU_CYCLE_1)
	s_and_not1_b32 vcc_lo, exec_lo, s29
	s_cbranch_vccnz .LBB70_1096
; %bb.1089:
	s_wait_xcnt 0x0
	s_delay_alu instid0(VALU_DEP_4) | instskip(SKIP_1) | instid1(VALU_DEP_1)
	v_clz_i32_u32_e32 v2, v5
	s_mov_b32 s29, exec_lo
	v_min_u32_e32 v6, 32, v2
	s_delay_alu instid0(VALU_DEP_1) | instskip(NEXT) | instid1(VALU_DEP_1)
	v_lshlrev_b64_e32 v[2:3], v6, v[4:5]
	v_min_u32_e32 v2, 1, v2
	s_delay_alu instid0(VALU_DEP_1) | instskip(SKIP_1) | instid1(VALU_DEP_2)
	v_or_b32_e32 v2, v3, v2
	v_dual_mov_b32 v6, 0x80 :: v_dual_sub_nc_u32 v3, 32, v6
	v_cvt_f32_u32_e32 v2, v2
	s_delay_alu instid0(VALU_DEP_1) | instskip(NEXT) | instid1(VALU_DEP_1)
	v_ldexp_f32 v3, v2, v3
	v_cmpx_gt_u32_e32 0x43800000, v3
	s_cbranch_execz .LBB70_1095
; %bb.1090:
	s_mov_b32 s30, 0
	s_mov_b32 s31, exec_lo
                                        ; implicit-def: $vgpr2
	v_cmpx_lt_u32_e32 0x3bffffff, v3
	s_xor_b32 s31, exec_lo, s31
	s_cbranch_execz .LBB70_1198
; %bb.1091:
	v_bfe_u32 v2, v3, 20, 1
	s_mov_b32 s30, exec_lo
	s_delay_alu instid0(VALU_DEP_1) | instskip(NEXT) | instid1(VALU_DEP_1)
	v_add3_u32 v2, v3, v2, 0x487ffff
                                        ; implicit-def: $vgpr3
	v_lshrrev_b32_e32 v2, 20, v2
	s_and_not1_saveexec_b32 s31, s31
	s_cbranch_execnz .LBB70_1199
.LBB70_1092:
	s_or_b32 exec_lo, exec_lo, s31
	v_mov_b32_e32 v6, 0
	s_and_saveexec_b32 s31, s30
.LBB70_1093:
	v_mov_b32_e32 v6, v2
.LBB70_1094:
	s_or_b32 exec_lo, exec_lo, s31
.LBB70_1095:
	s_delay_alu instid0(SALU_CYCLE_1)
	s_or_b32 exec_lo, exec_lo, s29
	global_store_b8 v[0:1], v6, off
.LBB70_1096:
	s_mov_b32 s29, -1
.LBB70_1097:
	s_mov_b32 s30, 0
.LBB70_1098:
	s_delay_alu instid0(SALU_CYCLE_1)
	s_and_b32 vcc_lo, exec_lo, s30
	s_cbranch_vccz .LBB70_1139
; %bb.1099:
	s_cmp_gt_i32 s28, 22
	s_mov_b32 s30, -1
	s_cbranch_scc0 .LBB70_1131
; %bb.1100:
	s_cmp_lt_i32 s28, 24
	s_mov_b32 s29, -1
	s_cbranch_scc1 .LBB70_1120
; %bb.1101:
	s_cmp_gt_i32 s28, 24
	s_cbranch_scc0 .LBB70_1109
; %bb.1102:
	s_wait_xcnt 0x0
	s_delay_alu instid0(VALU_DEP_4) | instskip(SKIP_1) | instid1(VALU_DEP_1)
	v_clz_i32_u32_e32 v2, v5
	s_mov_b32 s29, exec_lo
	v_min_u32_e32 v6, 32, v2
	s_delay_alu instid0(VALU_DEP_1) | instskip(NEXT) | instid1(VALU_DEP_1)
	v_lshlrev_b64_e32 v[2:3], v6, v[4:5]
	v_min_u32_e32 v2, 1, v2
	s_delay_alu instid0(VALU_DEP_1) | instskip(SKIP_1) | instid1(VALU_DEP_2)
	v_or_b32_e32 v2, v3, v2
	v_dual_mov_b32 v6, 0x80 :: v_dual_sub_nc_u32 v3, 32, v6
	v_cvt_f32_u32_e32 v2, v2
	s_delay_alu instid0(VALU_DEP_1) | instskip(NEXT) | instid1(VALU_DEP_1)
	v_ldexp_f32 v3, v2, v3
	v_cmpx_gt_u32_e32 0x47800000, v3
	s_cbranch_execz .LBB70_1108
; %bb.1103:
	s_mov_b32 s30, 0
	s_mov_b32 s31, exec_lo
                                        ; implicit-def: $vgpr2
	v_cmpx_lt_u32_e32 0x37ffffff, v3
	s_xor_b32 s31, exec_lo, s31
	s_cbranch_execz .LBB70_2239
; %bb.1104:
	v_bfe_u32 v2, v3, 21, 1
	s_mov_b32 s30, exec_lo
	s_delay_alu instid0(VALU_DEP_1) | instskip(NEXT) | instid1(VALU_DEP_1)
	v_add3_u32 v2, v3, v2, 0x88fffff
                                        ; implicit-def: $vgpr3
	v_lshrrev_b32_e32 v2, 21, v2
	s_and_not1_saveexec_b32 s31, s31
	s_cbranch_execnz .LBB70_2240
.LBB70_1105:
	s_or_b32 exec_lo, exec_lo, s31
	v_mov_b32_e32 v6, 0
	s_and_saveexec_b32 s31, s30
.LBB70_1106:
	v_mov_b32_e32 v6, v2
.LBB70_1107:
	s_or_b32 exec_lo, exec_lo, s31
.LBB70_1108:
	s_delay_alu instid0(SALU_CYCLE_1)
	s_or_b32 exec_lo, exec_lo, s29
	s_mov_b32 s29, 0
	global_store_b8 v[0:1], v6, off
.LBB70_1109:
	s_and_b32 vcc_lo, exec_lo, s29
	s_cbranch_vccz .LBB70_1119
; %bb.1110:
	s_wait_xcnt 0x0
	s_delay_alu instid0(VALU_DEP_4) | instskip(SKIP_1) | instid1(VALU_DEP_1)
	v_clz_i32_u32_e32 v2, v5
	s_mov_b32 s29, exec_lo
	v_min_u32_e32 v6, 32, v2
	s_delay_alu instid0(VALU_DEP_1) | instskip(NEXT) | instid1(VALU_DEP_1)
	v_lshlrev_b64_e32 v[2:3], v6, v[4:5]
	v_min_u32_e32 v2, 1, v2
	s_delay_alu instid0(VALU_DEP_1) | instskip(SKIP_1) | instid1(VALU_DEP_2)
	v_or_b32_e32 v2, v3, v2
	v_sub_nc_u32_e32 v3, 32, v6
	v_cvt_f32_u32_e32 v2, v2
	s_delay_alu instid0(VALU_DEP_1) | instskip(NEXT) | instid1(VALU_DEP_1)
	v_ldexp_f32 v3, v2, v3
                                        ; implicit-def: $vgpr2
	v_cmpx_gt_u32_e32 0x43f00000, v3
	s_xor_b32 s29, exec_lo, s29
	s_cbranch_execz .LBB70_1116
; %bb.1111:
	s_mov_b32 s30, exec_lo
                                        ; implicit-def: $vgpr2
	v_cmpx_lt_u32_e32 0x3c7fffff, v3
	s_xor_b32 s30, exec_lo, s30
; %bb.1112:
	v_bfe_u32 v2, v3, 20, 1
	s_delay_alu instid0(VALU_DEP_1) | instskip(NEXT) | instid1(VALU_DEP_1)
	v_add3_u32 v2, v3, v2, 0x407ffff
	v_and_b32_e32 v3, 0xff00000, v2
	v_lshrrev_b32_e32 v2, 20, v2
	s_delay_alu instid0(VALU_DEP_2) | instskip(NEXT) | instid1(VALU_DEP_2)
	v_cmp_ne_u32_e32 vcc_lo, 0x7f00000, v3
                                        ; implicit-def: $vgpr3
	v_cndmask_b32_e32 v2, 0x7e, v2, vcc_lo
; %bb.1113:
	s_and_not1_saveexec_b32 s30, s30
; %bb.1114:
	v_add_f32_e32 v2, 0x46800000, v3
; %bb.1115:
	s_or_b32 exec_lo, exec_lo, s30
                                        ; implicit-def: $vgpr3
.LBB70_1116:
	s_and_not1_saveexec_b32 s29, s29
; %bb.1117:
	v_mov_b32_e32 v2, 0x7f
	v_cmp_lt_u32_e32 vcc_lo, 0x7f800000, v3
	s_delay_alu instid0(VALU_DEP_2)
	v_cndmask_b32_e32 v2, 0x7e, v2, vcc_lo
; %bb.1118:
	s_or_b32 exec_lo, exec_lo, s29
	global_store_b8 v[0:1], v2, off
.LBB70_1119:
	s_mov_b32 s29, 0
.LBB70_1120:
	s_delay_alu instid0(SALU_CYCLE_1)
	s_and_not1_b32 vcc_lo, exec_lo, s29
	s_cbranch_vccnz .LBB70_1130
; %bb.1121:
	s_wait_xcnt 0x0
	s_delay_alu instid0(VALU_DEP_4) | instskip(SKIP_1) | instid1(VALU_DEP_1)
	v_clz_i32_u32_e32 v2, v5
	s_mov_b32 s29, exec_lo
	v_min_u32_e32 v6, 32, v2
	s_delay_alu instid0(VALU_DEP_1) | instskip(NEXT) | instid1(VALU_DEP_1)
	v_lshlrev_b64_e32 v[2:3], v6, v[4:5]
	v_min_u32_e32 v2, 1, v2
	s_delay_alu instid0(VALU_DEP_1) | instskip(SKIP_1) | instid1(VALU_DEP_2)
	v_or_b32_e32 v2, v3, v2
	v_sub_nc_u32_e32 v3, 32, v6
	v_cvt_f32_u32_e32 v2, v2
	s_delay_alu instid0(VALU_DEP_1) | instskip(NEXT) | instid1(VALU_DEP_1)
	v_ldexp_f32 v3, v2, v3
                                        ; implicit-def: $vgpr2
	v_cmpx_gt_u32_e32 0x47800000, v3
	s_xor_b32 s29, exec_lo, s29
	s_cbranch_execz .LBB70_1127
; %bb.1122:
	s_mov_b32 s30, exec_lo
                                        ; implicit-def: $vgpr2
	v_cmpx_lt_u32_e32 0x387fffff, v3
	s_xor_b32 s30, exec_lo, s30
; %bb.1123:
	v_bfe_u32 v2, v3, 21, 1
	s_delay_alu instid0(VALU_DEP_1) | instskip(NEXT) | instid1(VALU_DEP_1)
	v_add3_u32 v2, v3, v2, 0x80fffff
                                        ; implicit-def: $vgpr3
	v_lshrrev_b32_e32 v2, 21, v2
; %bb.1124:
	s_and_not1_saveexec_b32 s30, s30
; %bb.1125:
	v_add_f32_e32 v2, 0x43000000, v3
; %bb.1126:
	s_or_b32 exec_lo, exec_lo, s30
                                        ; implicit-def: $vgpr3
.LBB70_1127:
	s_and_not1_saveexec_b32 s29, s29
; %bb.1128:
	v_mov_b32_e32 v2, 0x7f
	v_cmp_lt_u32_e32 vcc_lo, 0x7f800000, v3
	s_delay_alu instid0(VALU_DEP_2)
	v_cndmask_b32_e32 v2, 0x7c, v2, vcc_lo
; %bb.1129:
	s_or_b32 exec_lo, exec_lo, s29
	global_store_b8 v[0:1], v2, off
.LBB70_1130:
	s_mov_b32 s30, 0
	s_mov_b32 s29, -1
.LBB70_1131:
	s_and_not1_b32 vcc_lo, exec_lo, s30
	s_cbranch_vccnz .LBB70_1139
; %bb.1132:
	s_cmp_gt_i32 s28, 14
	s_mov_b32 s30, -1
	s_cbranch_scc0 .LBB70_1136
; %bb.1133:
	s_cmp_eq_u32 s28, 15
	s_mov_b32 s0, -1
	s_cbranch_scc0 .LBB70_1135
; %bb.1134:
	s_wait_xcnt 0x0
	s_delay_alu instid0(VALU_DEP_4) | instskip(SKIP_2) | instid1(VALU_DEP_1)
	v_clz_i32_u32_e32 v2, v5
	s_mov_b32 s29, -1
	s_mov_b32 s0, 0
	v_min_u32_e32 v6, 32, v2
	s_delay_alu instid0(VALU_DEP_1) | instskip(NEXT) | instid1(VALU_DEP_1)
	v_lshlrev_b64_e32 v[2:3], v6, v[4:5]
	v_min_u32_e32 v2, 1, v2
	s_delay_alu instid0(VALU_DEP_1) | instskip(SKIP_1) | instid1(VALU_DEP_2)
	v_or_b32_e32 v2, v3, v2
	v_sub_nc_u32_e32 v3, 32, v6
	v_cvt_f32_u32_e32 v2, v2
	s_delay_alu instid0(VALU_DEP_1) | instskip(NEXT) | instid1(VALU_DEP_1)
	v_ldexp_f32 v2, v2, v3
	v_bfe_u32 v3, v2, 16, 1
	s_delay_alu instid0(VALU_DEP_1)
	v_add3_u32 v2, v2, v3, 0x7fff
	global_store_d16_hi_b16 v[0:1], v2, off
.LBB70_1135:
	s_mov_b32 s30, 0
.LBB70_1136:
	s_delay_alu instid0(SALU_CYCLE_1)
	s_and_b32 vcc_lo, exec_lo, s30
	s_cbranch_vccz .LBB70_1139
; %bb.1137:
	s_cmp_eq_u32 s28, 11
	s_mov_b32 s0, -1
	s_cbranch_scc0 .LBB70_1139
; %bb.1138:
	s_delay_alu instid0(VALU_DEP_4)
	v_cmp_ne_u64_e32 vcc_lo, 0, v[4:5]
	s_mov_b32 s29, -1
	s_mov_b32 s0, 0
	s_wait_xcnt 0x0
	v_cndmask_b32_e64 v2, 0, 1, vcc_lo
	global_store_b8 v[0:1], v2, off
.LBB70_1139:
	s_mov_b32 s28, 0
.LBB70_1140:
	s_delay_alu instid0(SALU_CYCLE_1)
	s_and_b32 vcc_lo, exec_lo, s28
	s_cbranch_vccz .LBB70_1179
; %bb.1141:
	s_and_b32 s27, 0xffff, s27
	s_mov_b32 s28, -1
	s_cmp_lt_i32 s27, 5
	s_cbranch_scc1 .LBB70_1162
; %bb.1142:
	s_cmp_lt_i32 s27, 8
	s_cbranch_scc1 .LBB70_1152
; %bb.1143:
	;; [unrolled: 3-line block ×3, first 2 shown]
	s_cmp_gt_i32 s27, 9
	s_cbranch_scc0 .LBB70_1146
; %bb.1145:
	s_wait_xcnt 0x0
	s_delay_alu instid0(VALU_DEP_4) | instskip(SKIP_3) | instid1(VALU_DEP_1)
	v_cvt_f64_u32_e32 v[2:3], v5
	v_cvt_f64_u32_e32 v[6:7], v4
	s_mov_b32 s28, 0
	v_mov_b32_e32 v8, 0
	v_mov_b32_e32 v9, v8
	s_delay_alu instid0(VALU_DEP_4) | instskip(NEXT) | instid1(VALU_DEP_1)
	v_ldexp_f64 v[2:3], v[2:3], 32
	v_add_f64_e32 v[6:7], v[2:3], v[6:7]
	global_store_b128 v[0:1], v[6:9], off
.LBB70_1146:
	s_and_not1_b32 vcc_lo, exec_lo, s28
	s_cbranch_vccnz .LBB70_1148
; %bb.1147:
	s_wait_xcnt 0x0
	s_delay_alu instid0(VALU_DEP_4) | instskip(NEXT) | instid1(VALU_DEP_1)
	v_clz_i32_u32_e32 v2, v5
	v_min_u32_e32 v6, 32, v2
	s_delay_alu instid0(VALU_DEP_1) | instskip(NEXT) | instid1(VALU_DEP_1)
	v_lshlrev_b64_e32 v[2:3], v6, v[4:5]
	v_min_u32_e32 v2, 1, v2
	s_delay_alu instid0(VALU_DEP_1) | instskip(SKIP_1) | instid1(VALU_DEP_2)
	v_or_b32_e32 v2, v3, v2
	v_sub_nc_u32_e32 v3, 32, v6
	v_cvt_f32_u32_e32 v2, v2
	s_delay_alu instid0(VALU_DEP_1)
	v_ldexp_f32 v2, v2, v3
	v_mov_b32_e32 v3, 0
	global_store_b64 v[0:1], v[2:3], off
.LBB70_1148:
	s_mov_b32 s28, 0
.LBB70_1149:
	s_delay_alu instid0(SALU_CYCLE_1)
	s_and_not1_b32 vcc_lo, exec_lo, s28
	s_cbranch_vccnz .LBB70_1151
; %bb.1150:
	s_wait_xcnt 0x0
	s_delay_alu instid0(VALU_DEP_4) | instskip(NEXT) | instid1(VALU_DEP_1)
	v_clz_i32_u32_e32 v2, v5
	v_min_u32_e32 v6, 32, v2
	s_delay_alu instid0(VALU_DEP_1) | instskip(NEXT) | instid1(VALU_DEP_1)
	v_lshlrev_b64_e32 v[2:3], v6, v[4:5]
	v_min_u32_e32 v2, 1, v2
	s_delay_alu instid0(VALU_DEP_1) | instskip(SKIP_1) | instid1(VALU_DEP_2)
	v_or_b32_e32 v2, v3, v2
	v_sub_nc_u32_e32 v3, 32, v6
	v_cvt_f32_u32_e32 v2, v2
	s_delay_alu instid0(VALU_DEP_1) | instskip(NEXT) | instid1(VALU_DEP_1)
	v_ldexp_f32 v2, v2, v3
	v_cvt_f16_f32_e32 v2, v2
	s_delay_alu instid0(VALU_DEP_1)
	v_and_b32_e32 v2, 0xffff, v2
	global_store_b32 v[0:1], v2, off
.LBB70_1151:
	s_mov_b32 s28, 0
.LBB70_1152:
	s_delay_alu instid0(SALU_CYCLE_1)
	s_and_not1_b32 vcc_lo, exec_lo, s28
	s_cbranch_vccnz .LBB70_1161
; %bb.1153:
	s_cmp_lt_i32 s27, 6
	s_mov_b32 s28, -1
	s_cbranch_scc1 .LBB70_1159
; %bb.1154:
	s_cmp_gt_i32 s27, 6
	s_cbranch_scc0 .LBB70_1156
; %bb.1155:
	s_wait_xcnt 0x0
	s_delay_alu instid0(VALU_DEP_4) | instskip(SKIP_2) | instid1(VALU_DEP_2)
	v_cvt_f64_u32_e32 v[2:3], v5
	v_cvt_f64_u32_e32 v[6:7], v4
	s_mov_b32 s28, 0
	v_ldexp_f64 v[2:3], v[2:3], 32
	s_delay_alu instid0(VALU_DEP_1)
	v_add_f64_e32 v[2:3], v[2:3], v[6:7]
	global_store_b64 v[0:1], v[2:3], off
.LBB70_1156:
	s_and_not1_b32 vcc_lo, exec_lo, s28
	s_cbranch_vccnz .LBB70_1158
; %bb.1157:
	s_wait_xcnt 0x0
	s_delay_alu instid0(VALU_DEP_4) | instskip(NEXT) | instid1(VALU_DEP_1)
	v_clz_i32_u32_e32 v2, v5
	v_min_u32_e32 v6, 32, v2
	s_delay_alu instid0(VALU_DEP_1) | instskip(NEXT) | instid1(VALU_DEP_1)
	v_lshlrev_b64_e32 v[2:3], v6, v[4:5]
	v_min_u32_e32 v2, 1, v2
	s_delay_alu instid0(VALU_DEP_1) | instskip(SKIP_1) | instid1(VALU_DEP_2)
	v_or_b32_e32 v2, v3, v2
	v_sub_nc_u32_e32 v3, 32, v6
	v_cvt_f32_u32_e32 v2, v2
	s_delay_alu instid0(VALU_DEP_1)
	v_ldexp_f32 v2, v2, v3
	global_store_b32 v[0:1], v2, off
.LBB70_1158:
	s_mov_b32 s28, 0
.LBB70_1159:
	s_delay_alu instid0(SALU_CYCLE_1)
	s_and_not1_b32 vcc_lo, exec_lo, s28
	s_cbranch_vccnz .LBB70_1161
; %bb.1160:
	s_wait_xcnt 0x0
	s_delay_alu instid0(VALU_DEP_4) | instskip(NEXT) | instid1(VALU_DEP_1)
	v_clz_i32_u32_e32 v2, v5
	v_min_u32_e32 v6, 32, v2
	s_delay_alu instid0(VALU_DEP_1) | instskip(NEXT) | instid1(VALU_DEP_1)
	v_lshlrev_b64_e32 v[2:3], v6, v[4:5]
	v_min_u32_e32 v2, 1, v2
	s_delay_alu instid0(VALU_DEP_1) | instskip(SKIP_1) | instid1(VALU_DEP_2)
	v_or_b32_e32 v2, v3, v2
	v_sub_nc_u32_e32 v3, 32, v6
	v_cvt_f32_u32_e32 v2, v2
	s_delay_alu instid0(VALU_DEP_1) | instskip(NEXT) | instid1(VALU_DEP_1)
	v_ldexp_f32 v2, v2, v3
	v_cvt_f16_f32_e32 v2, v2
	global_store_b16 v[0:1], v2, off
.LBB70_1161:
	s_mov_b32 s28, 0
.LBB70_1162:
	s_delay_alu instid0(SALU_CYCLE_1)
	s_and_not1_b32 vcc_lo, exec_lo, s28
	s_cbranch_vccnz .LBB70_1178
; %bb.1163:
	s_cmp_lt_i32 s27, 2
	s_mov_b32 s28, -1
	s_cbranch_scc1 .LBB70_1173
; %bb.1164:
	s_cmp_lt_i32 s27, 3
	s_cbranch_scc1 .LBB70_1170
; %bb.1165:
	s_cmp_gt_i32 s27, 3
	s_cbranch_scc0 .LBB70_1167
; %bb.1166:
	s_mov_b32 s28, 0
	global_store_b64 v[0:1], v[4:5], off
.LBB70_1167:
	s_and_not1_b32 vcc_lo, exec_lo, s28
	s_cbranch_vccnz .LBB70_1169
; %bb.1168:
	global_store_b32 v[0:1], v4, off
.LBB70_1169:
	s_mov_b32 s28, 0
.LBB70_1170:
	s_delay_alu instid0(SALU_CYCLE_1)
	s_and_not1_b32 vcc_lo, exec_lo, s28
	s_cbranch_vccnz .LBB70_1172
; %bb.1171:
	global_store_b16 v[0:1], v4, off
.LBB70_1172:
	s_mov_b32 s28, 0
.LBB70_1173:
	s_delay_alu instid0(SALU_CYCLE_1)
	s_and_not1_b32 vcc_lo, exec_lo, s28
	s_cbranch_vccnz .LBB70_1178
; %bb.1174:
	s_cmp_gt_i32 s27, 0
	s_mov_b32 s27, -1
	s_cbranch_scc0 .LBB70_1176
; %bb.1175:
	s_mov_b32 s27, 0
	global_store_b8 v[0:1], v4, off
.LBB70_1176:
	s_and_not1_b32 vcc_lo, exec_lo, s27
	s_cbranch_vccnz .LBB70_1178
; %bb.1177:
	global_store_b8 v[0:1], v4, off
.LBB70_1178:
	s_mov_b32 s29, -1
.LBB70_1179:
	s_delay_alu instid0(SALU_CYCLE_1)
	s_and_not1_b32 vcc_lo, exec_lo, s29
	s_cbranch_vccnz .LBB70_1181
; %bb.1180:
	v_add_nc_u32_e32 v20, 0x80, v20
	s_mov_b32 s28, -1
	s_branch .LBB70_1183
.LBB70_1181:
	s_mov_b32 s28, 0
.LBB70_1182:
                                        ; implicit-def: $vgpr20
.LBB70_1183:
	s_and_not1_b32 s27, s21, exec_lo
	s_and_b32 s0, s0, exec_lo
	s_and_b32 s26, s26, exec_lo
	s_or_b32 s27, s27, s0
	s_and_not1_b32 s0, s22, exec_lo
	s_and_not1_b32 s29, s20, exec_lo
	s_and_b32 s25, s25, exec_lo
	s_or_b32 s26, s0, s26
	s_or_b32 s25, s29, s25
	s_or_not1_b32 s31, s28, exec_lo
.LBB70_1184:
	s_wait_xcnt 0x0
	s_or_b32 exec_lo, exec_lo, s24
	s_mov_b32 s28, 0
	s_mov_b32 s29, 0
	;; [unrolled: 1-line block ×3, first 2 shown]
                                        ; implicit-def: $sgpr0
                                        ; implicit-def: $vgpr2_vgpr3
                                        ; implicit-def: $vgpr0_vgpr1
	s_and_saveexec_b32 s24, s31
	s_cbranch_execz .LBB70_1263
; %bb.1185:
	v_cmp_gt_i32_e32 vcc_lo, s16, v20
	s_mov_b32 s33, s25
	s_mov_b32 s31, 0
	;; [unrolled: 1-line block ×3, first 2 shown]
                                        ; implicit-def: $sgpr0
                                        ; implicit-def: $vgpr2_vgpr3
                                        ; implicit-def: $vgpr0_vgpr1
	s_and_saveexec_b32 s16, vcc_lo
	s_cbranch_execz .LBB70_1262
; %bb.1186:
	s_wait_loadcnt 0x0
	v_mul_lo_u32 v0, v20, s9
	s_and_b32 s0, s13, 0xff
	s_delay_alu instid0(SALU_CYCLE_1) | instskip(NEXT) | instid1(VALU_DEP_1)
	s_cmp_lt_i32 s0, 11
	v_ashrrev_i32_e32 v1, 31, v0
	s_delay_alu instid0(VALU_DEP_1)
	v_add_nc_u64_e32 v[2:3], s[6:7], v[0:1]
	s_cbranch_scc1 .LBB70_1193
; %bb.1187:
	s_and_b32 s28, 0xffff, s0
	s_delay_alu instid0(SALU_CYCLE_1)
	s_cmp_gt_i32 s28, 25
	s_cbranch_scc0 .LBB70_1194
; %bb.1188:
	s_cmp_gt_i32 s28, 28
	s_cbranch_scc0 .LBB70_1195
; %bb.1189:
	;; [unrolled: 3-line block ×4, first 2 shown]
	s_cmp_eq_u32 s28, 46
	s_mov_b32 s33, 0
	s_cbranch_scc0 .LBB70_1200
; %bb.1192:
	global_load_b32 v0, v[2:3], off
	s_mov_b32 s31, -1
	s_wait_loadcnt 0x0
	v_lshlrev_b32_e32 v0, 16, v0
	s_delay_alu instid0(VALU_DEP_1) | instskip(NEXT) | instid1(VALU_DEP_1)
	v_trunc_f32_e32 v0, v0
	v_mul_f32_e64 v1, 0x2f800000, |v0|
	s_delay_alu instid0(VALU_DEP_1) | instskip(NEXT) | instid1(VALU_DEP_1)
	v_floor_f32_e32 v1, v1
	v_fma_f32 v4, 0xcf800000, v1, |v0|
	v_ashrrev_i32_e32 v0, 31, v0
	v_cvt_u32_f32_e32 v5, v1
	s_delay_alu instid0(VALU_DEP_3) | instskip(NEXT) | instid1(VALU_DEP_2)
	v_cvt_u32_f32_e32 v4, v4
	v_dual_mov_b32 v1, v0 :: v_dual_bitop2_b32 v5, v5, v0 bitop3:0x14
	s_delay_alu instid0(VALU_DEP_2) | instskip(NEXT) | instid1(VALU_DEP_1)
	v_xor_b32_e32 v4, v4, v0
	v_sub_nc_u64_e32 v[0:1], v[4:5], v[0:1]
	s_branch .LBB70_1202
.LBB70_1193:
	s_mov_b32 s28, -1
	s_mov_b32 s29, s25
                                        ; implicit-def: $vgpr0_vgpr1
	s_branch .LBB70_1261
.LBB70_1194:
	s_mov_b32 s33, -1
	s_mov_b32 s29, s25
                                        ; implicit-def: $vgpr0_vgpr1
	s_branch .LBB70_1229
.LBB70_1195:
	s_mov_b32 s33, -1
	s_mov_b32 s29, s25
                                        ; implicit-def: $vgpr0_vgpr1
	s_branch .LBB70_1212
.LBB70_1196:
	s_mov_b32 s33, -1
	s_mov_b32 s29, s25
                                        ; implicit-def: $vgpr0_vgpr1
	s_branch .LBB70_1207
.LBB70_1197:
	s_mov_b32 s33, -1
	s_mov_b32 s29, s25
	s_branch .LBB70_1201
.LBB70_1198:
	s_and_not1_saveexec_b32 s31, s31
	s_cbranch_execz .LBB70_1092
.LBB70_1199:
	v_add_f32_e32 v2, 0x46000000, v3
	s_and_not1_b32 s30, s30, exec_lo
	s_delay_alu instid0(VALU_DEP_1) | instskip(NEXT) | instid1(VALU_DEP_1)
	v_and_b32_e32 v2, 0xff, v2
	v_cmp_ne_u32_e32 vcc_lo, 0, v2
	s_and_b32 s33, vcc_lo, exec_lo
	s_delay_alu instid0(SALU_CYCLE_1)
	s_or_b32 s30, s30, s33
	s_or_b32 exec_lo, exec_lo, s31
	v_mov_b32_e32 v6, 0
	s_and_saveexec_b32 s31, s30
	s_cbranch_execnz .LBB70_1093
	s_branch .LBB70_1094
.LBB70_1200:
	s_mov_b32 s29, -1
.LBB70_1201:
                                        ; implicit-def: $vgpr0_vgpr1
.LBB70_1202:
	s_and_b32 vcc_lo, exec_lo, s33
	s_cbranch_vccz .LBB70_1206
; %bb.1203:
	s_cmp_eq_u32 s28, 44
	s_cbranch_scc0 .LBB70_1205
; %bb.1204:
	global_load_u8 v6, v[2:3], off
	s_mov_b32 s29, 0
	s_mov_b32 s31, -1
	s_wait_loadcnt 0x0
	v_cmp_ne_u32_e32 vcc_lo, 0, v6
	v_lshlrev_b32_e32 v0, 23, v6
	s_delay_alu instid0(VALU_DEP_1) | instskip(NEXT) | instid1(VALU_DEP_1)
	v_trunc_f32_e32 v0, v0
	v_mul_f32_e64 v1, 0x2f800000, |v0|
	s_delay_alu instid0(VALU_DEP_1) | instskip(NEXT) | instid1(VALU_DEP_1)
	v_floor_f32_e32 v1, v1
	v_fma_f32 v4, 0xcf800000, v1, |v0|
	v_ashrrev_i32_e32 v0, 31, v0
	v_cvt_u32_f32_e32 v5, v1
	s_delay_alu instid0(VALU_DEP_3) | instskip(NEXT) | instid1(VALU_DEP_2)
	v_cvt_u32_f32_e32 v4, v4
	v_dual_mov_b32 v1, v0 :: v_dual_bitop2_b32 v5, v5, v0 bitop3:0x14
	s_delay_alu instid0(VALU_DEP_2) | instskip(NEXT) | instid1(VALU_DEP_1)
	v_xor_b32_e32 v4, v4, v0
	v_sub_nc_u64_e32 v[0:1], v[4:5], v[0:1]
	s_delay_alu instid0(VALU_DEP_1)
	v_dual_cndmask_b32 v1, 0, v1 :: v_dual_cndmask_b32 v0, 0, v0
	s_branch .LBB70_1206
.LBB70_1205:
	s_mov_b32 s29, -1
                                        ; implicit-def: $vgpr0_vgpr1
.LBB70_1206:
	s_mov_b32 s33, 0
.LBB70_1207:
	s_delay_alu instid0(SALU_CYCLE_1)
	s_and_b32 vcc_lo, exec_lo, s33
	s_cbranch_vccz .LBB70_1211
; %bb.1208:
	s_cmp_eq_u32 s28, 29
	s_cbranch_scc0 .LBB70_1210
; %bb.1209:
	global_load_b64 v[0:1], v[2:3], off
	s_mov_b32 s29, 0
	s_mov_b32 s31, -1
	s_branch .LBB70_1211
.LBB70_1210:
	s_mov_b32 s29, -1
                                        ; implicit-def: $vgpr0_vgpr1
.LBB70_1211:
	s_mov_b32 s33, 0
.LBB70_1212:
	s_delay_alu instid0(SALU_CYCLE_1)
	s_and_b32 vcc_lo, exec_lo, s33
	s_cbranch_vccz .LBB70_1228
; %bb.1213:
	s_cmp_lt_i32 s28, 27
	s_cbranch_scc1 .LBB70_1216
; %bb.1214:
	s_cmp_gt_i32 s28, 27
	s_cbranch_scc0 .LBB70_1217
; %bb.1215:
	s_wait_loadcnt 0x0
	global_load_b32 v0, v[2:3], off
	v_mov_b32_e32 v1, 0
	s_mov_b32 s31, 0
	s_branch .LBB70_1218
.LBB70_1216:
	s_mov_b32 s31, -1
                                        ; implicit-def: $vgpr0_vgpr1
	s_branch .LBB70_1221
.LBB70_1217:
	s_mov_b32 s31, -1
                                        ; implicit-def: $vgpr0_vgpr1
.LBB70_1218:
	s_delay_alu instid0(SALU_CYCLE_1)
	s_and_not1_b32 vcc_lo, exec_lo, s31
	s_cbranch_vccnz .LBB70_1220
; %bb.1219:
	s_wait_loadcnt 0x0
	global_load_u16 v0, v[2:3], off
	s_mov_b32 s31, 0
	s_delay_alu instid0(SALU_CYCLE_1)
	v_mov_b32_e32 v1, s31
	s_wait_loadcnt 0x0
	v_and_b32_e32 v0, 0xffff, v0
.LBB70_1220:
	s_mov_b32 s31, 0
.LBB70_1221:
	s_delay_alu instid0(SALU_CYCLE_1)
	s_and_not1_b32 vcc_lo, exec_lo, s31
	s_cbranch_vccnz .LBB70_1227
; %bb.1222:
	global_load_u8 v4, v[2:3], off
	s_mov_b32 s33, 0
	s_mov_b32 s31, exec_lo
	s_wait_loadcnt 0x0
	v_cmpx_lt_i16_e32 0x7f, v4
	s_xor_b32 s31, exec_lo, s31
	s_cbranch_execz .LBB70_1239
; %bb.1223:
	v_cmp_ne_u16_e32 vcc_lo, 0x80, v4
	s_and_b32 s33, vcc_lo, exec_lo
	s_and_not1_saveexec_b32 s31, s31
	s_cbranch_execnz .LBB70_1240
.LBB70_1224:
	s_or_b32 exec_lo, exec_lo, s31
	v_mov_b64_e32 v[0:1], 0
	s_and_saveexec_b32 s31, s33
	s_cbranch_execz .LBB70_1226
.LBB70_1225:
	v_and_b32_e32 v0, 0xffff, v4
	s_delay_alu instid0(VALU_DEP_1) | instskip(SKIP_1) | instid1(VALU_DEP_2)
	v_and_b32_e32 v1, 7, v0
	v_bfe_u32 v7, v0, 3, 4
	v_clz_i32_u32_e32 v5, v1
	s_delay_alu instid0(VALU_DEP_2) | instskip(NEXT) | instid1(VALU_DEP_2)
	v_cmp_eq_u32_e32 vcc_lo, 0, v7
	v_min_u32_e32 v5, 32, v5
	s_delay_alu instid0(VALU_DEP_1) | instskip(NEXT) | instid1(VALU_DEP_1)
	v_subrev_nc_u32_e32 v6, 28, v5
	v_dual_lshlrev_b32 v0, v6, v0 :: v_dual_sub_nc_u32 v5, 29, v5
	s_delay_alu instid0(VALU_DEP_1) | instskip(NEXT) | instid1(VALU_DEP_2)
	v_and_b32_e32 v0, 7, v0
	v_dual_cndmask_b32 v5, v7, v5 :: v_dual_lshlrev_b32 v4, 24, v4
	s_delay_alu instid0(VALU_DEP_2) | instskip(NEXT) | instid1(VALU_DEP_2)
	v_cndmask_b32_e32 v0, v1, v0, vcc_lo
	v_and_b32_e32 v1, 0x80000000, v4
	s_delay_alu instid0(VALU_DEP_3) | instskip(NEXT) | instid1(VALU_DEP_3)
	v_lshl_add_u32 v4, v5, 23, 0x3b800000
	v_lshlrev_b32_e32 v0, 20, v0
	s_delay_alu instid0(VALU_DEP_1) | instskip(NEXT) | instid1(VALU_DEP_1)
	v_or3_b32 v0, v1, v4, v0
	v_trunc_f32_e32 v0, v0
	s_delay_alu instid0(VALU_DEP_1) | instskip(NEXT) | instid1(VALU_DEP_1)
	v_mul_f32_e64 v1, 0x2f800000, |v0|
	v_floor_f32_e32 v1, v1
	s_delay_alu instid0(VALU_DEP_1) | instskip(SKIP_2) | instid1(VALU_DEP_3)
	v_fma_f32 v4, 0xcf800000, v1, |v0|
	v_ashrrev_i32_e32 v0, 31, v0
	v_cvt_u32_f32_e32 v5, v1
	v_cvt_u32_f32_e32 v4, v4
	s_delay_alu instid0(VALU_DEP_2) | instskip(NEXT) | instid1(VALU_DEP_2)
	v_dual_mov_b32 v1, v0 :: v_dual_bitop2_b32 v5, v5, v0 bitop3:0x14
	v_xor_b32_e32 v4, v4, v0
	s_delay_alu instid0(VALU_DEP_1)
	v_sub_nc_u64_e32 v[0:1], v[4:5], v[0:1]
.LBB70_1226:
	s_or_b32 exec_lo, exec_lo, s31
.LBB70_1227:
	s_mov_b32 s31, -1
.LBB70_1228:
	s_mov_b32 s33, 0
.LBB70_1229:
	s_delay_alu instid0(SALU_CYCLE_1)
	s_and_b32 vcc_lo, exec_lo, s33
	s_cbranch_vccz .LBB70_1260
; %bb.1230:
	s_cmp_gt_i32 s28, 22
	s_cbranch_scc0 .LBB70_1238
; %bb.1231:
	s_cmp_lt_i32 s28, 24
	s_cbranch_scc1 .LBB70_1241
; %bb.1232:
	s_cmp_gt_i32 s28, 24
	s_cbranch_scc0 .LBB70_1242
; %bb.1233:
	global_load_u8 v4, v[2:3], off
	s_mov_b32 s31, 0
	s_mov_b32 s30, exec_lo
	s_wait_loadcnt 0x0
	v_cmpx_lt_i16_e32 0x7f, v4
	s_xor_b32 s30, exec_lo, s30
	s_cbranch_execz .LBB70_1254
; %bb.1234:
	v_cmp_ne_u16_e32 vcc_lo, 0x80, v4
	s_and_b32 s31, vcc_lo, exec_lo
	s_and_not1_saveexec_b32 s30, s30
	s_cbranch_execnz .LBB70_1255
.LBB70_1235:
	s_or_b32 exec_lo, exec_lo, s30
	v_mov_b64_e32 v[0:1], 0
	s_and_saveexec_b32 s30, s31
	s_cbranch_execz .LBB70_1237
.LBB70_1236:
	v_and_b32_e32 v0, 0xffff, v4
	s_delay_alu instid0(VALU_DEP_1) | instskip(SKIP_1) | instid1(VALU_DEP_2)
	v_and_b32_e32 v1, 3, v0
	v_bfe_u32 v7, v0, 2, 5
	v_clz_i32_u32_e32 v5, v1
	s_delay_alu instid0(VALU_DEP_2) | instskip(NEXT) | instid1(VALU_DEP_2)
	v_cmp_eq_u32_e32 vcc_lo, 0, v7
	v_min_u32_e32 v5, 32, v5
	s_delay_alu instid0(VALU_DEP_1) | instskip(NEXT) | instid1(VALU_DEP_1)
	v_subrev_nc_u32_e32 v6, 29, v5
	v_dual_lshlrev_b32 v0, v6, v0 :: v_dual_sub_nc_u32 v5, 30, v5
	s_delay_alu instid0(VALU_DEP_1) | instskip(NEXT) | instid1(VALU_DEP_2)
	v_and_b32_e32 v0, 3, v0
	v_dual_cndmask_b32 v5, v7, v5 :: v_dual_lshlrev_b32 v4, 24, v4
	s_delay_alu instid0(VALU_DEP_2) | instskip(NEXT) | instid1(VALU_DEP_2)
	v_cndmask_b32_e32 v0, v1, v0, vcc_lo
	v_and_b32_e32 v1, 0x80000000, v4
	s_delay_alu instid0(VALU_DEP_3) | instskip(NEXT) | instid1(VALU_DEP_3)
	v_lshl_add_u32 v4, v5, 23, 0x37800000
	v_lshlrev_b32_e32 v0, 21, v0
	s_delay_alu instid0(VALU_DEP_1) | instskip(NEXT) | instid1(VALU_DEP_1)
	v_or3_b32 v0, v1, v4, v0
	v_trunc_f32_e32 v0, v0
	s_delay_alu instid0(VALU_DEP_1) | instskip(NEXT) | instid1(VALU_DEP_1)
	v_mul_f32_e64 v1, 0x2f800000, |v0|
	v_floor_f32_e32 v1, v1
	s_delay_alu instid0(VALU_DEP_1) | instskip(SKIP_2) | instid1(VALU_DEP_3)
	v_fma_f32 v4, 0xcf800000, v1, |v0|
	v_ashrrev_i32_e32 v0, 31, v0
	v_cvt_u32_f32_e32 v5, v1
	v_cvt_u32_f32_e32 v4, v4
	s_delay_alu instid0(VALU_DEP_2) | instskip(NEXT) | instid1(VALU_DEP_2)
	v_dual_mov_b32 v1, v0 :: v_dual_bitop2_b32 v5, v5, v0 bitop3:0x14
	v_xor_b32_e32 v4, v4, v0
	s_delay_alu instid0(VALU_DEP_1)
	v_sub_nc_u64_e32 v[0:1], v[4:5], v[0:1]
.LBB70_1237:
	s_or_b32 exec_lo, exec_lo, s30
	s_mov_b32 s30, 0
	s_branch .LBB70_1243
.LBB70_1238:
	s_mov_b32 s30, -1
                                        ; implicit-def: $vgpr0_vgpr1
	s_branch .LBB70_1249
.LBB70_1239:
	s_and_not1_saveexec_b32 s31, s31
	s_cbranch_execz .LBB70_1224
.LBB70_1240:
	v_cmp_ne_u16_e32 vcc_lo, 0, v4
	s_and_not1_b32 s33, s33, exec_lo
	s_and_b32 s34, vcc_lo, exec_lo
	s_delay_alu instid0(SALU_CYCLE_1)
	s_or_b32 s33, s33, s34
	s_or_b32 exec_lo, exec_lo, s31
	v_mov_b64_e32 v[0:1], 0
	s_and_saveexec_b32 s31, s33
	s_cbranch_execnz .LBB70_1225
	s_branch .LBB70_1226
.LBB70_1241:
	s_mov_b32 s30, -1
                                        ; implicit-def: $vgpr0_vgpr1
	s_branch .LBB70_1246
.LBB70_1242:
	s_mov_b32 s30, -1
                                        ; implicit-def: $vgpr0_vgpr1
.LBB70_1243:
	s_delay_alu instid0(SALU_CYCLE_1)
	s_and_b32 vcc_lo, exec_lo, s30
	s_cbranch_vccz .LBB70_1245
; %bb.1244:
	s_wait_loadcnt 0x0
	global_load_u8 v0, v[2:3], off
	s_wait_loadcnt 0x0
	v_lshlrev_b32_e32 v0, 24, v0
	s_delay_alu instid0(VALU_DEP_1) | instskip(NEXT) | instid1(VALU_DEP_1)
	v_and_b32_e32 v1, 0x7f000000, v0
	v_clz_i32_u32_e32 v4, v1
	v_cmp_ne_u32_e32 vcc_lo, 0, v1
	v_add_nc_u32_e32 v6, 0x1000000, v1
	s_delay_alu instid0(VALU_DEP_3) | instskip(NEXT) | instid1(VALU_DEP_1)
	v_min_u32_e32 v4, 32, v4
	v_sub_nc_u32_e64 v4, v4, 4 clamp
	s_delay_alu instid0(VALU_DEP_1) | instskip(NEXT) | instid1(VALU_DEP_1)
	v_dual_lshlrev_b32 v5, v4, v1 :: v_dual_lshlrev_b32 v4, 23, v4
	v_lshrrev_b32_e32 v5, 4, v5
	s_delay_alu instid0(VALU_DEP_1) | instskip(NEXT) | instid1(VALU_DEP_1)
	v_dual_sub_nc_u32 v4, v5, v4 :: v_dual_ashrrev_i32 v5, 8, v6
	v_add_nc_u32_e32 v4, 0x3c000000, v4
	s_delay_alu instid0(VALU_DEP_1) | instskip(NEXT) | instid1(VALU_DEP_1)
	v_and_or_b32 v4, 0x7f800000, v5, v4
	v_cndmask_b32_e32 v1, 0, v4, vcc_lo
	s_delay_alu instid0(VALU_DEP_1) | instskip(NEXT) | instid1(VALU_DEP_1)
	v_and_or_b32 v0, 0x80000000, v0, v1
	v_trunc_f32_e32 v0, v0
	s_delay_alu instid0(VALU_DEP_1) | instskip(NEXT) | instid1(VALU_DEP_1)
	v_mul_f32_e64 v1, 0x2f800000, |v0|
	v_floor_f32_e32 v1, v1
	s_delay_alu instid0(VALU_DEP_1) | instskip(SKIP_2) | instid1(VALU_DEP_3)
	v_fma_f32 v4, 0xcf800000, v1, |v0|
	v_ashrrev_i32_e32 v0, 31, v0
	v_cvt_u32_f32_e32 v5, v1
	v_cvt_u32_f32_e32 v4, v4
	s_delay_alu instid0(VALU_DEP_2) | instskip(NEXT) | instid1(VALU_DEP_2)
	v_dual_mov_b32 v1, v0 :: v_dual_bitop2_b32 v5, v5, v0 bitop3:0x14
	v_xor_b32_e32 v4, v4, v0
	s_delay_alu instid0(VALU_DEP_1)
	v_sub_nc_u64_e32 v[0:1], v[4:5], v[0:1]
.LBB70_1245:
	s_mov_b32 s30, 0
.LBB70_1246:
	s_delay_alu instid0(SALU_CYCLE_1)
	s_and_not1_b32 vcc_lo, exec_lo, s30
	s_cbranch_vccnz .LBB70_1248
; %bb.1247:
	s_wait_loadcnt 0x0
	global_load_u8 v0, v[2:3], off
	s_wait_loadcnt 0x0
	v_lshlrev_b32_e32 v1, 25, v0
	v_lshlrev_b16 v0, 8, v0
	s_delay_alu instid0(VALU_DEP_1) | instskip(SKIP_1) | instid1(VALU_DEP_2)
	v_and_or_b32 v5, 0x7f00, v0, 0.5
	v_bfe_i32 v0, v0, 0, 16
	v_add_f32_e32 v5, -0.5, v5
	v_lshrrev_b32_e32 v4, 4, v1
	v_cmp_gt_u32_e32 vcc_lo, 0x8000000, v1
	s_delay_alu instid0(VALU_DEP_2) | instskip(NEXT) | instid1(VALU_DEP_1)
	v_or_b32_e32 v4, 0x70000000, v4
	v_mul_f32_e32 v4, 0x7800000, v4
	s_delay_alu instid0(VALU_DEP_1) | instskip(NEXT) | instid1(VALU_DEP_1)
	v_cndmask_b32_e32 v1, v4, v5, vcc_lo
	v_and_or_b32 v0, 0x80000000, v0, v1
	s_delay_alu instid0(VALU_DEP_1) | instskip(NEXT) | instid1(VALU_DEP_1)
	v_trunc_f32_e32 v0, v0
	v_mul_f32_e64 v1, 0x2f800000, |v0|
	s_delay_alu instid0(VALU_DEP_1) | instskip(NEXT) | instid1(VALU_DEP_1)
	v_floor_f32_e32 v1, v1
	v_fma_f32 v4, 0xcf800000, v1, |v0|
	v_ashrrev_i32_e32 v0, 31, v0
	v_cvt_u32_f32_e32 v5, v1
	s_delay_alu instid0(VALU_DEP_3) | instskip(NEXT) | instid1(VALU_DEP_2)
	v_cvt_u32_f32_e32 v4, v4
	v_dual_mov_b32 v1, v0 :: v_dual_bitop2_b32 v5, v5, v0 bitop3:0x14
	s_delay_alu instid0(VALU_DEP_2) | instskip(NEXT) | instid1(VALU_DEP_1)
	v_xor_b32_e32 v4, v4, v0
	v_sub_nc_u64_e32 v[0:1], v[4:5], v[0:1]
.LBB70_1248:
	s_mov_b32 s30, 0
	s_mov_b32 s31, -1
.LBB70_1249:
	s_and_not1_b32 vcc_lo, exec_lo, s30
	s_mov_b32 s30, 0
	s_cbranch_vccnz .LBB70_1260
; %bb.1250:
	s_cmp_gt_i32 s28, 14
	s_cbranch_scc0 .LBB70_1253
; %bb.1251:
	s_cmp_eq_u32 s28, 15
	s_cbranch_scc0 .LBB70_1256
; %bb.1252:
	s_wait_loadcnt 0x0
	global_load_u16 v0, v[2:3], off
	s_mov_b32 s29, 0
	s_mov_b32 s31, -1
	s_wait_loadcnt 0x0
	v_lshlrev_b32_e32 v0, 16, v0
	s_delay_alu instid0(VALU_DEP_1) | instskip(NEXT) | instid1(VALU_DEP_1)
	v_trunc_f32_e32 v0, v0
	v_mul_f32_e64 v1, 0x2f800000, |v0|
	s_delay_alu instid0(VALU_DEP_1) | instskip(NEXT) | instid1(VALU_DEP_1)
	v_floor_f32_e32 v1, v1
	v_fma_f32 v4, 0xcf800000, v1, |v0|
	v_ashrrev_i32_e32 v0, 31, v0
	v_cvt_u32_f32_e32 v5, v1
	s_delay_alu instid0(VALU_DEP_3) | instskip(NEXT) | instid1(VALU_DEP_2)
	v_cvt_u32_f32_e32 v4, v4
	v_dual_mov_b32 v1, v0 :: v_dual_bitop2_b32 v5, v5, v0 bitop3:0x14
	s_delay_alu instid0(VALU_DEP_2) | instskip(NEXT) | instid1(VALU_DEP_1)
	v_xor_b32_e32 v4, v4, v0
	v_sub_nc_u64_e32 v[0:1], v[4:5], v[0:1]
	s_branch .LBB70_1258
.LBB70_1253:
	s_mov_b32 s30, -1
	s_branch .LBB70_1257
.LBB70_1254:
	s_and_not1_saveexec_b32 s30, s30
	s_cbranch_execz .LBB70_1235
.LBB70_1255:
	v_cmp_ne_u16_e32 vcc_lo, 0, v4
	s_and_not1_b32 s31, s31, exec_lo
	s_and_b32 s33, vcc_lo, exec_lo
	s_delay_alu instid0(SALU_CYCLE_1)
	s_or_b32 s31, s31, s33
	s_or_b32 exec_lo, exec_lo, s30
	v_mov_b64_e32 v[0:1], 0
	s_and_saveexec_b32 s30, s31
	s_cbranch_execnz .LBB70_1236
	s_branch .LBB70_1237
.LBB70_1256:
	s_mov_b32 s29, -1
.LBB70_1257:
                                        ; implicit-def: $vgpr0_vgpr1
.LBB70_1258:
	s_and_b32 vcc_lo, exec_lo, s30
	s_mov_b32 s30, 0
	s_cbranch_vccz .LBB70_1260
; %bb.1259:
	s_cmp_lg_u32 s28, 11
	s_mov_b32 s30, -1
	s_cselect_b32 s28, -1, 0
	s_and_not1_b32 s29, s29, exec_lo
	s_and_b32 s28, s28, exec_lo
	s_delay_alu instid0(SALU_CYCLE_1)
	s_or_b32 s29, s29, s28
.LBB70_1260:
	s_mov_b32 s28, 0
.LBB70_1261:
	s_and_not1_b32 s33, s25, exec_lo
	s_and_b32 s29, s29, exec_lo
	s_and_b32 s34, s31, exec_lo
	s_and_b32 s31, s28, exec_lo
	s_and_b32 s28, s30, exec_lo
	s_or_b32 s33, s33, s29
.LBB70_1262:
	s_wait_xcnt 0x0
	s_or_b32 exec_lo, exec_lo, s16
	s_delay_alu instid0(SALU_CYCLE_1)
	s_and_not1_b32 s16, s25, exec_lo
	s_and_b32 s25, s33, exec_lo
	s_and_b32 s30, s34, exec_lo
	;; [unrolled: 1-line block ×4, first 2 shown]
	s_or_b32 s25, s16, s25
.LBB70_1263:
	s_or_b32 exec_lo, exec_lo, s24
	s_delay_alu instid0(SALU_CYCLE_1)
	s_and_not1_b32 s16, s21, exec_lo
	s_and_b32 s21, s27, exec_lo
	s_and_not1_b32 s22, s22, exec_lo
	s_and_b32 s24, s26, exec_lo
	s_or_b32 s21, s16, s21
	s_and_not1_b32 s16, s20, exec_lo
	s_and_b32 s20, s25, exec_lo
	s_or_b32 s22, s22, s24
	s_and_b32 s27, s30, exec_lo
	s_and_b32 s26, s29, exec_lo
	s_and_b32 s24, s28, exec_lo
	s_or_b32 s20, s16, s20
.LBB70_1264:
	s_or_b32 exec_lo, exec_lo, s23
	s_delay_alu instid0(SALU_CYCLE_1)
	s_and_not1_b32 s15, s15, exec_lo
	s_and_b32 s16, s21, exec_lo
	s_and_not1_b32 s17, s17, exec_lo
	s_and_b32 s21, s22, exec_lo
	s_or_b32 s15, s15, s16
	s_and_not1_b32 s16, s18, exec_lo
	s_and_b32 s18, s20, exec_lo
	s_or_b32 s17, s17, s21
	s_and_b32 s21, s27, exec_lo
	s_and_b32 s22, s26, exec_lo
	;; [unrolled: 1-line block ×3, first 2 shown]
	s_or_b32 s18, s16, s18
	s_or_b32 exec_lo, exec_lo, s19
	s_mov_b32 s16, 0
	s_and_saveexec_b32 s19, s18
	s_cbranch_execz .LBB70_398
.LBB70_1265:
	s_mov_b32 s16, exec_lo
	s_and_not1_b32 s20, s20, exec_lo
	s_trap 2
	s_or_b32 exec_lo, exec_lo, s19
	s_and_saveexec_b32 s18, s20
	s_delay_alu instid0(SALU_CYCLE_1)
	s_xor_b32 s18, exec_lo, s18
	s_cbranch_execnz .LBB70_399
.LBB70_1266:
	s_or_b32 exec_lo, exec_lo, s18
	s_and_saveexec_b32 s18, s22
	s_cbranch_execz .LBB70_1312
.LBB70_1267:
	s_sext_i32_i16 s19, s0
	s_delay_alu instid0(SALU_CYCLE_1)
	s_cmp_lt_i32 s19, 5
	s_cbranch_scc1 .LBB70_1272
; %bb.1268:
	s_cmp_lt_i32 s19, 8
	s_cbranch_scc1 .LBB70_1273
; %bb.1269:
	;; [unrolled: 3-line block ×3, first 2 shown]
	s_cmp_gt_i32 s19, 9
	s_cbranch_scc0 .LBB70_1275
; %bb.1271:
	s_wait_loadcnt 0x0
	global_load_b64 v[0:1], v[2:3], off
	s_mov_b32 s19, 0
	s_wait_loadcnt 0x0
	v_trunc_f64_e32 v[0:1], v[0:1]
	s_delay_alu instid0(VALU_DEP_1) | instskip(NEXT) | instid1(VALU_DEP_1)
	v_ldexp_f64 v[4:5], v[0:1], 0xffffffe0
	v_floor_f64_e32 v[4:5], v[4:5]
	s_delay_alu instid0(VALU_DEP_1) | instskip(SKIP_1) | instid1(VALU_DEP_2)
	v_fmamk_f64 v[6:7], v[4:5], 0xc1f00000, v[0:1]
	v_cvt_i32_f64_e32 v1, v[4:5]
	v_cvt_u32_f64_e32 v0, v[6:7]
	s_branch .LBB70_1276
.LBB70_1272:
                                        ; implicit-def: $vgpr0_vgpr1
	s_branch .LBB70_1293
.LBB70_1273:
                                        ; implicit-def: $vgpr0_vgpr1
	s_branch .LBB70_1282
.LBB70_1274:
	s_mov_b32 s19, -1
                                        ; implicit-def: $vgpr0_vgpr1
	s_branch .LBB70_1279
.LBB70_1275:
	s_mov_b32 s19, -1
                                        ; implicit-def: $vgpr0_vgpr1
.LBB70_1276:
	s_delay_alu instid0(SALU_CYCLE_1)
	s_and_not1_b32 vcc_lo, exec_lo, s19
	s_cbranch_vccnz .LBB70_1278
; %bb.1277:
	s_wait_loadcnt 0x0
	global_load_b32 v0, v[2:3], off
	s_wait_loadcnt 0x0
	v_trunc_f32_e32 v0, v0
	s_delay_alu instid0(VALU_DEP_1) | instskip(NEXT) | instid1(VALU_DEP_1)
	v_mul_f32_e64 v1, 0x2f800000, |v0|
	v_floor_f32_e32 v1, v1
	s_delay_alu instid0(VALU_DEP_1) | instskip(SKIP_2) | instid1(VALU_DEP_3)
	v_fma_f32 v4, 0xcf800000, v1, |v0|
	v_ashrrev_i32_e32 v0, 31, v0
	v_cvt_u32_f32_e32 v5, v1
	v_cvt_u32_f32_e32 v4, v4
	s_delay_alu instid0(VALU_DEP_2) | instskip(NEXT) | instid1(VALU_DEP_2)
	v_dual_mov_b32 v1, v0 :: v_dual_bitop2_b32 v5, v5, v0 bitop3:0x14
	v_xor_b32_e32 v4, v4, v0
	s_delay_alu instid0(VALU_DEP_1)
	v_sub_nc_u64_e32 v[0:1], v[4:5], v[0:1]
.LBB70_1278:
	s_mov_b32 s19, 0
.LBB70_1279:
	s_delay_alu instid0(SALU_CYCLE_1)
	s_and_not1_b32 vcc_lo, exec_lo, s19
	s_cbranch_vccnz .LBB70_1281
; %bb.1280:
	s_wait_loadcnt 0x0
	global_load_b32 v0, v[2:3], off
	s_wait_loadcnt 0x0
	v_cvt_f32_f16_e32 v0, v0
	s_delay_alu instid0(VALU_DEP_1) | instskip(NEXT) | instid1(VALU_DEP_1)
	v_cvt_i32_f32_e32 v0, v0
	v_ashrrev_i32_e32 v1, 31, v0
.LBB70_1281:
	s_cbranch_execnz .LBB70_1292
.LBB70_1282:
	s_sext_i32_i16 s19, s0
	s_delay_alu instid0(SALU_CYCLE_1)
	s_cmp_lt_i32 s19, 6
	s_cbranch_scc1 .LBB70_1285
; %bb.1283:
	s_cmp_gt_i32 s19, 6
	s_cbranch_scc0 .LBB70_1286
; %bb.1284:
	s_wait_loadcnt 0x0
	global_load_b64 v[0:1], v[2:3], off
	s_mov_b32 s19, 0
	s_wait_loadcnt 0x0
	v_trunc_f64_e32 v[0:1], v[0:1]
	s_delay_alu instid0(VALU_DEP_1) | instskip(NEXT) | instid1(VALU_DEP_1)
	v_ldexp_f64 v[4:5], v[0:1], 0xffffffe0
	v_floor_f64_e32 v[4:5], v[4:5]
	s_delay_alu instid0(VALU_DEP_1) | instskip(SKIP_1) | instid1(VALU_DEP_2)
	v_fmamk_f64 v[6:7], v[4:5], 0xc1f00000, v[0:1]
	v_cvt_i32_f64_e32 v1, v[4:5]
	v_cvt_u32_f64_e32 v0, v[6:7]
	s_branch .LBB70_1287
.LBB70_1285:
	s_mov_b32 s19, -1
                                        ; implicit-def: $vgpr0_vgpr1
	s_branch .LBB70_1290
.LBB70_1286:
	s_mov_b32 s19, -1
                                        ; implicit-def: $vgpr0_vgpr1
.LBB70_1287:
	s_delay_alu instid0(SALU_CYCLE_1)
	s_and_not1_b32 vcc_lo, exec_lo, s19
	s_cbranch_vccnz .LBB70_1289
; %bb.1288:
	s_wait_loadcnt 0x0
	global_load_b32 v0, v[2:3], off
	s_wait_loadcnt 0x0
	v_trunc_f32_e32 v0, v0
	s_delay_alu instid0(VALU_DEP_1) | instskip(NEXT) | instid1(VALU_DEP_1)
	v_mul_f32_e64 v1, 0x2f800000, |v0|
	v_floor_f32_e32 v1, v1
	s_delay_alu instid0(VALU_DEP_1) | instskip(SKIP_2) | instid1(VALU_DEP_3)
	v_fma_f32 v4, 0xcf800000, v1, |v0|
	v_ashrrev_i32_e32 v0, 31, v0
	v_cvt_u32_f32_e32 v5, v1
	v_cvt_u32_f32_e32 v4, v4
	s_delay_alu instid0(VALU_DEP_2) | instskip(NEXT) | instid1(VALU_DEP_2)
	v_dual_mov_b32 v1, v0 :: v_dual_bitop2_b32 v5, v5, v0 bitop3:0x14
	v_xor_b32_e32 v4, v4, v0
	s_delay_alu instid0(VALU_DEP_1)
	v_sub_nc_u64_e32 v[0:1], v[4:5], v[0:1]
.LBB70_1289:
	s_mov_b32 s19, 0
.LBB70_1290:
	s_delay_alu instid0(SALU_CYCLE_1)
	s_and_not1_b32 vcc_lo, exec_lo, s19
	s_cbranch_vccnz .LBB70_1292
; %bb.1291:
	s_wait_loadcnt 0x0
	global_load_u16 v0, v[2:3], off
	s_wait_loadcnt 0x0
	v_cvt_f32_f16_e32 v0, v0
	s_delay_alu instid0(VALU_DEP_1) | instskip(NEXT) | instid1(VALU_DEP_1)
	v_cvt_i32_f32_e32 v0, v0
	v_ashrrev_i32_e32 v1, 31, v0
.LBB70_1292:
	s_cbranch_execnz .LBB70_1311
.LBB70_1293:
	s_sext_i32_i16 s19, s0
	s_delay_alu instid0(SALU_CYCLE_1)
	s_cmp_lt_i32 s19, 2
	s_cbranch_scc1 .LBB70_1297
; %bb.1294:
	s_cmp_lt_i32 s19, 3
	s_cbranch_scc1 .LBB70_1298
; %bb.1295:
	s_cmp_gt_i32 s19, 3
	s_cbranch_scc0 .LBB70_1299
; %bb.1296:
	s_wait_loadcnt 0x0
	global_load_b64 v[0:1], v[2:3], off
	s_mov_b32 s19, 0
	s_branch .LBB70_1300
.LBB70_1297:
                                        ; implicit-def: $vgpr0_vgpr1
	s_branch .LBB70_1306
.LBB70_1298:
	s_mov_b32 s19, -1
                                        ; implicit-def: $vgpr0_vgpr1
	s_branch .LBB70_1303
.LBB70_1299:
	s_mov_b32 s19, -1
                                        ; implicit-def: $vgpr0_vgpr1
.LBB70_1300:
	s_delay_alu instid0(SALU_CYCLE_1)
	s_and_not1_b32 vcc_lo, exec_lo, s19
	s_cbranch_vccnz .LBB70_1302
; %bb.1301:
	s_wait_loadcnt 0x0
	global_load_b32 v0, v[2:3], off
	s_wait_loadcnt 0x0
	v_ashrrev_i32_e32 v1, 31, v0
.LBB70_1302:
	s_mov_b32 s19, 0
.LBB70_1303:
	s_delay_alu instid0(SALU_CYCLE_1)
	s_and_not1_b32 vcc_lo, exec_lo, s19
	s_cbranch_vccnz .LBB70_1305
; %bb.1304:
	s_wait_loadcnt 0x0
	global_load_u16 v0, v[2:3], off
	s_wait_loadcnt 0x0
	v_bfe_i32 v0, v0, 0, 16
	s_delay_alu instid0(VALU_DEP_1)
	v_ashrrev_i32_e32 v1, 31, v0
.LBB70_1305:
	s_cbranch_execnz .LBB70_1311
.LBB70_1306:
	s_sext_i32_i16 s0, s0
	s_delay_alu instid0(SALU_CYCLE_1)
	s_cmp_gt_i32 s0, 0
	s_mov_b32 s0, 0
	s_cbranch_scc0 .LBB70_1308
; %bb.1307:
	s_wait_loadcnt 0x0
	global_load_i8 v0, v[2:3], off
	s_wait_loadcnt 0x0
	v_bfe_i32 v0, v0, 0, 16
	s_delay_alu instid0(VALU_DEP_1)
	v_ashrrev_i32_e32 v1, 31, v0
	s_branch .LBB70_1309
.LBB70_1308:
	s_mov_b32 s0, -1
                                        ; implicit-def: $vgpr0_vgpr1
.LBB70_1309:
	s_delay_alu instid0(SALU_CYCLE_1)
	s_and_not1_b32 vcc_lo, exec_lo, s0
	s_cbranch_vccnz .LBB70_1311
; %bb.1310:
	s_wait_loadcnt 0x0
	global_load_u8 v0, v[2:3], off
	s_mov_b32 s0, 0
	s_delay_alu instid0(SALU_CYCLE_1)
	v_mov_b32_e32 v1, s0
	s_wait_loadcnt 0x0
	v_and_b32_e32 v0, 0xffff, v0
.LBB70_1311:
	s_or_b32 s21, s21, exec_lo
.LBB70_1312:
	s_wait_xcnt 0x0
	s_or_b32 exec_lo, exec_lo, s18
	s_mov_b32 s20, 0
	s_mov_b32 s22, 0
	;; [unrolled: 1-line block ×3, first 2 shown]
                                        ; implicit-def: $sgpr0
                                        ; implicit-def: $vgpr4_vgpr5
                                        ; implicit-def: $vgpr2_vgpr3
	s_and_saveexec_b32 s18, s21
	s_cbranch_execz .LBB70_1320
; %bb.1313:
	s_wait_loadcnt 0x0
	v_mul_lo_u32 v2, v20, s10
	s_and_b32 s0, s1, 0xff
	s_delay_alu instid0(SALU_CYCLE_1) | instskip(NEXT) | instid1(VALU_DEP_1)
	s_cmp_lt_i32 s0, 11
	v_ashrrev_i32_e32 v3, 31, v2
	s_delay_alu instid0(VALU_DEP_1)
	v_add_nc_u64_e32 v[4:5], s[2:3], v[2:3]
	s_cbranch_scc1 .LBB70_1323
; %bb.1314:
	s_and_b32 s19, 0xffff, s0
	s_mov_b32 s21, 0
	s_cmp_gt_i32 s19, 25
	s_cbranch_scc0 .LBB70_1324
; %bb.1315:
	s_cmp_gt_i32 s19, 28
	s_cbranch_scc0 .LBB70_1325
; %bb.1316:
	;; [unrolled: 3-line block ×4, first 2 shown]
	s_cmp_eq_u32 s19, 46
	s_mov_b32 s23, 0
	s_cbranch_scc0 .LBB70_1328
; %bb.1319:
	global_load_b32 v2, v[4:5], off
	s_mov_b32 s22, -1
	s_wait_loadcnt 0x0
	v_lshlrev_b32_e32 v2, 16, v2
	s_delay_alu instid0(VALU_DEP_1) | instskip(NEXT) | instid1(VALU_DEP_1)
	v_trunc_f32_e32 v2, v2
	v_mul_f32_e64 v3, 0x2f800000, |v2|
	s_delay_alu instid0(VALU_DEP_1) | instskip(NEXT) | instid1(VALU_DEP_1)
	v_floor_f32_e32 v3, v3
	v_fma_f32 v6, 0xcf800000, v3, |v2|
	v_ashrrev_i32_e32 v2, 31, v2
	v_cvt_u32_f32_e32 v7, v3
	s_delay_alu instid0(VALU_DEP_3) | instskip(NEXT) | instid1(VALU_DEP_2)
	v_cvt_u32_f32_e32 v6, v6
	v_dual_mov_b32 v3, v2 :: v_dual_bitop2_b32 v7, v7, v2 bitop3:0x14
	s_delay_alu instid0(VALU_DEP_2) | instskip(NEXT) | instid1(VALU_DEP_1)
	v_xor_b32_e32 v6, v6, v2
	v_sub_nc_u64_e32 v[2:3], v[6:7], v[2:3]
	s_branch .LBB70_1330
.LBB70_1320:
	s_or_b32 exec_lo, exec_lo, s18
	s_and_saveexec_b32 s18, s17
	s_cbranch_execnz .LBB70_1389
.LBB70_1321:
	s_or_b32 exec_lo, exec_lo, s18
	s_and_saveexec_b32 s17, s20
	s_delay_alu instid0(SALU_CYCLE_1)
	s_xor_b32 s17, exec_lo, s17
	s_cbranch_execz .LBB70_1390
.LBB70_1322:
	s_wait_loadcnt 0x0
	global_load_u8 v2, v[4:5], off
	s_mov_b32 s18, 0
	s_or_b32 s19, s19, exec_lo
	v_mov_b32_e32 v3, s18
	s_wait_loadcnt 0x0
	v_cmp_ne_u16_e32 vcc_lo, 0, v2
	v_cndmask_b32_e64 v2, 0, 1, vcc_lo
	s_wait_xcnt 0x0
	s_or_b32 exec_lo, exec_lo, s17
	s_and_saveexec_b32 s17, s22
	s_cbranch_execz .LBB70_1436
	s_branch .LBB70_1391
.LBB70_1323:
	s_mov_b32 s23, -1
	s_mov_b32 s21, 0
	s_mov_b32 s20, s17
                                        ; implicit-def: $vgpr2_vgpr3
	s_branch .LBB70_1388
.LBB70_1324:
	s_mov_b32 s20, s17
                                        ; implicit-def: $vgpr2_vgpr3
	s_cbranch_execnz .LBB70_1357
	s_branch .LBB70_1387
.LBB70_1325:
	s_mov_b32 s23, -1
	s_mov_b32 s20, s17
                                        ; implicit-def: $vgpr2_vgpr3
	s_branch .LBB70_1340
.LBB70_1326:
	s_mov_b32 s23, -1
	s_mov_b32 s20, s17
                                        ; implicit-def: $vgpr2_vgpr3
	s_branch .LBB70_1335
.LBB70_1327:
	s_mov_b32 s23, -1
	s_mov_b32 s20, s17
	s_branch .LBB70_1329
.LBB70_1328:
	s_mov_b32 s20, -1
.LBB70_1329:
                                        ; implicit-def: $vgpr2_vgpr3
.LBB70_1330:
	s_and_b32 vcc_lo, exec_lo, s23
	s_cbranch_vccz .LBB70_1334
; %bb.1331:
	s_cmp_eq_u32 s19, 44
	s_cbranch_scc0 .LBB70_1333
; %bb.1332:
	global_load_u8 v8, v[4:5], off
	s_mov_b32 s20, 0
	s_mov_b32 s22, -1
	s_wait_loadcnt 0x0
	v_cmp_ne_u32_e32 vcc_lo, 0, v8
	v_lshlrev_b32_e32 v2, 23, v8
	s_delay_alu instid0(VALU_DEP_1) | instskip(NEXT) | instid1(VALU_DEP_1)
	v_trunc_f32_e32 v2, v2
	v_mul_f32_e64 v3, 0x2f800000, |v2|
	s_delay_alu instid0(VALU_DEP_1) | instskip(NEXT) | instid1(VALU_DEP_1)
	v_floor_f32_e32 v3, v3
	v_fma_f32 v6, 0xcf800000, v3, |v2|
	v_ashrrev_i32_e32 v2, 31, v2
	v_cvt_u32_f32_e32 v7, v3
	s_delay_alu instid0(VALU_DEP_3) | instskip(NEXT) | instid1(VALU_DEP_2)
	v_cvt_u32_f32_e32 v6, v6
	v_dual_mov_b32 v3, v2 :: v_dual_bitop2_b32 v7, v7, v2 bitop3:0x14
	s_delay_alu instid0(VALU_DEP_2) | instskip(NEXT) | instid1(VALU_DEP_1)
	v_xor_b32_e32 v6, v6, v2
	v_sub_nc_u64_e32 v[2:3], v[6:7], v[2:3]
	s_delay_alu instid0(VALU_DEP_1)
	v_dual_cndmask_b32 v3, 0, v3 :: v_dual_cndmask_b32 v2, 0, v2
	s_branch .LBB70_1334
.LBB70_1333:
	s_mov_b32 s20, -1
                                        ; implicit-def: $vgpr2_vgpr3
.LBB70_1334:
	s_mov_b32 s23, 0
.LBB70_1335:
	s_delay_alu instid0(SALU_CYCLE_1)
	s_and_b32 vcc_lo, exec_lo, s23
	s_cbranch_vccz .LBB70_1339
; %bb.1336:
	s_cmp_eq_u32 s19, 29
	s_cbranch_scc0 .LBB70_1338
; %bb.1337:
	global_load_b64 v[2:3], v[4:5], off
	s_mov_b32 s20, 0
	s_mov_b32 s22, -1
	s_branch .LBB70_1339
.LBB70_1338:
	s_mov_b32 s20, -1
                                        ; implicit-def: $vgpr2_vgpr3
.LBB70_1339:
	s_mov_b32 s23, 0
.LBB70_1340:
	s_delay_alu instid0(SALU_CYCLE_1)
	s_and_b32 vcc_lo, exec_lo, s23
	s_cbranch_vccz .LBB70_1356
; %bb.1341:
	s_cmp_lt_i32 s19, 27
	s_cbranch_scc1 .LBB70_1344
; %bb.1342:
	s_cmp_gt_i32 s19, 27
	s_cbranch_scc0 .LBB70_1345
; %bb.1343:
	s_wait_loadcnt 0x0
	global_load_b32 v2, v[4:5], off
	v_mov_b32_e32 v3, 0
	s_mov_b32 s22, 0
	s_branch .LBB70_1346
.LBB70_1344:
	s_mov_b32 s22, -1
                                        ; implicit-def: $vgpr2_vgpr3
	s_branch .LBB70_1349
.LBB70_1345:
	s_mov_b32 s22, -1
                                        ; implicit-def: $vgpr2_vgpr3
.LBB70_1346:
	s_delay_alu instid0(SALU_CYCLE_1)
	s_and_not1_b32 vcc_lo, exec_lo, s22
	s_cbranch_vccnz .LBB70_1348
; %bb.1347:
	s_wait_loadcnt 0x0
	global_load_u16 v2, v[4:5], off
	s_mov_b32 s22, 0
	s_delay_alu instid0(SALU_CYCLE_1)
	v_mov_b32_e32 v3, s22
	s_wait_loadcnt 0x0
	v_and_b32_e32 v2, 0xffff, v2
.LBB70_1348:
	s_mov_b32 s22, 0
.LBB70_1349:
	s_delay_alu instid0(SALU_CYCLE_1)
	s_and_not1_b32 vcc_lo, exec_lo, s22
	s_cbranch_vccnz .LBB70_1355
; %bb.1350:
	global_load_u8 v6, v[4:5], off
	s_mov_b32 s23, 0
	s_mov_b32 s22, exec_lo
	s_wait_loadcnt 0x0
	v_cmpx_lt_i16_e32 0x7f, v6
	s_xor_b32 s22, exec_lo, s22
	s_cbranch_execz .LBB70_1366
; %bb.1351:
	v_cmp_ne_u16_e32 vcc_lo, 0x80, v6
	s_and_b32 s23, vcc_lo, exec_lo
	s_and_not1_saveexec_b32 s22, s22
	s_cbranch_execnz .LBB70_1367
.LBB70_1352:
	s_or_b32 exec_lo, exec_lo, s22
	v_mov_b64_e32 v[2:3], 0
	s_and_saveexec_b32 s22, s23
	s_cbranch_execz .LBB70_1354
.LBB70_1353:
	v_and_b32_e32 v2, 0xffff, v6
	s_delay_alu instid0(VALU_DEP_1) | instskip(SKIP_1) | instid1(VALU_DEP_2)
	v_and_b32_e32 v3, 7, v2
	v_bfe_u32 v9, v2, 3, 4
	v_clz_i32_u32_e32 v7, v3
	s_delay_alu instid0(VALU_DEP_2) | instskip(NEXT) | instid1(VALU_DEP_2)
	v_cmp_eq_u32_e32 vcc_lo, 0, v9
	v_min_u32_e32 v7, 32, v7
	s_delay_alu instid0(VALU_DEP_1) | instskip(NEXT) | instid1(VALU_DEP_1)
	v_subrev_nc_u32_e32 v8, 28, v7
	v_dual_lshlrev_b32 v2, v8, v2 :: v_dual_sub_nc_u32 v7, 29, v7
	s_delay_alu instid0(VALU_DEP_1) | instskip(NEXT) | instid1(VALU_DEP_2)
	v_and_b32_e32 v2, 7, v2
	v_dual_cndmask_b32 v7, v9, v7 :: v_dual_lshlrev_b32 v6, 24, v6
	s_delay_alu instid0(VALU_DEP_2) | instskip(NEXT) | instid1(VALU_DEP_2)
	v_cndmask_b32_e32 v2, v3, v2, vcc_lo
	v_and_b32_e32 v3, 0x80000000, v6
	s_delay_alu instid0(VALU_DEP_3) | instskip(NEXT) | instid1(VALU_DEP_3)
	v_lshl_add_u32 v6, v7, 23, 0x3b800000
	v_lshlrev_b32_e32 v2, 20, v2
	s_delay_alu instid0(VALU_DEP_1) | instskip(NEXT) | instid1(VALU_DEP_1)
	v_or3_b32 v2, v3, v6, v2
	v_trunc_f32_e32 v2, v2
	s_delay_alu instid0(VALU_DEP_1) | instskip(NEXT) | instid1(VALU_DEP_1)
	v_mul_f32_e64 v3, 0x2f800000, |v2|
	v_floor_f32_e32 v3, v3
	s_delay_alu instid0(VALU_DEP_1) | instskip(SKIP_2) | instid1(VALU_DEP_3)
	v_fma_f32 v6, 0xcf800000, v3, |v2|
	v_ashrrev_i32_e32 v2, 31, v2
	v_cvt_u32_f32_e32 v7, v3
	v_cvt_u32_f32_e32 v6, v6
	s_delay_alu instid0(VALU_DEP_2) | instskip(NEXT) | instid1(VALU_DEP_2)
	v_dual_mov_b32 v3, v2 :: v_dual_bitop2_b32 v7, v7, v2 bitop3:0x14
	v_xor_b32_e32 v6, v6, v2
	s_delay_alu instid0(VALU_DEP_1)
	v_sub_nc_u64_e32 v[2:3], v[6:7], v[2:3]
.LBB70_1354:
	s_or_b32 exec_lo, exec_lo, s22
.LBB70_1355:
	s_mov_b32 s22, -1
.LBB70_1356:
	s_branch .LBB70_1387
.LBB70_1357:
	s_cmp_gt_i32 s19, 22
	s_cbranch_scc0 .LBB70_1365
; %bb.1358:
	s_cmp_lt_i32 s19, 24
	s_cbranch_scc1 .LBB70_1368
; %bb.1359:
	s_cmp_gt_i32 s19, 24
	s_cbranch_scc0 .LBB70_1369
; %bb.1360:
	global_load_u8 v6, v[4:5], off
	s_mov_b32 s22, 0
	s_mov_b32 s21, exec_lo
	s_wait_loadcnt 0x0
	v_cmpx_lt_i16_e32 0x7f, v6
	s_xor_b32 s21, exec_lo, s21
	s_cbranch_execz .LBB70_1381
; %bb.1361:
	v_cmp_ne_u16_e32 vcc_lo, 0x80, v6
	s_and_b32 s22, vcc_lo, exec_lo
	s_and_not1_saveexec_b32 s21, s21
	s_cbranch_execnz .LBB70_1382
.LBB70_1362:
	s_or_b32 exec_lo, exec_lo, s21
	v_mov_b64_e32 v[2:3], 0
	s_and_saveexec_b32 s21, s22
	s_cbranch_execz .LBB70_1364
.LBB70_1363:
	v_and_b32_e32 v2, 0xffff, v6
	s_delay_alu instid0(VALU_DEP_1) | instskip(SKIP_1) | instid1(VALU_DEP_2)
	v_and_b32_e32 v3, 3, v2
	v_bfe_u32 v9, v2, 2, 5
	v_clz_i32_u32_e32 v7, v3
	s_delay_alu instid0(VALU_DEP_2) | instskip(NEXT) | instid1(VALU_DEP_2)
	v_cmp_eq_u32_e32 vcc_lo, 0, v9
	v_min_u32_e32 v7, 32, v7
	s_delay_alu instid0(VALU_DEP_1) | instskip(NEXT) | instid1(VALU_DEP_1)
	v_subrev_nc_u32_e32 v8, 29, v7
	v_dual_lshlrev_b32 v2, v8, v2 :: v_dual_sub_nc_u32 v7, 30, v7
	s_delay_alu instid0(VALU_DEP_1) | instskip(NEXT) | instid1(VALU_DEP_2)
	v_and_b32_e32 v2, 3, v2
	v_dual_cndmask_b32 v7, v9, v7 :: v_dual_lshlrev_b32 v6, 24, v6
	s_delay_alu instid0(VALU_DEP_2) | instskip(NEXT) | instid1(VALU_DEP_2)
	v_cndmask_b32_e32 v2, v3, v2, vcc_lo
	v_and_b32_e32 v3, 0x80000000, v6
	s_delay_alu instid0(VALU_DEP_3) | instskip(NEXT) | instid1(VALU_DEP_3)
	v_lshl_add_u32 v6, v7, 23, 0x37800000
	v_lshlrev_b32_e32 v2, 21, v2
	s_delay_alu instid0(VALU_DEP_1) | instskip(NEXT) | instid1(VALU_DEP_1)
	v_or3_b32 v2, v3, v6, v2
	v_trunc_f32_e32 v2, v2
	s_delay_alu instid0(VALU_DEP_1) | instskip(NEXT) | instid1(VALU_DEP_1)
	v_mul_f32_e64 v3, 0x2f800000, |v2|
	v_floor_f32_e32 v3, v3
	s_delay_alu instid0(VALU_DEP_1) | instskip(SKIP_2) | instid1(VALU_DEP_3)
	v_fma_f32 v6, 0xcf800000, v3, |v2|
	v_ashrrev_i32_e32 v2, 31, v2
	v_cvt_u32_f32_e32 v7, v3
	v_cvt_u32_f32_e32 v6, v6
	s_delay_alu instid0(VALU_DEP_2) | instskip(NEXT) | instid1(VALU_DEP_2)
	v_dual_mov_b32 v3, v2 :: v_dual_bitop2_b32 v7, v7, v2 bitop3:0x14
	v_xor_b32_e32 v6, v6, v2
	s_delay_alu instid0(VALU_DEP_1)
	v_sub_nc_u64_e32 v[2:3], v[6:7], v[2:3]
.LBB70_1364:
	s_or_b32 exec_lo, exec_lo, s21
	s_mov_b32 s21, 0
	s_branch .LBB70_1370
.LBB70_1365:
	s_mov_b32 s21, -1
                                        ; implicit-def: $vgpr2_vgpr3
	s_branch .LBB70_1376
.LBB70_1366:
	s_and_not1_saveexec_b32 s22, s22
	s_cbranch_execz .LBB70_1352
.LBB70_1367:
	v_cmp_ne_u16_e32 vcc_lo, 0, v6
	s_and_not1_b32 s23, s23, exec_lo
	s_and_b32 s24, vcc_lo, exec_lo
	s_delay_alu instid0(SALU_CYCLE_1)
	s_or_b32 s23, s23, s24
	s_or_b32 exec_lo, exec_lo, s22
	v_mov_b64_e32 v[2:3], 0
	s_and_saveexec_b32 s22, s23
	s_cbranch_execnz .LBB70_1353
	s_branch .LBB70_1354
.LBB70_1368:
	s_mov_b32 s21, -1
                                        ; implicit-def: $vgpr2_vgpr3
	s_branch .LBB70_1373
.LBB70_1369:
	s_mov_b32 s21, -1
                                        ; implicit-def: $vgpr2_vgpr3
.LBB70_1370:
	s_delay_alu instid0(SALU_CYCLE_1)
	s_and_b32 vcc_lo, exec_lo, s21
	s_cbranch_vccz .LBB70_1372
; %bb.1371:
	s_wait_loadcnt 0x0
	global_load_u8 v2, v[4:5], off
	s_wait_loadcnt 0x0
	v_lshlrev_b32_e32 v2, 24, v2
	s_delay_alu instid0(VALU_DEP_1) | instskip(NEXT) | instid1(VALU_DEP_1)
	v_and_b32_e32 v3, 0x7f000000, v2
	v_clz_i32_u32_e32 v6, v3
	v_cmp_ne_u32_e32 vcc_lo, 0, v3
	v_add_nc_u32_e32 v8, 0x1000000, v3
	s_delay_alu instid0(VALU_DEP_3) | instskip(NEXT) | instid1(VALU_DEP_1)
	v_min_u32_e32 v6, 32, v6
	v_sub_nc_u32_e64 v6, v6, 4 clamp
	s_delay_alu instid0(VALU_DEP_1) | instskip(NEXT) | instid1(VALU_DEP_1)
	v_dual_lshlrev_b32 v7, v6, v3 :: v_dual_lshlrev_b32 v6, 23, v6
	v_lshrrev_b32_e32 v7, 4, v7
	s_delay_alu instid0(VALU_DEP_1) | instskip(NEXT) | instid1(VALU_DEP_1)
	v_dual_sub_nc_u32 v6, v7, v6 :: v_dual_ashrrev_i32 v7, 8, v8
	v_add_nc_u32_e32 v6, 0x3c000000, v6
	s_delay_alu instid0(VALU_DEP_1) | instskip(NEXT) | instid1(VALU_DEP_1)
	v_and_or_b32 v6, 0x7f800000, v7, v6
	v_cndmask_b32_e32 v3, 0, v6, vcc_lo
	s_delay_alu instid0(VALU_DEP_1) | instskip(NEXT) | instid1(VALU_DEP_1)
	v_and_or_b32 v2, 0x80000000, v2, v3
	v_trunc_f32_e32 v2, v2
	s_delay_alu instid0(VALU_DEP_1) | instskip(NEXT) | instid1(VALU_DEP_1)
	v_mul_f32_e64 v3, 0x2f800000, |v2|
	v_floor_f32_e32 v3, v3
	s_delay_alu instid0(VALU_DEP_1) | instskip(SKIP_2) | instid1(VALU_DEP_3)
	v_fma_f32 v6, 0xcf800000, v3, |v2|
	v_ashrrev_i32_e32 v2, 31, v2
	v_cvt_u32_f32_e32 v7, v3
	v_cvt_u32_f32_e32 v6, v6
	s_delay_alu instid0(VALU_DEP_2) | instskip(NEXT) | instid1(VALU_DEP_2)
	v_dual_mov_b32 v3, v2 :: v_dual_bitop2_b32 v7, v7, v2 bitop3:0x14
	v_xor_b32_e32 v6, v6, v2
	s_delay_alu instid0(VALU_DEP_1)
	v_sub_nc_u64_e32 v[2:3], v[6:7], v[2:3]
.LBB70_1372:
	s_mov_b32 s21, 0
.LBB70_1373:
	s_delay_alu instid0(SALU_CYCLE_1)
	s_and_not1_b32 vcc_lo, exec_lo, s21
	s_cbranch_vccnz .LBB70_1375
; %bb.1374:
	s_wait_loadcnt 0x0
	global_load_u8 v2, v[4:5], off
	s_wait_loadcnt 0x0
	v_lshlrev_b32_e32 v3, 25, v2
	v_lshlrev_b16 v2, 8, v2
	s_delay_alu instid0(VALU_DEP_1) | instskip(SKIP_1) | instid1(VALU_DEP_2)
	v_and_or_b32 v7, 0x7f00, v2, 0.5
	v_bfe_i32 v2, v2, 0, 16
	v_add_f32_e32 v7, -0.5, v7
	v_lshrrev_b32_e32 v6, 4, v3
	v_cmp_gt_u32_e32 vcc_lo, 0x8000000, v3
	s_delay_alu instid0(VALU_DEP_2) | instskip(NEXT) | instid1(VALU_DEP_1)
	v_or_b32_e32 v6, 0x70000000, v6
	v_mul_f32_e32 v6, 0x7800000, v6
	s_delay_alu instid0(VALU_DEP_1) | instskip(NEXT) | instid1(VALU_DEP_1)
	v_cndmask_b32_e32 v3, v6, v7, vcc_lo
	v_and_or_b32 v2, 0x80000000, v2, v3
	s_delay_alu instid0(VALU_DEP_1) | instskip(NEXT) | instid1(VALU_DEP_1)
	v_trunc_f32_e32 v2, v2
	v_mul_f32_e64 v3, 0x2f800000, |v2|
	s_delay_alu instid0(VALU_DEP_1) | instskip(NEXT) | instid1(VALU_DEP_1)
	v_floor_f32_e32 v3, v3
	v_fma_f32 v6, 0xcf800000, v3, |v2|
	v_ashrrev_i32_e32 v2, 31, v2
	v_cvt_u32_f32_e32 v7, v3
	s_delay_alu instid0(VALU_DEP_3) | instskip(NEXT) | instid1(VALU_DEP_2)
	v_cvt_u32_f32_e32 v6, v6
	v_dual_mov_b32 v3, v2 :: v_dual_bitop2_b32 v7, v7, v2 bitop3:0x14
	s_delay_alu instid0(VALU_DEP_2) | instskip(NEXT) | instid1(VALU_DEP_1)
	v_xor_b32_e32 v6, v6, v2
	v_sub_nc_u64_e32 v[2:3], v[6:7], v[2:3]
.LBB70_1375:
	s_mov_b32 s21, 0
	s_mov_b32 s22, -1
.LBB70_1376:
	s_and_not1_b32 vcc_lo, exec_lo, s21
	s_mov_b32 s21, 0
	s_cbranch_vccnz .LBB70_1387
; %bb.1377:
	s_cmp_gt_i32 s19, 14
	s_cbranch_scc0 .LBB70_1380
; %bb.1378:
	s_cmp_eq_u32 s19, 15
	s_cbranch_scc0 .LBB70_1383
; %bb.1379:
	s_wait_loadcnt 0x0
	global_load_u16 v2, v[4:5], off
	s_mov_b32 s20, 0
	s_mov_b32 s22, -1
	s_wait_loadcnt 0x0
	v_lshlrev_b32_e32 v2, 16, v2
	s_delay_alu instid0(VALU_DEP_1) | instskip(NEXT) | instid1(VALU_DEP_1)
	v_trunc_f32_e32 v2, v2
	v_mul_f32_e64 v3, 0x2f800000, |v2|
	s_delay_alu instid0(VALU_DEP_1) | instskip(NEXT) | instid1(VALU_DEP_1)
	v_floor_f32_e32 v3, v3
	v_fma_f32 v6, 0xcf800000, v3, |v2|
	v_ashrrev_i32_e32 v2, 31, v2
	v_cvt_u32_f32_e32 v7, v3
	s_delay_alu instid0(VALU_DEP_3) | instskip(NEXT) | instid1(VALU_DEP_2)
	v_cvt_u32_f32_e32 v6, v6
	v_dual_mov_b32 v3, v2 :: v_dual_bitop2_b32 v7, v7, v2 bitop3:0x14
	s_delay_alu instid0(VALU_DEP_2) | instskip(NEXT) | instid1(VALU_DEP_1)
	v_xor_b32_e32 v6, v6, v2
	v_sub_nc_u64_e32 v[2:3], v[6:7], v[2:3]
	s_branch .LBB70_1385
.LBB70_1380:
	s_mov_b32 s21, -1
	s_branch .LBB70_1384
.LBB70_1381:
	s_and_not1_saveexec_b32 s21, s21
	s_cbranch_execz .LBB70_1362
.LBB70_1382:
	v_cmp_ne_u16_e32 vcc_lo, 0, v6
	s_and_not1_b32 s22, s22, exec_lo
	s_and_b32 s23, vcc_lo, exec_lo
	s_delay_alu instid0(SALU_CYCLE_1)
	s_or_b32 s22, s22, s23
	s_or_b32 exec_lo, exec_lo, s21
	v_mov_b64_e32 v[2:3], 0
	s_and_saveexec_b32 s21, s22
	s_cbranch_execnz .LBB70_1363
	s_branch .LBB70_1364
.LBB70_1383:
	s_mov_b32 s20, -1
.LBB70_1384:
                                        ; implicit-def: $vgpr2_vgpr3
.LBB70_1385:
	s_and_b32 vcc_lo, exec_lo, s21
	s_mov_b32 s21, 0
	s_cbranch_vccz .LBB70_1387
; %bb.1386:
	s_cmp_lg_u32 s19, 11
	s_mov_b32 s21, -1
	s_cselect_b32 s19, -1, 0
	s_and_not1_b32 s20, s20, exec_lo
	s_and_b32 s19, s19, exec_lo
	s_delay_alu instid0(SALU_CYCLE_1)
	s_or_b32 s20, s20, s19
.LBB70_1387:
	s_mov_b32 s23, 0
.LBB70_1388:
	s_and_b32 s19, s22, exec_lo
	s_and_b32 s22, s23, exec_lo
	s_and_not1_b32 s17, s17, exec_lo
	s_and_b32 s23, s20, exec_lo
	s_and_b32 s20, s21, exec_lo
	s_or_b32 s17, s17, s23
	s_wait_xcnt 0x0
	s_or_b32 exec_lo, exec_lo, s18
	s_and_saveexec_b32 s18, s17
	s_cbranch_execz .LBB70_1321
.LBB70_1389:
	s_or_b32 s16, s16, exec_lo
	s_and_not1_b32 s20, s20, exec_lo
	s_trap 2
	s_or_b32 exec_lo, exec_lo, s18
	s_and_saveexec_b32 s17, s20
	s_delay_alu instid0(SALU_CYCLE_1)
	s_xor_b32 s17, exec_lo, s17
	s_cbranch_execnz .LBB70_1322
.LBB70_1390:
	s_or_b32 exec_lo, exec_lo, s17
	s_and_saveexec_b32 s17, s22
	s_cbranch_execz .LBB70_1436
.LBB70_1391:
	s_sext_i32_i16 s18, s0
	s_delay_alu instid0(SALU_CYCLE_1)
	s_cmp_lt_i32 s18, 5
	s_cbranch_scc1 .LBB70_1396
; %bb.1392:
	s_cmp_lt_i32 s18, 8
	s_cbranch_scc1 .LBB70_1397
; %bb.1393:
	;; [unrolled: 3-line block ×3, first 2 shown]
	s_cmp_gt_i32 s18, 9
	s_cbranch_scc0 .LBB70_1399
; %bb.1395:
	s_wait_loadcnt 0x0
	global_load_b64 v[2:3], v[4:5], off
	s_mov_b32 s18, 0
	s_wait_loadcnt 0x0
	v_trunc_f64_e32 v[2:3], v[2:3]
	s_delay_alu instid0(VALU_DEP_1) | instskip(NEXT) | instid1(VALU_DEP_1)
	v_ldexp_f64 v[6:7], v[2:3], 0xffffffe0
	v_floor_f64_e32 v[6:7], v[6:7]
	s_delay_alu instid0(VALU_DEP_1) | instskip(SKIP_1) | instid1(VALU_DEP_2)
	v_fmamk_f64 v[8:9], v[6:7], 0xc1f00000, v[2:3]
	v_cvt_i32_f64_e32 v3, v[6:7]
	v_cvt_u32_f64_e32 v2, v[8:9]
	s_branch .LBB70_1400
.LBB70_1396:
                                        ; implicit-def: $vgpr2_vgpr3
	s_branch .LBB70_1417
.LBB70_1397:
                                        ; implicit-def: $vgpr2_vgpr3
	s_branch .LBB70_1406
.LBB70_1398:
	s_mov_b32 s18, -1
                                        ; implicit-def: $vgpr2_vgpr3
	s_branch .LBB70_1403
.LBB70_1399:
	s_mov_b32 s18, -1
                                        ; implicit-def: $vgpr2_vgpr3
.LBB70_1400:
	s_delay_alu instid0(SALU_CYCLE_1)
	s_and_not1_b32 vcc_lo, exec_lo, s18
	s_cbranch_vccnz .LBB70_1402
; %bb.1401:
	s_wait_loadcnt 0x0
	global_load_b32 v2, v[4:5], off
	s_wait_loadcnt 0x0
	v_trunc_f32_e32 v2, v2
	s_delay_alu instid0(VALU_DEP_1) | instskip(NEXT) | instid1(VALU_DEP_1)
	v_mul_f32_e64 v3, 0x2f800000, |v2|
	v_floor_f32_e32 v3, v3
	s_delay_alu instid0(VALU_DEP_1) | instskip(SKIP_2) | instid1(VALU_DEP_3)
	v_fma_f32 v6, 0xcf800000, v3, |v2|
	v_ashrrev_i32_e32 v2, 31, v2
	v_cvt_u32_f32_e32 v7, v3
	v_cvt_u32_f32_e32 v6, v6
	s_delay_alu instid0(VALU_DEP_2) | instskip(NEXT) | instid1(VALU_DEP_2)
	v_dual_mov_b32 v3, v2 :: v_dual_bitop2_b32 v7, v7, v2 bitop3:0x14
	v_xor_b32_e32 v6, v6, v2
	s_delay_alu instid0(VALU_DEP_1)
	v_sub_nc_u64_e32 v[2:3], v[6:7], v[2:3]
.LBB70_1402:
	s_mov_b32 s18, 0
.LBB70_1403:
	s_delay_alu instid0(SALU_CYCLE_1)
	s_and_not1_b32 vcc_lo, exec_lo, s18
	s_cbranch_vccnz .LBB70_1405
; %bb.1404:
	s_wait_loadcnt 0x0
	global_load_b32 v2, v[4:5], off
	s_wait_loadcnt 0x0
	v_cvt_f32_f16_e32 v2, v2
	s_delay_alu instid0(VALU_DEP_1) | instskip(NEXT) | instid1(VALU_DEP_1)
	v_cvt_i32_f32_e32 v2, v2
	v_ashrrev_i32_e32 v3, 31, v2
.LBB70_1405:
	s_cbranch_execnz .LBB70_1416
.LBB70_1406:
	s_sext_i32_i16 s18, s0
	s_delay_alu instid0(SALU_CYCLE_1)
	s_cmp_lt_i32 s18, 6
	s_cbranch_scc1 .LBB70_1409
; %bb.1407:
	s_cmp_gt_i32 s18, 6
	s_cbranch_scc0 .LBB70_1410
; %bb.1408:
	s_wait_loadcnt 0x0
	global_load_b64 v[2:3], v[4:5], off
	s_mov_b32 s18, 0
	s_wait_loadcnt 0x0
	v_trunc_f64_e32 v[2:3], v[2:3]
	s_delay_alu instid0(VALU_DEP_1) | instskip(NEXT) | instid1(VALU_DEP_1)
	v_ldexp_f64 v[6:7], v[2:3], 0xffffffe0
	v_floor_f64_e32 v[6:7], v[6:7]
	s_delay_alu instid0(VALU_DEP_1) | instskip(SKIP_1) | instid1(VALU_DEP_2)
	v_fmamk_f64 v[8:9], v[6:7], 0xc1f00000, v[2:3]
	v_cvt_i32_f64_e32 v3, v[6:7]
	v_cvt_u32_f64_e32 v2, v[8:9]
	s_branch .LBB70_1411
.LBB70_1409:
	s_mov_b32 s18, -1
                                        ; implicit-def: $vgpr2_vgpr3
	s_branch .LBB70_1414
.LBB70_1410:
	s_mov_b32 s18, -1
                                        ; implicit-def: $vgpr2_vgpr3
.LBB70_1411:
	s_delay_alu instid0(SALU_CYCLE_1)
	s_and_not1_b32 vcc_lo, exec_lo, s18
	s_cbranch_vccnz .LBB70_1413
; %bb.1412:
	s_wait_loadcnt 0x0
	global_load_b32 v2, v[4:5], off
	s_wait_loadcnt 0x0
	v_trunc_f32_e32 v2, v2
	s_delay_alu instid0(VALU_DEP_1) | instskip(NEXT) | instid1(VALU_DEP_1)
	v_mul_f32_e64 v3, 0x2f800000, |v2|
	v_floor_f32_e32 v3, v3
	s_delay_alu instid0(VALU_DEP_1) | instskip(SKIP_2) | instid1(VALU_DEP_3)
	v_fma_f32 v6, 0xcf800000, v3, |v2|
	v_ashrrev_i32_e32 v2, 31, v2
	v_cvt_u32_f32_e32 v7, v3
	v_cvt_u32_f32_e32 v6, v6
	s_delay_alu instid0(VALU_DEP_2) | instskip(NEXT) | instid1(VALU_DEP_2)
	v_dual_mov_b32 v3, v2 :: v_dual_bitop2_b32 v7, v7, v2 bitop3:0x14
	v_xor_b32_e32 v6, v6, v2
	s_delay_alu instid0(VALU_DEP_1)
	v_sub_nc_u64_e32 v[2:3], v[6:7], v[2:3]
.LBB70_1413:
	s_mov_b32 s18, 0
.LBB70_1414:
	s_delay_alu instid0(SALU_CYCLE_1)
	s_and_not1_b32 vcc_lo, exec_lo, s18
	s_cbranch_vccnz .LBB70_1416
; %bb.1415:
	s_wait_loadcnt 0x0
	global_load_u16 v2, v[4:5], off
	s_wait_loadcnt 0x0
	v_cvt_f32_f16_e32 v2, v2
	s_delay_alu instid0(VALU_DEP_1) | instskip(NEXT) | instid1(VALU_DEP_1)
	v_cvt_i32_f32_e32 v2, v2
	v_ashrrev_i32_e32 v3, 31, v2
.LBB70_1416:
	s_cbranch_execnz .LBB70_1435
.LBB70_1417:
	s_sext_i32_i16 s18, s0
	s_delay_alu instid0(SALU_CYCLE_1)
	s_cmp_lt_i32 s18, 2
	s_cbranch_scc1 .LBB70_1421
; %bb.1418:
	s_cmp_lt_i32 s18, 3
	s_cbranch_scc1 .LBB70_1422
; %bb.1419:
	s_cmp_gt_i32 s18, 3
	s_cbranch_scc0 .LBB70_1423
; %bb.1420:
	s_wait_loadcnt 0x0
	global_load_b64 v[2:3], v[4:5], off
	s_mov_b32 s18, 0
	s_branch .LBB70_1424
.LBB70_1421:
                                        ; implicit-def: $vgpr2_vgpr3
	s_branch .LBB70_1430
.LBB70_1422:
	s_mov_b32 s18, -1
                                        ; implicit-def: $vgpr2_vgpr3
	s_branch .LBB70_1427
.LBB70_1423:
	s_mov_b32 s18, -1
                                        ; implicit-def: $vgpr2_vgpr3
.LBB70_1424:
	s_delay_alu instid0(SALU_CYCLE_1)
	s_and_not1_b32 vcc_lo, exec_lo, s18
	s_cbranch_vccnz .LBB70_1426
; %bb.1425:
	s_wait_loadcnt 0x0
	global_load_b32 v2, v[4:5], off
	s_wait_loadcnt 0x0
	v_ashrrev_i32_e32 v3, 31, v2
.LBB70_1426:
	s_mov_b32 s18, 0
.LBB70_1427:
	s_delay_alu instid0(SALU_CYCLE_1)
	s_and_not1_b32 vcc_lo, exec_lo, s18
	s_cbranch_vccnz .LBB70_1429
; %bb.1428:
	s_wait_loadcnt 0x0
	global_load_u16 v2, v[4:5], off
	s_wait_loadcnt 0x0
	v_bfe_i32 v2, v2, 0, 16
	s_delay_alu instid0(VALU_DEP_1)
	v_ashrrev_i32_e32 v3, 31, v2
.LBB70_1429:
	s_cbranch_execnz .LBB70_1435
.LBB70_1430:
	s_sext_i32_i16 s0, s0
	s_delay_alu instid0(SALU_CYCLE_1)
	s_cmp_gt_i32 s0, 0
	s_mov_b32 s0, 0
	s_cbranch_scc0 .LBB70_1432
; %bb.1431:
	s_wait_loadcnt 0x0
	global_load_i8 v2, v[4:5], off
	s_wait_loadcnt 0x0
	v_bfe_i32 v2, v2, 0, 16
	s_delay_alu instid0(VALU_DEP_1)
	v_ashrrev_i32_e32 v3, 31, v2
	s_branch .LBB70_1433
.LBB70_1432:
	s_mov_b32 s0, -1
                                        ; implicit-def: $vgpr2_vgpr3
.LBB70_1433:
	s_delay_alu instid0(SALU_CYCLE_1)
	s_and_not1_b32 vcc_lo, exec_lo, s0
	s_cbranch_vccnz .LBB70_1435
; %bb.1434:
	s_wait_loadcnt 0x0
	global_load_u8 v2, v[4:5], off
	s_mov_b32 s0, 0
	s_delay_alu instid0(SALU_CYCLE_1)
	v_mov_b32_e32 v3, s0
	s_wait_loadcnt 0x0
	v_and_b32_e32 v2, 0xffff, v2
.LBB70_1435:
	s_or_b32 s19, s19, exec_lo
.LBB70_1436:
	s_wait_xcnt 0x0
	s_or_b32 exec_lo, exec_lo, s17
	s_mov_b32 s0, 0
	s_mov_b32 s20, 0
                                        ; implicit-def: $sgpr18
                                        ; implicit-def: $vgpr6_vgpr7
                                        ; implicit-def: $vgpr4_vgpr5
	s_and_saveexec_b32 s17, s19
	s_cbranch_execz .LBB70_1444
; %bb.1437:
	s_wait_loadcnt 0x0
	s_delay_alu instid0(VALU_DEP_1) | instskip(SKIP_1) | instid1(VALU_DEP_1)
	v_sub_nc_u64_e32 v[4:5], 0, v[2:3]
	s_mov_b32 s18, exec_lo
	v_max_i64 v[6:7], v[2:3], v[4:5]
	v_cmpx_ne_u64_e32 0, v[0:1]
	s_cbranch_execz .LBB70_1448
; %bb.1438:
	v_sub_nc_u64_e32 v[4:5], 0, v[0:1]
	s_mov_b32 s19, 0
	s_delay_alu instid0(VALU_DEP_1)
	v_max_i64 v[10:11], v[0:1], v[4:5]
	v_mov_b32_e32 v4, 0
	s_branch .LBB70_1440
.LBB70_1439:                            ;   in Loop: Header=BB70_1440 Depth=1
	s_or_b32 exec_lo, exec_lo, s0
	s_delay_alu instid0(VALU_DEP_1) | instskip(SKIP_2) | instid1(SALU_CYCLE_1)
	v_cmp_eq_u64_e32 vcc_lo, 0, v[10:11]
	v_mov_b64_e32 v[6:7], v[8:9]
	s_or_b32 s19, vcc_lo, s19
	s_and_not1_b32 exec_lo, exec_lo, s19
	s_cbranch_execz .LBB70_1447
.LBB70_1440:                            ; =>This Inner Loop Header: Depth=1
	s_delay_alu instid0(VALU_DEP_2) | instskip(SKIP_1) | instid1(VALU_DEP_1)
	v_mov_b64_e32 v[8:9], v[10:11]
                                        ; implicit-def: $vgpr10_vgpr11
	s_mov_b32 s0, exec_lo
	v_or_b32_e32 v5, v7, v9
	s_delay_alu instid0(VALU_DEP_1)
	v_cmpx_ne_u64_e32 0, v[4:5]
	s_xor_b32 s20, exec_lo, s0
	s_cbranch_execz .LBB70_1442
; %bb.1441:                             ;   in Loop: Header=BB70_1440 Depth=1
	s_delay_alu instid0(VALU_DEP_3) | instskip(SKIP_3) | instid1(VALU_DEP_3)
	v_cvt_f32_u32_e32 v5, v8
	v_cvt_f32_u32_e32 v10, v9
	v_sub_nc_u64_e32 v[12:13], 0, v[8:9]
	v_dual_mov_b32 v19, v4 :: v_dual_mov_b32 v23, v4
	v_fmac_f32_e32 v5, 0x4f800000, v10
	s_delay_alu instid0(VALU_DEP_1) | instskip(SKIP_1) | instid1(TRANS32_DEP_1)
	v_rcp_f32_e32 v5, v5
	v_nop
	v_mul_f32_e32 v5, 0x5f7ffffc, v5
	s_delay_alu instid0(VALU_DEP_1) | instskip(NEXT) | instid1(VALU_DEP_1)
	v_mul_f32_e32 v10, 0x2f800000, v5
	v_trunc_f32_e32 v11, v10
	s_delay_alu instid0(VALU_DEP_1) | instskip(SKIP_1) | instid1(VALU_DEP_2)
	v_cvt_u32_f32_e32 v15, v11
	v_fmac_f32_e32 v5, 0xcf800000, v11
	v_dual_mov_b32 v11, v4 :: v_dual_mov_b32 v22, v15
	s_delay_alu instid0(VALU_DEP_2) | instskip(NEXT) | instid1(VALU_DEP_1)
	v_cvt_u32_f32_e32 v10, v5
	v_mov_b32_e32 v14, v10
	s_delay_alu instid0(VALU_DEP_1) | instskip(NEXT) | instid1(VALU_DEP_1)
	v_mul_u64_e32 v[16:17], v[12:13], v[14:15]
	v_dual_mov_b32 v18, v17 :: v_dual_mov_b32 v17, v4
	s_delay_alu instid0(VALU_DEP_1) | instskip(NEXT) | instid1(VALU_DEP_2)
	v_mul_u64_e32 v[24:25], v[10:11], v[18:19]
	v_mul_u64_e32 v[26:27], v[22:23], v[16:17]
	;; [unrolled: 1-line block ×3, first 2 shown]
	v_mul_hi_u32 v16, v10, v16
	s_delay_alu instid0(VALU_DEP_1) | instskip(NEXT) | instid1(VALU_DEP_1)
	v_add_nc_u64_e32 v[16:17], v[16:17], v[24:25]
	v_add_co_u32 v5, vcc_lo, v16, v26
	s_delay_alu instid0(VALU_DEP_2) | instskip(SKIP_1) | instid1(VALU_DEP_1)
	v_add_co_ci_u32_e32 v22, vcc_lo, v17, v27, vcc_lo
	v_add_co_ci_u32_e32 v19, vcc_lo, 0, v19, vcc_lo
	v_add_nc_u64_e32 v[16:17], v[22:23], v[18:19]
	s_delay_alu instid0(VALU_DEP_1) | instskip(NEXT) | instid1(VALU_DEP_1)
	v_add_co_u32 v10, vcc_lo, v10, v16
	v_add_co_ci_u32_e64 v14, null, v15, v17, vcc_lo
	v_dual_mov_b32 v17, v4 :: v_dual_mov_b32 v15, v4
	s_delay_alu instid0(VALU_DEP_2) | instskip(NEXT) | instid1(VALU_DEP_1)
	v_mov_b32_e32 v11, v14
	v_mul_u64_e32 v[12:13], v[12:13], v[10:11]
	s_delay_alu instid0(VALU_DEP_1) | instskip(NEXT) | instid1(VALU_DEP_2)
	v_dual_mov_b32 v11, v4 :: v_dual_mov_b32 v16, v13
	v_dual_mov_b32 v22, v12 :: v_dual_mov_b32 v13, v4
	v_mul_hi_u32 v12, v10, v12
	s_delay_alu instid0(VALU_DEP_3) | instskip(NEXT) | instid1(VALU_DEP_3)
	v_mul_u64_e32 v[18:19], v[10:11], v[16:17]
	v_mul_u64_e32 v[22:23], v[14:15], v[22:23]
	v_mul_u64_e32 v[16:17], v[14:15], v[16:17]
	s_delay_alu instid0(VALU_DEP_3) | instskip(SKIP_1) | instid1(VALU_DEP_2)
	v_add_nc_u64_e32 v[12:13], v[12:13], v[18:19]
	v_mov_b32_e32 v19, v4
	v_add_co_u32 v5, vcc_lo, v12, v22
	s_delay_alu instid0(VALU_DEP_3) | instskip(SKIP_1) | instid1(VALU_DEP_1)
	v_add_co_ci_u32_e32 v18, vcc_lo, v13, v23, vcc_lo
	v_add_co_ci_u32_e32 v17, vcc_lo, 0, v17, vcc_lo
	v_add_nc_u64_e32 v[12:13], v[18:19], v[16:17]
	v_dual_mov_b32 v16, v6 :: v_dual_mov_b32 v17, v4
	s_delay_alu instid0(VALU_DEP_2) | instskip(NEXT) | instid1(VALU_DEP_1)
	v_add_co_u32 v12, vcc_lo, v10, v12
	v_add_co_ci_u32_e64 v10, null, v14, v13, vcc_lo
	v_dual_mov_b32 v14, v7 :: v_dual_mov_b32 v13, v4
	s_delay_alu instid0(VALU_DEP_2) | instskip(NEXT) | instid1(VALU_DEP_2)
	v_mul_u64_e32 v[16:17], v[16:17], v[10:11]
	v_mul_u64_e32 v[10:11], v[14:15], v[10:11]
	s_delay_alu instid0(VALU_DEP_3) | instskip(SKIP_1) | instid1(VALU_DEP_1)
	v_mul_u64_e32 v[18:19], v[14:15], v[12:13]
	v_mul_hi_u32 v12, v6, v12
	v_add_nc_u64_e32 v[12:13], v[12:13], v[16:17]
	s_delay_alu instid0(VALU_DEP_1) | instskip(NEXT) | instid1(VALU_DEP_2)
	v_add_co_u32 v5, vcc_lo, v12, v18
	v_add_co_ci_u32_e32 v14, vcc_lo, v13, v19, vcc_lo
	v_add_co_ci_u32_e32 v11, vcc_lo, 0, v11, vcc_lo
	s_delay_alu instid0(VALU_DEP_1) | instskip(NEXT) | instid1(VALU_DEP_1)
	v_add_nc_u64_e32 v[10:11], v[14:15], v[10:11]
	v_mul_u64_e32 v[10:11], v[8:9], v[10:11]
	s_delay_alu instid0(VALU_DEP_1) | instskip(NEXT) | instid1(VALU_DEP_2)
	v_sub_nc_u32_e32 v5, v7, v11
	v_sub_co_u32 v6, vcc_lo, v6, v10
	s_delay_alu instid0(VALU_DEP_1) | instskip(NEXT) | instid1(VALU_DEP_3)
	v_sub_co_ci_u32_e64 v7, null, v7, v11, vcc_lo
	v_sub_co_ci_u32_e64 v5, null, v5, v9, vcc_lo
	s_delay_alu instid0(VALU_DEP_3) | instskip(SKIP_1) | instid1(VALU_DEP_3)
	v_sub_co_u32 v10, vcc_lo, v6, v8
	v_cmp_ge_u32_e64 s0, v6, v8
	v_subrev_co_ci_u32_e64 v11, null, 0, v5, vcc_lo
	v_sub_co_ci_u32_e64 v5, null, v5, v9, vcc_lo
	s_delay_alu instid0(VALU_DEP_3) | instskip(SKIP_2) | instid1(VALU_DEP_2)
	v_cndmask_b32_e64 v12, 0, -1, s0
	v_cmp_ge_u32_e64 s0, v10, v8
	v_cmp_ge_u32_e32 vcc_lo, v7, v9
	v_cndmask_b32_e64 v13, 0, -1, s0
	v_cmp_ge_u32_e64 s0, v11, v9
	v_cndmask_b32_e64 v15, 0, -1, vcc_lo
	v_cmp_eq_u32_e32 vcc_lo, v11, v9
	s_delay_alu instid0(VALU_DEP_3) | instskip(SKIP_1) | instid1(VALU_DEP_1)
	v_cndmask_b32_e64 v14, 0, -1, s0
	v_cmp_eq_u32_e64 s0, v7, v9
	v_dual_cndmask_b32 v13, v14, v13, vcc_lo :: v_dual_cndmask_b32 v12, v15, v12, s0
	v_sub_co_u32 v14, vcc_lo, v10, v8
	s_delay_alu instid0(VALU_DEP_1) | instskip(NEXT) | instid1(VALU_DEP_3)
	v_subrev_co_ci_u32_e64 v5, null, 0, v5, vcc_lo
	v_cmp_ne_u32_e32 vcc_lo, 0, v13
	s_delay_alu instid0(VALU_DEP_2) | instskip(SKIP_1) | instid1(VALU_DEP_2)
	v_dual_cndmask_b32 v5, v11, v5 :: v_dual_cndmask_b32 v10, v10, v14
	v_cmp_ne_u32_e32 vcc_lo, 0, v12
	v_dual_cndmask_b32 v11, v7, v5 :: v_dual_cndmask_b32 v10, v6, v10
                                        ; implicit-def: $vgpr6_vgpr7
.LBB70_1442:                            ;   in Loop: Header=BB70_1440 Depth=1
	s_and_not1_saveexec_b32 s0, s20
	s_cbranch_execz .LBB70_1439
; %bb.1443:                             ;   in Loop: Header=BB70_1440 Depth=1
	v_cvt_f32_u32_e32 v5, v8
	v_dual_sub_nc_u32 v7, 0, v8 :: v_dual_mov_b32 v11, v4
	s_delay_alu instid0(VALU_DEP_2) | instskip(SKIP_1) | instid1(TRANS32_DEP_1)
	v_rcp_iflag_f32_e32 v5, v5
	v_nop
	v_mul_f32_e32 v5, 0x4f7ffffe, v5
	s_delay_alu instid0(VALU_DEP_1) | instskip(NEXT) | instid1(VALU_DEP_1)
	v_cvt_u32_f32_e32 v5, v5
	v_mul_lo_u32 v7, v7, v5
	s_delay_alu instid0(VALU_DEP_1) | instskip(NEXT) | instid1(VALU_DEP_1)
	v_mul_hi_u32 v7, v5, v7
	v_add_nc_u32_e32 v5, v5, v7
	s_delay_alu instid0(VALU_DEP_1) | instskip(NEXT) | instid1(VALU_DEP_1)
	v_mul_hi_u32 v5, v6, v5
	v_mul_lo_u32 v5, v5, v8
	s_delay_alu instid0(VALU_DEP_1) | instskip(NEXT) | instid1(VALU_DEP_1)
	v_sub_nc_u32_e32 v5, v6, v5
	v_sub_nc_u32_e32 v6, v5, v8
	v_cmp_ge_u32_e32 vcc_lo, v5, v8
	s_delay_alu instid0(VALU_DEP_2) | instskip(NEXT) | instid1(VALU_DEP_1)
	v_cndmask_b32_e32 v5, v5, v6, vcc_lo
	v_sub_nc_u32_e32 v6, v5, v8
	v_cmp_ge_u32_e32 vcc_lo, v5, v8
	s_delay_alu instid0(VALU_DEP_2)
	v_cndmask_b32_e32 v10, v5, v6, vcc_lo
	s_branch .LBB70_1439
.LBB70_1444:
	s_or_b32 exec_lo, exec_lo, s17
	s_and_saveexec_b32 s17, s15
	s_cbranch_execnz .LBB70_1531
.LBB70_1445:
	s_or_b32 exec_lo, exec_lo, s17
	s_and_saveexec_b32 s15, s0
	s_delay_alu instid0(SALU_CYCLE_1)
	s_xor_b32 s0, exec_lo, s15
	s_cbranch_execz .LBB70_1532
.LBB70_1446:
	s_delay_alu instid0(VALU_DEP_4)
	v_cmp_ne_u64_e32 vcc_lo, 0, v[4:5]
	s_wait_loadcnt 0x0
	v_cndmask_b32_e64 v0, 0, 1, vcc_lo
	global_store_b8 v[6:7], v0, off
	s_wait_xcnt 0x0
	s_or_b32 exec_lo, exec_lo, s0
	s_and_saveexec_b32 s0, s20
	s_delay_alu instid0(SALU_CYCLE_1)
	s_xor_b32 s0, exec_lo, s0
	s_cbranch_execz .LBB70_1570
	s_branch .LBB70_1533
.LBB70_1447:
	s_or_b32 exec_lo, exec_lo, s19
	v_mov_b64_e32 v[6:7], v[8:9]
.LBB70_1448:
	s_or_b32 exec_lo, exec_lo, s18
	v_mov_b64_e32 v[4:5], 0
	s_mov_b32 s18, exec_lo
	s_delay_alu instid0(VALU_DEP_2)
	v_cmpx_ne_u64_e32 0, v[6:7]
	s_cbranch_execz .LBB70_1454
; %bb.1449:
	v_dual_mov_b32 v4, 0 :: v_dual_bitop2_b32 v5, v1, v7 bitop3:0x54
                                        ; implicit-def: $vgpr8_vgpr9
	s_mov_b32 s0, exec_lo
	s_delay_alu instid0(VALU_DEP_1)
	v_cmpx_ne_u64_e32 0, v[4:5]
	s_xor_b32 s19, exec_lo, s0
	s_cbranch_execz .LBB70_1451
; %bb.1450:
	v_dual_mov_b32 v11, v4 :: v_dual_ashrrev_i32 v8, 31, v7
	v_dual_mov_b32 v19, v4 :: v_dual_mov_b32 v23, v4
	s_delay_alu instid0(VALU_DEP_2) | instskip(NEXT) | instid1(VALU_DEP_1)
	v_mov_b32_e32 v9, v8
	v_add_nc_u64_e32 v[6:7], v[6:7], v[8:9]
	s_delay_alu instid0(VALU_DEP_1) | instskip(NEXT) | instid1(VALU_DEP_2)
	v_xor_b32_e32 v6, v6, v8
	v_xor_b32_e32 v7, v7, v8
	s_delay_alu instid0(VALU_DEP_2) | instskip(NEXT) | instid1(VALU_DEP_2)
	v_cvt_f32_u32_e32 v5, v6
	v_cvt_f32_u32_e32 v9, v7
	s_delay_alu instid0(VALU_DEP_1) | instskip(NEXT) | instid1(VALU_DEP_1)
	v_fmamk_f32 v5, v9, 0x4f800000, v5
	v_rcp_f32_e32 v5, v5
	v_nop
	s_delay_alu instid0(TRANS32_DEP_1) | instskip(NEXT) | instid1(VALU_DEP_1)
	v_mul_f32_e32 v5, 0x5f7ffffc, v5
	v_mul_f32_e32 v9, 0x2f800000, v5
	s_delay_alu instid0(VALU_DEP_1) | instskip(NEXT) | instid1(VALU_DEP_1)
	v_trunc_f32_e32 v9, v9
	v_fmamk_f32 v5, v9, 0xcf800000, v5
	v_cvt_u32_f32_e32 v15, v9
	s_delay_alu instid0(VALU_DEP_2) | instskip(NEXT) | instid1(VALU_DEP_1)
	v_cvt_u32_f32_e32 v10, v5
	v_dual_mov_b32 v22, v15 :: v_dual_mov_b32 v14, v10
	v_sub_nc_u64_e32 v[12:13], 0, v[6:7]
	s_delay_alu instid0(VALU_DEP_1) | instskip(NEXT) | instid1(VALU_DEP_1)
	v_mul_u64_e32 v[16:17], v[12:13], v[14:15]
	v_dual_mov_b32 v18, v17 :: v_dual_mov_b32 v17, v4
	s_delay_alu instid0(VALU_DEP_1) | instskip(NEXT) | instid1(VALU_DEP_2)
	v_mul_u64_e32 v[24:25], v[10:11], v[18:19]
	v_mul_u64_e32 v[26:27], v[22:23], v[16:17]
	;; [unrolled: 1-line block ×3, first 2 shown]
	v_mul_hi_u32 v16, v10, v16
	s_delay_alu instid0(VALU_DEP_1) | instskip(SKIP_1) | instid1(VALU_DEP_2)
	v_add_nc_u64_e32 v[16:17], v[16:17], v[24:25]
	v_ashrrev_i32_e32 v24, 31, v1
	v_add_co_u32 v5, vcc_lo, v16, v26
	s_delay_alu instid0(VALU_DEP_3) | instskip(SKIP_1) | instid1(VALU_DEP_1)
	v_add_co_ci_u32_e32 v22, vcc_lo, v17, v27, vcc_lo
	v_add_co_ci_u32_e32 v19, vcc_lo, 0, v19, vcc_lo
	v_add_nc_u64_e32 v[16:17], v[22:23], v[18:19]
	s_delay_alu instid0(VALU_DEP_1) | instskip(NEXT) | instid1(VALU_DEP_1)
	v_add_co_u32 v10, vcc_lo, v10, v16
	v_add_co_ci_u32_e64 v14, null, v15, v17, vcc_lo
	v_dual_mov_b32 v15, v4 :: v_dual_mov_b32 v17, v4
	s_delay_alu instid0(VALU_DEP_2) | instskip(NEXT) | instid1(VALU_DEP_1)
	v_mov_b32_e32 v11, v14
	v_mul_u64_e32 v[12:13], v[12:13], v[10:11]
	s_delay_alu instid0(VALU_DEP_1) | instskip(NEXT) | instid1(VALU_DEP_2)
	v_dual_mov_b32 v11, v4 :: v_dual_mov_b32 v16, v13
	v_dual_mov_b32 v22, v12 :: v_dual_mov_b32 v13, v4
	v_mul_hi_u32 v12, v10, v12
	s_delay_alu instid0(VALU_DEP_3) | instskip(NEXT) | instid1(VALU_DEP_3)
	v_mul_u64_e32 v[18:19], v[10:11], v[16:17]
	v_mul_u64_e32 v[22:23], v[14:15], v[22:23]
	;; [unrolled: 1-line block ×3, first 2 shown]
	s_delay_alu instid0(VALU_DEP_3) | instskip(SKIP_1) | instid1(VALU_DEP_2)
	v_add_nc_u64_e32 v[12:13], v[12:13], v[18:19]
	v_dual_mov_b32 v19, v4 :: v_dual_mov_b32 v25, v24
	v_add_co_u32 v5, vcc_lo, v12, v22
	s_delay_alu instid0(VALU_DEP_3) | instskip(SKIP_2) | instid1(VALU_DEP_2)
	v_add_co_ci_u32_e32 v18, vcc_lo, v13, v23, vcc_lo
	v_add_co_ci_u32_e32 v17, vcc_lo, 0, v17, vcc_lo
	v_mov_b32_e32 v5, v4
	v_add_nc_u64_e32 v[12:13], v[18:19], v[16:17]
	v_mov_b32_e32 v17, v4
	v_add_nc_u64_e32 v[0:1], v[0:1], v[24:25]
	s_delay_alu instid0(VALU_DEP_3) | instskip(NEXT) | instid1(VALU_DEP_1)
	v_add_co_u32 v12, vcc_lo, v10, v12
	v_add_co_ci_u32_e64 v10, null, v14, v13, vcc_lo
	s_delay_alu instid0(VALU_DEP_3) | instskip(NEXT) | instid1(VALU_DEP_4)
	v_dual_mov_b32 v13, v4 :: v_dual_bitop2_b32 v14, v1, v24 bitop3:0x14
	v_xor_b32_e32 v16, v0, v24
	s_delay_alu instid0(VALU_DEP_2) | instskip(NEXT) | instid1(VALU_DEP_2)
	v_mul_u64_e32 v[0:1], v[14:15], v[12:13]
	v_mul_u64_e32 v[18:19], v[16:17], v[10:11]
	;; [unrolled: 1-line block ×3, first 2 shown]
	v_mul_hi_u32 v12, v16, v12
	s_delay_alu instid0(VALU_DEP_1) | instskip(NEXT) | instid1(VALU_DEP_1)
	v_add_nc_u64_e32 v[12:13], v[12:13], v[18:19]
	v_add_co_u32 v0, vcc_lo, v12, v0
	s_delay_alu instid0(VALU_DEP_2) | instskip(SKIP_1) | instid1(VALU_DEP_1)
	v_add_co_ci_u32_e32 v4, vcc_lo, v13, v1, vcc_lo
	v_add_co_ci_u32_e32 v11, vcc_lo, 0, v11, vcc_lo
	v_add_nc_u64_e32 v[0:1], v[4:5], v[10:11]
	s_delay_alu instid0(VALU_DEP_1) | instskip(NEXT) | instid1(VALU_DEP_1)
	v_mul_u64_e32 v[4:5], v[6:7], v[0:1]
	v_sub_nc_u32_e32 v9, v14, v5
	s_delay_alu instid0(VALU_DEP_2) | instskip(NEXT) | instid1(VALU_DEP_1)
	v_sub_co_u32 v4, vcc_lo, v16, v4
	v_sub_co_ci_u32_e64 v12, null, v14, v5, vcc_lo
	s_delay_alu instid0(VALU_DEP_3) | instskip(NEXT) | instid1(VALU_DEP_3)
	v_sub_co_ci_u32_e64 v9, null, v9, v7, vcc_lo
	v_sub_co_u32 v10, s0, v4, v6
	s_delay_alu instid0(VALU_DEP_1) | instskip(NEXT) | instid1(VALU_DEP_2)
	v_subrev_co_ci_u32_e64 v9, null, 0, v9, s0
	v_cmp_ge_u32_e32 vcc_lo, v10, v6
	v_cndmask_b32_e64 v5, 0, -1, vcc_lo
	s_delay_alu instid0(VALU_DEP_3)
	v_cmp_ge_u32_e32 vcc_lo, v9, v7
	v_cndmask_b32_e64 v10, 0, -1, vcc_lo
	v_cmp_ge_u32_e32 vcc_lo, v4, v6
	v_cndmask_b32_e64 v6, 0, -1, vcc_lo
	;; [unrolled: 2-line block ×3, first 2 shown]
	v_cmp_eq_u32_e32 vcc_lo, v9, v7
	v_cndmask_b32_e32 v9, v10, v5, vcc_lo
	v_cmp_eq_u32_e32 vcc_lo, v12, v7
	v_add_nc_u64_e32 v[4:5], 2, v[0:1]
	v_add_nc_u64_e32 v[10:11], 1, v[0:1]
	v_cndmask_b32_e32 v6, v13, v6, vcc_lo
	v_cmp_ne_u32_e32 vcc_lo, 0, v9
	s_delay_alu instid0(VALU_DEP_2) | instskip(NEXT) | instid1(VALU_DEP_4)
	v_cmp_ne_u32_e64 s0, 0, v6
	v_dual_cndmask_b32 v5, v11, v5 :: v_dual_cndmask_b32 v6, v10, v4
	s_delay_alu instid0(VALU_DEP_1) | instskip(NEXT) | instid1(VALU_DEP_2)
	v_dual_cndmask_b32 v1, v1, v5, s0 :: v_dual_bitop2_b32 v4, v24, v8 bitop3:0x14
	v_cndmask_b32_e64 v0, v0, v6, s0
	s_delay_alu instid0(VALU_DEP_2) | instskip(NEXT) | instid1(VALU_DEP_3)
	v_mov_b32_e32 v5, v4
                                        ; implicit-def: $vgpr6_vgpr7
	v_xor_b32_e32 v1, v1, v4
	s_delay_alu instid0(VALU_DEP_3) | instskip(NEXT) | instid1(VALU_DEP_1)
	v_xor_b32_e32 v0, v0, v4
	v_sub_nc_u64_e32 v[8:9], v[0:1], v[4:5]
                                        ; implicit-def: $vgpr0_vgpr1
.LBB70_1451:
	s_and_not1_saveexec_b32 s0, s19
	s_cbranch_execz .LBB70_1453
; %bb.1452:
	v_cvt_f32_u32_e32 v1, v6
	v_dual_mov_b32 v9, 0 :: v_dual_sub_nc_u32 v4, 0, v6
	s_delay_alu instid0(VALU_DEP_2) | instskip(SKIP_1) | instid1(TRANS32_DEP_1)
	v_rcp_iflag_f32_e32 v1, v1
	v_nop
	v_mul_f32_e32 v1, 0x4f7ffffe, v1
	s_delay_alu instid0(VALU_DEP_1) | instskip(NEXT) | instid1(VALU_DEP_1)
	v_cvt_u32_f32_e32 v1, v1
	v_mul_lo_u32 v4, v4, v1
	s_delay_alu instid0(VALU_DEP_1) | instskip(NEXT) | instid1(VALU_DEP_1)
	v_mul_hi_u32 v4, v1, v4
	v_add_nc_u32_e32 v1, v1, v4
	s_delay_alu instid0(VALU_DEP_1) | instskip(NEXT) | instid1(VALU_DEP_1)
	v_mul_hi_u32 v1, v0, v1
	v_mul_lo_u32 v4, v1, v6
	s_delay_alu instid0(VALU_DEP_1) | instskip(NEXT) | instid1(VALU_DEP_1)
	v_dual_sub_nc_u32 v0, v0, v4 :: v_dual_add_nc_u32 v4, 1, v1
	v_sub_nc_u32_e32 v5, v0, v6
	v_cmp_ge_u32_e32 vcc_lo, v0, v6
	s_delay_alu instid0(VALU_DEP_2) | instskip(NEXT) | instid1(VALU_DEP_1)
	v_dual_cndmask_b32 v0, v0, v5 :: v_dual_cndmask_b32 v1, v1, v4
	v_cmp_ge_u32_e32 vcc_lo, v0, v6
	s_delay_alu instid0(VALU_DEP_2) | instskip(NEXT) | instid1(VALU_DEP_1)
	v_add_nc_u32_e32 v4, 1, v1
	v_cndmask_b32_e32 v8, v1, v4, vcc_lo
.LBB70_1453:
	s_or_b32 exec_lo, exec_lo, s0
	s_delay_alu instid0(VALU_DEP_1) | instskip(NEXT) | instid1(VALU_DEP_1)
	v_mul_u64_e32 v[0:1], v[8:9], v[2:3]
	v_sub_nc_u64_e32 v[2:3], 0, v[0:1]
	s_delay_alu instid0(VALU_DEP_1)
	v_max_i64 v[4:5], v[0:1], v[2:3]
.LBB70_1454:
	s_or_b32 exec_lo, exec_lo, s18
	v_mul_lo_u32 v0, v20, s8
	s_and_b32 s18, s11, 0xff
	s_delay_alu instid0(SALU_CYCLE_1) | instskip(NEXT) | instid1(VALU_DEP_1)
	s_cmp_lt_i32 s18, 11
	v_ashrrev_i32_e32 v1, 31, v0
	s_delay_alu instid0(VALU_DEP_1)
	v_add_nc_u64_e32 v[6:7], s[4:5], v[0:1]
	s_cbranch_scc1 .LBB70_1461
; %bb.1455:
	s_and_b32 s19, 0xffff, s18
	s_mov_b32 s20, -1
	s_cmp_gt_i32 s19, 25
	s_mov_b32 s0, s15
	s_cbranch_scc0 .LBB70_1489
; %bb.1456:
	s_cmp_gt_i32 s19, 28
	s_mov_b32 s0, s15
	s_cbranch_scc0 .LBB70_1473
; %bb.1457:
	;; [unrolled: 4-line block ×4, first 2 shown]
	s_cmp_eq_u32 s19, 46
	s_mov_b32 s0, -1
	s_cbranch_scc0 .LBB70_1462
; %bb.1460:
	s_delay_alu instid0(VALU_DEP_4) | instskip(SKIP_2) | instid1(VALU_DEP_1)
	v_clz_i32_u32_e32 v0, v5
	s_mov_b32 s0, 0
	s_mov_b32 s20, 0
	v_min_u32_e32 v2, 32, v0
	s_delay_alu instid0(VALU_DEP_1) | instskip(NEXT) | instid1(VALU_DEP_1)
	v_lshlrev_b64_e32 v[0:1], v2, v[4:5]
	v_min_u32_e32 v0, 1, v0
	s_delay_alu instid0(VALU_DEP_1) | instskip(NEXT) | instid1(VALU_DEP_1)
	v_dual_sub_nc_u32 v1, 32, v2 :: v_dual_bitop2_b32 v0, v1, v0 bitop3:0x54
	v_cvt_f32_u32_e32 v0, v0
	s_delay_alu instid0(VALU_DEP_1) | instskip(NEXT) | instid1(VALU_DEP_1)
	v_ldexp_f32 v0, v0, v1
	v_bfe_u32 v1, v0, 16, 1
	s_delay_alu instid0(VALU_DEP_1) | instskip(NEXT) | instid1(VALU_DEP_1)
	v_add3_u32 v0, v0, v1, 0x7fff
	v_lshrrev_b32_e32 v0, 16, v0
	global_store_b32 v[6:7], v0, off
	s_branch .LBB70_1463
.LBB70_1461:
	s_mov_b32 s21, 0
	s_mov_b32 s20, -1
	s_mov_b32 s0, s15
	s_branch .LBB70_1530
.LBB70_1462:
	s_mov_b32 s20, 0
.LBB70_1463:
	s_delay_alu instid0(SALU_CYCLE_1)
	s_and_b32 vcc_lo, exec_lo, s20
	s_cbranch_vccz .LBB70_1468
; %bb.1464:
	s_cmp_eq_u32 s19, 44
	s_mov_b32 s0, -1
	s_cbranch_scc0 .LBB70_1468
; %bb.1465:
	s_wait_xcnt 0x0
	s_delay_alu instid0(VALU_DEP_4) | instskip(SKIP_1) | instid1(VALU_DEP_1)
	v_clz_i32_u32_e32 v0, v5
	s_mov_b32 s20, exec_lo
	v_min_u32_e32 v2, 32, v0
	s_delay_alu instid0(VALU_DEP_1) | instskip(NEXT) | instid1(VALU_DEP_1)
	v_lshlrev_b64_e32 v[0:1], v2, v[4:5]
	v_min_u32_e32 v0, 1, v0
	s_delay_alu instid0(VALU_DEP_1) | instskip(NEXT) | instid1(VALU_DEP_1)
	v_dual_sub_nc_u32 v1, 32, v2 :: v_dual_bitop2_b32 v0, v1, v0 bitop3:0x54
	v_cvt_f32_u32_e32 v0, v0
	s_delay_alu instid0(VALU_DEP_1) | instskip(NEXT) | instid1(VALU_DEP_1)
	v_ldexp_f32 v2, v0, v1
	v_dual_mov_b32 v1, 0xff :: v_dual_lshrrev_b32 v0, 23, v2
	s_delay_alu instid0(VALU_DEP_1)
	v_cmpx_ne_u32_e32 0xff, v0
; %bb.1466:
	v_and_b32_e32 v1, 0x400000, v2
	v_and_or_b32 v2, 0x3fffff, v2, v0
	s_delay_alu instid0(VALU_DEP_2) | instskip(NEXT) | instid1(VALU_DEP_2)
	v_cmp_ne_u32_e32 vcc_lo, 0, v1
	v_cmp_ne_u32_e64 s0, 0, v2
	s_and_b32 s0, vcc_lo, s0
	s_delay_alu instid0(SALU_CYCLE_1) | instskip(NEXT) | instid1(VALU_DEP_1)
	v_cndmask_b32_e64 v1, 0, 1, s0
	v_add_nc_u32_e32 v1, v0, v1
; %bb.1467:
	s_or_b32 exec_lo, exec_lo, s20
	s_mov_b32 s0, 0
	global_store_b8 v[6:7], v1, off
.LBB70_1468:
	s_mov_b32 s20, 0
.LBB70_1469:
	s_delay_alu instid0(SALU_CYCLE_1)
	s_and_b32 vcc_lo, exec_lo, s20
	s_cbranch_vccz .LBB70_1472
; %bb.1470:
	s_cmp_eq_u32 s19, 29
	s_mov_b32 s0, -1
	s_cbranch_scc0 .LBB70_1472
; %bb.1471:
	s_mov_b32 s0, 0
	global_store_b64 v[6:7], v[4:5], off
.LBB70_1472:
	s_mov_b32 s20, 0
.LBB70_1473:
	s_delay_alu instid0(SALU_CYCLE_1)
	s_and_b32 vcc_lo, exec_lo, s20
	s_cbranch_vccz .LBB70_1488
; %bb.1474:
	s_cmp_lt_i32 s19, 27
	s_mov_b32 s20, -1
	s_cbranch_scc1 .LBB70_1480
; %bb.1475:
	s_cmp_gt_i32 s19, 27
	s_cbranch_scc0 .LBB70_1477
; %bb.1476:
	s_mov_b32 s20, 0
	global_store_b32 v[6:7], v4, off
.LBB70_1477:
	s_and_not1_b32 vcc_lo, exec_lo, s20
	s_cbranch_vccnz .LBB70_1479
; %bb.1478:
	global_store_b16 v[6:7], v4, off
.LBB70_1479:
	s_mov_b32 s20, 0
.LBB70_1480:
	s_delay_alu instid0(SALU_CYCLE_1)
	s_and_not1_b32 vcc_lo, exec_lo, s20
	s_cbranch_vccnz .LBB70_1488
; %bb.1481:
	s_wait_xcnt 0x0
	s_delay_alu instid0(VALU_DEP_4) | instskip(SKIP_1) | instid1(VALU_DEP_1)
	v_clz_i32_u32_e32 v0, v5
	s_mov_b32 s20, exec_lo
	v_min_u32_e32 v2, 32, v0
	s_delay_alu instid0(VALU_DEP_1) | instskip(NEXT) | instid1(VALU_DEP_1)
	v_lshlrev_b64_e32 v[0:1], v2, v[4:5]
	v_min_u32_e32 v0, 1, v0
	s_delay_alu instid0(VALU_DEP_1) | instskip(SKIP_1) | instid1(VALU_DEP_2)
	v_dual_sub_nc_u32 v1, 32, v2 :: v_dual_bitop2_b32 v0, v1, v0 bitop3:0x54
	v_mov_b32_e32 v2, 0x80
	v_cvt_f32_u32_e32 v0, v0
	s_delay_alu instid0(VALU_DEP_1) | instskip(NEXT) | instid1(VALU_DEP_1)
	v_ldexp_f32 v1, v0, v1
	v_cmpx_gt_u32_e32 0x43800000, v1
	s_cbranch_execz .LBB70_1487
; %bb.1482:
	s_mov_b32 s21, 0
	s_mov_b32 s22, exec_lo
                                        ; implicit-def: $vgpr0
	v_cmpx_lt_u32_e32 0x3bffffff, v1
	s_xor_b32 s22, exec_lo, s22
	s_cbranch_execz .LBB70_1585
; %bb.1483:
	v_bfe_u32 v0, v1, 20, 1
	s_mov_b32 s21, exec_lo
	s_delay_alu instid0(VALU_DEP_1) | instskip(NEXT) | instid1(VALU_DEP_1)
	v_add3_u32 v0, v1, v0, 0x487ffff
                                        ; implicit-def: $vgpr1
	v_lshrrev_b32_e32 v0, 20, v0
	s_and_not1_saveexec_b32 s22, s22
	s_cbranch_execnz .LBB70_1586
.LBB70_1484:
	s_or_b32 exec_lo, exec_lo, s22
	v_mov_b32_e32 v2, 0
	s_and_saveexec_b32 s22, s21
.LBB70_1485:
	v_mov_b32_e32 v2, v0
.LBB70_1486:
	s_or_b32 exec_lo, exec_lo, s22
.LBB70_1487:
	s_delay_alu instid0(SALU_CYCLE_1)
	s_or_b32 exec_lo, exec_lo, s20
	global_store_b8 v[6:7], v2, off
.LBB70_1488:
	s_mov_b32 s20, 0
.LBB70_1489:
	s_delay_alu instid0(SALU_CYCLE_1)
	s_and_b32 vcc_lo, exec_lo, s20
	s_mov_b32 s20, 0
	s_cbranch_vccz .LBB70_1529
; %bb.1490:
	s_cmp_gt_i32 s19, 22
	s_mov_b32 s21, -1
	s_cbranch_scc0 .LBB70_1522
; %bb.1491:
	s_cmp_lt_i32 s19, 24
	s_cbranch_scc1 .LBB70_1511
; %bb.1492:
	s_cmp_gt_i32 s19, 24
	s_cbranch_scc0 .LBB70_1500
; %bb.1493:
	s_wait_xcnt 0x0
	s_delay_alu instid0(VALU_DEP_4) | instskip(SKIP_1) | instid1(VALU_DEP_1)
	v_clz_i32_u32_e32 v0, v5
	s_mov_b32 s21, exec_lo
	v_min_u32_e32 v2, 32, v0
	s_delay_alu instid0(VALU_DEP_1) | instskip(NEXT) | instid1(VALU_DEP_1)
	v_lshlrev_b64_e32 v[0:1], v2, v[4:5]
	v_min_u32_e32 v0, 1, v0
	s_delay_alu instid0(VALU_DEP_1) | instskip(SKIP_1) | instid1(VALU_DEP_2)
	v_dual_sub_nc_u32 v1, 32, v2 :: v_dual_bitop2_b32 v0, v1, v0 bitop3:0x54
	v_mov_b32_e32 v2, 0x80
	v_cvt_f32_u32_e32 v0, v0
	s_delay_alu instid0(VALU_DEP_1) | instskip(NEXT) | instid1(VALU_DEP_1)
	v_ldexp_f32 v1, v0, v1
	v_cmpx_gt_u32_e32 0x47800000, v1
	s_cbranch_execz .LBB70_1499
; %bb.1494:
	s_mov_b32 s22, 0
	s_mov_b32 s23, exec_lo
                                        ; implicit-def: $vgpr0
	v_cmpx_lt_u32_e32 0x37ffffff, v1
	s_xor_b32 s23, exec_lo, s23
	s_cbranch_execz .LBB70_1706
; %bb.1495:
	v_bfe_u32 v0, v1, 21, 1
	s_mov_b32 s22, exec_lo
	s_delay_alu instid0(VALU_DEP_1) | instskip(NEXT) | instid1(VALU_DEP_1)
	v_add3_u32 v0, v1, v0, 0x88fffff
                                        ; implicit-def: $vgpr1
	v_lshrrev_b32_e32 v0, 21, v0
	s_and_not1_saveexec_b32 s23, s23
	s_cbranch_execnz .LBB70_1707
.LBB70_1496:
	s_or_b32 exec_lo, exec_lo, s23
	v_mov_b32_e32 v2, 0
	s_and_saveexec_b32 s23, s22
.LBB70_1497:
	v_mov_b32_e32 v2, v0
.LBB70_1498:
	s_or_b32 exec_lo, exec_lo, s23
.LBB70_1499:
	s_delay_alu instid0(SALU_CYCLE_1)
	s_or_b32 exec_lo, exec_lo, s21
	s_mov_b32 s21, 0
	global_store_b8 v[6:7], v2, off
.LBB70_1500:
	s_and_b32 vcc_lo, exec_lo, s21
	s_cbranch_vccz .LBB70_1510
; %bb.1501:
	s_wait_xcnt 0x0
	s_delay_alu instid0(VALU_DEP_4) | instskip(SKIP_1) | instid1(VALU_DEP_1)
	v_clz_i32_u32_e32 v0, v5
	s_mov_b32 s21, exec_lo
	v_min_u32_e32 v2, 32, v0
	s_delay_alu instid0(VALU_DEP_1) | instskip(NEXT) | instid1(VALU_DEP_1)
	v_lshlrev_b64_e32 v[0:1], v2, v[4:5]
	v_min_u32_e32 v0, 1, v0
	s_delay_alu instid0(VALU_DEP_1) | instskip(NEXT) | instid1(VALU_DEP_1)
	v_dual_sub_nc_u32 v1, 32, v2 :: v_dual_bitop2_b32 v0, v1, v0 bitop3:0x54
	v_cvt_f32_u32_e32 v0, v0
	s_delay_alu instid0(VALU_DEP_1) | instskip(NEXT) | instid1(VALU_DEP_1)
	v_ldexp_f32 v1, v0, v1
                                        ; implicit-def: $vgpr0
	v_cmpx_gt_u32_e32 0x43f00000, v1
	s_xor_b32 s21, exec_lo, s21
	s_cbranch_execz .LBB70_1507
; %bb.1502:
	s_mov_b32 s22, exec_lo
                                        ; implicit-def: $vgpr0
	v_cmpx_lt_u32_e32 0x3c7fffff, v1
	s_xor_b32 s22, exec_lo, s22
; %bb.1503:
	v_bfe_u32 v0, v1, 20, 1
	s_delay_alu instid0(VALU_DEP_1) | instskip(NEXT) | instid1(VALU_DEP_1)
	v_add3_u32 v0, v1, v0, 0x407ffff
	v_and_b32_e32 v1, 0xff00000, v0
	v_lshrrev_b32_e32 v0, 20, v0
	s_delay_alu instid0(VALU_DEP_2) | instskip(NEXT) | instid1(VALU_DEP_2)
	v_cmp_ne_u32_e32 vcc_lo, 0x7f00000, v1
                                        ; implicit-def: $vgpr1
	v_cndmask_b32_e32 v0, 0x7e, v0, vcc_lo
; %bb.1504:
	s_and_not1_saveexec_b32 s22, s22
; %bb.1505:
	v_add_f32_e32 v0, 0x46800000, v1
; %bb.1506:
	s_or_b32 exec_lo, exec_lo, s22
                                        ; implicit-def: $vgpr1
.LBB70_1507:
	s_and_not1_saveexec_b32 s21, s21
; %bb.1508:
	v_mov_b32_e32 v0, 0x7f
	v_cmp_lt_u32_e32 vcc_lo, 0x7f800000, v1
	s_delay_alu instid0(VALU_DEP_2)
	v_cndmask_b32_e32 v0, 0x7e, v0, vcc_lo
; %bb.1509:
	s_or_b32 exec_lo, exec_lo, s21
	global_store_b8 v[6:7], v0, off
.LBB70_1510:
	s_mov_b32 s21, 0
.LBB70_1511:
	s_delay_alu instid0(SALU_CYCLE_1)
	s_and_not1_b32 vcc_lo, exec_lo, s21
	s_cbranch_vccnz .LBB70_1521
; %bb.1512:
	s_wait_xcnt 0x0
	s_delay_alu instid0(VALU_DEP_4) | instskip(SKIP_1) | instid1(VALU_DEP_1)
	v_clz_i32_u32_e32 v0, v5
	s_mov_b32 s21, exec_lo
	v_min_u32_e32 v2, 32, v0
	s_delay_alu instid0(VALU_DEP_1) | instskip(NEXT) | instid1(VALU_DEP_1)
	v_lshlrev_b64_e32 v[0:1], v2, v[4:5]
	v_min_u32_e32 v0, 1, v0
	s_delay_alu instid0(VALU_DEP_1) | instskip(NEXT) | instid1(VALU_DEP_1)
	v_dual_sub_nc_u32 v1, 32, v2 :: v_dual_bitop2_b32 v0, v1, v0 bitop3:0x54
	v_cvt_f32_u32_e32 v0, v0
	s_delay_alu instid0(VALU_DEP_1) | instskip(NEXT) | instid1(VALU_DEP_1)
	v_ldexp_f32 v1, v0, v1
                                        ; implicit-def: $vgpr0
	v_cmpx_gt_u32_e32 0x47800000, v1
	s_xor_b32 s21, exec_lo, s21
	s_cbranch_execz .LBB70_1518
; %bb.1513:
	s_mov_b32 s22, exec_lo
                                        ; implicit-def: $vgpr0
	v_cmpx_lt_u32_e32 0x387fffff, v1
	s_xor_b32 s22, exec_lo, s22
; %bb.1514:
	v_bfe_u32 v0, v1, 21, 1
	s_delay_alu instid0(VALU_DEP_1) | instskip(NEXT) | instid1(VALU_DEP_1)
	v_add3_u32 v0, v1, v0, 0x80fffff
                                        ; implicit-def: $vgpr1
	v_lshrrev_b32_e32 v0, 21, v0
; %bb.1515:
	s_and_not1_saveexec_b32 s22, s22
; %bb.1516:
	v_add_f32_e32 v0, 0x43000000, v1
; %bb.1517:
	s_or_b32 exec_lo, exec_lo, s22
                                        ; implicit-def: $vgpr1
.LBB70_1518:
	s_and_not1_saveexec_b32 s21, s21
; %bb.1519:
	v_mov_b32_e32 v0, 0x7f
	v_cmp_lt_u32_e32 vcc_lo, 0x7f800000, v1
	s_delay_alu instid0(VALU_DEP_2)
	v_cndmask_b32_e32 v0, 0x7c, v0, vcc_lo
; %bb.1520:
	s_or_b32 exec_lo, exec_lo, s21
	global_store_b8 v[6:7], v0, off
.LBB70_1521:
	s_mov_b32 s21, 0
.LBB70_1522:
	s_delay_alu instid0(SALU_CYCLE_1)
	s_and_not1_b32 vcc_lo, exec_lo, s21
	s_mov_b32 s21, 0
	s_cbranch_vccnz .LBB70_1530
; %bb.1523:
	s_cmp_gt_i32 s19, 14
	s_mov_b32 s21, -1
	s_cbranch_scc0 .LBB70_1527
; %bb.1524:
	s_cmp_eq_u32 s19, 15
	s_mov_b32 s0, -1
	s_cbranch_scc0 .LBB70_1526
; %bb.1525:
	s_wait_xcnt 0x0
	s_delay_alu instid0(VALU_DEP_4) | instskip(SKIP_1) | instid1(VALU_DEP_1)
	v_clz_i32_u32_e32 v0, v5
	s_mov_b32 s0, 0
	v_min_u32_e32 v2, 32, v0
	s_delay_alu instid0(VALU_DEP_1) | instskip(NEXT) | instid1(VALU_DEP_1)
	v_lshlrev_b64_e32 v[0:1], v2, v[4:5]
	v_min_u32_e32 v0, 1, v0
	s_delay_alu instid0(VALU_DEP_1) | instskip(NEXT) | instid1(VALU_DEP_1)
	v_dual_sub_nc_u32 v1, 32, v2 :: v_dual_bitop2_b32 v0, v1, v0 bitop3:0x54
	v_cvt_f32_u32_e32 v0, v0
	s_delay_alu instid0(VALU_DEP_1) | instskip(NEXT) | instid1(VALU_DEP_1)
	v_ldexp_f32 v0, v0, v1
	v_bfe_u32 v1, v0, 16, 1
	s_delay_alu instid0(VALU_DEP_1)
	v_add3_u32 v0, v0, v1, 0x7fff
	global_store_d16_hi_b16 v[6:7], v0, off
.LBB70_1526:
	s_mov_b32 s21, 0
.LBB70_1527:
	s_delay_alu instid0(SALU_CYCLE_1)
	s_and_b32 vcc_lo, exec_lo, s21
	s_mov_b32 s21, 0
	s_cbranch_vccz .LBB70_1530
; %bb.1528:
	s_cmp_lg_u32 s19, 11
	s_mov_b32 s21, -1
	s_cselect_b32 s19, -1, 0
	s_and_not1_b32 s0, s0, exec_lo
	s_and_b32 s19, s19, exec_lo
	s_delay_alu instid0(SALU_CYCLE_1)
	s_or_b32 s0, s0, s19
	s_branch .LBB70_1530
.LBB70_1529:
	s_mov_b32 s21, 0
.LBB70_1530:
	s_and_not1_b32 s15, s15, exec_lo
	s_and_b32 s19, s0, exec_lo
	s_and_b32 s20, s20, exec_lo
	;; [unrolled: 1-line block ×3, first 2 shown]
	s_or_b32 s15, s15, s19
	s_wait_xcnt 0x0
	s_or_b32 exec_lo, exec_lo, s17
	s_and_saveexec_b32 s17, s15
	s_cbranch_execz .LBB70_1445
.LBB70_1531:
	s_or_b32 s16, s16, exec_lo
	s_and_not1_b32 s0, s0, exec_lo
	s_trap 2
	s_or_b32 exec_lo, exec_lo, s17
	s_and_saveexec_b32 s15, s0
	s_delay_alu instid0(SALU_CYCLE_1)
	s_xor_b32 s0, exec_lo, s15
	s_cbranch_execnz .LBB70_1446
.LBB70_1532:
	s_or_b32 exec_lo, exec_lo, s0
	s_and_saveexec_b32 s0, s20
	s_delay_alu instid0(SALU_CYCLE_1)
	s_xor_b32 s0, exec_lo, s0
	s_cbranch_execz .LBB70_1570
.LBB70_1533:
	s_sext_i32_i16 s17, s18
	s_mov_b32 s15, -1
	s_cmp_lt_i32 s17, 5
	s_cbranch_scc1 .LBB70_1554
; %bb.1534:
	s_cmp_lt_i32 s17, 8
	s_cbranch_scc1 .LBB70_1544
; %bb.1535:
	;; [unrolled: 3-line block ×3, first 2 shown]
	s_cmp_gt_i32 s17, 9
	s_cbranch_scc0 .LBB70_1538
; %bb.1537:
	s_wait_loadcnt 0x0
	v_cvt_f64_u32_e32 v[0:1], v5
	v_cvt_f64_u32_e32 v[2:3], v4
	s_mov_b32 s15, 0
	s_delay_alu instid0(VALU_DEP_2) | instskip(NEXT) | instid1(VALU_DEP_1)
	v_ldexp_f64 v[0:1], v[0:1], 32
	v_dual_add_f64 v[0:1], v[0:1], v[2:3] :: v_dual_mov_b32 v2, 0
	s_delay_alu instid0(VALU_DEP_1)
	v_mov_b32_e32 v3, v2
	global_store_b128 v[6:7], v[0:3], off
.LBB70_1538:
	s_and_not1_b32 vcc_lo, exec_lo, s15
	s_cbranch_vccnz .LBB70_1540
; %bb.1539:
	s_wait_loadcnt 0x0
	v_clz_i32_u32_e32 v0, v5
	s_delay_alu instid0(VALU_DEP_1) | instskip(NEXT) | instid1(VALU_DEP_1)
	v_min_u32_e32 v2, 32, v0
	v_lshlrev_b64_e32 v[0:1], v2, v[4:5]
	s_delay_alu instid0(VALU_DEP_1) | instskip(NEXT) | instid1(VALU_DEP_1)
	v_min_u32_e32 v0, 1, v0
	v_dual_sub_nc_u32 v1, 32, v2 :: v_dual_bitop2_b32 v0, v1, v0 bitop3:0x54
	s_delay_alu instid0(VALU_DEP_1) | instskip(NEXT) | instid1(VALU_DEP_1)
	v_cvt_f32_u32_e32 v0, v0
	v_ldexp_f32 v0, v0, v1
	v_mov_b32_e32 v1, 0
	global_store_b64 v[6:7], v[0:1], off
.LBB70_1540:
	s_mov_b32 s15, 0
.LBB70_1541:
	s_delay_alu instid0(SALU_CYCLE_1)
	s_and_not1_b32 vcc_lo, exec_lo, s15
	s_cbranch_vccnz .LBB70_1543
; %bb.1542:
	s_wait_loadcnt 0x0
	v_clz_i32_u32_e32 v0, v5
	s_delay_alu instid0(VALU_DEP_1) | instskip(NEXT) | instid1(VALU_DEP_1)
	v_min_u32_e32 v2, 32, v0
	v_lshlrev_b64_e32 v[0:1], v2, v[4:5]
	s_delay_alu instid0(VALU_DEP_1) | instskip(NEXT) | instid1(VALU_DEP_1)
	v_min_u32_e32 v0, 1, v0
	v_dual_sub_nc_u32 v1, 32, v2 :: v_dual_bitop2_b32 v0, v1, v0 bitop3:0x54
	s_delay_alu instid0(VALU_DEP_1) | instskip(NEXT) | instid1(VALU_DEP_1)
	v_cvt_f32_u32_e32 v0, v0
	v_ldexp_f32 v0, v0, v1
	s_delay_alu instid0(VALU_DEP_1) | instskip(NEXT) | instid1(VALU_DEP_1)
	v_cvt_f16_f32_e32 v0, v0
	v_and_b32_e32 v0, 0xffff, v0
	global_store_b32 v[6:7], v0, off
.LBB70_1543:
	s_mov_b32 s15, 0
.LBB70_1544:
	s_delay_alu instid0(SALU_CYCLE_1)
	s_and_not1_b32 vcc_lo, exec_lo, s15
	s_cbranch_vccnz .LBB70_1553
; %bb.1545:
	s_sext_i32_i16 s17, s18
	s_mov_b32 s15, -1
	s_cmp_lt_i32 s17, 6
	s_cbranch_scc1 .LBB70_1551
; %bb.1546:
	s_cmp_gt_i32 s17, 6
	s_cbranch_scc0 .LBB70_1548
; %bb.1547:
	s_wait_loadcnt 0x0
	v_cvt_f64_u32_e32 v[0:1], v5
	v_cvt_f64_u32_e32 v[2:3], v4
	s_mov_b32 s15, 0
	s_delay_alu instid0(VALU_DEP_2) | instskip(NEXT) | instid1(VALU_DEP_1)
	v_ldexp_f64 v[0:1], v[0:1], 32
	v_add_f64_e32 v[0:1], v[0:1], v[2:3]
	global_store_b64 v[6:7], v[0:1], off
.LBB70_1548:
	s_and_not1_b32 vcc_lo, exec_lo, s15
	s_cbranch_vccnz .LBB70_1550
; %bb.1549:
	s_wait_loadcnt 0x0
	v_clz_i32_u32_e32 v0, v5
	s_delay_alu instid0(VALU_DEP_1) | instskip(NEXT) | instid1(VALU_DEP_1)
	v_min_u32_e32 v2, 32, v0
	v_lshlrev_b64_e32 v[0:1], v2, v[4:5]
	s_delay_alu instid0(VALU_DEP_1) | instskip(NEXT) | instid1(VALU_DEP_1)
	v_min_u32_e32 v0, 1, v0
	v_dual_sub_nc_u32 v1, 32, v2 :: v_dual_bitop2_b32 v0, v1, v0 bitop3:0x54
	s_delay_alu instid0(VALU_DEP_1) | instskip(NEXT) | instid1(VALU_DEP_1)
	v_cvt_f32_u32_e32 v0, v0
	v_ldexp_f32 v0, v0, v1
	global_store_b32 v[6:7], v0, off
.LBB70_1550:
	s_mov_b32 s15, 0
.LBB70_1551:
	s_delay_alu instid0(SALU_CYCLE_1)
	s_and_not1_b32 vcc_lo, exec_lo, s15
	s_cbranch_vccnz .LBB70_1553
; %bb.1552:
	s_wait_loadcnt 0x0
	v_clz_i32_u32_e32 v0, v5
	s_delay_alu instid0(VALU_DEP_1) | instskip(NEXT) | instid1(VALU_DEP_1)
	v_min_u32_e32 v2, 32, v0
	v_lshlrev_b64_e32 v[0:1], v2, v[4:5]
	s_delay_alu instid0(VALU_DEP_1) | instskip(NEXT) | instid1(VALU_DEP_1)
	v_min_u32_e32 v0, 1, v0
	v_dual_sub_nc_u32 v1, 32, v2 :: v_dual_bitop2_b32 v0, v1, v0 bitop3:0x54
	s_delay_alu instid0(VALU_DEP_1) | instskip(NEXT) | instid1(VALU_DEP_1)
	v_cvt_f32_u32_e32 v0, v0
	v_ldexp_f32 v0, v0, v1
	s_delay_alu instid0(VALU_DEP_1)
	v_cvt_f16_f32_e32 v0, v0
	global_store_b16 v[6:7], v0, off
.LBB70_1553:
	s_mov_b32 s15, 0
.LBB70_1554:
	s_delay_alu instid0(SALU_CYCLE_1)
	s_and_not1_b32 vcc_lo, exec_lo, s15
	s_cbranch_vccnz .LBB70_1570
; %bb.1555:
	s_sext_i32_i16 s17, s18
	s_mov_b32 s15, -1
	s_cmp_lt_i32 s17, 2
	s_cbranch_scc1 .LBB70_1565
; %bb.1556:
	s_cmp_lt_i32 s17, 3
	s_cbranch_scc1 .LBB70_1562
; %bb.1557:
	s_cmp_gt_i32 s17, 3
	s_cbranch_scc0 .LBB70_1559
; %bb.1558:
	s_mov_b32 s15, 0
	global_store_b64 v[6:7], v[4:5], off
.LBB70_1559:
	s_and_not1_b32 vcc_lo, exec_lo, s15
	s_cbranch_vccnz .LBB70_1561
; %bb.1560:
	global_store_b32 v[6:7], v4, off
.LBB70_1561:
	s_mov_b32 s15, 0
.LBB70_1562:
	s_delay_alu instid0(SALU_CYCLE_1)
	s_and_not1_b32 vcc_lo, exec_lo, s15
	s_cbranch_vccnz .LBB70_1564
; %bb.1563:
	global_store_b16 v[6:7], v4, off
.LBB70_1564:
	s_mov_b32 s15, 0
.LBB70_1565:
	s_delay_alu instid0(SALU_CYCLE_1)
	s_and_not1_b32 vcc_lo, exec_lo, s15
	s_cbranch_vccnz .LBB70_1570
; %bb.1566:
	s_sext_i32_i16 s15, s18
	s_delay_alu instid0(SALU_CYCLE_1)
	s_cmp_gt_i32 s15, 0
	s_mov_b32 s15, -1
	s_cbranch_scc0 .LBB70_1568
; %bb.1567:
	s_mov_b32 s15, 0
	global_store_b8 v[6:7], v4, off
.LBB70_1568:
	s_and_not1_b32 vcc_lo, exec_lo, s15
	s_cbranch_vccnz .LBB70_1570
; %bb.1569:
	global_store_b8 v[6:7], v4, off
.LBB70_1570:
	s_wait_xcnt 0x0
	s_or_b32 exec_lo, exec_lo, s0
	s_delay_alu instid0(SALU_CYCLE_1)
	s_and_b32 s15, s16, exec_lo
                                        ; implicit-def: $vgpr20
.LBB70_1571:
	s_or_saveexec_b32 s14, s14
	s_mov_b32 s0, 0
                                        ; implicit-def: $sgpr16
                                        ; implicit-def: $vgpr0_vgpr1
                                        ; implicit-def: $vgpr6_vgpr7
	s_xor_b32 exec_lo, exec_lo, s14
	s_cbranch_execz .LBB70_2627
; %bb.1572:
	s_wait_loadcnt 0x0
	v_mul_lo_u32 v2, s9, v20
	s_and_b32 s13, s13, 0xff
	s_delay_alu instid0(SALU_CYCLE_1) | instskip(NEXT) | instid1(VALU_DEP_1)
	s_cmp_lt_i32 s13, 11
	v_ashrrev_i32_e32 v3, 31, v2
	s_delay_alu instid0(VALU_DEP_1)
	v_add_nc_u64_e32 v[0:1], s[6:7], v[2:3]
	s_cbranch_scc1 .LBB70_1579
; %bb.1573:
	s_and_b32 s0, 0xffff, s13
	s_mov_b32 s16, 0
	s_cmp_gt_i32 s0, 25
	s_cbranch_scc0 .LBB70_1581
; %bb.1574:
	s_cmp_gt_i32 s0, 28
	s_cbranch_scc0 .LBB70_1582
; %bb.1575:
	;; [unrolled: 3-line block ×4, first 2 shown]
	s_cmp_eq_u32 s0, 46
	s_mov_b32 s18, 0
	s_cbranch_scc0 .LBB70_1587
; %bb.1578:
	global_load_b32 v3, v[0:1], off
	s_mov_b32 s12, 0
	s_mov_b32 s17, -1
	s_wait_loadcnt 0x0
	v_lshlrev_b32_e32 v3, 16, v3
	s_delay_alu instid0(VALU_DEP_1) | instskip(NEXT) | instid1(VALU_DEP_1)
	v_trunc_f32_e32 v3, v3
	v_mul_f32_e64 v4, 0x2f800000, |v3|
	s_delay_alu instid0(VALU_DEP_1) | instskip(SKIP_1) | instid1(VALU_DEP_2)
	v_floor_f32_e32 v5, v4
	v_ashrrev_i32_e32 v4, 31, v3
	v_fma_f32 v6, 0xcf800000, v5, |v3|
	v_cvt_u32_f32_e32 v3, v5
	s_delay_alu instid0(VALU_DEP_3) | instskip(NEXT) | instid1(VALU_DEP_3)
	v_mov_b32_e32 v5, v4
	v_cvt_u32_f32_e32 v6, v6
	s_delay_alu instid0(VALU_DEP_3) | instskip(NEXT) | instid1(VALU_DEP_2)
	v_xor_b32_e32 v7, v3, v4
	v_xor_b32_e32 v6, v6, v4
	s_delay_alu instid0(VALU_DEP_1)
	v_sub_nc_u64_e32 v[6:7], v[6:7], v[4:5]
	s_branch .LBB70_1589
.LBB70_1579:
	s_mov_b32 s17, 0
	s_mov_b32 s12, s15
                                        ; implicit-def: $vgpr6_vgpr7
	s_cbranch_execnz .LBB70_1647
.LBB70_1580:
	s_and_not1_b32 vcc_lo, exec_lo, s17
	s_cbranch_vccz .LBB70_1692
	s_branch .LBB70_2625
.LBB70_1581:
	s_mov_b32 s17, 0
	s_mov_b32 s12, 0
                                        ; implicit-def: $vgpr6_vgpr7
	s_cbranch_execnz .LBB70_1614
	s_branch .LBB70_1643
.LBB70_1582:
	s_mov_b32 s17, 0
	s_mov_b32 s12, 0
                                        ; implicit-def: $vgpr6_vgpr7
	s_cbranch_execz .LBB70_1613
	s_branch .LBB70_1598
.LBB70_1583:
	s_mov_b32 s17, 0
	s_mov_b32 s12, 0
                                        ; implicit-def: $vgpr6_vgpr7
	s_cbranch_execnz .LBB70_1594
	s_branch .LBB70_1597
.LBB70_1584:
	s_mov_b32 s18, -1
	s_mov_b32 s17, 0
	s_mov_b32 s12, 0
	s_branch .LBB70_1588
.LBB70_1585:
	s_and_not1_saveexec_b32 s22, s22
	s_cbranch_execz .LBB70_1484
.LBB70_1586:
	v_add_f32_e32 v0, 0x46000000, v1
	s_and_not1_b32 s21, s21, exec_lo
	s_delay_alu instid0(VALU_DEP_1) | instskip(NEXT) | instid1(VALU_DEP_1)
	v_and_b32_e32 v0, 0xff, v0
	v_cmp_ne_u32_e32 vcc_lo, 0, v0
	s_and_b32 s23, vcc_lo, exec_lo
	s_delay_alu instid0(SALU_CYCLE_1)
	s_or_b32 s21, s21, s23
	s_or_b32 exec_lo, exec_lo, s22
	v_mov_b32_e32 v2, 0
	s_and_saveexec_b32 s22, s21
	s_cbranch_execnz .LBB70_1485
	s_branch .LBB70_1486
.LBB70_1587:
	s_mov_b32 s12, -1
	s_mov_b32 s17, 0
.LBB70_1588:
                                        ; implicit-def: $vgpr6_vgpr7
.LBB70_1589:
	s_and_b32 vcc_lo, exec_lo, s18
	s_cbranch_vccz .LBB70_1592
; %bb.1590:
	s_cmp_eq_u32 s0, 44
	s_cbranch_scc0 .LBB70_1593
; %bb.1591:
	global_load_u8 v3, v[0:1], off
	s_mov_b32 s12, 0
	s_mov_b32 s17, -1
	s_wait_loadcnt 0x0
	v_cmp_ne_u32_e32 vcc_lo, 0, v3
	v_lshlrev_b32_e32 v4, 23, v3
	s_delay_alu instid0(VALU_DEP_1) | instskip(NEXT) | instid1(VALU_DEP_1)
	v_trunc_f32_e32 v4, v4
	v_mul_f32_e64 v5, 0x2f800000, |v4|
	s_delay_alu instid0(VALU_DEP_1) | instskip(NEXT) | instid1(VALU_DEP_1)
	v_floor_f32_e32 v5, v5
	v_fma_f32 v6, 0xcf800000, v5, |v4|
	v_ashrrev_i32_e32 v4, 31, v4
	v_cvt_u32_f32_e32 v7, v5
	s_delay_alu instid0(VALU_DEP_3) | instskip(NEXT) | instid1(VALU_DEP_2)
	v_cvt_u32_f32_e32 v6, v6
	v_dual_mov_b32 v5, v4 :: v_dual_bitop2_b32 v7, v7, v4 bitop3:0x14
	s_delay_alu instid0(VALU_DEP_2) | instskip(NEXT) | instid1(VALU_DEP_1)
	v_xor_b32_e32 v6, v6, v4
	v_sub_nc_u64_e32 v[4:5], v[6:7], v[4:5]
	s_delay_alu instid0(VALU_DEP_1)
	v_dual_cndmask_b32 v7, 0, v5 :: v_dual_cndmask_b32 v6, 0, v4
.LBB70_1592:
	s_branch .LBB70_1597
.LBB70_1593:
	s_mov_b32 s12, -1
                                        ; implicit-def: $vgpr6_vgpr7
	s_branch .LBB70_1597
.LBB70_1594:
	s_cmp_eq_u32 s0, 29
	s_cbranch_scc0 .LBB70_1596
; %bb.1595:
	global_load_b64 v[6:7], v[0:1], off
	s_mov_b32 s12, 0
	s_mov_b32 s17, -1
	s_branch .LBB70_1597
.LBB70_1596:
	s_mov_b32 s12, -1
                                        ; implicit-def: $vgpr6_vgpr7
.LBB70_1597:
	s_branch .LBB70_1613
.LBB70_1598:
	s_cmp_lt_i32 s0, 27
	s_cbranch_scc1 .LBB70_1601
; %bb.1599:
	s_cmp_gt_i32 s0, 27
	s_cbranch_scc0 .LBB70_1602
; %bb.1600:
	s_wait_loadcnt 0x0
	global_load_b32 v6, v[0:1], off
	v_mov_b32_e32 v7, 0
	s_mov_b32 s17, 0
	s_branch .LBB70_1603
.LBB70_1601:
	s_mov_b32 s17, -1
                                        ; implicit-def: $vgpr6_vgpr7
	s_branch .LBB70_1606
.LBB70_1602:
	s_mov_b32 s17, -1
                                        ; implicit-def: $vgpr6_vgpr7
.LBB70_1603:
	s_delay_alu instid0(SALU_CYCLE_1)
	s_and_not1_b32 vcc_lo, exec_lo, s17
	s_cbranch_vccnz .LBB70_1605
; %bb.1604:
	global_load_u16 v3, v[0:1], off
	s_mov_b32 s17, 0
	s_wait_loadcnt 0x1
	v_mov_b32_e32 v7, s17
	s_wait_loadcnt 0x0
	v_and_b32_e32 v6, 0xffff, v3
.LBB70_1605:
	s_mov_b32 s17, 0
.LBB70_1606:
	s_delay_alu instid0(SALU_CYCLE_1)
	s_and_not1_b32 vcc_lo, exec_lo, s17
	s_cbranch_vccnz .LBB70_1612
; %bb.1607:
	global_load_u8 v3, v[0:1], off
	s_mov_b32 s18, 0
	s_mov_b32 s17, exec_lo
	s_wait_loadcnt 0x0
	v_cmpx_lt_i16_e32 0x7f, v3
	s_xor_b32 s17, exec_lo, s17
	s_cbranch_execz .LBB70_1623
; %bb.1608:
	v_cmp_ne_u16_e32 vcc_lo, 0x80, v3
	s_and_b32 s18, vcc_lo, exec_lo
	s_and_not1_saveexec_b32 s17, s17
	s_cbranch_execnz .LBB70_1624
.LBB70_1609:
	s_or_b32 exec_lo, exec_lo, s17
	v_mov_b64_e32 v[6:7], 0
	s_and_saveexec_b32 s17, s18
	s_cbranch_execz .LBB70_1611
.LBB70_1610:
	v_and_b32_e32 v4, 0xffff, v3
	s_delay_alu instid0(VALU_DEP_1) | instskip(SKIP_1) | instid1(VALU_DEP_2)
	v_and_b32_e32 v5, 7, v4
	v_bfe_u32 v8, v4, 3, 4
	v_clz_i32_u32_e32 v6, v5
	s_delay_alu instid0(VALU_DEP_2) | instskip(NEXT) | instid1(VALU_DEP_2)
	v_cmp_eq_u32_e32 vcc_lo, 0, v8
	v_min_u32_e32 v6, 32, v6
	s_delay_alu instid0(VALU_DEP_1) | instskip(NEXT) | instid1(VALU_DEP_1)
	v_subrev_nc_u32_e32 v7, 28, v6
	v_dual_lshlrev_b32 v4, v7, v4 :: v_dual_sub_nc_u32 v6, 29, v6
	s_delay_alu instid0(VALU_DEP_1) | instskip(NEXT) | instid1(VALU_DEP_1)
	v_dual_lshlrev_b32 v3, 24, v3 :: v_dual_bitop2_b32 v4, 7, v4 bitop3:0x40
	v_dual_cndmask_b32 v6, v8, v6, vcc_lo :: v_dual_cndmask_b32 v4, v5, v4, vcc_lo
	s_delay_alu instid0(VALU_DEP_2) | instskip(NEXT) | instid1(VALU_DEP_2)
	v_and_b32_e32 v3, 0x80000000, v3
	v_lshl_add_u32 v5, v6, 23, 0x3b800000
	s_delay_alu instid0(VALU_DEP_3) | instskip(NEXT) | instid1(VALU_DEP_1)
	v_lshlrev_b32_e32 v4, 20, v4
	v_or3_b32 v3, v3, v5, v4
	s_delay_alu instid0(VALU_DEP_1) | instskip(NEXT) | instid1(VALU_DEP_1)
	v_trunc_f32_e32 v3, v3
	v_mul_f32_e64 v4, 0x2f800000, |v3|
	s_delay_alu instid0(VALU_DEP_1) | instskip(SKIP_1) | instid1(VALU_DEP_2)
	v_floor_f32_e32 v5, v4
	v_ashrrev_i32_e32 v4, 31, v3
	v_fma_f32 v6, 0xcf800000, v5, |v3|
	v_cvt_u32_f32_e32 v3, v5
	s_delay_alu instid0(VALU_DEP_3) | instskip(NEXT) | instid1(VALU_DEP_3)
	v_mov_b32_e32 v5, v4
	v_cvt_u32_f32_e32 v6, v6
	s_delay_alu instid0(VALU_DEP_3) | instskip(NEXT) | instid1(VALU_DEP_2)
	v_xor_b32_e32 v7, v3, v4
	v_xor_b32_e32 v6, v6, v4
	s_delay_alu instid0(VALU_DEP_1)
	v_sub_nc_u64_e32 v[6:7], v[6:7], v[4:5]
.LBB70_1611:
	s_or_b32 exec_lo, exec_lo, s17
.LBB70_1612:
	s_mov_b32 s17, -1
.LBB70_1613:
	s_branch .LBB70_1643
.LBB70_1614:
	s_cmp_gt_i32 s0, 22
	s_cbranch_scc0 .LBB70_1622
; %bb.1615:
	s_cmp_lt_i32 s0, 24
	s_cbranch_scc1 .LBB70_1625
; %bb.1616:
	s_cmp_gt_i32 s0, 24
	s_cbranch_scc0 .LBB70_1626
; %bb.1617:
	global_load_u8 v3, v[0:1], off
	s_mov_b32 s17, 0
	s_mov_b32 s16, exec_lo
	s_wait_loadcnt 0x0
	v_cmpx_lt_i16_e32 0x7f, v3
	s_xor_b32 s16, exec_lo, s16
	s_cbranch_execz .LBB70_1637
; %bb.1618:
	v_cmp_ne_u16_e32 vcc_lo, 0x80, v3
	s_and_b32 s17, vcc_lo, exec_lo
	s_and_not1_saveexec_b32 s16, s16
	s_cbranch_execnz .LBB70_1638
.LBB70_1619:
	s_or_b32 exec_lo, exec_lo, s16
	v_mov_b64_e32 v[6:7], 0
	s_and_saveexec_b32 s16, s17
	s_cbranch_execz .LBB70_1621
.LBB70_1620:
	v_and_b32_e32 v4, 0xffff, v3
	s_delay_alu instid0(VALU_DEP_1) | instskip(SKIP_1) | instid1(VALU_DEP_2)
	v_and_b32_e32 v5, 3, v4
	v_bfe_u32 v8, v4, 2, 5
	v_clz_i32_u32_e32 v6, v5
	s_delay_alu instid0(VALU_DEP_2) | instskip(NEXT) | instid1(VALU_DEP_2)
	v_cmp_eq_u32_e32 vcc_lo, 0, v8
	v_min_u32_e32 v6, 32, v6
	s_delay_alu instid0(VALU_DEP_1) | instskip(NEXT) | instid1(VALU_DEP_1)
	v_subrev_nc_u32_e32 v7, 29, v6
	v_dual_lshlrev_b32 v4, v7, v4 :: v_dual_sub_nc_u32 v6, 30, v6
	s_delay_alu instid0(VALU_DEP_1) | instskip(NEXT) | instid1(VALU_DEP_1)
	v_dual_lshlrev_b32 v3, 24, v3 :: v_dual_bitop2_b32 v4, 3, v4 bitop3:0x40
	v_dual_cndmask_b32 v6, v8, v6, vcc_lo :: v_dual_cndmask_b32 v4, v5, v4, vcc_lo
	s_delay_alu instid0(VALU_DEP_2) | instskip(NEXT) | instid1(VALU_DEP_2)
	v_and_b32_e32 v3, 0x80000000, v3
	v_lshl_add_u32 v5, v6, 23, 0x37800000
	s_delay_alu instid0(VALU_DEP_3) | instskip(NEXT) | instid1(VALU_DEP_1)
	v_lshlrev_b32_e32 v4, 21, v4
	v_or3_b32 v3, v3, v5, v4
	s_delay_alu instid0(VALU_DEP_1) | instskip(NEXT) | instid1(VALU_DEP_1)
	v_trunc_f32_e32 v3, v3
	v_mul_f32_e64 v4, 0x2f800000, |v3|
	s_delay_alu instid0(VALU_DEP_1) | instskip(SKIP_1) | instid1(VALU_DEP_2)
	v_floor_f32_e32 v5, v4
	v_ashrrev_i32_e32 v4, 31, v3
	v_fma_f32 v6, 0xcf800000, v5, |v3|
	v_cvt_u32_f32_e32 v3, v5
	s_delay_alu instid0(VALU_DEP_3) | instskip(NEXT) | instid1(VALU_DEP_3)
	v_mov_b32_e32 v5, v4
	v_cvt_u32_f32_e32 v6, v6
	s_delay_alu instid0(VALU_DEP_3) | instskip(NEXT) | instid1(VALU_DEP_2)
	v_xor_b32_e32 v7, v3, v4
	v_xor_b32_e32 v6, v6, v4
	s_delay_alu instid0(VALU_DEP_1)
	v_sub_nc_u64_e32 v[6:7], v[6:7], v[4:5]
.LBB70_1621:
	s_or_b32 exec_lo, exec_lo, s16
	s_mov_b32 s16, 0
	s_branch .LBB70_1627
.LBB70_1622:
                                        ; implicit-def: $vgpr6_vgpr7
	s_mov_b32 s16, 0
	s_branch .LBB70_1633
.LBB70_1623:
	s_and_not1_saveexec_b32 s17, s17
	s_cbranch_execz .LBB70_1609
.LBB70_1624:
	v_cmp_ne_u16_e32 vcc_lo, 0, v3
	s_and_not1_b32 s18, s18, exec_lo
	s_and_b32 s19, vcc_lo, exec_lo
	s_delay_alu instid0(SALU_CYCLE_1)
	s_or_b32 s18, s18, s19
	s_or_b32 exec_lo, exec_lo, s17
	v_mov_b64_e32 v[6:7], 0
	s_and_saveexec_b32 s17, s18
	s_cbranch_execnz .LBB70_1610
	s_branch .LBB70_1611
.LBB70_1625:
	s_mov_b32 s16, -1
                                        ; implicit-def: $vgpr6_vgpr7
	s_branch .LBB70_1630
.LBB70_1626:
	s_mov_b32 s16, -1
                                        ; implicit-def: $vgpr6_vgpr7
.LBB70_1627:
	s_delay_alu instid0(SALU_CYCLE_1)
	s_and_b32 vcc_lo, exec_lo, s16
	s_cbranch_vccz .LBB70_1629
; %bb.1628:
	global_load_u8 v3, v[0:1], off
	s_wait_loadcnt 0x0
	v_lshlrev_b32_e32 v3, 24, v3
	s_delay_alu instid0(VALU_DEP_1) | instskip(NEXT) | instid1(VALU_DEP_1)
	v_and_b32_e32 v4, 0x7f000000, v3
	v_clz_i32_u32_e32 v5, v4
	v_cmp_ne_u32_e32 vcc_lo, 0, v4
	v_add_nc_u32_e32 v7, 0x1000000, v4
	s_delay_alu instid0(VALU_DEP_3) | instskip(NEXT) | instid1(VALU_DEP_1)
	v_min_u32_e32 v5, 32, v5
	v_sub_nc_u32_e64 v5, v5, 4 clamp
	s_delay_alu instid0(VALU_DEP_1) | instskip(NEXT) | instid1(VALU_DEP_1)
	v_dual_lshlrev_b32 v6, v5, v4 :: v_dual_lshlrev_b32 v5, 23, v5
	v_lshrrev_b32_e32 v6, 4, v6
	s_delay_alu instid0(VALU_DEP_1) | instskip(NEXT) | instid1(VALU_DEP_1)
	v_dual_sub_nc_u32 v5, v6, v5 :: v_dual_ashrrev_i32 v6, 8, v7
	v_add_nc_u32_e32 v5, 0x3c000000, v5
	s_delay_alu instid0(VALU_DEP_1) | instskip(NEXT) | instid1(VALU_DEP_1)
	v_and_or_b32 v5, 0x7f800000, v6, v5
	v_cndmask_b32_e32 v4, 0, v5, vcc_lo
	s_delay_alu instid0(VALU_DEP_1) | instskip(NEXT) | instid1(VALU_DEP_1)
	v_and_or_b32 v3, 0x80000000, v3, v4
	v_trunc_f32_e32 v3, v3
	s_delay_alu instid0(VALU_DEP_1) | instskip(NEXT) | instid1(VALU_DEP_1)
	v_mul_f32_e64 v4, 0x2f800000, |v3|
	v_floor_f32_e32 v5, v4
	v_ashrrev_i32_e32 v4, 31, v3
	s_delay_alu instid0(VALU_DEP_2) | instskip(SKIP_1) | instid1(VALU_DEP_3)
	v_fma_f32 v6, 0xcf800000, v5, |v3|
	v_cvt_u32_f32_e32 v3, v5
	v_mov_b32_e32 v5, v4
	s_delay_alu instid0(VALU_DEP_3) | instskip(NEXT) | instid1(VALU_DEP_3)
	v_cvt_u32_f32_e32 v6, v6
	v_xor_b32_e32 v7, v3, v4
	s_delay_alu instid0(VALU_DEP_2) | instskip(NEXT) | instid1(VALU_DEP_1)
	v_xor_b32_e32 v6, v6, v4
	v_sub_nc_u64_e32 v[6:7], v[6:7], v[4:5]
.LBB70_1629:
	s_mov_b32 s16, 0
.LBB70_1630:
	s_delay_alu instid0(SALU_CYCLE_1)
	s_and_not1_b32 vcc_lo, exec_lo, s16
	s_cbranch_vccnz .LBB70_1632
; %bb.1631:
	global_load_u8 v3, v[0:1], off
	s_wait_loadcnt 0x0
	v_lshlrev_b32_e32 v4, 25, v3
	v_lshlrev_b16 v3, 8, v3
	s_delay_alu instid0(VALU_DEP_1) | instskip(SKIP_1) | instid1(VALU_DEP_2)
	v_and_or_b32 v6, 0x7f00, v3, 0.5
	v_bfe_i32 v3, v3, 0, 16
	v_dual_add_f32 v6, -0.5, v6 :: v_dual_lshrrev_b32 v5, 4, v4
	v_cmp_gt_u32_e32 vcc_lo, 0x8000000, v4
	s_delay_alu instid0(VALU_DEP_2) | instskip(NEXT) | instid1(VALU_DEP_1)
	v_or_b32_e32 v5, 0x70000000, v5
	v_mul_f32_e32 v5, 0x7800000, v5
	s_delay_alu instid0(VALU_DEP_1) | instskip(NEXT) | instid1(VALU_DEP_1)
	v_cndmask_b32_e32 v4, v5, v6, vcc_lo
	v_and_or_b32 v3, 0x80000000, v3, v4
	s_delay_alu instid0(VALU_DEP_1) | instskip(NEXT) | instid1(VALU_DEP_1)
	v_trunc_f32_e32 v3, v3
	v_mul_f32_e64 v4, 0x2f800000, |v3|
	s_delay_alu instid0(VALU_DEP_1) | instskip(SKIP_1) | instid1(VALU_DEP_2)
	v_floor_f32_e32 v5, v4
	v_ashrrev_i32_e32 v4, 31, v3
	v_fma_f32 v6, 0xcf800000, v5, |v3|
	v_cvt_u32_f32_e32 v3, v5
	s_delay_alu instid0(VALU_DEP_3) | instskip(NEXT) | instid1(VALU_DEP_3)
	v_mov_b32_e32 v5, v4
	v_cvt_u32_f32_e32 v6, v6
	s_delay_alu instid0(VALU_DEP_3) | instskip(NEXT) | instid1(VALU_DEP_2)
	v_xor_b32_e32 v7, v3, v4
	v_xor_b32_e32 v6, v6, v4
	s_delay_alu instid0(VALU_DEP_1)
	v_sub_nc_u64_e32 v[6:7], v[6:7], v[4:5]
.LBB70_1632:
	s_mov_b32 s17, -1
	s_mov_b32 s16, 0
	s_cbranch_execnz .LBB70_1643
.LBB70_1633:
	s_cmp_gt_i32 s0, 14
	s_cbranch_scc0 .LBB70_1636
; %bb.1634:
	s_cmp_eq_u32 s0, 15
	s_cbranch_scc0 .LBB70_1639
; %bb.1635:
	global_load_u16 v3, v[0:1], off
	s_mov_b32 s12, 0
	s_mov_b32 s17, -1
	s_wait_loadcnt 0x0
	v_lshlrev_b32_e32 v3, 16, v3
	s_delay_alu instid0(VALU_DEP_1) | instskip(NEXT) | instid1(VALU_DEP_1)
	v_trunc_f32_e32 v3, v3
	v_mul_f32_e64 v4, 0x2f800000, |v3|
	s_delay_alu instid0(VALU_DEP_1) | instskip(SKIP_1) | instid1(VALU_DEP_2)
	v_floor_f32_e32 v5, v4
	v_ashrrev_i32_e32 v4, 31, v3
	v_fma_f32 v6, 0xcf800000, v5, |v3|
	v_cvt_u32_f32_e32 v3, v5
	s_delay_alu instid0(VALU_DEP_3) | instskip(NEXT) | instid1(VALU_DEP_3)
	v_mov_b32_e32 v5, v4
	v_cvt_u32_f32_e32 v6, v6
	s_delay_alu instid0(VALU_DEP_3) | instskip(NEXT) | instid1(VALU_DEP_2)
	v_xor_b32_e32 v7, v3, v4
	v_xor_b32_e32 v6, v6, v4
	s_delay_alu instid0(VALU_DEP_1)
	v_sub_nc_u64_e32 v[6:7], v[6:7], v[4:5]
	s_branch .LBB70_1641
.LBB70_1636:
	s_mov_b32 s16, -1
	s_branch .LBB70_1640
.LBB70_1637:
	s_and_not1_saveexec_b32 s16, s16
	s_cbranch_execz .LBB70_1619
.LBB70_1638:
	v_cmp_ne_u16_e32 vcc_lo, 0, v3
	s_and_not1_b32 s17, s17, exec_lo
	s_and_b32 s18, vcc_lo, exec_lo
	s_delay_alu instid0(SALU_CYCLE_1)
	s_or_b32 s17, s17, s18
	s_or_b32 exec_lo, exec_lo, s16
	v_mov_b64_e32 v[6:7], 0
	s_and_saveexec_b32 s16, s17
	s_cbranch_execnz .LBB70_1620
	s_branch .LBB70_1621
.LBB70_1639:
	s_mov_b32 s12, -1
.LBB70_1640:
                                        ; implicit-def: $vgpr6_vgpr7
.LBB70_1641:
	s_and_b32 vcc_lo, exec_lo, s16
	s_mov_b32 s16, 0
	s_cbranch_vccz .LBB70_1643
; %bb.1642:
	s_cmp_lg_u32 s0, 11
	s_mov_b32 s16, -1
	s_cselect_b32 s12, -1, 0
.LBB70_1643:
	s_delay_alu instid0(SALU_CYCLE_1)
	s_and_b32 vcc_lo, exec_lo, s12
	s_mov_b32 s12, s15
	s_cbranch_vccnz .LBB70_1704
; %bb.1644:
	s_and_not1_b32 vcc_lo, exec_lo, s16
	s_cbranch_vccnz .LBB70_1646
.LBB70_1645:
	global_load_u8 v3, v[0:1], off
	s_mov_b32 s0, 0
	s_mov_b32 s17, -1
	s_wait_loadcnt 0x1
	v_mov_b32_e32 v7, s0
	s_wait_loadcnt 0x0
	v_cmp_ne_u16_e32 vcc_lo, 0, v3
	v_cndmask_b32_e64 v6, 0, 1, vcc_lo
.LBB70_1646:
	s_branch .LBB70_1580
.LBB70_1647:
	s_and_b32 s0, 0xffff, s13
	s_delay_alu instid0(SALU_CYCLE_1)
	s_cmp_lt_i32 s0, 5
	s_cbranch_scc1 .LBB70_1652
; %bb.1648:
	s_cmp_lt_i32 s0, 8
	s_cbranch_scc1 .LBB70_1653
; %bb.1649:
	;; [unrolled: 3-line block ×3, first 2 shown]
	s_cmp_gt_i32 s0, 9
	s_cbranch_scc0 .LBB70_1655
; %bb.1651:
	global_load_b64 v[4:5], v[0:1], off
	s_mov_b32 s16, 0
	s_wait_loadcnt 0x0
	v_trunc_f64_e32 v[4:5], v[4:5]
	s_delay_alu instid0(VALU_DEP_1) | instskip(NEXT) | instid1(VALU_DEP_1)
	v_ldexp_f64 v[6:7], v[4:5], 0xffffffe0
	v_floor_f64_e32 v[6:7], v[6:7]
	s_delay_alu instid0(VALU_DEP_1) | instskip(SKIP_1) | instid1(VALU_DEP_2)
	v_fmamk_f64 v[4:5], v[6:7], 0xc1f00000, v[4:5]
	v_cvt_i32_f64_e32 v7, v[6:7]
	v_cvt_u32_f64_e32 v6, v[4:5]
	s_branch .LBB70_1656
.LBB70_1652:
                                        ; implicit-def: $vgpr6_vgpr7
	s_branch .LBB70_1673
.LBB70_1653:
                                        ; implicit-def: $vgpr6_vgpr7
	s_branch .LBB70_1662
.LBB70_1654:
	s_mov_b32 s16, -1
                                        ; implicit-def: $vgpr6_vgpr7
	s_branch .LBB70_1659
.LBB70_1655:
	s_mov_b32 s16, -1
                                        ; implicit-def: $vgpr6_vgpr7
.LBB70_1656:
	s_delay_alu instid0(SALU_CYCLE_1)
	s_and_not1_b32 vcc_lo, exec_lo, s16
	s_cbranch_vccnz .LBB70_1658
; %bb.1657:
	global_load_b32 v3, v[0:1], off
	s_wait_loadcnt 0x0
	v_trunc_f32_e32 v3, v3
	s_delay_alu instid0(VALU_DEP_1) | instskip(NEXT) | instid1(VALU_DEP_1)
	v_mul_f32_e64 v4, 0x2f800000, |v3|
	v_floor_f32_e32 v5, v4
	v_ashrrev_i32_e32 v4, 31, v3
	s_delay_alu instid0(VALU_DEP_2) | instskip(SKIP_1) | instid1(VALU_DEP_3)
	v_fma_f32 v6, 0xcf800000, v5, |v3|
	v_cvt_u32_f32_e32 v3, v5
	v_mov_b32_e32 v5, v4
	s_delay_alu instid0(VALU_DEP_3) | instskip(NEXT) | instid1(VALU_DEP_3)
	v_cvt_u32_f32_e32 v6, v6
	v_xor_b32_e32 v7, v3, v4
	s_delay_alu instid0(VALU_DEP_2) | instskip(NEXT) | instid1(VALU_DEP_1)
	v_xor_b32_e32 v6, v6, v4
	v_sub_nc_u64_e32 v[6:7], v[6:7], v[4:5]
.LBB70_1658:
	s_mov_b32 s16, 0
.LBB70_1659:
	s_delay_alu instid0(SALU_CYCLE_1)
	s_and_not1_b32 vcc_lo, exec_lo, s16
	s_cbranch_vccnz .LBB70_1661
; %bb.1660:
	global_load_b32 v3, v[0:1], off
	s_wait_loadcnt 0x0
	v_cvt_f32_f16_e32 v3, v3
	s_delay_alu instid0(VALU_DEP_1) | instskip(NEXT) | instid1(VALU_DEP_1)
	v_cvt_i32_f32_e32 v6, v3
	v_ashrrev_i32_e32 v7, 31, v6
.LBB70_1661:
	s_cbranch_execnz .LBB70_1672
.LBB70_1662:
	s_cmp_lt_i32 s0, 6
	s_cbranch_scc1 .LBB70_1665
; %bb.1663:
	s_cmp_gt_i32 s0, 6
	s_cbranch_scc0 .LBB70_1666
; %bb.1664:
	global_load_b64 v[4:5], v[0:1], off
	s_mov_b32 s16, 0
	s_wait_loadcnt 0x0
	v_trunc_f64_e32 v[4:5], v[4:5]
	s_delay_alu instid0(VALU_DEP_1) | instskip(NEXT) | instid1(VALU_DEP_1)
	v_ldexp_f64 v[6:7], v[4:5], 0xffffffe0
	v_floor_f64_e32 v[6:7], v[6:7]
	s_delay_alu instid0(VALU_DEP_1) | instskip(SKIP_1) | instid1(VALU_DEP_2)
	v_fmamk_f64 v[4:5], v[6:7], 0xc1f00000, v[4:5]
	v_cvt_i32_f64_e32 v7, v[6:7]
	v_cvt_u32_f64_e32 v6, v[4:5]
	s_branch .LBB70_1667
.LBB70_1665:
	s_mov_b32 s16, -1
                                        ; implicit-def: $vgpr6_vgpr7
	s_branch .LBB70_1670
.LBB70_1666:
	s_mov_b32 s16, -1
                                        ; implicit-def: $vgpr6_vgpr7
.LBB70_1667:
	s_delay_alu instid0(SALU_CYCLE_1)
	s_and_not1_b32 vcc_lo, exec_lo, s16
	s_cbranch_vccnz .LBB70_1669
; %bb.1668:
	global_load_b32 v3, v[0:1], off
	s_wait_loadcnt 0x0
	v_trunc_f32_e32 v3, v3
	s_delay_alu instid0(VALU_DEP_1) | instskip(NEXT) | instid1(VALU_DEP_1)
	v_mul_f32_e64 v4, 0x2f800000, |v3|
	v_floor_f32_e32 v5, v4
	v_ashrrev_i32_e32 v4, 31, v3
	s_delay_alu instid0(VALU_DEP_2) | instskip(SKIP_1) | instid1(VALU_DEP_3)
	v_fma_f32 v6, 0xcf800000, v5, |v3|
	v_cvt_u32_f32_e32 v3, v5
	v_mov_b32_e32 v5, v4
	s_delay_alu instid0(VALU_DEP_3) | instskip(NEXT) | instid1(VALU_DEP_3)
	v_cvt_u32_f32_e32 v6, v6
	v_xor_b32_e32 v7, v3, v4
	s_delay_alu instid0(VALU_DEP_2) | instskip(NEXT) | instid1(VALU_DEP_1)
	v_xor_b32_e32 v6, v6, v4
	v_sub_nc_u64_e32 v[6:7], v[6:7], v[4:5]
.LBB70_1669:
	s_mov_b32 s16, 0
.LBB70_1670:
	s_delay_alu instid0(SALU_CYCLE_1)
	s_and_not1_b32 vcc_lo, exec_lo, s16
	s_cbranch_vccnz .LBB70_1672
; %bb.1671:
	global_load_u16 v3, v[0:1], off
	s_wait_loadcnt 0x0
	v_cvt_f32_f16_e32 v3, v3
	s_delay_alu instid0(VALU_DEP_1) | instskip(NEXT) | instid1(VALU_DEP_1)
	v_cvt_i32_f32_e32 v6, v3
	v_ashrrev_i32_e32 v7, 31, v6
.LBB70_1672:
	s_cbranch_execnz .LBB70_1691
.LBB70_1673:
	s_cmp_lt_i32 s0, 2
	s_cbranch_scc1 .LBB70_1677
; %bb.1674:
	s_cmp_lt_i32 s0, 3
	s_cbranch_scc1 .LBB70_1678
; %bb.1675:
	s_cmp_gt_i32 s0, 3
	s_cbranch_scc0 .LBB70_1679
; %bb.1676:
	s_wait_loadcnt 0x0
	global_load_b64 v[6:7], v[0:1], off
	s_mov_b32 s16, 0
	s_branch .LBB70_1680
.LBB70_1677:
                                        ; implicit-def: $vgpr6_vgpr7
	s_branch .LBB70_1686
.LBB70_1678:
	s_mov_b32 s16, -1
                                        ; implicit-def: $vgpr6_vgpr7
	s_branch .LBB70_1683
.LBB70_1679:
	s_mov_b32 s16, -1
                                        ; implicit-def: $vgpr6_vgpr7
.LBB70_1680:
	s_delay_alu instid0(SALU_CYCLE_1)
	s_and_not1_b32 vcc_lo, exec_lo, s16
	s_cbranch_vccnz .LBB70_1682
; %bb.1681:
	s_wait_loadcnt 0x0
	global_load_b32 v6, v[0:1], off
	s_wait_loadcnt 0x0
	v_ashrrev_i32_e32 v7, 31, v6
.LBB70_1682:
	s_mov_b32 s16, 0
.LBB70_1683:
	s_delay_alu instid0(SALU_CYCLE_1)
	s_and_not1_b32 vcc_lo, exec_lo, s16
	s_cbranch_vccnz .LBB70_1685
; %bb.1684:
	global_load_u16 v3, v[0:1], off
	s_wait_loadcnt 0x0
	v_bfe_i32 v6, v3, 0, 16
	s_delay_alu instid0(VALU_DEP_1)
	v_ashrrev_i32_e32 v7, 31, v6
.LBB70_1685:
	s_cbranch_execnz .LBB70_1691
.LBB70_1686:
	s_cmp_gt_i32 s0, 0
	s_mov_b32 s0, 0
	s_cbranch_scc0 .LBB70_1688
; %bb.1687:
	global_load_i8 v3, v[0:1], off
	s_wait_loadcnt 0x0
	v_bfe_i32 v6, v3, 0, 16
	s_delay_alu instid0(VALU_DEP_1)
	v_ashrrev_i32_e32 v7, 31, v6
	s_branch .LBB70_1689
.LBB70_1688:
	s_mov_b32 s0, -1
                                        ; implicit-def: $vgpr6_vgpr7
.LBB70_1689:
	s_delay_alu instid0(SALU_CYCLE_1)
	s_and_not1_b32 vcc_lo, exec_lo, s0
	s_cbranch_vccnz .LBB70_1691
; %bb.1690:
	global_load_u8 v0, v[0:1], off
	s_mov_b32 s0, 0
	s_wait_loadcnt 0x1
	v_mov_b32_e32 v7, s0
	s_wait_loadcnt 0x0
	v_and_b32_e32 v6, 0xffff, v0
.LBB70_1691:
.LBB70_1692:
	v_mul_lo_u32 v4, s10, v20
	s_and_b32 s1, s1, 0xff
	s_delay_alu instid0(SALU_CYCLE_1) | instskip(NEXT) | instid1(VALU_DEP_1)
	s_cmp_lt_i32 s1, 11
	v_ashrrev_i32_e32 v5, 31, v4
	s_wait_xcnt 0x0
	s_delay_alu instid0(VALU_DEP_1)
	v_add_nc_u64_e32 v[0:1], s[2:3], v[4:5]
	s_cbranch_scc1 .LBB70_1699
; %bb.1693:
	s_and_b32 s0, 0xffff, s1
	s_mov_b32 s17, 0
	s_cmp_gt_i32 s0, 25
	s_cbranch_scc0 .LBB70_1701
; %bb.1694:
	s_cmp_gt_i32 s0, 28
	s_cbranch_scc0 .LBB70_1702
; %bb.1695:
	s_cmp_gt_i32 s0, 43
	s_cbranch_scc0 .LBB70_1703
; %bb.1696:
	s_cmp_gt_i32 s0, 45
	s_cbranch_scc0 .LBB70_1705
; %bb.1697:
	s_cmp_eq_u32 s0, 46
	s_mov_b32 s19, 0
	s_cbranch_scc0 .LBB70_1708
; %bb.1698:
	global_load_b32 v3, v[0:1], off
	s_mov_b32 s16, 0
	s_mov_b32 s18, -1
	s_wait_loadcnt 0x0
	v_lshlrev_b32_e32 v3, 16, v3
	s_delay_alu instid0(VALU_DEP_1) | instskip(NEXT) | instid1(VALU_DEP_1)
	v_trunc_f32_e32 v3, v3
	v_mul_f32_e64 v5, 0x2f800000, |v3|
	v_ashrrev_i32_e32 v8, 31, v3
	s_delay_alu instid0(VALU_DEP_2) | instskip(NEXT) | instid1(VALU_DEP_1)
	v_floor_f32_e32 v5, v5
	v_fma_f32 v9, 0xcf800000, v5, |v3|
	v_cvt_u32_f32_e32 v3, v5
	s_delay_alu instid0(VALU_DEP_2) | instskip(NEXT) | instid1(VALU_DEP_2)
	v_cvt_u32_f32_e32 v5, v9
	v_dual_mov_b32 v9, v8 :: v_dual_bitop2_b32 v11, v3, v8 bitop3:0x14
	s_delay_alu instid0(VALU_DEP_2) | instskip(NEXT) | instid1(VALU_DEP_1)
	v_xor_b32_e32 v10, v5, v8
	v_sub_nc_u64_e32 v[8:9], v[10:11], v[8:9]
	s_branch .LBB70_1710
.LBB70_1699:
	s_mov_b32 s18, 0
                                        ; implicit-def: $vgpr8_vgpr9
	s_cbranch_execnz .LBB70_1771
.LBB70_1700:
	s_and_not1_b32 vcc_lo, exec_lo, s18
	s_cbranch_vccnz .LBB70_2625
	s_branch .LBB70_1818
.LBB70_1701:
	s_mov_b32 s18, 0
	s_mov_b32 s16, 0
                                        ; implicit-def: $vgpr8_vgpr9
	s_cbranch_execnz .LBB70_1737
	s_branch .LBB70_1767
.LBB70_1702:
	s_mov_b32 s19, -1
	s_mov_b32 s18, 0
	s_mov_b32 s16, 0
                                        ; implicit-def: $vgpr8_vgpr9
	s_branch .LBB70_1720
.LBB70_1703:
	s_mov_b32 s19, -1
	s_mov_b32 s18, 0
	s_mov_b32 s16, 0
                                        ; implicit-def: $vgpr8_vgpr9
	s_branch .LBB70_1715
.LBB70_1704:
	s_or_b32 s12, s15, exec_lo
	s_trap 2
	s_cbranch_execz .LBB70_1645
	s_branch .LBB70_1646
.LBB70_1705:
	s_mov_b32 s19, -1
	s_mov_b32 s18, 0
	s_mov_b32 s16, 0
	s_branch .LBB70_1709
.LBB70_1706:
	s_and_not1_saveexec_b32 s23, s23
	s_cbranch_execz .LBB70_1496
.LBB70_1707:
	v_add_f32_e32 v0, 0x42800000, v1
	s_and_not1_b32 s22, s22, exec_lo
	s_delay_alu instid0(VALU_DEP_1) | instskip(NEXT) | instid1(VALU_DEP_1)
	v_and_b32_e32 v0, 0xff, v0
	v_cmp_ne_u32_e32 vcc_lo, 0, v0
	s_and_b32 s24, vcc_lo, exec_lo
	s_delay_alu instid0(SALU_CYCLE_1)
	s_or_b32 s22, s22, s24
	s_or_b32 exec_lo, exec_lo, s23
	v_mov_b32_e32 v2, 0
	s_and_saveexec_b32 s23, s22
	s_cbranch_execnz .LBB70_1497
	s_branch .LBB70_1498
.LBB70_1708:
	s_mov_b32 s16, -1
	s_mov_b32 s18, 0
.LBB70_1709:
                                        ; implicit-def: $vgpr8_vgpr9
.LBB70_1710:
	s_and_b32 vcc_lo, exec_lo, s19
	s_cbranch_vccz .LBB70_1714
; %bb.1711:
	s_cmp_eq_u32 s0, 44
	s_cbranch_scc0 .LBB70_1713
; %bb.1712:
	global_load_u8 v3, v[0:1], off
	s_mov_b32 s16, 0
	s_mov_b32 s18, -1
	s_wait_loadcnt 0x0
	v_lshlrev_b32_e32 v5, 23, v3
	v_cmp_ne_u32_e32 vcc_lo, 0, v3
	s_delay_alu instid0(VALU_DEP_2) | instskip(NEXT) | instid1(VALU_DEP_1)
	v_trunc_f32_e32 v5, v5
	v_mul_f32_e64 v8, 0x2f800000, |v5|
	s_delay_alu instid0(VALU_DEP_1) | instskip(SKIP_1) | instid1(VALU_DEP_2)
	v_floor_f32_e32 v9, v8
	v_ashrrev_i32_e32 v8, 31, v5
	v_fma_f32 v10, 0xcf800000, v9, |v5|
	v_cvt_u32_f32_e32 v5, v9
	s_delay_alu instid0(VALU_DEP_3) | instskip(NEXT) | instid1(VALU_DEP_3)
	v_mov_b32_e32 v9, v8
	v_cvt_u32_f32_e32 v10, v10
	s_delay_alu instid0(VALU_DEP_3) | instskip(NEXT) | instid1(VALU_DEP_2)
	v_xor_b32_e32 v11, v5, v8
	v_xor_b32_e32 v10, v10, v8
	s_delay_alu instid0(VALU_DEP_1) | instskip(NEXT) | instid1(VALU_DEP_1)
	v_sub_nc_u64_e32 v[8:9], v[10:11], v[8:9]
	v_dual_cndmask_b32 v9, 0, v9 :: v_dual_cndmask_b32 v8, 0, v8
	s_branch .LBB70_1714
.LBB70_1713:
	s_mov_b32 s16, -1
                                        ; implicit-def: $vgpr8_vgpr9
.LBB70_1714:
	s_mov_b32 s19, 0
.LBB70_1715:
	s_delay_alu instid0(SALU_CYCLE_1)
	s_and_b32 vcc_lo, exec_lo, s19
	s_cbranch_vccz .LBB70_1719
; %bb.1716:
	s_cmp_eq_u32 s0, 29
	s_cbranch_scc0 .LBB70_1718
; %bb.1717:
	global_load_b64 v[8:9], v[0:1], off
	s_mov_b32 s16, 0
	s_mov_b32 s18, -1
	s_branch .LBB70_1719
.LBB70_1718:
	s_mov_b32 s16, -1
                                        ; implicit-def: $vgpr8_vgpr9
.LBB70_1719:
	s_mov_b32 s19, 0
.LBB70_1720:
	s_delay_alu instid0(SALU_CYCLE_1)
	s_and_b32 vcc_lo, exec_lo, s19
	s_cbranch_vccz .LBB70_1736
; %bb.1721:
	s_cmp_lt_i32 s0, 27
	s_cbranch_scc1 .LBB70_1724
; %bb.1722:
	s_cmp_gt_i32 s0, 27
	s_cbranch_scc0 .LBB70_1725
; %bb.1723:
	s_wait_loadcnt 0x0
	global_load_b32 v8, v[0:1], off
	v_mov_b32_e32 v9, 0
	s_mov_b32 s18, 0
	s_branch .LBB70_1726
.LBB70_1724:
	s_mov_b32 s18, -1
                                        ; implicit-def: $vgpr8_vgpr9
	s_branch .LBB70_1729
.LBB70_1725:
	s_mov_b32 s18, -1
                                        ; implicit-def: $vgpr8_vgpr9
.LBB70_1726:
	s_delay_alu instid0(SALU_CYCLE_1)
	s_and_not1_b32 vcc_lo, exec_lo, s18
	s_cbranch_vccnz .LBB70_1728
; %bb.1727:
	global_load_u16 v3, v[0:1], off
	s_mov_b32 s18, 0
	s_wait_loadcnt 0x1
	v_mov_b32_e32 v9, s18
	s_wait_loadcnt 0x0
	v_and_b32_e32 v8, 0xffff, v3
.LBB70_1728:
	s_mov_b32 s18, 0
.LBB70_1729:
	s_delay_alu instid0(SALU_CYCLE_1)
	s_and_not1_b32 vcc_lo, exec_lo, s18
	s_cbranch_vccnz .LBB70_1735
; %bb.1730:
	global_load_u8 v3, v[0:1], off
	s_mov_b32 s19, 0
	s_mov_b32 s18, exec_lo
	s_wait_loadcnt 0x0
	v_cmpx_lt_i16_e32 0x7f, v3
	s_xor_b32 s18, exec_lo, s18
	s_cbranch_execz .LBB70_1746
; %bb.1731:
	v_cmp_ne_u16_e32 vcc_lo, 0x80, v3
	s_and_b32 s19, vcc_lo, exec_lo
	s_and_not1_saveexec_b32 s18, s18
	s_cbranch_execnz .LBB70_1747
.LBB70_1732:
	s_or_b32 exec_lo, exec_lo, s18
	v_mov_b64_e32 v[8:9], 0
	s_and_saveexec_b32 s18, s19
	s_cbranch_execz .LBB70_1734
.LBB70_1733:
	v_and_b32_e32 v5, 0xffff, v3
	s_delay_alu instid0(VALU_DEP_1) | instskip(SKIP_1) | instid1(VALU_DEP_2)
	v_dual_lshlrev_b32 v3, 24, v3 :: v_dual_bitop2_b32 v8, 7, v5 bitop3:0x40
	v_bfe_u32 v11, v5, 3, 4
	v_and_b32_e32 v3, 0x80000000, v3
	s_delay_alu instid0(VALU_DEP_3) | instskip(NEXT) | instid1(VALU_DEP_3)
	v_clz_i32_u32_e32 v9, v8
	v_cmp_eq_u32_e32 vcc_lo, 0, v11
	s_delay_alu instid0(VALU_DEP_2) | instskip(NEXT) | instid1(VALU_DEP_1)
	v_min_u32_e32 v9, 32, v9
	v_subrev_nc_u32_e32 v10, 28, v9
	v_sub_nc_u32_e32 v9, 29, v9
	s_delay_alu instid0(VALU_DEP_2) | instskip(NEXT) | instid1(VALU_DEP_2)
	v_lshlrev_b32_e32 v5, v10, v5
	v_cndmask_b32_e32 v9, v11, v9, vcc_lo
	s_delay_alu instid0(VALU_DEP_2) | instskip(NEXT) | instid1(VALU_DEP_1)
	v_and_b32_e32 v5, 7, v5
	v_cndmask_b32_e32 v5, v8, v5, vcc_lo
	s_delay_alu instid0(VALU_DEP_3) | instskip(NEXT) | instid1(VALU_DEP_2)
	v_lshl_add_u32 v8, v9, 23, 0x3b800000
	v_lshlrev_b32_e32 v5, 20, v5
	s_delay_alu instid0(VALU_DEP_1) | instskip(NEXT) | instid1(VALU_DEP_1)
	v_or3_b32 v3, v3, v8, v5
	v_trunc_f32_e32 v3, v3
	s_delay_alu instid0(VALU_DEP_1) | instskip(SKIP_1) | instid1(VALU_DEP_2)
	v_mul_f32_e64 v5, 0x2f800000, |v3|
	v_ashrrev_i32_e32 v8, 31, v3
	v_floor_f32_e32 v5, v5
	s_delay_alu instid0(VALU_DEP_1) | instskip(SKIP_1) | instid1(VALU_DEP_2)
	v_fma_f32 v9, 0xcf800000, v5, |v3|
	v_cvt_u32_f32_e32 v3, v5
	v_cvt_u32_f32_e32 v5, v9
	s_delay_alu instid0(VALU_DEP_2) | instskip(NEXT) | instid1(VALU_DEP_2)
	v_dual_mov_b32 v9, v8 :: v_dual_bitop2_b32 v11, v3, v8 bitop3:0x14
	v_xor_b32_e32 v10, v5, v8
	s_delay_alu instid0(VALU_DEP_1)
	v_sub_nc_u64_e32 v[8:9], v[10:11], v[8:9]
.LBB70_1734:
	s_or_b32 exec_lo, exec_lo, s18
.LBB70_1735:
	s_mov_b32 s18, -1
.LBB70_1736:
	s_branch .LBB70_1767
.LBB70_1737:
	s_cmp_gt_i32 s0, 22
	s_cbranch_scc0 .LBB70_1745
; %bb.1738:
	s_cmp_lt_i32 s0, 24
	s_cbranch_scc1 .LBB70_1748
; %bb.1739:
	s_cmp_gt_i32 s0, 24
	s_cbranch_scc0 .LBB70_1749
; %bb.1740:
	global_load_u8 v3, v[0:1], off
	s_mov_b32 s18, 0
	s_mov_b32 s17, exec_lo
	s_wait_loadcnt 0x0
	v_cmpx_lt_i16_e32 0x7f, v3
	s_xor_b32 s17, exec_lo, s17
	s_cbranch_execz .LBB70_1761
; %bb.1741:
	v_cmp_ne_u16_e32 vcc_lo, 0x80, v3
	s_and_b32 s18, vcc_lo, exec_lo
	s_and_not1_saveexec_b32 s17, s17
	s_cbranch_execnz .LBB70_1762
.LBB70_1742:
	s_or_b32 exec_lo, exec_lo, s17
	v_mov_b64_e32 v[8:9], 0
	s_and_saveexec_b32 s17, s18
	s_cbranch_execz .LBB70_1744
.LBB70_1743:
	v_and_b32_e32 v5, 0xffff, v3
	s_delay_alu instid0(VALU_DEP_1) | instskip(SKIP_1) | instid1(VALU_DEP_2)
	v_dual_lshlrev_b32 v3, 24, v3 :: v_dual_bitop2_b32 v8, 3, v5 bitop3:0x40
	v_bfe_u32 v11, v5, 2, 5
	v_and_b32_e32 v3, 0x80000000, v3
	s_delay_alu instid0(VALU_DEP_3) | instskip(NEXT) | instid1(VALU_DEP_3)
	v_clz_i32_u32_e32 v9, v8
	v_cmp_eq_u32_e32 vcc_lo, 0, v11
	s_delay_alu instid0(VALU_DEP_2) | instskip(NEXT) | instid1(VALU_DEP_1)
	v_min_u32_e32 v9, 32, v9
	v_subrev_nc_u32_e32 v10, 29, v9
	v_sub_nc_u32_e32 v9, 30, v9
	s_delay_alu instid0(VALU_DEP_2) | instskip(NEXT) | instid1(VALU_DEP_2)
	v_lshlrev_b32_e32 v5, v10, v5
	v_cndmask_b32_e32 v9, v11, v9, vcc_lo
	s_delay_alu instid0(VALU_DEP_2) | instskip(NEXT) | instid1(VALU_DEP_1)
	v_and_b32_e32 v5, 3, v5
	v_cndmask_b32_e32 v5, v8, v5, vcc_lo
	s_delay_alu instid0(VALU_DEP_3) | instskip(NEXT) | instid1(VALU_DEP_2)
	v_lshl_add_u32 v8, v9, 23, 0x37800000
	v_lshlrev_b32_e32 v5, 21, v5
	s_delay_alu instid0(VALU_DEP_1) | instskip(NEXT) | instid1(VALU_DEP_1)
	v_or3_b32 v3, v3, v8, v5
	v_trunc_f32_e32 v3, v3
	s_delay_alu instid0(VALU_DEP_1) | instskip(SKIP_1) | instid1(VALU_DEP_2)
	v_mul_f32_e64 v5, 0x2f800000, |v3|
	v_ashrrev_i32_e32 v8, 31, v3
	v_floor_f32_e32 v5, v5
	s_delay_alu instid0(VALU_DEP_1) | instskip(SKIP_1) | instid1(VALU_DEP_2)
	v_fma_f32 v9, 0xcf800000, v5, |v3|
	v_cvt_u32_f32_e32 v3, v5
	v_cvt_u32_f32_e32 v5, v9
	s_delay_alu instid0(VALU_DEP_2) | instskip(NEXT) | instid1(VALU_DEP_2)
	v_dual_mov_b32 v9, v8 :: v_dual_bitop2_b32 v11, v3, v8 bitop3:0x14
	v_xor_b32_e32 v10, v5, v8
	s_delay_alu instid0(VALU_DEP_1)
	v_sub_nc_u64_e32 v[8:9], v[10:11], v[8:9]
.LBB70_1744:
	s_or_b32 exec_lo, exec_lo, s17
	s_mov_b32 s17, 0
	s_branch .LBB70_1750
.LBB70_1745:
	s_mov_b32 s17, -1
                                        ; implicit-def: $vgpr8_vgpr9
	s_branch .LBB70_1756
.LBB70_1746:
	s_and_not1_saveexec_b32 s18, s18
	s_cbranch_execz .LBB70_1732
.LBB70_1747:
	v_cmp_ne_u16_e32 vcc_lo, 0, v3
	s_and_not1_b32 s19, s19, exec_lo
	s_and_b32 s20, vcc_lo, exec_lo
	s_delay_alu instid0(SALU_CYCLE_1)
	s_or_b32 s19, s19, s20
	s_or_b32 exec_lo, exec_lo, s18
	v_mov_b64_e32 v[8:9], 0
	s_and_saveexec_b32 s18, s19
	s_cbranch_execnz .LBB70_1733
	s_branch .LBB70_1734
.LBB70_1748:
	s_mov_b32 s17, -1
                                        ; implicit-def: $vgpr8_vgpr9
	s_branch .LBB70_1753
.LBB70_1749:
	s_mov_b32 s17, -1
                                        ; implicit-def: $vgpr8_vgpr9
.LBB70_1750:
	s_delay_alu instid0(SALU_CYCLE_1)
	s_and_b32 vcc_lo, exec_lo, s17
	s_cbranch_vccz .LBB70_1752
; %bb.1751:
	global_load_u8 v3, v[0:1], off
	s_wait_loadcnt 0x0
	v_lshlrev_b32_e32 v3, 24, v3
	s_delay_alu instid0(VALU_DEP_1) | instskip(NEXT) | instid1(VALU_DEP_1)
	v_and_b32_e32 v5, 0x7f000000, v3
	v_clz_i32_u32_e32 v8, v5
	v_cmp_ne_u32_e32 vcc_lo, 0, v5
	v_add_nc_u32_e32 v10, 0x1000000, v5
	s_delay_alu instid0(VALU_DEP_3) | instskip(NEXT) | instid1(VALU_DEP_1)
	v_min_u32_e32 v8, 32, v8
	v_sub_nc_u32_e64 v8, v8, 4 clamp
	s_delay_alu instid0(VALU_DEP_1) | instskip(NEXT) | instid1(VALU_DEP_1)
	v_dual_lshlrev_b32 v9, v8, v5 :: v_dual_lshlrev_b32 v8, 23, v8
	v_lshrrev_b32_e32 v9, 4, v9
	s_delay_alu instid0(VALU_DEP_1) | instskip(NEXT) | instid1(VALU_DEP_1)
	v_dual_sub_nc_u32 v8, v9, v8 :: v_dual_ashrrev_i32 v9, 8, v10
	v_add_nc_u32_e32 v8, 0x3c000000, v8
	s_delay_alu instid0(VALU_DEP_1) | instskip(NEXT) | instid1(VALU_DEP_1)
	v_and_or_b32 v8, 0x7f800000, v9, v8
	v_cndmask_b32_e32 v5, 0, v8, vcc_lo
	s_delay_alu instid0(VALU_DEP_1) | instskip(NEXT) | instid1(VALU_DEP_1)
	v_and_or_b32 v3, 0x80000000, v3, v5
	v_trunc_f32_e32 v3, v3
	s_delay_alu instid0(VALU_DEP_1) | instskip(SKIP_1) | instid1(VALU_DEP_2)
	v_mul_f32_e64 v5, 0x2f800000, |v3|
	v_ashrrev_i32_e32 v8, 31, v3
	v_floor_f32_e32 v5, v5
	s_delay_alu instid0(VALU_DEP_1) | instskip(SKIP_1) | instid1(VALU_DEP_2)
	v_fma_f32 v9, 0xcf800000, v5, |v3|
	v_cvt_u32_f32_e32 v3, v5
	v_cvt_u32_f32_e32 v5, v9
	s_delay_alu instid0(VALU_DEP_2) | instskip(NEXT) | instid1(VALU_DEP_2)
	v_dual_mov_b32 v9, v8 :: v_dual_bitop2_b32 v11, v3, v8 bitop3:0x14
	v_xor_b32_e32 v10, v5, v8
	s_delay_alu instid0(VALU_DEP_1)
	v_sub_nc_u64_e32 v[8:9], v[10:11], v[8:9]
.LBB70_1752:
	s_mov_b32 s17, 0
.LBB70_1753:
	s_delay_alu instid0(SALU_CYCLE_1)
	s_and_not1_b32 vcc_lo, exec_lo, s17
	s_cbranch_vccnz .LBB70_1755
; %bb.1754:
	global_load_u8 v3, v[0:1], off
	s_wait_loadcnt 0x0
	v_lshlrev_b32_e32 v5, 25, v3
	v_lshlrev_b16 v3, 8, v3
	s_delay_alu instid0(VALU_DEP_1) | instskip(SKIP_1) | instid1(VALU_DEP_2)
	v_and_or_b32 v9, 0x7f00, v3, 0.5
	v_bfe_i32 v3, v3, 0, 16
	v_add_f32_e32 v9, -0.5, v9
	v_lshrrev_b32_e32 v8, 4, v5
	v_cmp_gt_u32_e32 vcc_lo, 0x8000000, v5
	s_delay_alu instid0(VALU_DEP_2) | instskip(NEXT) | instid1(VALU_DEP_1)
	v_or_b32_e32 v8, 0x70000000, v8
	v_mul_f32_e32 v8, 0x7800000, v8
	s_delay_alu instid0(VALU_DEP_1) | instskip(NEXT) | instid1(VALU_DEP_1)
	v_cndmask_b32_e32 v5, v8, v9, vcc_lo
	v_and_or_b32 v3, 0x80000000, v3, v5
	s_delay_alu instid0(VALU_DEP_1) | instskip(NEXT) | instid1(VALU_DEP_1)
	v_trunc_f32_e32 v3, v3
	v_mul_f32_e64 v5, 0x2f800000, |v3|
	v_ashrrev_i32_e32 v8, 31, v3
	s_delay_alu instid0(VALU_DEP_2) | instskip(NEXT) | instid1(VALU_DEP_1)
	v_floor_f32_e32 v5, v5
	v_fma_f32 v9, 0xcf800000, v5, |v3|
	v_cvt_u32_f32_e32 v3, v5
	s_delay_alu instid0(VALU_DEP_2) | instskip(NEXT) | instid1(VALU_DEP_2)
	v_cvt_u32_f32_e32 v5, v9
	v_dual_mov_b32 v9, v8 :: v_dual_bitop2_b32 v11, v3, v8 bitop3:0x14
	s_delay_alu instid0(VALU_DEP_2) | instskip(NEXT) | instid1(VALU_DEP_1)
	v_xor_b32_e32 v10, v5, v8
	v_sub_nc_u64_e32 v[8:9], v[10:11], v[8:9]
.LBB70_1755:
	s_mov_b32 s17, 0
	s_mov_b32 s18, -1
.LBB70_1756:
	s_and_not1_b32 vcc_lo, exec_lo, s17
	s_mov_b32 s17, 0
	s_cbranch_vccnz .LBB70_1767
; %bb.1757:
	s_cmp_gt_i32 s0, 14
	s_cbranch_scc0 .LBB70_1760
; %bb.1758:
	s_cmp_eq_u32 s0, 15
	s_cbranch_scc0 .LBB70_1763
; %bb.1759:
	global_load_u16 v3, v[0:1], off
	s_mov_b32 s16, 0
	s_mov_b32 s18, -1
	s_wait_loadcnt 0x0
	v_lshlrev_b32_e32 v3, 16, v3
	s_delay_alu instid0(VALU_DEP_1) | instskip(NEXT) | instid1(VALU_DEP_1)
	v_trunc_f32_e32 v3, v3
	v_mul_f32_e64 v5, 0x2f800000, |v3|
	v_ashrrev_i32_e32 v8, 31, v3
	s_delay_alu instid0(VALU_DEP_2) | instskip(NEXT) | instid1(VALU_DEP_1)
	v_floor_f32_e32 v5, v5
	v_fma_f32 v9, 0xcf800000, v5, |v3|
	v_cvt_u32_f32_e32 v3, v5
	s_delay_alu instid0(VALU_DEP_2) | instskip(NEXT) | instid1(VALU_DEP_2)
	v_cvt_u32_f32_e32 v5, v9
	v_dual_mov_b32 v9, v8 :: v_dual_bitop2_b32 v11, v3, v8 bitop3:0x14
	s_delay_alu instid0(VALU_DEP_2) | instskip(NEXT) | instid1(VALU_DEP_1)
	v_xor_b32_e32 v10, v5, v8
	v_sub_nc_u64_e32 v[8:9], v[10:11], v[8:9]
	s_branch .LBB70_1765
.LBB70_1760:
	s_mov_b32 s17, -1
	s_branch .LBB70_1764
.LBB70_1761:
	s_and_not1_saveexec_b32 s17, s17
	s_cbranch_execz .LBB70_1742
.LBB70_1762:
	v_cmp_ne_u16_e32 vcc_lo, 0, v3
	s_and_not1_b32 s18, s18, exec_lo
	s_and_b32 s19, vcc_lo, exec_lo
	s_delay_alu instid0(SALU_CYCLE_1)
	s_or_b32 s18, s18, s19
	s_or_b32 exec_lo, exec_lo, s17
	v_mov_b64_e32 v[8:9], 0
	s_and_saveexec_b32 s17, s18
	s_cbranch_execnz .LBB70_1743
	s_branch .LBB70_1744
.LBB70_1763:
	s_mov_b32 s16, -1
.LBB70_1764:
                                        ; implicit-def: $vgpr8_vgpr9
.LBB70_1765:
	s_and_b32 vcc_lo, exec_lo, s17
	s_mov_b32 s17, 0
	s_cbranch_vccz .LBB70_1767
; %bb.1766:
	s_cmp_lg_u32 s0, 11
	s_mov_b32 s17, -1
	s_cselect_b32 s16, -1, 0
.LBB70_1767:
	s_delay_alu instid0(SALU_CYCLE_1)
	s_and_b32 vcc_lo, exec_lo, s16
	s_cbranch_vccnz .LBB70_1844
; %bb.1768:
	s_and_not1_b32 vcc_lo, exec_lo, s17
	s_cbranch_vccnz .LBB70_1770
.LBB70_1769:
	global_load_u8 v3, v[0:1], off
	s_mov_b32 s0, 0
	s_mov_b32 s18, -1
	s_wait_loadcnt 0x1
	v_mov_b32_e32 v9, s0
	s_wait_loadcnt 0x0
	v_cmp_ne_u16_e32 vcc_lo, 0, v3
	v_cndmask_b32_e64 v8, 0, 1, vcc_lo
.LBB70_1770:
	s_branch .LBB70_1700
.LBB70_1771:
	s_and_b32 s0, 0xffff, s1
	s_delay_alu instid0(SALU_CYCLE_1)
	s_cmp_lt_i32 s0, 5
	s_cbranch_scc1 .LBB70_1776
; %bb.1772:
	s_cmp_lt_i32 s0, 8
	s_cbranch_scc1 .LBB70_1777
; %bb.1773:
	;; [unrolled: 3-line block ×3, first 2 shown]
	s_cmp_gt_i32 s0, 9
	s_cbranch_scc0 .LBB70_1779
; %bb.1775:
	s_wait_loadcnt 0x0
	global_load_b64 v[8:9], v[0:1], off
	s_mov_b32 s16, 0
	s_wait_loadcnt 0x0
	v_trunc_f64_e32 v[8:9], v[8:9]
	s_delay_alu instid0(VALU_DEP_1) | instskip(NEXT) | instid1(VALU_DEP_1)
	v_ldexp_f64 v[10:11], v[8:9], 0xffffffe0
	v_floor_f64_e32 v[10:11], v[10:11]
	s_delay_alu instid0(VALU_DEP_1) | instskip(SKIP_1) | instid1(VALU_DEP_2)
	v_fmamk_f64 v[12:13], v[10:11], 0xc1f00000, v[8:9]
	v_cvt_i32_f64_e32 v9, v[10:11]
	v_cvt_u32_f64_e32 v8, v[12:13]
	s_branch .LBB70_1780
.LBB70_1776:
                                        ; implicit-def: $vgpr8_vgpr9
	s_branch .LBB70_1798
.LBB70_1777:
	s_mov_b32 s16, -1
                                        ; implicit-def: $vgpr8_vgpr9
	s_branch .LBB70_1786
.LBB70_1778:
	s_mov_b32 s16, -1
                                        ; implicit-def: $vgpr8_vgpr9
	s_branch .LBB70_1783
.LBB70_1779:
	s_mov_b32 s16, -1
                                        ; implicit-def: $vgpr8_vgpr9
.LBB70_1780:
	s_delay_alu instid0(SALU_CYCLE_1)
	s_and_not1_b32 vcc_lo, exec_lo, s16
	s_cbranch_vccnz .LBB70_1782
; %bb.1781:
	global_load_b32 v3, v[0:1], off
	s_wait_loadcnt 0x0
	v_trunc_f32_e32 v3, v3
	s_delay_alu instid0(VALU_DEP_1) | instskip(SKIP_1) | instid1(VALU_DEP_2)
	v_mul_f32_e64 v5, 0x2f800000, |v3|
	v_ashrrev_i32_e32 v8, 31, v3
	v_floor_f32_e32 v5, v5
	s_delay_alu instid0(VALU_DEP_1) | instskip(SKIP_1) | instid1(VALU_DEP_2)
	v_fma_f32 v9, 0xcf800000, v5, |v3|
	v_cvt_u32_f32_e32 v3, v5
	v_cvt_u32_f32_e32 v5, v9
	s_delay_alu instid0(VALU_DEP_2) | instskip(NEXT) | instid1(VALU_DEP_2)
	v_dual_mov_b32 v9, v8 :: v_dual_bitop2_b32 v11, v3, v8 bitop3:0x14
	v_xor_b32_e32 v10, v5, v8
	s_delay_alu instid0(VALU_DEP_1)
	v_sub_nc_u64_e32 v[8:9], v[10:11], v[8:9]
.LBB70_1782:
	s_mov_b32 s16, 0
.LBB70_1783:
	s_delay_alu instid0(SALU_CYCLE_1)
	s_and_not1_b32 vcc_lo, exec_lo, s16
	s_cbranch_vccnz .LBB70_1785
; %bb.1784:
	global_load_b32 v3, v[0:1], off
	s_wait_loadcnt 0x0
	v_cvt_f32_f16_e32 v3, v3
	s_delay_alu instid0(VALU_DEP_1) | instskip(NEXT) | instid1(VALU_DEP_1)
	v_cvt_i32_f32_e32 v8, v3
	v_ashrrev_i32_e32 v9, 31, v8
.LBB70_1785:
	s_mov_b32 s16, 0
.LBB70_1786:
	s_delay_alu instid0(SALU_CYCLE_1)
	s_and_not1_b32 vcc_lo, exec_lo, s16
	s_cbranch_vccnz .LBB70_1797
; %bb.1787:
	s_cmp_lt_i32 s0, 6
	s_cbranch_scc1 .LBB70_1790
; %bb.1788:
	s_cmp_gt_i32 s0, 6
	s_cbranch_scc0 .LBB70_1791
; %bb.1789:
	s_wait_loadcnt 0x0
	global_load_b64 v[8:9], v[0:1], off
	s_mov_b32 s16, 0
	s_wait_loadcnt 0x0
	v_trunc_f64_e32 v[8:9], v[8:9]
	s_delay_alu instid0(VALU_DEP_1) | instskip(NEXT) | instid1(VALU_DEP_1)
	v_ldexp_f64 v[10:11], v[8:9], 0xffffffe0
	v_floor_f64_e32 v[10:11], v[10:11]
	s_delay_alu instid0(VALU_DEP_1) | instskip(SKIP_1) | instid1(VALU_DEP_2)
	v_fmamk_f64 v[12:13], v[10:11], 0xc1f00000, v[8:9]
	v_cvt_i32_f64_e32 v9, v[10:11]
	v_cvt_u32_f64_e32 v8, v[12:13]
	s_branch .LBB70_1792
.LBB70_1790:
	s_mov_b32 s16, -1
                                        ; implicit-def: $vgpr8_vgpr9
	s_branch .LBB70_1795
.LBB70_1791:
	s_mov_b32 s16, -1
                                        ; implicit-def: $vgpr8_vgpr9
.LBB70_1792:
	s_delay_alu instid0(SALU_CYCLE_1)
	s_and_not1_b32 vcc_lo, exec_lo, s16
	s_cbranch_vccnz .LBB70_1794
; %bb.1793:
	global_load_b32 v3, v[0:1], off
	s_wait_loadcnt 0x0
	v_trunc_f32_e32 v3, v3
	s_delay_alu instid0(VALU_DEP_1) | instskip(SKIP_1) | instid1(VALU_DEP_2)
	v_mul_f32_e64 v5, 0x2f800000, |v3|
	v_ashrrev_i32_e32 v8, 31, v3
	v_floor_f32_e32 v5, v5
	s_delay_alu instid0(VALU_DEP_1) | instskip(SKIP_1) | instid1(VALU_DEP_2)
	v_fma_f32 v9, 0xcf800000, v5, |v3|
	v_cvt_u32_f32_e32 v3, v5
	v_cvt_u32_f32_e32 v5, v9
	s_delay_alu instid0(VALU_DEP_2) | instskip(NEXT) | instid1(VALU_DEP_2)
	v_dual_mov_b32 v9, v8 :: v_dual_bitop2_b32 v11, v3, v8 bitop3:0x14
	v_xor_b32_e32 v10, v5, v8
	s_delay_alu instid0(VALU_DEP_1)
	v_sub_nc_u64_e32 v[8:9], v[10:11], v[8:9]
.LBB70_1794:
	s_mov_b32 s16, 0
.LBB70_1795:
	s_delay_alu instid0(SALU_CYCLE_1)
	s_and_not1_b32 vcc_lo, exec_lo, s16
	s_cbranch_vccnz .LBB70_1797
; %bb.1796:
	global_load_u16 v3, v[0:1], off
	s_wait_loadcnt 0x0
	v_cvt_f32_f16_e32 v3, v3
	s_delay_alu instid0(VALU_DEP_1) | instskip(NEXT) | instid1(VALU_DEP_1)
	v_cvt_i32_f32_e32 v8, v3
	v_ashrrev_i32_e32 v9, 31, v8
.LBB70_1797:
	s_cbranch_execnz .LBB70_1817
.LBB70_1798:
	s_cmp_lt_i32 s0, 2
	s_cbranch_scc1 .LBB70_1802
; %bb.1799:
	s_cmp_lt_i32 s0, 3
	s_cbranch_scc1 .LBB70_1803
; %bb.1800:
	s_cmp_gt_i32 s0, 3
	s_cbranch_scc0 .LBB70_1804
; %bb.1801:
	s_wait_loadcnt 0x0
	global_load_b64 v[8:9], v[0:1], off
	s_mov_b32 s16, 0
	s_branch .LBB70_1805
.LBB70_1802:
	s_mov_b32 s16, -1
                                        ; implicit-def: $vgpr8_vgpr9
	s_branch .LBB70_1811
.LBB70_1803:
	s_mov_b32 s16, -1
                                        ; implicit-def: $vgpr8_vgpr9
	s_branch .LBB70_1808
.LBB70_1804:
	s_mov_b32 s16, -1
                                        ; implicit-def: $vgpr8_vgpr9
.LBB70_1805:
	s_delay_alu instid0(SALU_CYCLE_1)
	s_and_not1_b32 vcc_lo, exec_lo, s16
	s_cbranch_vccnz .LBB70_1807
; %bb.1806:
	s_wait_loadcnt 0x0
	global_load_b32 v8, v[0:1], off
	s_wait_loadcnt 0x0
	v_ashrrev_i32_e32 v9, 31, v8
.LBB70_1807:
	s_mov_b32 s16, 0
.LBB70_1808:
	s_delay_alu instid0(SALU_CYCLE_1)
	s_and_not1_b32 vcc_lo, exec_lo, s16
	s_cbranch_vccnz .LBB70_1810
; %bb.1809:
	global_load_u16 v3, v[0:1], off
	s_wait_loadcnt 0x0
	v_bfe_i32 v8, v3, 0, 16
	s_delay_alu instid0(VALU_DEP_1)
	v_ashrrev_i32_e32 v9, 31, v8
.LBB70_1810:
	s_mov_b32 s16, 0
.LBB70_1811:
	s_delay_alu instid0(SALU_CYCLE_1)
	s_and_not1_b32 vcc_lo, exec_lo, s16
	s_cbranch_vccnz .LBB70_1817
; %bb.1812:
	s_cmp_gt_i32 s0, 0
	s_mov_b32 s0, 0
	s_cbranch_scc0 .LBB70_1814
; %bb.1813:
	global_load_i8 v3, v[0:1], off
	s_wait_loadcnt 0x0
	v_bfe_i32 v8, v3, 0, 16
	s_delay_alu instid0(VALU_DEP_1)
	v_ashrrev_i32_e32 v9, 31, v8
	s_branch .LBB70_1815
.LBB70_1814:
	s_mov_b32 s0, -1
                                        ; implicit-def: $vgpr8_vgpr9
.LBB70_1815:
	s_delay_alu instid0(SALU_CYCLE_1)
	s_and_not1_b32 vcc_lo, exec_lo, s0
	s_cbranch_vccnz .LBB70_1817
; %bb.1816:
	global_load_u8 v0, v[0:1], off
	s_mov_b32 s0, 0
	s_wait_loadcnt 0x1
	v_mov_b32_e32 v9, s0
	s_wait_loadcnt 0x0
	v_and_b32_e32 v8, 0xffff, v0
.LBB70_1817:
.LBB70_1818:
	s_wait_loadcnt 0x0
	s_delay_alu instid0(VALU_DEP_1) | instskip(SKIP_1) | instid1(VALU_DEP_1)
	v_sub_nc_u64_e32 v[0:1], 0, v[8:9]
	s_mov_b32 s16, exec_lo
	v_max_i64 v[10:11], v[8:9], v[0:1]
	v_cmpx_ne_u64_e32 0, v[6:7]
	s_cbranch_execz .LBB70_1826
; %bb.1819:
	v_sub_nc_u64_e32 v[0:1], 0, v[6:7]
	s_mov_b32 s17, 0
	s_delay_alu instid0(VALU_DEP_1)
	v_max_i64 v[14:15], v[6:7], v[0:1]
	v_mov_b32_e32 v0, 0
	s_branch .LBB70_1821
.LBB70_1820:                            ;   in Loop: Header=BB70_1821 Depth=1
	s_or_b32 exec_lo, exec_lo, s0
	s_delay_alu instid0(VALU_DEP_1) | instskip(SKIP_2) | instid1(SALU_CYCLE_1)
	v_cmp_eq_u64_e32 vcc_lo, 0, v[14:15]
	v_mov_b64_e32 v[10:11], v[12:13]
	s_or_b32 s17, vcc_lo, s17
	s_and_not1_b32 exec_lo, exec_lo, s17
	s_cbranch_execz .LBB70_1825
.LBB70_1821:                            ; =>This Inner Loop Header: Depth=1
	s_delay_alu instid0(VALU_DEP_2) | instskip(SKIP_1) | instid1(VALU_DEP_1)
	v_mov_b64_e32 v[12:13], v[14:15]
                                        ; implicit-def: $vgpr14_vgpr15
	s_mov_b32 s0, exec_lo
	v_or_b32_e32 v1, v11, v13
	s_delay_alu instid0(VALU_DEP_1)
	v_cmpx_ne_u64_e32 0, v[0:1]
	s_xor_b32 s18, exec_lo, s0
	s_cbranch_execz .LBB70_1823
; %bb.1822:                             ;   in Loop: Header=BB70_1821 Depth=1
	s_delay_alu instid0(VALU_DEP_3) | instskip(SKIP_4) | instid1(VALU_DEP_4)
	v_cvt_f32_u32_e32 v1, v12
	v_cvt_f32_u32_e32 v3, v13
	v_sub_nc_u64_e32 v[16:17], 0, v[12:13]
	v_dual_mov_b32 v15, v0 :: v_dual_mov_b32 v25, v0
	v_mov_b32_e32 v27, v0
	v_fmac_f32_e32 v1, 0x4f800000, v3
	s_delay_alu instid0(VALU_DEP_1) | instskip(SKIP_1) | instid1(TRANS32_DEP_1)
	v_rcp_f32_e32 v1, v1
	v_nop
	v_mul_f32_e32 v1, 0x5f7ffffc, v1
	s_delay_alu instid0(VALU_DEP_1) | instskip(NEXT) | instid1(VALU_DEP_1)
	v_mul_f32_e32 v3, 0x2f800000, v1
	v_trunc_f32_e32 v3, v3
	s_delay_alu instid0(VALU_DEP_1) | instskip(SKIP_1) | instid1(VALU_DEP_2)
	v_fmac_f32_e32 v1, 0xcf800000, v3
	v_cvt_u32_f32_e32 v19, v3
	v_cvt_u32_f32_e32 v14, v1
	s_delay_alu instid0(VALU_DEP_1) | instskip(NEXT) | instid1(VALU_DEP_1)
	v_dual_mov_b32 v26, v19 :: v_dual_mov_b32 v18, v14
	v_mul_u64_e32 v[22:23], v[16:17], v[18:19]
	s_delay_alu instid0(VALU_DEP_1) | instskip(NEXT) | instid1(VALU_DEP_1)
	v_dual_mov_b32 v24, v23 :: v_dual_mov_b32 v23, v0
	v_mul_u64_e32 v[28:29], v[14:15], v[24:25]
	s_delay_alu instid0(VALU_DEP_2) | instskip(SKIP_2) | instid1(VALU_DEP_1)
	v_mul_u64_e32 v[30:31], v[26:27], v[22:23]
	v_mul_u64_e32 v[24:25], v[26:27], v[24:25]
	v_mul_hi_u32 v22, v14, v22
	v_add_nc_u64_e32 v[22:23], v[22:23], v[28:29]
	s_delay_alu instid0(VALU_DEP_1) | instskip(NEXT) | instid1(VALU_DEP_2)
	v_add_co_u32 v1, vcc_lo, v22, v30
	v_add_co_ci_u32_e32 v26, vcc_lo, v23, v31, vcc_lo
	v_add_co_ci_u32_e32 v25, vcc_lo, 0, v25, vcc_lo
	s_delay_alu instid0(VALU_DEP_1) | instskip(NEXT) | instid1(VALU_DEP_1)
	v_add_nc_u64_e32 v[22:23], v[26:27], v[24:25]
	v_add_co_u32 v14, vcc_lo, v14, v22
	s_delay_alu instid0(VALU_DEP_1) | instskip(SKIP_1) | instid1(VALU_DEP_2)
	v_add_co_ci_u32_e64 v18, null, v19, v23, vcc_lo
	v_dual_mov_b32 v23, v0 :: v_dual_mov_b32 v19, v0
	v_mov_b32_e32 v15, v18
	s_delay_alu instid0(VALU_DEP_1) | instskip(NEXT) | instid1(VALU_DEP_1)
	v_mul_u64_e32 v[16:17], v[16:17], v[14:15]
	v_dual_mov_b32 v15, v0 :: v_dual_mov_b32 v22, v17
	s_delay_alu instid0(VALU_DEP_2) | instskip(SKIP_1) | instid1(VALU_DEP_3)
	v_dual_mov_b32 v26, v16 :: v_dual_mov_b32 v17, v0
	v_mul_hi_u32 v16, v14, v16
	v_mul_u64_e32 v[24:25], v[14:15], v[22:23]
	s_delay_alu instid0(VALU_DEP_3) | instskip(SKIP_1) | instid1(VALU_DEP_3)
	v_mul_u64_e32 v[26:27], v[18:19], v[26:27]
	v_mul_u64_e32 v[22:23], v[18:19], v[22:23]
	v_add_nc_u64_e32 v[16:17], v[16:17], v[24:25]
	v_mov_b32_e32 v25, v0
	s_delay_alu instid0(VALU_DEP_2) | instskip(NEXT) | instid1(VALU_DEP_3)
	v_add_co_u32 v1, vcc_lo, v16, v26
	v_add_co_ci_u32_e32 v24, vcc_lo, v17, v27, vcc_lo
	v_add_co_ci_u32_e32 v23, vcc_lo, 0, v23, vcc_lo
	s_delay_alu instid0(VALU_DEP_1) | instskip(SKIP_1) | instid1(VALU_DEP_2)
	v_add_nc_u64_e32 v[16:17], v[24:25], v[22:23]
	v_dual_mov_b32 v22, v10 :: v_dual_mov_b32 v23, v0
	v_add_co_u32 v16, vcc_lo, v14, v16
	s_delay_alu instid0(VALU_DEP_1) | instskip(SKIP_1) | instid1(VALU_DEP_2)
	v_add_co_ci_u32_e64 v14, null, v18, v17, vcc_lo
	v_dual_mov_b32 v18, v11 :: v_dual_mov_b32 v17, v0
	v_mul_u64_e32 v[22:23], v[22:23], v[14:15]
	s_delay_alu instid0(VALU_DEP_2) | instskip(NEXT) | instid1(VALU_DEP_3)
	v_mul_u64_e32 v[14:15], v[18:19], v[14:15]
	v_mul_u64_e32 v[24:25], v[18:19], v[16:17]
	v_mul_hi_u32 v16, v10, v16
	s_delay_alu instid0(VALU_DEP_1) | instskip(NEXT) | instid1(VALU_DEP_1)
	v_add_nc_u64_e32 v[16:17], v[16:17], v[22:23]
	v_add_co_u32 v1, vcc_lo, v16, v24
	s_delay_alu instid0(VALU_DEP_2) | instskip(SKIP_1) | instid1(VALU_DEP_1)
	v_add_co_ci_u32_e32 v18, vcc_lo, v17, v25, vcc_lo
	v_add_co_ci_u32_e32 v15, vcc_lo, 0, v15, vcc_lo
	v_add_nc_u64_e32 v[14:15], v[18:19], v[14:15]
	s_delay_alu instid0(VALU_DEP_1) | instskip(NEXT) | instid1(VALU_DEP_1)
	v_mul_u64_e32 v[14:15], v[12:13], v[14:15]
	v_sub_nc_u32_e32 v1, v11, v15
	s_delay_alu instid0(VALU_DEP_2) | instskip(NEXT) | instid1(VALU_DEP_1)
	v_sub_co_u32 v3, vcc_lo, v10, v14
	v_sub_co_ci_u32_e64 v5, null, v11, v15, vcc_lo
	s_delay_alu instid0(VALU_DEP_3) | instskip(NEXT) | instid1(VALU_DEP_3)
	v_sub_co_ci_u32_e64 v1, null, v1, v13, vcc_lo
	v_sub_co_u32 v10, vcc_lo, v3, v12
	v_cmp_ge_u32_e64 s0, v3, v12
	s_delay_alu instid0(VALU_DEP_3) | instskip(SKIP_1) | instid1(VALU_DEP_3)
	v_subrev_co_ci_u32_e64 v11, null, 0, v1, vcc_lo
	v_sub_co_ci_u32_e64 v1, null, v1, v13, vcc_lo
	v_cndmask_b32_e64 v14, 0, -1, s0
	v_cmp_ge_u32_e64 s0, v10, v12
	v_cmp_ge_u32_e32 vcc_lo, v5, v13
	s_delay_alu instid0(VALU_DEP_2) | instskip(SKIP_3) | instid1(VALU_DEP_3)
	v_cndmask_b32_e64 v15, 0, -1, s0
	v_cmp_ge_u32_e64 s0, v11, v13
	v_cndmask_b32_e64 v17, 0, -1, vcc_lo
	v_cmp_eq_u32_e32 vcc_lo, v11, v13
	v_cndmask_b32_e64 v16, 0, -1, s0
	v_cmp_eq_u32_e64 s0, v5, v13
	s_delay_alu instid0(VALU_DEP_1) | instskip(SKIP_1) | instid1(VALU_DEP_1)
	v_dual_cndmask_b32 v15, v16, v15, vcc_lo :: v_dual_cndmask_b32 v14, v17, v14, s0
	v_sub_co_u32 v16, vcc_lo, v10, v12
	v_subrev_co_ci_u32_e64 v1, null, 0, v1, vcc_lo
	s_delay_alu instid0(VALU_DEP_3) | instskip(NEXT) | instid1(VALU_DEP_2)
	v_cmp_ne_u32_e32 vcc_lo, 0, v15
	v_dual_cndmask_b32 v1, v11, v1 :: v_dual_cndmask_b32 v10, v10, v16
	v_cmp_ne_u32_e32 vcc_lo, 0, v14
	s_delay_alu instid0(VALU_DEP_2)
	v_dual_cndmask_b32 v15, v5, v1 :: v_dual_cndmask_b32 v14, v3, v10
                                        ; implicit-def: $vgpr10_vgpr11
.LBB70_1823:                            ;   in Loop: Header=BB70_1821 Depth=1
	s_and_not1_saveexec_b32 s0, s18
	s_cbranch_execz .LBB70_1820
; %bb.1824:                             ;   in Loop: Header=BB70_1821 Depth=1
	v_cvt_f32_u32_e32 v1, v12
	v_dual_sub_nc_u32 v3, 0, v12 :: v_dual_mov_b32 v15, v0
	s_delay_alu instid0(VALU_DEP_2) | instskip(SKIP_1) | instid1(TRANS32_DEP_1)
	v_rcp_iflag_f32_e32 v1, v1
	v_nop
	v_mul_f32_e32 v1, 0x4f7ffffe, v1
	s_delay_alu instid0(VALU_DEP_1) | instskip(NEXT) | instid1(VALU_DEP_1)
	v_cvt_u32_f32_e32 v1, v1
	v_mul_lo_u32 v3, v3, v1
	s_delay_alu instid0(VALU_DEP_1) | instskip(NEXT) | instid1(VALU_DEP_1)
	v_mul_hi_u32 v3, v1, v3
	v_add_nc_u32_e32 v1, v1, v3
	s_delay_alu instid0(VALU_DEP_1) | instskip(NEXT) | instid1(VALU_DEP_1)
	v_mul_hi_u32 v1, v10, v1
	v_mul_lo_u32 v1, v1, v12
	s_delay_alu instid0(VALU_DEP_1) | instskip(NEXT) | instid1(VALU_DEP_1)
	v_sub_nc_u32_e32 v1, v10, v1
	v_sub_nc_u32_e32 v3, v1, v12
	v_cmp_ge_u32_e32 vcc_lo, v1, v12
	s_delay_alu instid0(VALU_DEP_2) | instskip(NEXT) | instid1(VALU_DEP_1)
	v_cndmask_b32_e32 v1, v1, v3, vcc_lo
	v_sub_nc_u32_e32 v3, v1, v12
	v_cmp_ge_u32_e32 vcc_lo, v1, v12
	s_delay_alu instid0(VALU_DEP_2)
	v_cndmask_b32_e32 v14, v1, v3, vcc_lo
	s_branch .LBB70_1820
.LBB70_1825:
	s_or_b32 exec_lo, exec_lo, s17
	v_mov_b64_e32 v[10:11], v[12:13]
.LBB70_1826:
	s_or_b32 exec_lo, exec_lo, s16
	v_mov_b64_e32 v[0:1], 0
	s_mov_b32 s16, exec_lo
	s_delay_alu instid0(VALU_DEP_2)
	v_cmpx_ne_u64_e32 0, v[10:11]
	s_cbranch_execz .LBB70_1832
; %bb.1827:
	v_dual_mov_b32 v0, 0 :: v_dual_bitop2_b32 v1, v7, v11 bitop3:0x54
                                        ; implicit-def: $vgpr12_vgpr13
	s_mov_b32 s0, exec_lo
	s_delay_alu instid0(VALU_DEP_1)
	v_cmpx_ne_u64_e32 0, v[0:1]
	s_xor_b32 s17, exec_lo, s0
	s_cbranch_execz .LBB70_1829
; %bb.1828:
	v_dual_mov_b32 v15, v0 :: v_dual_ashrrev_i32 v12, 31, v11
	v_dual_mov_b32 v25, v0 :: v_dual_mov_b32 v27, v0
	s_delay_alu instid0(VALU_DEP_2) | instskip(NEXT) | instid1(VALU_DEP_1)
	v_mov_b32_e32 v13, v12
	v_add_nc_u64_e32 v[10:11], v[10:11], v[12:13]
	s_delay_alu instid0(VALU_DEP_1) | instskip(NEXT) | instid1(VALU_DEP_2)
	v_xor_b32_e32 v10, v10, v12
	v_xor_b32_e32 v11, v11, v12
	s_delay_alu instid0(VALU_DEP_2) | instskip(NEXT) | instid1(VALU_DEP_2)
	v_cvt_f32_u32_e32 v1, v10
	v_cvt_f32_u32_e32 v3, v11
	s_delay_alu instid0(VALU_DEP_1) | instskip(NEXT) | instid1(VALU_DEP_1)
	v_fmamk_f32 v1, v3, 0x4f800000, v1
	v_rcp_f32_e32 v1, v1
	v_nop
	s_delay_alu instid0(TRANS32_DEP_1) | instskip(NEXT) | instid1(VALU_DEP_1)
	v_mul_f32_e32 v1, 0x5f7ffffc, v1
	v_mul_f32_e32 v3, 0x2f800000, v1
	s_delay_alu instid0(VALU_DEP_1) | instskip(NEXT) | instid1(VALU_DEP_1)
	v_trunc_f32_e32 v3, v3
	v_fmamk_f32 v1, v3, 0xcf800000, v1
	v_cvt_u32_f32_e32 v19, v3
	s_delay_alu instid0(VALU_DEP_2) | instskip(NEXT) | instid1(VALU_DEP_1)
	v_cvt_u32_f32_e32 v14, v1
	v_dual_mov_b32 v26, v19 :: v_dual_mov_b32 v18, v14
	v_sub_nc_u64_e32 v[16:17], 0, v[10:11]
	s_delay_alu instid0(VALU_DEP_1) | instskip(NEXT) | instid1(VALU_DEP_1)
	v_mul_u64_e32 v[22:23], v[16:17], v[18:19]
	v_dual_mov_b32 v24, v23 :: v_dual_mov_b32 v23, v0
	s_delay_alu instid0(VALU_DEP_1) | instskip(NEXT) | instid1(VALU_DEP_2)
	v_mul_u64_e32 v[28:29], v[14:15], v[24:25]
	v_mul_u64_e32 v[30:31], v[26:27], v[22:23]
	;; [unrolled: 1-line block ×3, first 2 shown]
	v_mul_hi_u32 v22, v14, v22
	s_delay_alu instid0(VALU_DEP_1) | instskip(SKIP_1) | instid1(VALU_DEP_2)
	v_add_nc_u64_e32 v[22:23], v[22:23], v[28:29]
	v_ashrrev_i32_e32 v28, 31, v7
	v_add_co_u32 v1, vcc_lo, v22, v30
	s_delay_alu instid0(VALU_DEP_3) | instskip(SKIP_1) | instid1(VALU_DEP_1)
	v_add_co_ci_u32_e32 v26, vcc_lo, v23, v31, vcc_lo
	v_add_co_ci_u32_e32 v25, vcc_lo, 0, v25, vcc_lo
	v_add_nc_u64_e32 v[22:23], v[26:27], v[24:25]
	s_delay_alu instid0(VALU_DEP_1) | instskip(NEXT) | instid1(VALU_DEP_1)
	v_add_co_u32 v14, vcc_lo, v14, v22
	v_add_co_ci_u32_e64 v18, null, v19, v23, vcc_lo
	v_dual_mov_b32 v23, v0 :: v_dual_mov_b32 v19, v0
	s_delay_alu instid0(VALU_DEP_2) | instskip(NEXT) | instid1(VALU_DEP_1)
	v_mov_b32_e32 v15, v18
	v_mul_u64_e32 v[16:17], v[16:17], v[14:15]
	s_delay_alu instid0(VALU_DEP_1) | instskip(NEXT) | instid1(VALU_DEP_2)
	v_dual_mov_b32 v15, v0 :: v_dual_mov_b32 v22, v17
	v_dual_mov_b32 v26, v16 :: v_dual_mov_b32 v17, v0
	v_mul_hi_u32 v16, v14, v16
	s_delay_alu instid0(VALU_DEP_3) | instskip(NEXT) | instid1(VALU_DEP_3)
	v_mul_u64_e32 v[24:25], v[14:15], v[22:23]
	v_mul_u64_e32 v[26:27], v[18:19], v[26:27]
	;; [unrolled: 1-line block ×3, first 2 shown]
	s_delay_alu instid0(VALU_DEP_3) | instskip(SKIP_1) | instid1(VALU_DEP_2)
	v_add_nc_u64_e32 v[16:17], v[16:17], v[24:25]
	v_dual_mov_b32 v25, v0 :: v_dual_mov_b32 v29, v28
	v_add_co_u32 v1, vcc_lo, v16, v26
	s_delay_alu instid0(VALU_DEP_3) | instskip(SKIP_2) | instid1(VALU_DEP_2)
	v_add_co_ci_u32_e32 v24, vcc_lo, v17, v27, vcc_lo
	v_add_co_ci_u32_e32 v23, vcc_lo, 0, v23, vcc_lo
	v_mov_b32_e32 v1, v0
	v_add_nc_u64_e32 v[16:17], v[24:25], v[22:23]
	v_mov_b32_e32 v23, v0
	v_add_nc_u64_e32 v[6:7], v[6:7], v[28:29]
	s_delay_alu instid0(VALU_DEP_3) | instskip(NEXT) | instid1(VALU_DEP_2)
	v_add_co_u32 v16, vcc_lo, v14, v16
	v_xor_b32_e32 v22, v6, v28
	v_add_co_ci_u32_e64 v14, null, v18, v17, vcc_lo
	s_delay_alu instid0(VALU_DEP_4) | instskip(NEXT) | instid1(VALU_DEP_2)
	v_dual_mov_b32 v17, v0 :: v_dual_bitop2_b32 v18, v7, v28 bitop3:0x14
	v_mul_u64_e32 v[24:25], v[22:23], v[14:15]
	s_delay_alu instid0(VALU_DEP_2) | instskip(SKIP_2) | instid1(VALU_DEP_1)
	v_mul_u64_e32 v[6:7], v[18:19], v[16:17]
	v_mul_u64_e32 v[14:15], v[18:19], v[14:15]
	v_mul_hi_u32 v16, v22, v16
	v_add_nc_u64_e32 v[16:17], v[16:17], v[24:25]
	s_delay_alu instid0(VALU_DEP_1) | instskip(NEXT) | instid1(VALU_DEP_2)
	v_add_co_u32 v0, vcc_lo, v16, v6
	v_add_co_ci_u32_e32 v0, vcc_lo, v17, v7, vcc_lo
	v_add_co_ci_u32_e32 v15, vcc_lo, 0, v15, vcc_lo
	s_delay_alu instid0(VALU_DEP_1) | instskip(NEXT) | instid1(VALU_DEP_1)
	v_add_nc_u64_e32 v[0:1], v[0:1], v[14:15]
	v_mul_u64_e32 v[6:7], v[10:11], v[0:1]
	v_add_nc_u64_e32 v[14:15], 1, v[0:1]
	s_delay_alu instid0(VALU_DEP_2) | instskip(NEXT) | instid1(VALU_DEP_3)
	v_sub_nc_u32_e32 v3, v18, v7
	v_sub_co_u32 v5, vcc_lo, v22, v6
	s_delay_alu instid0(VALU_DEP_1) | instskip(NEXT) | instid1(VALU_DEP_3)
	v_sub_co_ci_u32_e64 v13, null, v18, v7, vcc_lo
	v_sub_co_ci_u32_e64 v3, null, v3, v11, vcc_lo
	s_delay_alu instid0(VALU_DEP_3) | instskip(NEXT) | instid1(VALU_DEP_1)
	v_sub_co_u32 v6, s0, v5, v10
	v_subrev_co_ci_u32_e64 v3, null, 0, v3, s0
	s_delay_alu instid0(VALU_DEP_2) | instskip(SKIP_1) | instid1(VALU_DEP_3)
	v_cmp_ge_u32_e32 vcc_lo, v6, v10
	v_cndmask_b32_e64 v6, 0, -1, vcc_lo
	v_cmp_ge_u32_e32 vcc_lo, v3, v11
	v_cndmask_b32_e64 v7, 0, -1, vcc_lo
	;; [unrolled: 2-line block ×4, first 2 shown]
	v_cmp_eq_u32_e32 vcc_lo, v3, v11
	v_cndmask_b32_e32 v3, v7, v6, vcc_lo
	v_cmp_eq_u32_e32 vcc_lo, v13, v11
	v_add_nc_u64_e32 v[6:7], 2, v[0:1]
	v_cndmask_b32_e32 v5, v10, v5, vcc_lo
	s_delay_alu instid0(VALU_DEP_4) | instskip(NEXT) | instid1(VALU_DEP_2)
	v_cmp_ne_u32_e32 vcc_lo, 0, v3
                                        ; implicit-def: $vgpr10_vgpr11
	v_cmp_ne_u32_e64 s0, 0, v5
	s_delay_alu instid0(VALU_DEP_4) | instskip(NEXT) | instid1(VALU_DEP_1)
	v_dual_cndmask_b32 v3, v15, v7, vcc_lo :: v_dual_cndmask_b32 v5, v14, v6, vcc_lo
	v_dual_cndmask_b32 v1, v1, v3, s0 :: v_dual_bitop2_b32 v6, v28, v12 bitop3:0x14
	s_delay_alu instid0(VALU_DEP_1) | instskip(NEXT) | instid1(VALU_DEP_2)
	v_dual_cndmask_b32 v0, v0, v5, s0 :: v_dual_mov_b32 v7, v6
	v_xor_b32_e32 v1, v1, v6
	s_delay_alu instid0(VALU_DEP_2) | instskip(NEXT) | instid1(VALU_DEP_1)
	v_xor_b32_e32 v0, v0, v6
	v_sub_nc_u64_e32 v[12:13], v[0:1], v[6:7]
                                        ; implicit-def: $vgpr6_vgpr7
.LBB70_1829:
	s_and_not1_saveexec_b32 s0, s17
	s_cbranch_execz .LBB70_1831
; %bb.1830:
	v_cvt_f32_u32_e32 v0, v10
	v_dual_sub_nc_u32 v1, 0, v10 :: v_dual_mov_b32 v13, 0
	s_delay_alu instid0(VALU_DEP_2) | instskip(SKIP_1) | instid1(TRANS32_DEP_1)
	v_rcp_iflag_f32_e32 v0, v0
	v_nop
	v_mul_f32_e32 v0, 0x4f7ffffe, v0
	s_delay_alu instid0(VALU_DEP_1) | instskip(NEXT) | instid1(VALU_DEP_1)
	v_cvt_u32_f32_e32 v0, v0
	v_mul_lo_u32 v1, v1, v0
	s_delay_alu instid0(VALU_DEP_1) | instskip(NEXT) | instid1(VALU_DEP_1)
	v_mul_hi_u32 v1, v0, v1
	v_add_nc_u32_e32 v0, v0, v1
	s_delay_alu instid0(VALU_DEP_1) | instskip(NEXT) | instid1(VALU_DEP_1)
	v_mul_hi_u32 v0, v6, v0
	v_mul_lo_u32 v1, v0, v10
	s_delay_alu instid0(VALU_DEP_1) | instskip(NEXT) | instid1(VALU_DEP_1)
	v_dual_sub_nc_u32 v1, v6, v1 :: v_dual_add_nc_u32 v3, 1, v0
	v_sub_nc_u32_e32 v5, v1, v10
	v_cmp_ge_u32_e32 vcc_lo, v1, v10
	s_delay_alu instid0(VALU_DEP_2) | instskip(NEXT) | instid1(VALU_DEP_1)
	v_dual_cndmask_b32 v1, v1, v5 :: v_dual_cndmask_b32 v0, v0, v3
	v_cmp_ge_u32_e32 vcc_lo, v1, v10
	s_delay_alu instid0(VALU_DEP_2) | instskip(NEXT) | instid1(VALU_DEP_1)
	v_add_nc_u32_e32 v3, 1, v0
	v_cndmask_b32_e32 v12, v0, v3, vcc_lo
.LBB70_1831:
	s_or_b32 exec_lo, exec_lo, s0
	s_delay_alu instid0(VALU_DEP_1) | instskip(NEXT) | instid1(VALU_DEP_1)
	v_mul_u64_e32 v[0:1], v[12:13], v[8:9]
	v_sub_nc_u64_e32 v[6:7], 0, v[0:1]
	s_delay_alu instid0(VALU_DEP_1)
	v_max_i64 v[0:1], v[0:1], v[6:7]
.LBB70_1832:
	s_or_b32 exec_lo, exec_lo, s16
	s_lshl_b32 s9, s9, 7
	s_cmp_lt_i32 s13, 11
	v_add_nc_u32_e32 v6, s9, v2
	s_delay_alu instid0(VALU_DEP_1) | instskip(NEXT) | instid1(VALU_DEP_1)
	v_ashrrev_i32_e32 v7, 31, v6
	v_add_nc_u64_e32 v[2:3], s[6:7], v[6:7]
	s_cbranch_scc1 .LBB70_1839
; %bb.1833:
	s_and_b32 s0, 0xffff, s13
	s_mov_b32 s17, 0
	s_cmp_gt_i32 s0, 25
	s_cbranch_scc0 .LBB70_1841
; %bb.1834:
	s_cmp_gt_i32 s0, 28
	s_cbranch_scc0 .LBB70_1842
; %bb.1835:
	;; [unrolled: 3-line block ×4, first 2 shown]
	s_cmp_eq_u32 s0, 46
	s_mov_b32 s19, 0
	s_cbranch_scc0 .LBB70_1846
; %bb.1838:
	global_load_b32 v5, v[2:3], off
	s_mov_b32 s16, 0
	s_mov_b32 s18, -1
	s_wait_loadcnt 0x0
	v_lshlrev_b32_e32 v5, 16, v5
	s_delay_alu instid0(VALU_DEP_1) | instskip(NEXT) | instid1(VALU_DEP_1)
	v_trunc_f32_e32 v5, v5
	v_mul_f32_e64 v7, 0x2f800000, |v5|
	v_ashrrev_i32_e32 v8, 31, v5
	s_delay_alu instid0(VALU_DEP_2) | instskip(NEXT) | instid1(VALU_DEP_1)
	v_floor_f32_e32 v7, v7
	v_fma_f32 v9, 0xcf800000, v7, |v5|
	v_cvt_u32_f32_e32 v5, v7
	s_delay_alu instid0(VALU_DEP_2) | instskip(NEXT) | instid1(VALU_DEP_2)
	v_cvt_u32_f32_e32 v7, v9
	v_dual_mov_b32 v9, v8 :: v_dual_bitop2_b32 v11, v5, v8 bitop3:0x14
	s_delay_alu instid0(VALU_DEP_2) | instskip(NEXT) | instid1(VALU_DEP_1)
	v_xor_b32_e32 v10, v7, v8
	v_sub_nc_u64_e32 v[8:9], v[10:11], v[8:9]
	s_branch .LBB70_1848
.LBB70_1839:
	s_mov_b32 s18, 0
                                        ; implicit-def: $vgpr8_vgpr9
	s_cbranch_execnz .LBB70_1910
.LBB70_1840:
	s_and_not1_b32 vcc_lo, exec_lo, s18
	s_cbranch_vccnz .LBB70_2625
	s_branch .LBB70_1958
.LBB70_1841:
	s_mov_b32 s19, -1
	s_mov_b32 s18, 0
	s_mov_b32 s16, 0
                                        ; implicit-def: $vgpr8_vgpr9
	s_branch .LBB70_1875
.LBB70_1842:
	s_mov_b32 s19, -1
	s_mov_b32 s18, 0
	s_mov_b32 s16, 0
                                        ; implicit-def: $vgpr8_vgpr9
	s_branch .LBB70_1858
.LBB70_1843:
	s_mov_b32 s19, -1
	s_mov_b32 s18, 0
	s_mov_b32 s16, 0
                                        ; implicit-def: $vgpr8_vgpr9
	s_branch .LBB70_1853
.LBB70_1844:
	s_or_b32 s12, s12, exec_lo
	s_trap 2
	s_cbranch_execz .LBB70_1769
	s_branch .LBB70_1770
.LBB70_1845:
	s_mov_b32 s19, -1
	s_mov_b32 s18, 0
	s_mov_b32 s16, 0
	s_branch .LBB70_1847
.LBB70_1846:
	s_mov_b32 s16, -1
	s_mov_b32 s18, 0
.LBB70_1847:
                                        ; implicit-def: $vgpr8_vgpr9
.LBB70_1848:
	s_and_b32 vcc_lo, exec_lo, s19
	s_cbranch_vccz .LBB70_1852
; %bb.1849:
	s_cmp_eq_u32 s0, 44
	s_cbranch_scc0 .LBB70_1851
; %bb.1850:
	global_load_u8 v5, v[2:3], off
	s_mov_b32 s16, 0
	s_mov_b32 s18, -1
	s_wait_loadcnt 0x0
	v_lshlrev_b32_e32 v7, 23, v5
	v_cmp_ne_u32_e32 vcc_lo, 0, v5
	s_delay_alu instid0(VALU_DEP_2) | instskip(NEXT) | instid1(VALU_DEP_1)
	v_trunc_f32_e32 v7, v7
	v_mul_f32_e64 v8, 0x2f800000, |v7|
	s_delay_alu instid0(VALU_DEP_1) | instskip(SKIP_1) | instid1(VALU_DEP_2)
	v_floor_f32_e32 v9, v8
	v_ashrrev_i32_e32 v8, 31, v7
	v_fma_f32 v10, 0xcf800000, v9, |v7|
	v_cvt_u32_f32_e32 v7, v9
	s_delay_alu instid0(VALU_DEP_3) | instskip(NEXT) | instid1(VALU_DEP_3)
	v_mov_b32_e32 v9, v8
	v_cvt_u32_f32_e32 v10, v10
	s_delay_alu instid0(VALU_DEP_3) | instskip(NEXT) | instid1(VALU_DEP_2)
	v_xor_b32_e32 v11, v7, v8
	v_xor_b32_e32 v10, v10, v8
	s_delay_alu instid0(VALU_DEP_1) | instskip(NEXT) | instid1(VALU_DEP_1)
	v_sub_nc_u64_e32 v[8:9], v[10:11], v[8:9]
	v_dual_cndmask_b32 v9, 0, v9 :: v_dual_cndmask_b32 v8, 0, v8
	s_branch .LBB70_1852
.LBB70_1851:
	s_mov_b32 s16, -1
                                        ; implicit-def: $vgpr8_vgpr9
.LBB70_1852:
	s_mov_b32 s19, 0
.LBB70_1853:
	s_delay_alu instid0(SALU_CYCLE_1)
	s_and_b32 vcc_lo, exec_lo, s19
	s_cbranch_vccz .LBB70_1857
; %bb.1854:
	s_cmp_eq_u32 s0, 29
	s_cbranch_scc0 .LBB70_1856
; %bb.1855:
	global_load_b64 v[8:9], v[2:3], off
	s_mov_b32 s16, 0
	s_mov_b32 s18, -1
	s_branch .LBB70_1857
.LBB70_1856:
	s_mov_b32 s16, -1
                                        ; implicit-def: $vgpr8_vgpr9
.LBB70_1857:
	s_mov_b32 s19, 0
.LBB70_1858:
	s_delay_alu instid0(SALU_CYCLE_1)
	s_and_b32 vcc_lo, exec_lo, s19
	s_cbranch_vccz .LBB70_1874
; %bb.1859:
	s_cmp_lt_i32 s0, 27
	s_cbranch_scc1 .LBB70_1862
; %bb.1860:
	s_cmp_gt_i32 s0, 27
	s_cbranch_scc0 .LBB70_1863
; %bb.1861:
	s_wait_loadcnt 0x0
	global_load_b32 v8, v[2:3], off
	v_mov_b32_e32 v9, 0
	s_mov_b32 s18, 0
	s_branch .LBB70_1864
.LBB70_1862:
	s_mov_b32 s18, -1
                                        ; implicit-def: $vgpr8_vgpr9
	s_branch .LBB70_1867
.LBB70_1863:
	s_mov_b32 s18, -1
                                        ; implicit-def: $vgpr8_vgpr9
.LBB70_1864:
	s_delay_alu instid0(SALU_CYCLE_1)
	s_and_not1_b32 vcc_lo, exec_lo, s18
	s_cbranch_vccnz .LBB70_1866
; %bb.1865:
	global_load_u16 v5, v[2:3], off
	s_mov_b32 s18, 0
	s_wait_loadcnt 0x1
	v_mov_b32_e32 v9, s18
	s_wait_loadcnt 0x0
	v_and_b32_e32 v8, 0xffff, v5
.LBB70_1866:
	s_mov_b32 s18, 0
.LBB70_1867:
	s_delay_alu instid0(SALU_CYCLE_1)
	s_and_not1_b32 vcc_lo, exec_lo, s18
	s_cbranch_vccnz .LBB70_1873
; %bb.1868:
	global_load_u8 v5, v[2:3], off
	s_mov_b32 s19, 0
	s_mov_b32 s18, exec_lo
	s_wait_loadcnt 0x0
	v_cmpx_lt_i16_e32 0x7f, v5
	s_xor_b32 s18, exec_lo, s18
	s_cbranch_execz .LBB70_1885
; %bb.1869:
	v_cmp_ne_u16_e32 vcc_lo, 0x80, v5
	s_and_b32 s19, vcc_lo, exec_lo
	s_and_not1_saveexec_b32 s18, s18
	s_cbranch_execnz .LBB70_1886
.LBB70_1870:
	s_or_b32 exec_lo, exec_lo, s18
	v_mov_b64_e32 v[8:9], 0
	s_and_saveexec_b32 s18, s19
	s_cbranch_execz .LBB70_1872
.LBB70_1871:
	v_and_b32_e32 v7, 0xffff, v5
	s_delay_alu instid0(VALU_DEP_1) | instskip(SKIP_1) | instid1(VALU_DEP_2)
	v_and_b32_e32 v8, 7, v7
	v_bfe_u32 v11, v7, 3, 4
	v_clz_i32_u32_e32 v9, v8
	s_delay_alu instid0(VALU_DEP_2) | instskip(NEXT) | instid1(VALU_DEP_2)
	v_cmp_eq_u32_e32 vcc_lo, 0, v11
	v_min_u32_e32 v9, 32, v9
	s_delay_alu instid0(VALU_DEP_1) | instskip(NEXT) | instid1(VALU_DEP_1)
	v_subrev_nc_u32_e32 v10, 28, v9
	v_dual_lshlrev_b32 v7, v10, v7 :: v_dual_sub_nc_u32 v9, 29, v9
	s_delay_alu instid0(VALU_DEP_1) | instskip(NEXT) | instid1(VALU_DEP_1)
	v_dual_lshlrev_b32 v5, 24, v5 :: v_dual_bitop2_b32 v7, 7, v7 bitop3:0x40
	v_dual_cndmask_b32 v7, v8, v7, vcc_lo :: v_dual_cndmask_b32 v9, v11, v9, vcc_lo
	s_delay_alu instid0(VALU_DEP_2) | instskip(NEXT) | instid1(VALU_DEP_2)
	v_and_b32_e32 v5, 0x80000000, v5
	v_lshlrev_b32_e32 v7, 20, v7
	s_delay_alu instid0(VALU_DEP_3) | instskip(NEXT) | instid1(VALU_DEP_1)
	v_lshl_add_u32 v8, v9, 23, 0x3b800000
	v_or3_b32 v5, v5, v8, v7
	s_delay_alu instid0(VALU_DEP_1) | instskip(NEXT) | instid1(VALU_DEP_1)
	v_trunc_f32_e32 v5, v5
	v_mul_f32_e64 v7, 0x2f800000, |v5|
	v_ashrrev_i32_e32 v8, 31, v5
	s_delay_alu instid0(VALU_DEP_2) | instskip(NEXT) | instid1(VALU_DEP_1)
	v_floor_f32_e32 v7, v7
	v_fma_f32 v9, 0xcf800000, v7, |v5|
	v_cvt_u32_f32_e32 v5, v7
	s_delay_alu instid0(VALU_DEP_2) | instskip(NEXT) | instid1(VALU_DEP_2)
	v_cvt_u32_f32_e32 v7, v9
	v_dual_mov_b32 v9, v8 :: v_dual_bitop2_b32 v11, v5, v8 bitop3:0x14
	s_delay_alu instid0(VALU_DEP_2) | instskip(NEXT) | instid1(VALU_DEP_1)
	v_xor_b32_e32 v10, v7, v8
	v_sub_nc_u64_e32 v[8:9], v[10:11], v[8:9]
.LBB70_1872:
	s_or_b32 exec_lo, exec_lo, s18
.LBB70_1873:
	s_mov_b32 s18, -1
.LBB70_1874:
	s_mov_b32 s19, 0
.LBB70_1875:
	s_delay_alu instid0(SALU_CYCLE_1)
	s_and_b32 vcc_lo, exec_lo, s19
	s_cbranch_vccz .LBB70_1906
; %bb.1876:
	s_cmp_gt_i32 s0, 22
	s_cbranch_scc0 .LBB70_1884
; %bb.1877:
	s_cmp_lt_i32 s0, 24
	s_cbranch_scc1 .LBB70_1887
; %bb.1878:
	s_cmp_gt_i32 s0, 24
	s_cbranch_scc0 .LBB70_1888
; %bb.1879:
	global_load_u8 v5, v[2:3], off
	s_mov_b32 s18, 0
	s_mov_b32 s17, exec_lo
	s_wait_loadcnt 0x0
	v_cmpx_lt_i16_e32 0x7f, v5
	s_xor_b32 s17, exec_lo, s17
	s_cbranch_execz .LBB70_1900
; %bb.1880:
	v_cmp_ne_u16_e32 vcc_lo, 0x80, v5
	s_and_b32 s18, vcc_lo, exec_lo
	s_and_not1_saveexec_b32 s17, s17
	s_cbranch_execnz .LBB70_1901
.LBB70_1881:
	s_or_b32 exec_lo, exec_lo, s17
	v_mov_b64_e32 v[8:9], 0
	s_and_saveexec_b32 s17, s18
	s_cbranch_execz .LBB70_1883
.LBB70_1882:
	v_and_b32_e32 v7, 0xffff, v5
	s_delay_alu instid0(VALU_DEP_1) | instskip(SKIP_1) | instid1(VALU_DEP_2)
	v_and_b32_e32 v8, 3, v7
	v_bfe_u32 v11, v7, 2, 5
	v_clz_i32_u32_e32 v9, v8
	s_delay_alu instid0(VALU_DEP_2) | instskip(NEXT) | instid1(VALU_DEP_2)
	v_cmp_eq_u32_e32 vcc_lo, 0, v11
	v_min_u32_e32 v9, 32, v9
	s_delay_alu instid0(VALU_DEP_1) | instskip(NEXT) | instid1(VALU_DEP_1)
	v_subrev_nc_u32_e32 v10, 29, v9
	v_dual_lshlrev_b32 v7, v10, v7 :: v_dual_sub_nc_u32 v9, 30, v9
	s_delay_alu instid0(VALU_DEP_1) | instskip(NEXT) | instid1(VALU_DEP_1)
	v_dual_lshlrev_b32 v5, 24, v5 :: v_dual_bitop2_b32 v7, 3, v7 bitop3:0x40
	v_dual_cndmask_b32 v7, v8, v7, vcc_lo :: v_dual_cndmask_b32 v9, v11, v9, vcc_lo
	s_delay_alu instid0(VALU_DEP_2) | instskip(NEXT) | instid1(VALU_DEP_2)
	v_and_b32_e32 v5, 0x80000000, v5
	v_lshlrev_b32_e32 v7, 21, v7
	s_delay_alu instid0(VALU_DEP_3) | instskip(NEXT) | instid1(VALU_DEP_1)
	v_lshl_add_u32 v8, v9, 23, 0x37800000
	v_or3_b32 v5, v5, v8, v7
	s_delay_alu instid0(VALU_DEP_1) | instskip(NEXT) | instid1(VALU_DEP_1)
	v_trunc_f32_e32 v5, v5
	v_mul_f32_e64 v7, 0x2f800000, |v5|
	v_ashrrev_i32_e32 v8, 31, v5
	s_delay_alu instid0(VALU_DEP_2) | instskip(NEXT) | instid1(VALU_DEP_1)
	v_floor_f32_e32 v7, v7
	v_fma_f32 v9, 0xcf800000, v7, |v5|
	v_cvt_u32_f32_e32 v5, v7
	s_delay_alu instid0(VALU_DEP_2) | instskip(NEXT) | instid1(VALU_DEP_2)
	v_cvt_u32_f32_e32 v7, v9
	v_dual_mov_b32 v9, v8 :: v_dual_bitop2_b32 v11, v5, v8 bitop3:0x14
	s_delay_alu instid0(VALU_DEP_2) | instskip(NEXT) | instid1(VALU_DEP_1)
	v_xor_b32_e32 v10, v7, v8
	v_sub_nc_u64_e32 v[8:9], v[10:11], v[8:9]
.LBB70_1883:
	s_or_b32 exec_lo, exec_lo, s17
	s_mov_b32 s17, 0
	s_branch .LBB70_1889
.LBB70_1884:
	s_mov_b32 s17, -1
                                        ; implicit-def: $vgpr8_vgpr9
	s_branch .LBB70_1895
.LBB70_1885:
	s_and_not1_saveexec_b32 s18, s18
	s_cbranch_execz .LBB70_1870
.LBB70_1886:
	v_cmp_ne_u16_e32 vcc_lo, 0, v5
	s_and_not1_b32 s19, s19, exec_lo
	s_and_b32 s20, vcc_lo, exec_lo
	s_delay_alu instid0(SALU_CYCLE_1)
	s_or_b32 s19, s19, s20
	s_or_b32 exec_lo, exec_lo, s18
	v_mov_b64_e32 v[8:9], 0
	s_and_saveexec_b32 s18, s19
	s_cbranch_execnz .LBB70_1871
	s_branch .LBB70_1872
.LBB70_1887:
	s_mov_b32 s17, -1
                                        ; implicit-def: $vgpr8_vgpr9
	s_branch .LBB70_1892
.LBB70_1888:
	s_mov_b32 s17, -1
                                        ; implicit-def: $vgpr8_vgpr9
.LBB70_1889:
	s_delay_alu instid0(SALU_CYCLE_1)
	s_and_b32 vcc_lo, exec_lo, s17
	s_cbranch_vccz .LBB70_1891
; %bb.1890:
	global_load_u8 v5, v[2:3], off
	s_wait_loadcnt 0x0
	v_lshlrev_b32_e32 v5, 24, v5
	s_delay_alu instid0(VALU_DEP_1) | instskip(NEXT) | instid1(VALU_DEP_1)
	v_and_b32_e32 v7, 0x7f000000, v5
	v_clz_i32_u32_e32 v8, v7
	v_cmp_ne_u32_e32 vcc_lo, 0, v7
	v_add_nc_u32_e32 v10, 0x1000000, v7
	s_delay_alu instid0(VALU_DEP_3) | instskip(NEXT) | instid1(VALU_DEP_1)
	v_min_u32_e32 v8, 32, v8
	v_sub_nc_u32_e64 v8, v8, 4 clamp
	s_delay_alu instid0(VALU_DEP_1) | instskip(NEXT) | instid1(VALU_DEP_1)
	v_dual_lshlrev_b32 v9, v8, v7 :: v_dual_lshlrev_b32 v8, 23, v8
	v_lshrrev_b32_e32 v9, 4, v9
	s_delay_alu instid0(VALU_DEP_1) | instskip(NEXT) | instid1(VALU_DEP_1)
	v_dual_sub_nc_u32 v8, v9, v8 :: v_dual_ashrrev_i32 v9, 8, v10
	v_add_nc_u32_e32 v8, 0x3c000000, v8
	s_delay_alu instid0(VALU_DEP_1) | instskip(NEXT) | instid1(VALU_DEP_1)
	v_and_or_b32 v8, 0x7f800000, v9, v8
	v_cndmask_b32_e32 v7, 0, v8, vcc_lo
	s_delay_alu instid0(VALU_DEP_1) | instskip(NEXT) | instid1(VALU_DEP_1)
	v_and_or_b32 v5, 0x80000000, v5, v7
	v_trunc_f32_e32 v5, v5
	s_delay_alu instid0(VALU_DEP_1) | instskip(SKIP_1) | instid1(VALU_DEP_2)
	v_mul_f32_e64 v7, 0x2f800000, |v5|
	v_ashrrev_i32_e32 v8, 31, v5
	v_floor_f32_e32 v7, v7
	s_delay_alu instid0(VALU_DEP_1) | instskip(SKIP_1) | instid1(VALU_DEP_2)
	v_fma_f32 v9, 0xcf800000, v7, |v5|
	v_cvt_u32_f32_e32 v5, v7
	v_cvt_u32_f32_e32 v7, v9
	s_delay_alu instid0(VALU_DEP_2) | instskip(NEXT) | instid1(VALU_DEP_2)
	v_dual_mov_b32 v9, v8 :: v_dual_bitop2_b32 v11, v5, v8 bitop3:0x14
	v_xor_b32_e32 v10, v7, v8
	s_delay_alu instid0(VALU_DEP_1)
	v_sub_nc_u64_e32 v[8:9], v[10:11], v[8:9]
.LBB70_1891:
	s_mov_b32 s17, 0
.LBB70_1892:
	s_delay_alu instid0(SALU_CYCLE_1)
	s_and_not1_b32 vcc_lo, exec_lo, s17
	s_cbranch_vccnz .LBB70_1894
; %bb.1893:
	global_load_u8 v5, v[2:3], off
	s_wait_loadcnt 0x0
	v_lshlrev_b32_e32 v7, 25, v5
	v_lshlrev_b16 v5, 8, v5
	s_delay_alu instid0(VALU_DEP_1) | instskip(NEXT) | instid1(VALU_DEP_3)
	v_and_or_b32 v9, 0x7f00, v5, 0.5
	v_lshrrev_b32_e32 v8, 4, v7
	v_bfe_i32 v5, v5, 0, 16
	s_delay_alu instid0(VALU_DEP_3) | instskip(NEXT) | instid1(VALU_DEP_3)
	v_add_f32_e32 v9, -0.5, v9
	v_or_b32_e32 v8, 0x70000000, v8
	s_delay_alu instid0(VALU_DEP_1) | instskip(SKIP_1) | instid1(VALU_DEP_2)
	v_mul_f32_e32 v8, 0x7800000, v8
	v_cmp_gt_u32_e32 vcc_lo, 0x8000000, v7
	v_cndmask_b32_e32 v7, v8, v9, vcc_lo
	s_delay_alu instid0(VALU_DEP_1) | instskip(NEXT) | instid1(VALU_DEP_1)
	v_and_or_b32 v5, 0x80000000, v5, v7
	v_trunc_f32_e32 v5, v5
	s_delay_alu instid0(VALU_DEP_1) | instskip(SKIP_1) | instid1(VALU_DEP_2)
	v_mul_f32_e64 v7, 0x2f800000, |v5|
	v_ashrrev_i32_e32 v8, 31, v5
	v_floor_f32_e32 v7, v7
	s_delay_alu instid0(VALU_DEP_1) | instskip(SKIP_1) | instid1(VALU_DEP_2)
	v_fma_f32 v9, 0xcf800000, v7, |v5|
	v_cvt_u32_f32_e32 v5, v7
	v_cvt_u32_f32_e32 v7, v9
	s_delay_alu instid0(VALU_DEP_2) | instskip(NEXT) | instid1(VALU_DEP_2)
	v_dual_mov_b32 v9, v8 :: v_dual_bitop2_b32 v11, v5, v8 bitop3:0x14
	v_xor_b32_e32 v10, v7, v8
	s_delay_alu instid0(VALU_DEP_1)
	v_sub_nc_u64_e32 v[8:9], v[10:11], v[8:9]
.LBB70_1894:
	s_mov_b32 s17, 0
	s_mov_b32 s18, -1
.LBB70_1895:
	s_and_not1_b32 vcc_lo, exec_lo, s17
	s_mov_b32 s17, 0
	s_cbranch_vccnz .LBB70_1906
; %bb.1896:
	s_cmp_gt_i32 s0, 14
	s_cbranch_scc0 .LBB70_1899
; %bb.1897:
	s_cmp_eq_u32 s0, 15
	s_cbranch_scc0 .LBB70_1902
; %bb.1898:
	global_load_u16 v5, v[2:3], off
	s_mov_b32 s16, 0
	s_mov_b32 s18, -1
	s_wait_loadcnt 0x0
	v_lshlrev_b32_e32 v5, 16, v5
	s_delay_alu instid0(VALU_DEP_1) | instskip(NEXT) | instid1(VALU_DEP_1)
	v_trunc_f32_e32 v5, v5
	v_mul_f32_e64 v7, 0x2f800000, |v5|
	v_ashrrev_i32_e32 v8, 31, v5
	s_delay_alu instid0(VALU_DEP_2) | instskip(NEXT) | instid1(VALU_DEP_1)
	v_floor_f32_e32 v7, v7
	v_fma_f32 v9, 0xcf800000, v7, |v5|
	v_cvt_u32_f32_e32 v5, v7
	s_delay_alu instid0(VALU_DEP_2) | instskip(NEXT) | instid1(VALU_DEP_2)
	v_cvt_u32_f32_e32 v7, v9
	v_dual_mov_b32 v9, v8 :: v_dual_bitop2_b32 v11, v5, v8 bitop3:0x14
	s_delay_alu instid0(VALU_DEP_2) | instskip(NEXT) | instid1(VALU_DEP_1)
	v_xor_b32_e32 v10, v7, v8
	v_sub_nc_u64_e32 v[8:9], v[10:11], v[8:9]
	s_branch .LBB70_1904
.LBB70_1899:
	s_mov_b32 s17, -1
	s_branch .LBB70_1903
.LBB70_1900:
	s_and_not1_saveexec_b32 s17, s17
	s_cbranch_execz .LBB70_1881
.LBB70_1901:
	v_cmp_ne_u16_e32 vcc_lo, 0, v5
	s_and_not1_b32 s18, s18, exec_lo
	s_and_b32 s19, vcc_lo, exec_lo
	s_delay_alu instid0(SALU_CYCLE_1)
	s_or_b32 s18, s18, s19
	s_or_b32 exec_lo, exec_lo, s17
	v_mov_b64_e32 v[8:9], 0
	s_and_saveexec_b32 s17, s18
	s_cbranch_execnz .LBB70_1882
	s_branch .LBB70_1883
.LBB70_1902:
	s_mov_b32 s16, -1
.LBB70_1903:
                                        ; implicit-def: $vgpr8_vgpr9
.LBB70_1904:
	s_and_b32 vcc_lo, exec_lo, s17
	s_mov_b32 s17, 0
	s_cbranch_vccz .LBB70_1906
; %bb.1905:
	s_cmp_lg_u32 s0, 11
	s_mov_b32 s17, -1
	s_cselect_b32 s16, -1, 0
.LBB70_1906:
	s_delay_alu instid0(SALU_CYCLE_1)
	s_and_b32 vcc_lo, exec_lo, s16
	s_cbranch_vccnz .LBB70_1969
; %bb.1907:
	s_and_not1_b32 vcc_lo, exec_lo, s17
	s_cbranch_vccnz .LBB70_1909
.LBB70_1908:
	global_load_u8 v5, v[2:3], off
	s_mov_b32 s0, 0
	s_mov_b32 s18, -1
	s_wait_loadcnt 0x1
	v_mov_b32_e32 v9, s0
	s_wait_loadcnt 0x0
	v_cmp_ne_u16_e32 vcc_lo, 0, v5
	v_cndmask_b32_e64 v8, 0, 1, vcc_lo
.LBB70_1909:
	s_branch .LBB70_1840
.LBB70_1910:
	s_and_b32 s0, 0xffff, s13
	s_delay_alu instid0(SALU_CYCLE_1)
	s_cmp_lt_i32 s0, 5
	s_cbranch_scc1 .LBB70_1915
; %bb.1911:
	s_cmp_lt_i32 s0, 8
	s_cbranch_scc1 .LBB70_1916
; %bb.1912:
	;; [unrolled: 3-line block ×3, first 2 shown]
	s_cmp_gt_i32 s0, 9
	s_cbranch_scc0 .LBB70_1918
; %bb.1914:
	s_wait_loadcnt 0x0
	global_load_b64 v[8:9], v[2:3], off
	s_mov_b32 s16, 0
	s_wait_loadcnt 0x0
	v_trunc_f64_e32 v[8:9], v[8:9]
	s_delay_alu instid0(VALU_DEP_1) | instskip(NEXT) | instid1(VALU_DEP_1)
	v_ldexp_f64 v[10:11], v[8:9], 0xffffffe0
	v_floor_f64_e32 v[10:11], v[10:11]
	s_delay_alu instid0(VALU_DEP_1) | instskip(SKIP_1) | instid1(VALU_DEP_2)
	v_fmamk_f64 v[12:13], v[10:11], 0xc1f00000, v[8:9]
	v_cvt_i32_f64_e32 v9, v[10:11]
	v_cvt_u32_f64_e32 v8, v[12:13]
	s_branch .LBB70_1919
.LBB70_1915:
	s_mov_b32 s16, -1
                                        ; implicit-def: $vgpr8_vgpr9
	s_branch .LBB70_1937
.LBB70_1916:
	s_mov_b32 s16, -1
                                        ; implicit-def: $vgpr8_vgpr9
	s_branch .LBB70_1925
.LBB70_1917:
	s_mov_b32 s16, -1
                                        ; implicit-def: $vgpr8_vgpr9
	s_branch .LBB70_1922
.LBB70_1918:
	s_mov_b32 s16, -1
                                        ; implicit-def: $vgpr8_vgpr9
.LBB70_1919:
	s_delay_alu instid0(SALU_CYCLE_1)
	s_and_not1_b32 vcc_lo, exec_lo, s16
	s_cbranch_vccnz .LBB70_1921
; %bb.1920:
	global_load_b32 v5, v[2:3], off
	s_wait_loadcnt 0x0
	v_trunc_f32_e32 v5, v5
	s_delay_alu instid0(VALU_DEP_1) | instskip(SKIP_1) | instid1(VALU_DEP_2)
	v_mul_f32_e64 v7, 0x2f800000, |v5|
	v_ashrrev_i32_e32 v8, 31, v5
	v_floor_f32_e32 v7, v7
	s_delay_alu instid0(VALU_DEP_1) | instskip(SKIP_1) | instid1(VALU_DEP_2)
	v_fma_f32 v9, 0xcf800000, v7, |v5|
	v_cvt_u32_f32_e32 v5, v7
	v_cvt_u32_f32_e32 v7, v9
	s_delay_alu instid0(VALU_DEP_2) | instskip(NEXT) | instid1(VALU_DEP_2)
	v_dual_mov_b32 v9, v8 :: v_dual_bitop2_b32 v11, v5, v8 bitop3:0x14
	v_xor_b32_e32 v10, v7, v8
	s_delay_alu instid0(VALU_DEP_1)
	v_sub_nc_u64_e32 v[8:9], v[10:11], v[8:9]
.LBB70_1921:
	s_mov_b32 s16, 0
.LBB70_1922:
	s_delay_alu instid0(SALU_CYCLE_1)
	s_and_not1_b32 vcc_lo, exec_lo, s16
	s_cbranch_vccnz .LBB70_1924
; %bb.1923:
	global_load_b32 v5, v[2:3], off
	s_wait_loadcnt 0x0
	v_cvt_f32_f16_e32 v5, v5
	s_delay_alu instid0(VALU_DEP_1) | instskip(NEXT) | instid1(VALU_DEP_1)
	v_cvt_i32_f32_e32 v8, v5
	v_ashrrev_i32_e32 v9, 31, v8
.LBB70_1924:
	s_mov_b32 s16, 0
.LBB70_1925:
	s_delay_alu instid0(SALU_CYCLE_1)
	s_and_not1_b32 vcc_lo, exec_lo, s16
	s_cbranch_vccnz .LBB70_1936
; %bb.1926:
	s_cmp_lt_i32 s0, 6
	s_cbranch_scc1 .LBB70_1929
; %bb.1927:
	s_cmp_gt_i32 s0, 6
	s_cbranch_scc0 .LBB70_1930
; %bb.1928:
	s_wait_loadcnt 0x0
	global_load_b64 v[8:9], v[2:3], off
	s_mov_b32 s16, 0
	s_wait_loadcnt 0x0
	v_trunc_f64_e32 v[8:9], v[8:9]
	s_delay_alu instid0(VALU_DEP_1) | instskip(NEXT) | instid1(VALU_DEP_1)
	v_ldexp_f64 v[10:11], v[8:9], 0xffffffe0
	v_floor_f64_e32 v[10:11], v[10:11]
	s_delay_alu instid0(VALU_DEP_1) | instskip(SKIP_1) | instid1(VALU_DEP_2)
	v_fmamk_f64 v[12:13], v[10:11], 0xc1f00000, v[8:9]
	v_cvt_i32_f64_e32 v9, v[10:11]
	v_cvt_u32_f64_e32 v8, v[12:13]
	s_branch .LBB70_1931
.LBB70_1929:
	s_mov_b32 s16, -1
                                        ; implicit-def: $vgpr8_vgpr9
	s_branch .LBB70_1934
.LBB70_1930:
	s_mov_b32 s16, -1
                                        ; implicit-def: $vgpr8_vgpr9
.LBB70_1931:
	s_delay_alu instid0(SALU_CYCLE_1)
	s_and_not1_b32 vcc_lo, exec_lo, s16
	s_cbranch_vccnz .LBB70_1933
; %bb.1932:
	global_load_b32 v5, v[2:3], off
	s_wait_loadcnt 0x0
	v_trunc_f32_e32 v5, v5
	s_delay_alu instid0(VALU_DEP_1) | instskip(SKIP_1) | instid1(VALU_DEP_2)
	v_mul_f32_e64 v7, 0x2f800000, |v5|
	v_ashrrev_i32_e32 v8, 31, v5
	v_floor_f32_e32 v7, v7
	s_delay_alu instid0(VALU_DEP_1) | instskip(SKIP_1) | instid1(VALU_DEP_2)
	v_fma_f32 v9, 0xcf800000, v7, |v5|
	v_cvt_u32_f32_e32 v5, v7
	v_cvt_u32_f32_e32 v7, v9
	s_delay_alu instid0(VALU_DEP_2) | instskip(NEXT) | instid1(VALU_DEP_2)
	v_dual_mov_b32 v9, v8 :: v_dual_bitop2_b32 v11, v5, v8 bitop3:0x14
	v_xor_b32_e32 v10, v7, v8
	s_delay_alu instid0(VALU_DEP_1)
	v_sub_nc_u64_e32 v[8:9], v[10:11], v[8:9]
.LBB70_1933:
	s_mov_b32 s16, 0
.LBB70_1934:
	s_delay_alu instid0(SALU_CYCLE_1)
	s_and_not1_b32 vcc_lo, exec_lo, s16
	s_cbranch_vccnz .LBB70_1936
; %bb.1935:
	global_load_u16 v5, v[2:3], off
	s_wait_loadcnt 0x0
	v_cvt_f32_f16_e32 v5, v5
	s_delay_alu instid0(VALU_DEP_1) | instskip(NEXT) | instid1(VALU_DEP_1)
	v_cvt_i32_f32_e32 v8, v5
	v_ashrrev_i32_e32 v9, 31, v8
.LBB70_1936:
	s_mov_b32 s16, 0
.LBB70_1937:
	s_delay_alu instid0(SALU_CYCLE_1)
	s_and_not1_b32 vcc_lo, exec_lo, s16
	s_cbranch_vccnz .LBB70_1957
; %bb.1938:
	s_cmp_lt_i32 s0, 2
	s_cbranch_scc1 .LBB70_1942
; %bb.1939:
	s_cmp_lt_i32 s0, 3
	s_cbranch_scc1 .LBB70_1943
; %bb.1940:
	s_cmp_gt_i32 s0, 3
	s_cbranch_scc0 .LBB70_1944
; %bb.1941:
	s_wait_loadcnt 0x0
	global_load_b64 v[8:9], v[2:3], off
	s_mov_b32 s16, 0
	s_branch .LBB70_1945
.LBB70_1942:
	s_mov_b32 s16, -1
                                        ; implicit-def: $vgpr8_vgpr9
	s_branch .LBB70_1951
.LBB70_1943:
	s_mov_b32 s16, -1
                                        ; implicit-def: $vgpr8_vgpr9
	s_branch .LBB70_1948
.LBB70_1944:
	s_mov_b32 s16, -1
                                        ; implicit-def: $vgpr8_vgpr9
.LBB70_1945:
	s_delay_alu instid0(SALU_CYCLE_1)
	s_and_not1_b32 vcc_lo, exec_lo, s16
	s_cbranch_vccnz .LBB70_1947
; %bb.1946:
	s_wait_loadcnt 0x0
	global_load_b32 v8, v[2:3], off
	s_wait_loadcnt 0x0
	v_ashrrev_i32_e32 v9, 31, v8
.LBB70_1947:
	s_mov_b32 s16, 0
.LBB70_1948:
	s_delay_alu instid0(SALU_CYCLE_1)
	s_and_not1_b32 vcc_lo, exec_lo, s16
	s_cbranch_vccnz .LBB70_1950
; %bb.1949:
	global_load_u16 v5, v[2:3], off
	s_wait_loadcnt 0x0
	v_bfe_i32 v8, v5, 0, 16
	s_delay_alu instid0(VALU_DEP_1)
	v_ashrrev_i32_e32 v9, 31, v8
.LBB70_1950:
	s_mov_b32 s16, 0
.LBB70_1951:
	s_delay_alu instid0(SALU_CYCLE_1)
	s_and_not1_b32 vcc_lo, exec_lo, s16
	s_cbranch_vccnz .LBB70_1957
; %bb.1952:
	s_cmp_gt_i32 s0, 0
	s_mov_b32 s0, 0
	s_cbranch_scc0 .LBB70_1954
; %bb.1953:
	global_load_i8 v5, v[2:3], off
	s_wait_loadcnt 0x0
	v_bfe_i32 v8, v5, 0, 16
	s_delay_alu instid0(VALU_DEP_1)
	v_ashrrev_i32_e32 v9, 31, v8
	s_branch .LBB70_1955
.LBB70_1954:
	s_mov_b32 s0, -1
                                        ; implicit-def: $vgpr8_vgpr9
.LBB70_1955:
	s_delay_alu instid0(SALU_CYCLE_1)
	s_and_not1_b32 vcc_lo, exec_lo, s0
	s_cbranch_vccnz .LBB70_1957
; %bb.1956:
	global_load_u8 v2, v[2:3], off
	s_mov_b32 s0, 0
	s_wait_loadcnt 0x1
	v_mov_b32_e32 v9, s0
	s_wait_loadcnt 0x0
	v_and_b32_e32 v8, 0xffff, v2
.LBB70_1957:
.LBB70_1958:
	s_lshl_b32 s10, s10, 7
	s_cmp_lt_i32 s1, 11
	v_add_nc_u32_e32 v4, s10, v4
	s_delay_alu instid0(VALU_DEP_1) | instskip(SKIP_1) | instid1(VALU_DEP_1)
	v_ashrrev_i32_e32 v5, 31, v4
	s_wait_xcnt 0x0
	v_add_nc_u64_e32 v[2:3], s[2:3], v[4:5]
	s_cbranch_scc1 .LBB70_1965
; %bb.1959:
	s_and_b32 s0, 0xffff, s1
	s_mov_b32 s17, 0
	s_cmp_gt_i32 s0, 25
	s_cbranch_scc0 .LBB70_1966
; %bb.1960:
	s_cmp_gt_i32 s0, 28
	s_cbranch_scc0 .LBB70_1967
; %bb.1961:
	;; [unrolled: 3-line block ×4, first 2 shown]
	s_cmp_eq_u32 s0, 46
	s_mov_b32 s19, 0
	s_cbranch_scc0 .LBB70_1971
; %bb.1964:
	global_load_b32 v5, v[2:3], off
	s_mov_b32 s16, 0
	s_mov_b32 s18, -1
	s_wait_loadcnt 0x0
	v_lshlrev_b32_e32 v5, 16, v5
	s_delay_alu instid0(VALU_DEP_1) | instskip(NEXT) | instid1(VALU_DEP_1)
	v_trunc_f32_e32 v5, v5
	v_mul_f32_e64 v7, 0x2f800000, |v5|
	v_ashrrev_i32_e32 v10, 31, v5
	s_delay_alu instid0(VALU_DEP_2) | instskip(NEXT) | instid1(VALU_DEP_1)
	v_floor_f32_e32 v7, v7
	v_fma_f32 v11, 0xcf800000, v7, |v5|
	v_cvt_u32_f32_e32 v5, v7
	s_delay_alu instid0(VALU_DEP_2) | instskip(NEXT) | instid1(VALU_DEP_2)
	v_cvt_u32_f32_e32 v7, v11
	v_dual_mov_b32 v11, v10 :: v_dual_bitop2_b32 v13, v5, v10 bitop3:0x14
	s_delay_alu instid0(VALU_DEP_2) | instskip(NEXT) | instid1(VALU_DEP_1)
	v_xor_b32_e32 v12, v7, v10
	v_sub_nc_u64_e32 v[10:11], v[12:13], v[10:11]
	s_branch .LBB70_1973
.LBB70_1965:
	s_mov_b32 s0, -1
	s_mov_b32 s18, 0
                                        ; implicit-def: $vgpr10_vgpr11
	s_branch .LBB70_2035
.LBB70_1966:
	s_mov_b32 s19, -1
	s_mov_b32 s18, 0
	s_mov_b32 s16, 0
                                        ; implicit-def: $vgpr10_vgpr11
	s_branch .LBB70_2000
.LBB70_1967:
	s_mov_b32 s19, -1
	s_mov_b32 s18, 0
	s_mov_b32 s16, 0
                                        ; implicit-def: $vgpr10_vgpr11
	s_branch .LBB70_1983
.LBB70_1968:
	s_mov_b32 s19, -1
	s_mov_b32 s18, 0
	s_mov_b32 s16, 0
                                        ; implicit-def: $vgpr10_vgpr11
	s_branch .LBB70_1978
.LBB70_1969:
	s_or_b32 s12, s12, exec_lo
	s_trap 2
	s_cbranch_execz .LBB70_1908
	s_branch .LBB70_1909
.LBB70_1970:
	s_mov_b32 s19, -1
	s_mov_b32 s18, 0
	s_mov_b32 s16, 0
	s_branch .LBB70_1972
.LBB70_1971:
	s_mov_b32 s16, -1
	s_mov_b32 s18, 0
.LBB70_1972:
                                        ; implicit-def: $vgpr10_vgpr11
.LBB70_1973:
	s_and_b32 vcc_lo, exec_lo, s19
	s_cbranch_vccz .LBB70_1977
; %bb.1974:
	s_cmp_eq_u32 s0, 44
	s_cbranch_scc0 .LBB70_1976
; %bb.1975:
	global_load_u8 v5, v[2:3], off
	s_mov_b32 s16, 0
	s_mov_b32 s18, -1
	s_wait_loadcnt 0x0
	v_lshlrev_b32_e32 v7, 23, v5
	v_cmp_ne_u32_e32 vcc_lo, 0, v5
	s_delay_alu instid0(VALU_DEP_2) | instskip(NEXT) | instid1(VALU_DEP_1)
	v_trunc_f32_e32 v7, v7
	v_mul_f32_e64 v10, 0x2f800000, |v7|
	s_delay_alu instid0(VALU_DEP_1) | instskip(SKIP_1) | instid1(VALU_DEP_2)
	v_floor_f32_e32 v11, v10
	v_ashrrev_i32_e32 v10, 31, v7
	v_fma_f32 v12, 0xcf800000, v11, |v7|
	v_cvt_u32_f32_e32 v7, v11
	s_delay_alu instid0(VALU_DEP_3) | instskip(NEXT) | instid1(VALU_DEP_3)
	v_mov_b32_e32 v11, v10
	v_cvt_u32_f32_e32 v12, v12
	s_delay_alu instid0(VALU_DEP_3) | instskip(NEXT) | instid1(VALU_DEP_2)
	v_xor_b32_e32 v13, v7, v10
	v_xor_b32_e32 v12, v12, v10
	s_delay_alu instid0(VALU_DEP_1) | instskip(NEXT) | instid1(VALU_DEP_1)
	v_sub_nc_u64_e32 v[10:11], v[12:13], v[10:11]
	v_dual_cndmask_b32 v11, 0, v11 :: v_dual_cndmask_b32 v10, 0, v10
	s_branch .LBB70_1977
.LBB70_1976:
	s_mov_b32 s16, -1
                                        ; implicit-def: $vgpr10_vgpr11
.LBB70_1977:
	s_mov_b32 s19, 0
.LBB70_1978:
	s_delay_alu instid0(SALU_CYCLE_1)
	s_and_b32 vcc_lo, exec_lo, s19
	s_cbranch_vccz .LBB70_1982
; %bb.1979:
	s_cmp_eq_u32 s0, 29
	s_cbranch_scc0 .LBB70_1981
; %bb.1980:
	global_load_b64 v[10:11], v[2:3], off
	s_mov_b32 s16, 0
	s_mov_b32 s18, -1
	s_branch .LBB70_1982
.LBB70_1981:
	s_mov_b32 s16, -1
                                        ; implicit-def: $vgpr10_vgpr11
.LBB70_1982:
	s_mov_b32 s19, 0
.LBB70_1983:
	s_delay_alu instid0(SALU_CYCLE_1)
	s_and_b32 vcc_lo, exec_lo, s19
	s_cbranch_vccz .LBB70_1999
; %bb.1984:
	s_cmp_lt_i32 s0, 27
	s_cbranch_scc1 .LBB70_1987
; %bb.1985:
	s_cmp_gt_i32 s0, 27
	s_cbranch_scc0 .LBB70_1988
; %bb.1986:
	s_wait_loadcnt 0x0
	global_load_b32 v10, v[2:3], off
	v_mov_b32_e32 v11, 0
	s_mov_b32 s18, 0
	s_branch .LBB70_1989
.LBB70_1987:
	s_mov_b32 s18, -1
                                        ; implicit-def: $vgpr10_vgpr11
	s_branch .LBB70_1992
.LBB70_1988:
	s_mov_b32 s18, -1
                                        ; implicit-def: $vgpr10_vgpr11
.LBB70_1989:
	s_delay_alu instid0(SALU_CYCLE_1)
	s_and_not1_b32 vcc_lo, exec_lo, s18
	s_cbranch_vccnz .LBB70_1991
; %bb.1990:
	global_load_u16 v5, v[2:3], off
	s_mov_b32 s18, 0
	s_wait_loadcnt 0x1
	v_mov_b32_e32 v11, s18
	s_wait_loadcnt 0x0
	v_and_b32_e32 v10, 0xffff, v5
.LBB70_1991:
	s_mov_b32 s18, 0
.LBB70_1992:
	s_delay_alu instid0(SALU_CYCLE_1)
	s_and_not1_b32 vcc_lo, exec_lo, s18
	s_cbranch_vccnz .LBB70_1998
; %bb.1993:
	global_load_u8 v5, v[2:3], off
	s_mov_b32 s19, 0
	s_mov_b32 s18, exec_lo
	s_wait_loadcnt 0x0
	v_cmpx_lt_i16_e32 0x7f, v5
	s_xor_b32 s18, exec_lo, s18
	s_cbranch_execz .LBB70_2010
; %bb.1994:
	v_cmp_ne_u16_e32 vcc_lo, 0x80, v5
	s_and_b32 s19, vcc_lo, exec_lo
	s_and_not1_saveexec_b32 s18, s18
	s_cbranch_execnz .LBB70_2011
.LBB70_1995:
	s_or_b32 exec_lo, exec_lo, s18
	v_mov_b64_e32 v[10:11], 0
	s_and_saveexec_b32 s18, s19
	s_cbranch_execz .LBB70_1997
.LBB70_1996:
	v_and_b32_e32 v7, 0xffff, v5
	s_delay_alu instid0(VALU_DEP_1) | instskip(SKIP_1) | instid1(VALU_DEP_2)
	v_dual_lshlrev_b32 v5, 24, v5 :: v_dual_bitop2_b32 v10, 7, v7 bitop3:0x40
	v_bfe_u32 v13, v7, 3, 4
	v_and_b32_e32 v5, 0x80000000, v5
	s_delay_alu instid0(VALU_DEP_3) | instskip(NEXT) | instid1(VALU_DEP_3)
	v_clz_i32_u32_e32 v11, v10
	v_cmp_eq_u32_e32 vcc_lo, 0, v13
	s_delay_alu instid0(VALU_DEP_2) | instskip(NEXT) | instid1(VALU_DEP_1)
	v_min_u32_e32 v11, 32, v11
	v_subrev_nc_u32_e32 v12, 28, v11
	v_sub_nc_u32_e32 v11, 29, v11
	s_delay_alu instid0(VALU_DEP_2) | instskip(NEXT) | instid1(VALU_DEP_2)
	v_lshlrev_b32_e32 v7, v12, v7
	v_cndmask_b32_e32 v11, v13, v11, vcc_lo
	s_delay_alu instid0(VALU_DEP_2) | instskip(NEXT) | instid1(VALU_DEP_1)
	v_and_b32_e32 v7, 7, v7
	v_cndmask_b32_e32 v7, v10, v7, vcc_lo
	s_delay_alu instid0(VALU_DEP_3) | instskip(NEXT) | instid1(VALU_DEP_2)
	v_lshl_add_u32 v10, v11, 23, 0x3b800000
	v_lshlrev_b32_e32 v7, 20, v7
	s_delay_alu instid0(VALU_DEP_1) | instskip(NEXT) | instid1(VALU_DEP_1)
	v_or3_b32 v5, v5, v10, v7
	v_trunc_f32_e32 v5, v5
	s_delay_alu instid0(VALU_DEP_1) | instskip(SKIP_1) | instid1(VALU_DEP_2)
	v_mul_f32_e64 v7, 0x2f800000, |v5|
	v_ashrrev_i32_e32 v10, 31, v5
	v_floor_f32_e32 v7, v7
	s_delay_alu instid0(VALU_DEP_1) | instskip(SKIP_1) | instid1(VALU_DEP_2)
	v_fma_f32 v11, 0xcf800000, v7, |v5|
	v_cvt_u32_f32_e32 v5, v7
	v_cvt_u32_f32_e32 v7, v11
	s_delay_alu instid0(VALU_DEP_2) | instskip(NEXT) | instid1(VALU_DEP_2)
	v_dual_mov_b32 v11, v10 :: v_dual_bitop2_b32 v13, v5, v10 bitop3:0x14
	v_xor_b32_e32 v12, v7, v10
	s_delay_alu instid0(VALU_DEP_1)
	v_sub_nc_u64_e32 v[10:11], v[12:13], v[10:11]
.LBB70_1997:
	s_or_b32 exec_lo, exec_lo, s18
.LBB70_1998:
	s_mov_b32 s18, -1
.LBB70_1999:
	s_mov_b32 s19, 0
.LBB70_2000:
	s_delay_alu instid0(SALU_CYCLE_1)
	s_and_b32 vcc_lo, exec_lo, s19
	s_cbranch_vccz .LBB70_2031
; %bb.2001:
	s_cmp_gt_i32 s0, 22
	s_cbranch_scc0 .LBB70_2009
; %bb.2002:
	s_cmp_lt_i32 s0, 24
	s_cbranch_scc1 .LBB70_2012
; %bb.2003:
	s_cmp_gt_i32 s0, 24
	s_cbranch_scc0 .LBB70_2013
; %bb.2004:
	global_load_u8 v5, v[2:3], off
	s_mov_b32 s18, 0
	s_mov_b32 s17, exec_lo
	s_wait_loadcnt 0x0
	v_cmpx_lt_i16_e32 0x7f, v5
	s_xor_b32 s17, exec_lo, s17
	s_cbranch_execz .LBB70_2025
; %bb.2005:
	v_cmp_ne_u16_e32 vcc_lo, 0x80, v5
	s_and_b32 s18, vcc_lo, exec_lo
	s_and_not1_saveexec_b32 s17, s17
	s_cbranch_execnz .LBB70_2026
.LBB70_2006:
	s_or_b32 exec_lo, exec_lo, s17
	v_mov_b64_e32 v[10:11], 0
	s_and_saveexec_b32 s17, s18
	s_cbranch_execz .LBB70_2008
.LBB70_2007:
	v_and_b32_e32 v7, 0xffff, v5
	s_delay_alu instid0(VALU_DEP_1) | instskip(SKIP_1) | instid1(VALU_DEP_2)
	v_dual_lshlrev_b32 v5, 24, v5 :: v_dual_bitop2_b32 v10, 3, v7 bitop3:0x40
	v_bfe_u32 v13, v7, 2, 5
	v_and_b32_e32 v5, 0x80000000, v5
	s_delay_alu instid0(VALU_DEP_3) | instskip(NEXT) | instid1(VALU_DEP_3)
	v_clz_i32_u32_e32 v11, v10
	v_cmp_eq_u32_e32 vcc_lo, 0, v13
	s_delay_alu instid0(VALU_DEP_2) | instskip(NEXT) | instid1(VALU_DEP_1)
	v_min_u32_e32 v11, 32, v11
	v_subrev_nc_u32_e32 v12, 29, v11
	v_sub_nc_u32_e32 v11, 30, v11
	s_delay_alu instid0(VALU_DEP_2) | instskip(NEXT) | instid1(VALU_DEP_2)
	v_lshlrev_b32_e32 v7, v12, v7
	v_cndmask_b32_e32 v11, v13, v11, vcc_lo
	s_delay_alu instid0(VALU_DEP_2) | instskip(NEXT) | instid1(VALU_DEP_1)
	v_and_b32_e32 v7, 3, v7
	v_cndmask_b32_e32 v7, v10, v7, vcc_lo
	s_delay_alu instid0(VALU_DEP_3) | instskip(NEXT) | instid1(VALU_DEP_2)
	v_lshl_add_u32 v10, v11, 23, 0x37800000
	v_lshlrev_b32_e32 v7, 21, v7
	s_delay_alu instid0(VALU_DEP_1) | instskip(NEXT) | instid1(VALU_DEP_1)
	v_or3_b32 v5, v5, v10, v7
	v_trunc_f32_e32 v5, v5
	s_delay_alu instid0(VALU_DEP_1) | instskip(SKIP_1) | instid1(VALU_DEP_2)
	v_mul_f32_e64 v7, 0x2f800000, |v5|
	v_ashrrev_i32_e32 v10, 31, v5
	v_floor_f32_e32 v7, v7
	s_delay_alu instid0(VALU_DEP_1) | instskip(SKIP_1) | instid1(VALU_DEP_2)
	v_fma_f32 v11, 0xcf800000, v7, |v5|
	v_cvt_u32_f32_e32 v5, v7
	v_cvt_u32_f32_e32 v7, v11
	s_delay_alu instid0(VALU_DEP_2) | instskip(NEXT) | instid1(VALU_DEP_2)
	v_dual_mov_b32 v11, v10 :: v_dual_bitop2_b32 v13, v5, v10 bitop3:0x14
	v_xor_b32_e32 v12, v7, v10
	s_delay_alu instid0(VALU_DEP_1)
	v_sub_nc_u64_e32 v[10:11], v[12:13], v[10:11]
.LBB70_2008:
	s_or_b32 exec_lo, exec_lo, s17
	s_mov_b32 s17, 0
	s_branch .LBB70_2014
.LBB70_2009:
	s_mov_b32 s17, -1
                                        ; implicit-def: $vgpr10_vgpr11
	s_branch .LBB70_2020
.LBB70_2010:
	s_and_not1_saveexec_b32 s18, s18
	s_cbranch_execz .LBB70_1995
.LBB70_2011:
	v_cmp_ne_u16_e32 vcc_lo, 0, v5
	s_and_not1_b32 s19, s19, exec_lo
	s_and_b32 s20, vcc_lo, exec_lo
	s_delay_alu instid0(SALU_CYCLE_1)
	s_or_b32 s19, s19, s20
	s_or_b32 exec_lo, exec_lo, s18
	v_mov_b64_e32 v[10:11], 0
	s_and_saveexec_b32 s18, s19
	s_cbranch_execnz .LBB70_1996
	s_branch .LBB70_1997
.LBB70_2012:
	s_mov_b32 s17, -1
                                        ; implicit-def: $vgpr10_vgpr11
	s_branch .LBB70_2017
.LBB70_2013:
	s_mov_b32 s17, -1
                                        ; implicit-def: $vgpr10_vgpr11
.LBB70_2014:
	s_delay_alu instid0(SALU_CYCLE_1)
	s_and_b32 vcc_lo, exec_lo, s17
	s_cbranch_vccz .LBB70_2016
; %bb.2015:
	global_load_u8 v5, v[2:3], off
	s_wait_loadcnt 0x0
	v_lshlrev_b32_e32 v5, 24, v5
	s_delay_alu instid0(VALU_DEP_1) | instskip(NEXT) | instid1(VALU_DEP_1)
	v_and_b32_e32 v7, 0x7f000000, v5
	v_clz_i32_u32_e32 v10, v7
	v_cmp_ne_u32_e32 vcc_lo, 0, v7
	v_add_nc_u32_e32 v12, 0x1000000, v7
	s_delay_alu instid0(VALU_DEP_3) | instskip(NEXT) | instid1(VALU_DEP_1)
	v_min_u32_e32 v10, 32, v10
	v_sub_nc_u32_e64 v10, v10, 4 clamp
	s_delay_alu instid0(VALU_DEP_1) | instskip(NEXT) | instid1(VALU_DEP_1)
	v_dual_lshlrev_b32 v11, v10, v7 :: v_dual_lshlrev_b32 v10, 23, v10
	v_lshrrev_b32_e32 v11, 4, v11
	s_delay_alu instid0(VALU_DEP_1) | instskip(NEXT) | instid1(VALU_DEP_1)
	v_dual_sub_nc_u32 v10, v11, v10 :: v_dual_ashrrev_i32 v11, 8, v12
	v_add_nc_u32_e32 v10, 0x3c000000, v10
	s_delay_alu instid0(VALU_DEP_1) | instskip(NEXT) | instid1(VALU_DEP_1)
	v_and_or_b32 v10, 0x7f800000, v11, v10
	v_cndmask_b32_e32 v7, 0, v10, vcc_lo
	s_delay_alu instid0(VALU_DEP_1) | instskip(NEXT) | instid1(VALU_DEP_1)
	v_and_or_b32 v5, 0x80000000, v5, v7
	v_trunc_f32_e32 v5, v5
	s_delay_alu instid0(VALU_DEP_1) | instskip(SKIP_1) | instid1(VALU_DEP_2)
	v_mul_f32_e64 v7, 0x2f800000, |v5|
	v_ashrrev_i32_e32 v10, 31, v5
	v_floor_f32_e32 v7, v7
	s_delay_alu instid0(VALU_DEP_1) | instskip(SKIP_1) | instid1(VALU_DEP_2)
	v_fma_f32 v11, 0xcf800000, v7, |v5|
	v_cvt_u32_f32_e32 v5, v7
	v_cvt_u32_f32_e32 v7, v11
	s_delay_alu instid0(VALU_DEP_2) | instskip(NEXT) | instid1(VALU_DEP_2)
	v_dual_mov_b32 v11, v10 :: v_dual_bitop2_b32 v13, v5, v10 bitop3:0x14
	v_xor_b32_e32 v12, v7, v10
	s_delay_alu instid0(VALU_DEP_1)
	v_sub_nc_u64_e32 v[10:11], v[12:13], v[10:11]
.LBB70_2016:
	s_mov_b32 s17, 0
.LBB70_2017:
	s_delay_alu instid0(SALU_CYCLE_1)
	s_and_not1_b32 vcc_lo, exec_lo, s17
	s_cbranch_vccnz .LBB70_2019
; %bb.2018:
	global_load_u8 v5, v[2:3], off
	s_wait_loadcnt 0x0
	v_lshlrev_b32_e32 v7, 25, v5
	v_lshlrev_b16 v5, 8, v5
	s_delay_alu instid0(VALU_DEP_1) | instskip(SKIP_1) | instid1(VALU_DEP_2)
	v_and_or_b32 v11, 0x7f00, v5, 0.5
	v_bfe_i32 v5, v5, 0, 16
	v_add_f32_e32 v11, -0.5, v11
	v_lshrrev_b32_e32 v10, 4, v7
	v_cmp_gt_u32_e32 vcc_lo, 0x8000000, v7
	s_delay_alu instid0(VALU_DEP_2) | instskip(NEXT) | instid1(VALU_DEP_1)
	v_or_b32_e32 v10, 0x70000000, v10
	v_mul_f32_e32 v10, 0x7800000, v10
	s_delay_alu instid0(VALU_DEP_1) | instskip(NEXT) | instid1(VALU_DEP_1)
	v_cndmask_b32_e32 v7, v10, v11, vcc_lo
	v_and_or_b32 v5, 0x80000000, v5, v7
	s_delay_alu instid0(VALU_DEP_1) | instskip(NEXT) | instid1(VALU_DEP_1)
	v_trunc_f32_e32 v5, v5
	v_mul_f32_e64 v7, 0x2f800000, |v5|
	v_ashrrev_i32_e32 v10, 31, v5
	s_delay_alu instid0(VALU_DEP_2) | instskip(NEXT) | instid1(VALU_DEP_1)
	v_floor_f32_e32 v7, v7
	v_fma_f32 v11, 0xcf800000, v7, |v5|
	v_cvt_u32_f32_e32 v5, v7
	s_delay_alu instid0(VALU_DEP_2) | instskip(NEXT) | instid1(VALU_DEP_2)
	v_cvt_u32_f32_e32 v7, v11
	v_dual_mov_b32 v11, v10 :: v_dual_bitop2_b32 v13, v5, v10 bitop3:0x14
	s_delay_alu instid0(VALU_DEP_2) | instskip(NEXT) | instid1(VALU_DEP_1)
	v_xor_b32_e32 v12, v7, v10
	v_sub_nc_u64_e32 v[10:11], v[12:13], v[10:11]
.LBB70_2019:
	s_mov_b32 s17, 0
	s_mov_b32 s18, -1
.LBB70_2020:
	s_and_not1_b32 vcc_lo, exec_lo, s17
	s_mov_b32 s17, 0
	s_cbranch_vccnz .LBB70_2031
; %bb.2021:
	s_cmp_gt_i32 s0, 14
	s_cbranch_scc0 .LBB70_2024
; %bb.2022:
	s_cmp_eq_u32 s0, 15
	s_cbranch_scc0 .LBB70_2027
; %bb.2023:
	global_load_u16 v5, v[2:3], off
	s_mov_b32 s16, 0
	s_mov_b32 s18, -1
	s_wait_loadcnt 0x0
	v_lshlrev_b32_e32 v5, 16, v5
	s_delay_alu instid0(VALU_DEP_1) | instskip(NEXT) | instid1(VALU_DEP_1)
	v_trunc_f32_e32 v5, v5
	v_mul_f32_e64 v7, 0x2f800000, |v5|
	v_ashrrev_i32_e32 v10, 31, v5
	s_delay_alu instid0(VALU_DEP_2) | instskip(NEXT) | instid1(VALU_DEP_1)
	v_floor_f32_e32 v7, v7
	v_fma_f32 v11, 0xcf800000, v7, |v5|
	v_cvt_u32_f32_e32 v5, v7
	s_delay_alu instid0(VALU_DEP_2) | instskip(NEXT) | instid1(VALU_DEP_2)
	v_cvt_u32_f32_e32 v7, v11
	v_dual_mov_b32 v11, v10 :: v_dual_bitop2_b32 v13, v5, v10 bitop3:0x14
	s_delay_alu instid0(VALU_DEP_2) | instskip(NEXT) | instid1(VALU_DEP_1)
	v_xor_b32_e32 v12, v7, v10
	v_sub_nc_u64_e32 v[10:11], v[12:13], v[10:11]
	s_branch .LBB70_2029
.LBB70_2024:
	s_mov_b32 s17, -1
	s_branch .LBB70_2028
.LBB70_2025:
	s_and_not1_saveexec_b32 s17, s17
	s_cbranch_execz .LBB70_2006
.LBB70_2026:
	v_cmp_ne_u16_e32 vcc_lo, 0, v5
	s_and_not1_b32 s18, s18, exec_lo
	s_and_b32 s19, vcc_lo, exec_lo
	s_delay_alu instid0(SALU_CYCLE_1)
	s_or_b32 s18, s18, s19
	s_or_b32 exec_lo, exec_lo, s17
	v_mov_b64_e32 v[10:11], 0
	s_and_saveexec_b32 s17, s18
	s_cbranch_execnz .LBB70_2007
	s_branch .LBB70_2008
.LBB70_2027:
	s_mov_b32 s16, -1
.LBB70_2028:
                                        ; implicit-def: $vgpr10_vgpr11
.LBB70_2029:
	s_and_b32 vcc_lo, exec_lo, s17
	s_mov_b32 s17, 0
	s_cbranch_vccz .LBB70_2031
; %bb.2030:
	s_cmp_lg_u32 s0, 11
	s_mov_b32 s17, -1
	s_cselect_b32 s16, -1, 0
.LBB70_2031:
	s_delay_alu instid0(SALU_CYCLE_1)
	s_and_b32 vcc_lo, exec_lo, s16
	s_cbranch_vccnz .LBB70_2110
; %bb.2032:
	s_and_not1_b32 vcc_lo, exec_lo, s17
	s_cbranch_vccnz .LBB70_2034
.LBB70_2033:
	global_load_u8 v5, v[2:3], off
	s_mov_b32 s0, 0
	s_mov_b32 s18, -1
	s_wait_loadcnt 0x1
	v_mov_b32_e32 v11, s0
	s_wait_loadcnt 0x0
	v_cmp_ne_u16_e32 vcc_lo, 0, v5
	v_cndmask_b32_e64 v10, 0, 1, vcc_lo
.LBB70_2034:
	s_mov_b32 s0, 0
.LBB70_2035:
	s_delay_alu instid0(SALU_CYCLE_1)
	s_and_b32 vcc_lo, exec_lo, s0
	s_cbranch_vccz .LBB70_2084
; %bb.2036:
	s_and_b32 s0, 0xffff, s1
	s_delay_alu instid0(SALU_CYCLE_1)
	s_cmp_lt_i32 s0, 5
	s_cbranch_scc1 .LBB70_2041
; %bb.2037:
	s_cmp_lt_i32 s0, 8
	s_cbranch_scc1 .LBB70_2042
; %bb.2038:
	;; [unrolled: 3-line block ×3, first 2 shown]
	s_cmp_gt_i32 s0, 9
	s_cbranch_scc0 .LBB70_2044
; %bb.2040:
	s_wait_loadcnt 0x0
	global_load_b64 v[10:11], v[2:3], off
	s_mov_b32 s16, 0
	s_wait_loadcnt 0x0
	v_trunc_f64_e32 v[10:11], v[10:11]
	s_delay_alu instid0(VALU_DEP_1) | instskip(NEXT) | instid1(VALU_DEP_1)
	v_ldexp_f64 v[12:13], v[10:11], 0xffffffe0
	v_floor_f64_e32 v[12:13], v[12:13]
	s_delay_alu instid0(VALU_DEP_1) | instskip(SKIP_1) | instid1(VALU_DEP_2)
	v_fmamk_f64 v[14:15], v[12:13], 0xc1f00000, v[10:11]
	v_cvt_i32_f64_e32 v11, v[12:13]
	v_cvt_u32_f64_e32 v10, v[14:15]
	s_branch .LBB70_2045
.LBB70_2041:
	s_mov_b32 s16, -1
                                        ; implicit-def: $vgpr10_vgpr11
	s_branch .LBB70_2063
.LBB70_2042:
	s_mov_b32 s16, -1
                                        ; implicit-def: $vgpr10_vgpr11
	s_branch .LBB70_2051
.LBB70_2043:
	s_mov_b32 s16, -1
                                        ; implicit-def: $vgpr10_vgpr11
	s_branch .LBB70_2048
.LBB70_2044:
	s_mov_b32 s16, -1
                                        ; implicit-def: $vgpr10_vgpr11
.LBB70_2045:
	s_delay_alu instid0(SALU_CYCLE_1)
	s_and_not1_b32 vcc_lo, exec_lo, s16
	s_cbranch_vccnz .LBB70_2047
; %bb.2046:
	global_load_b32 v5, v[2:3], off
	s_wait_loadcnt 0x0
	v_trunc_f32_e32 v5, v5
	s_delay_alu instid0(VALU_DEP_1) | instskip(SKIP_1) | instid1(VALU_DEP_2)
	v_mul_f32_e64 v7, 0x2f800000, |v5|
	v_ashrrev_i32_e32 v10, 31, v5
	v_floor_f32_e32 v7, v7
	s_delay_alu instid0(VALU_DEP_1) | instskip(SKIP_1) | instid1(VALU_DEP_2)
	v_fma_f32 v11, 0xcf800000, v7, |v5|
	v_cvt_u32_f32_e32 v5, v7
	v_cvt_u32_f32_e32 v7, v11
	s_delay_alu instid0(VALU_DEP_2) | instskip(NEXT) | instid1(VALU_DEP_2)
	v_dual_mov_b32 v11, v10 :: v_dual_bitop2_b32 v13, v5, v10 bitop3:0x14
	v_xor_b32_e32 v12, v7, v10
	s_delay_alu instid0(VALU_DEP_1)
	v_sub_nc_u64_e32 v[10:11], v[12:13], v[10:11]
.LBB70_2047:
	s_mov_b32 s16, 0
.LBB70_2048:
	s_delay_alu instid0(SALU_CYCLE_1)
	s_and_not1_b32 vcc_lo, exec_lo, s16
	s_cbranch_vccnz .LBB70_2050
; %bb.2049:
	global_load_b32 v5, v[2:3], off
	s_wait_loadcnt 0x0
	v_cvt_f32_f16_e32 v5, v5
	s_delay_alu instid0(VALU_DEP_1) | instskip(NEXT) | instid1(VALU_DEP_1)
	v_cvt_i32_f32_e32 v10, v5
	v_ashrrev_i32_e32 v11, 31, v10
.LBB70_2050:
	s_mov_b32 s16, 0
.LBB70_2051:
	s_delay_alu instid0(SALU_CYCLE_1)
	s_and_not1_b32 vcc_lo, exec_lo, s16
	s_cbranch_vccnz .LBB70_2062
; %bb.2052:
	s_cmp_lt_i32 s0, 6
	s_cbranch_scc1 .LBB70_2055
; %bb.2053:
	s_cmp_gt_i32 s0, 6
	s_cbranch_scc0 .LBB70_2056
; %bb.2054:
	s_wait_loadcnt 0x0
	global_load_b64 v[10:11], v[2:3], off
	s_mov_b32 s16, 0
	s_wait_loadcnt 0x0
	v_trunc_f64_e32 v[10:11], v[10:11]
	s_delay_alu instid0(VALU_DEP_1) | instskip(NEXT) | instid1(VALU_DEP_1)
	v_ldexp_f64 v[12:13], v[10:11], 0xffffffe0
	v_floor_f64_e32 v[12:13], v[12:13]
	s_delay_alu instid0(VALU_DEP_1) | instskip(SKIP_1) | instid1(VALU_DEP_2)
	v_fmamk_f64 v[14:15], v[12:13], 0xc1f00000, v[10:11]
	v_cvt_i32_f64_e32 v11, v[12:13]
	v_cvt_u32_f64_e32 v10, v[14:15]
	s_branch .LBB70_2057
.LBB70_2055:
	s_mov_b32 s16, -1
                                        ; implicit-def: $vgpr10_vgpr11
	s_branch .LBB70_2060
.LBB70_2056:
	s_mov_b32 s16, -1
                                        ; implicit-def: $vgpr10_vgpr11
.LBB70_2057:
	s_delay_alu instid0(SALU_CYCLE_1)
	s_and_not1_b32 vcc_lo, exec_lo, s16
	s_cbranch_vccnz .LBB70_2059
; %bb.2058:
	global_load_b32 v5, v[2:3], off
	s_wait_loadcnt 0x0
	v_trunc_f32_e32 v5, v5
	s_delay_alu instid0(VALU_DEP_1) | instskip(SKIP_1) | instid1(VALU_DEP_2)
	v_mul_f32_e64 v7, 0x2f800000, |v5|
	v_ashrrev_i32_e32 v10, 31, v5
	v_floor_f32_e32 v7, v7
	s_delay_alu instid0(VALU_DEP_1) | instskip(SKIP_1) | instid1(VALU_DEP_2)
	v_fma_f32 v11, 0xcf800000, v7, |v5|
	v_cvt_u32_f32_e32 v5, v7
	v_cvt_u32_f32_e32 v7, v11
	s_delay_alu instid0(VALU_DEP_2) | instskip(NEXT) | instid1(VALU_DEP_2)
	v_dual_mov_b32 v11, v10 :: v_dual_bitop2_b32 v13, v5, v10 bitop3:0x14
	v_xor_b32_e32 v12, v7, v10
	s_delay_alu instid0(VALU_DEP_1)
	v_sub_nc_u64_e32 v[10:11], v[12:13], v[10:11]
.LBB70_2059:
	s_mov_b32 s16, 0
.LBB70_2060:
	s_delay_alu instid0(SALU_CYCLE_1)
	s_and_not1_b32 vcc_lo, exec_lo, s16
	s_cbranch_vccnz .LBB70_2062
; %bb.2061:
	global_load_u16 v5, v[2:3], off
	s_wait_loadcnt 0x0
	v_cvt_f32_f16_e32 v5, v5
	s_delay_alu instid0(VALU_DEP_1) | instskip(NEXT) | instid1(VALU_DEP_1)
	v_cvt_i32_f32_e32 v10, v5
	v_ashrrev_i32_e32 v11, 31, v10
.LBB70_2062:
	s_mov_b32 s16, 0
.LBB70_2063:
	s_delay_alu instid0(SALU_CYCLE_1)
	s_and_not1_b32 vcc_lo, exec_lo, s16
	s_cbranch_vccnz .LBB70_2083
; %bb.2064:
	s_cmp_lt_i32 s0, 2
	s_cbranch_scc1 .LBB70_2068
; %bb.2065:
	s_cmp_lt_i32 s0, 3
	s_cbranch_scc1 .LBB70_2069
; %bb.2066:
	s_cmp_gt_i32 s0, 3
	s_cbranch_scc0 .LBB70_2070
; %bb.2067:
	s_wait_loadcnt 0x0
	global_load_b64 v[10:11], v[2:3], off
	s_mov_b32 s16, 0
	s_branch .LBB70_2071
.LBB70_2068:
	s_mov_b32 s16, -1
                                        ; implicit-def: $vgpr10_vgpr11
	s_branch .LBB70_2077
.LBB70_2069:
	s_mov_b32 s16, -1
                                        ; implicit-def: $vgpr10_vgpr11
	s_branch .LBB70_2074
.LBB70_2070:
	s_mov_b32 s16, -1
                                        ; implicit-def: $vgpr10_vgpr11
.LBB70_2071:
	s_delay_alu instid0(SALU_CYCLE_1)
	s_and_not1_b32 vcc_lo, exec_lo, s16
	s_cbranch_vccnz .LBB70_2073
; %bb.2072:
	s_wait_loadcnt 0x0
	global_load_b32 v10, v[2:3], off
	s_wait_loadcnt 0x0
	v_ashrrev_i32_e32 v11, 31, v10
.LBB70_2073:
	s_mov_b32 s16, 0
.LBB70_2074:
	s_delay_alu instid0(SALU_CYCLE_1)
	s_and_not1_b32 vcc_lo, exec_lo, s16
	s_cbranch_vccnz .LBB70_2076
; %bb.2075:
	global_load_u16 v5, v[2:3], off
	s_wait_loadcnt 0x0
	v_bfe_i32 v10, v5, 0, 16
	s_delay_alu instid0(VALU_DEP_1)
	v_ashrrev_i32_e32 v11, 31, v10
.LBB70_2076:
	s_mov_b32 s16, 0
.LBB70_2077:
	s_delay_alu instid0(SALU_CYCLE_1)
	s_and_not1_b32 vcc_lo, exec_lo, s16
	s_cbranch_vccnz .LBB70_2083
; %bb.2078:
	s_cmp_gt_i32 s0, 0
	s_mov_b32 s0, 0
	s_cbranch_scc0 .LBB70_2080
; %bb.2079:
	global_load_i8 v5, v[2:3], off
	s_wait_loadcnt 0x0
	v_bfe_i32 v10, v5, 0, 16
	s_delay_alu instid0(VALU_DEP_1)
	v_ashrrev_i32_e32 v11, 31, v10
	s_branch .LBB70_2081
.LBB70_2080:
	s_mov_b32 s0, -1
                                        ; implicit-def: $vgpr10_vgpr11
.LBB70_2081:
	s_delay_alu instid0(SALU_CYCLE_1)
	s_and_not1_b32 vcc_lo, exec_lo, s0
	s_cbranch_vccnz .LBB70_2083
; %bb.2082:
	global_load_u8 v2, v[2:3], off
	s_mov_b32 s0, 0
	s_wait_loadcnt 0x1
	v_mov_b32_e32 v11, s0
	s_wait_loadcnt 0x0
	v_and_b32_e32 v10, 0xffff, v2
.LBB70_2083:
	s_mov_b32 s18, -1
.LBB70_2084:
	s_delay_alu instid0(SALU_CYCLE_1)
	s_and_not1_b32 vcc_lo, exec_lo, s18
	s_cbranch_vccnz .LBB70_2625
; %bb.2085:
	s_wait_loadcnt 0x0
	s_delay_alu instid0(VALU_DEP_1) | instskip(SKIP_1) | instid1(VALU_DEP_1)
	v_sub_nc_u64_e32 v[2:3], 0, v[10:11]
	s_mov_b32 s16, exec_lo
	v_max_i64 v[12:13], v[10:11], v[2:3]
	v_cmpx_ne_u64_e32 0, v[8:9]
	s_cbranch_execz .LBB70_2093
; %bb.2086:
	v_sub_nc_u64_e32 v[2:3], 0, v[8:9]
	s_mov_b32 s17, 0
	s_delay_alu instid0(VALU_DEP_1)
	v_max_i64 v[16:17], v[8:9], v[2:3]
	v_mov_b32_e32 v2, 0
	s_branch .LBB70_2088
.LBB70_2087:                            ;   in Loop: Header=BB70_2088 Depth=1
	s_or_b32 exec_lo, exec_lo, s0
	s_delay_alu instid0(VALU_DEP_1) | instskip(SKIP_2) | instid1(SALU_CYCLE_1)
	v_cmp_eq_u64_e32 vcc_lo, 0, v[16:17]
	v_mov_b64_e32 v[12:13], v[14:15]
	s_or_b32 s17, vcc_lo, s17
	s_and_not1_b32 exec_lo, exec_lo, s17
	s_cbranch_execz .LBB70_2092
.LBB70_2088:                            ; =>This Inner Loop Header: Depth=1
	s_delay_alu instid0(VALU_DEP_2) | instskip(SKIP_1) | instid1(VALU_DEP_1)
	v_mov_b64_e32 v[14:15], v[16:17]
                                        ; implicit-def: $vgpr16_vgpr17
	s_mov_b32 s0, exec_lo
	v_or_b32_e32 v3, v13, v15
	s_delay_alu instid0(VALU_DEP_1)
	v_cmpx_ne_u64_e32 0, v[2:3]
	s_xor_b32 s18, exec_lo, s0
	s_cbranch_execz .LBB70_2090
; %bb.2089:                             ;   in Loop: Header=BB70_2088 Depth=1
	s_delay_alu instid0(VALU_DEP_3) | instskip(SKIP_4) | instid1(VALU_DEP_4)
	v_cvt_f32_u32_e32 v3, v14
	v_cvt_f32_u32_e32 v5, v15
	v_sub_nc_u64_e32 v[18:19], 0, v[14:15]
	v_dual_mov_b32 v17, v2 :: v_dual_mov_b32 v27, v2
	v_mov_b32_e32 v29, v2
	v_fmac_f32_e32 v3, 0x4f800000, v5
	s_delay_alu instid0(VALU_DEP_1) | instskip(SKIP_1) | instid1(TRANS32_DEP_1)
	v_rcp_f32_e32 v3, v3
	v_nop
	v_mul_f32_e32 v3, 0x5f7ffffc, v3
	s_delay_alu instid0(VALU_DEP_1) | instskip(NEXT) | instid1(VALU_DEP_1)
	v_mul_f32_e32 v5, 0x2f800000, v3
	v_trunc_f32_e32 v5, v5
	s_delay_alu instid0(VALU_DEP_1) | instskip(SKIP_1) | instid1(VALU_DEP_2)
	v_fmac_f32_e32 v3, 0xcf800000, v5
	v_cvt_u32_f32_e32 v23, v5
	v_cvt_u32_f32_e32 v16, v3
	s_delay_alu instid0(VALU_DEP_1) | instskip(NEXT) | instid1(VALU_DEP_1)
	v_dual_mov_b32 v28, v23 :: v_dual_mov_b32 v22, v16
	v_mul_u64_e32 v[24:25], v[18:19], v[22:23]
	s_delay_alu instid0(VALU_DEP_1) | instskip(NEXT) | instid1(VALU_DEP_1)
	v_dual_mov_b32 v26, v25 :: v_dual_mov_b32 v25, v2
	v_mul_u64_e32 v[30:31], v[16:17], v[26:27]
	s_delay_alu instid0(VALU_DEP_2) | instskip(SKIP_2) | instid1(VALU_DEP_1)
	v_mul_u64_e32 v[32:33], v[28:29], v[24:25]
	v_mul_u64_e32 v[26:27], v[28:29], v[26:27]
	v_mul_hi_u32 v24, v16, v24
	v_add_nc_u64_e32 v[24:25], v[24:25], v[30:31]
	s_delay_alu instid0(VALU_DEP_1) | instskip(NEXT) | instid1(VALU_DEP_2)
	v_add_co_u32 v3, vcc_lo, v24, v32
	v_add_co_ci_u32_e32 v28, vcc_lo, v25, v33, vcc_lo
	v_add_co_ci_u32_e32 v27, vcc_lo, 0, v27, vcc_lo
	s_delay_alu instid0(VALU_DEP_1) | instskip(NEXT) | instid1(VALU_DEP_1)
	v_add_nc_u64_e32 v[24:25], v[28:29], v[26:27]
	v_add_co_u32 v16, vcc_lo, v16, v24
	s_delay_alu instid0(VALU_DEP_1) | instskip(SKIP_1) | instid1(VALU_DEP_2)
	v_add_co_ci_u32_e64 v22, null, v23, v25, vcc_lo
	v_dual_mov_b32 v25, v2 :: v_dual_mov_b32 v23, v2
	v_mov_b32_e32 v17, v22
	s_delay_alu instid0(VALU_DEP_1) | instskip(NEXT) | instid1(VALU_DEP_1)
	v_mul_u64_e32 v[18:19], v[18:19], v[16:17]
	v_dual_mov_b32 v17, v2 :: v_dual_mov_b32 v24, v19
	s_delay_alu instid0(VALU_DEP_2) | instskip(SKIP_1) | instid1(VALU_DEP_3)
	v_dual_mov_b32 v28, v18 :: v_dual_mov_b32 v19, v2
	v_mul_hi_u32 v18, v16, v18
	v_mul_u64_e32 v[26:27], v[16:17], v[24:25]
	s_delay_alu instid0(VALU_DEP_3) | instskip(SKIP_1) | instid1(VALU_DEP_3)
	v_mul_u64_e32 v[28:29], v[22:23], v[28:29]
	v_mul_u64_e32 v[24:25], v[22:23], v[24:25]
	v_add_nc_u64_e32 v[18:19], v[18:19], v[26:27]
	v_mov_b32_e32 v27, v2
	s_delay_alu instid0(VALU_DEP_2) | instskip(NEXT) | instid1(VALU_DEP_3)
	v_add_co_u32 v3, vcc_lo, v18, v28
	v_add_co_ci_u32_e32 v26, vcc_lo, v19, v29, vcc_lo
	v_add_co_ci_u32_e32 v25, vcc_lo, 0, v25, vcc_lo
	s_delay_alu instid0(VALU_DEP_1) | instskip(SKIP_1) | instid1(VALU_DEP_2)
	v_add_nc_u64_e32 v[18:19], v[26:27], v[24:25]
	v_dual_mov_b32 v24, v12 :: v_dual_mov_b32 v25, v2
	v_add_co_u32 v18, vcc_lo, v16, v18
	s_delay_alu instid0(VALU_DEP_1) | instskip(SKIP_1) | instid1(VALU_DEP_2)
	v_add_co_ci_u32_e64 v16, null, v22, v19, vcc_lo
	v_dual_mov_b32 v22, v13 :: v_dual_mov_b32 v19, v2
	v_mul_u64_e32 v[24:25], v[24:25], v[16:17]
	s_delay_alu instid0(VALU_DEP_2) | instskip(NEXT) | instid1(VALU_DEP_3)
	v_mul_u64_e32 v[16:17], v[22:23], v[16:17]
	v_mul_u64_e32 v[26:27], v[22:23], v[18:19]
	v_mul_hi_u32 v18, v12, v18
	s_delay_alu instid0(VALU_DEP_1) | instskip(NEXT) | instid1(VALU_DEP_1)
	v_add_nc_u64_e32 v[18:19], v[18:19], v[24:25]
	v_add_co_u32 v3, vcc_lo, v18, v26
	s_delay_alu instid0(VALU_DEP_2) | instskip(SKIP_1) | instid1(VALU_DEP_1)
	v_add_co_ci_u32_e32 v22, vcc_lo, v19, v27, vcc_lo
	v_add_co_ci_u32_e32 v17, vcc_lo, 0, v17, vcc_lo
	v_add_nc_u64_e32 v[16:17], v[22:23], v[16:17]
	s_delay_alu instid0(VALU_DEP_1) | instskip(NEXT) | instid1(VALU_DEP_1)
	v_mul_u64_e32 v[16:17], v[14:15], v[16:17]
	v_sub_nc_u32_e32 v3, v13, v17
	s_delay_alu instid0(VALU_DEP_2) | instskip(NEXT) | instid1(VALU_DEP_1)
	v_sub_co_u32 v5, vcc_lo, v12, v16
	v_sub_co_ci_u32_e64 v7, null, v13, v17, vcc_lo
	s_delay_alu instid0(VALU_DEP_3) | instskip(NEXT) | instid1(VALU_DEP_3)
	v_sub_co_ci_u32_e64 v3, null, v3, v15, vcc_lo
	v_sub_co_u32 v12, vcc_lo, v5, v14
	v_cmp_ge_u32_e64 s0, v5, v14
	s_delay_alu instid0(VALU_DEP_3) | instskip(SKIP_1) | instid1(VALU_DEP_3)
	v_subrev_co_ci_u32_e64 v13, null, 0, v3, vcc_lo
	v_sub_co_ci_u32_e64 v3, null, v3, v15, vcc_lo
	v_cndmask_b32_e64 v16, 0, -1, s0
	v_cmp_ge_u32_e64 s0, v12, v14
	v_cmp_ge_u32_e32 vcc_lo, v7, v15
	s_delay_alu instid0(VALU_DEP_2) | instskip(SKIP_3) | instid1(VALU_DEP_3)
	v_cndmask_b32_e64 v17, 0, -1, s0
	v_cmp_ge_u32_e64 s0, v13, v15
	v_cndmask_b32_e64 v19, 0, -1, vcc_lo
	v_cmp_eq_u32_e32 vcc_lo, v13, v15
	v_cndmask_b32_e64 v18, 0, -1, s0
	v_cmp_eq_u32_e64 s0, v7, v15
	s_delay_alu instid0(VALU_DEP_1) | instskip(SKIP_1) | instid1(VALU_DEP_1)
	v_dual_cndmask_b32 v17, v18, v17, vcc_lo :: v_dual_cndmask_b32 v16, v19, v16, s0
	v_sub_co_u32 v18, vcc_lo, v12, v14
	v_subrev_co_ci_u32_e64 v3, null, 0, v3, vcc_lo
	s_delay_alu instid0(VALU_DEP_3) | instskip(NEXT) | instid1(VALU_DEP_2)
	v_cmp_ne_u32_e32 vcc_lo, 0, v17
	v_dual_cndmask_b32 v3, v13, v3 :: v_dual_cndmask_b32 v12, v12, v18
	v_cmp_ne_u32_e32 vcc_lo, 0, v16
	s_delay_alu instid0(VALU_DEP_2)
	v_dual_cndmask_b32 v17, v7, v3 :: v_dual_cndmask_b32 v16, v5, v12
                                        ; implicit-def: $vgpr12_vgpr13
.LBB70_2090:                            ;   in Loop: Header=BB70_2088 Depth=1
	s_and_not1_saveexec_b32 s0, s18
	s_cbranch_execz .LBB70_2087
; %bb.2091:                             ;   in Loop: Header=BB70_2088 Depth=1
	v_cvt_f32_u32_e32 v3, v14
	v_dual_sub_nc_u32 v5, 0, v14 :: v_dual_mov_b32 v17, v2
	s_delay_alu instid0(VALU_DEP_2) | instskip(SKIP_1) | instid1(TRANS32_DEP_1)
	v_rcp_iflag_f32_e32 v3, v3
	v_nop
	v_mul_f32_e32 v3, 0x4f7ffffe, v3
	s_delay_alu instid0(VALU_DEP_1) | instskip(NEXT) | instid1(VALU_DEP_1)
	v_cvt_u32_f32_e32 v3, v3
	v_mul_lo_u32 v5, v5, v3
	s_delay_alu instid0(VALU_DEP_1) | instskip(NEXT) | instid1(VALU_DEP_1)
	v_mul_hi_u32 v5, v3, v5
	v_add_nc_u32_e32 v3, v3, v5
	s_delay_alu instid0(VALU_DEP_1) | instskip(NEXT) | instid1(VALU_DEP_1)
	v_mul_hi_u32 v3, v12, v3
	v_mul_lo_u32 v3, v3, v14
	s_delay_alu instid0(VALU_DEP_1) | instskip(NEXT) | instid1(VALU_DEP_1)
	v_sub_nc_u32_e32 v3, v12, v3
	v_sub_nc_u32_e32 v5, v3, v14
	v_cmp_ge_u32_e32 vcc_lo, v3, v14
	s_delay_alu instid0(VALU_DEP_2) | instskip(NEXT) | instid1(VALU_DEP_1)
	v_cndmask_b32_e32 v3, v3, v5, vcc_lo
	v_sub_nc_u32_e32 v5, v3, v14
	v_cmp_ge_u32_e32 vcc_lo, v3, v14
	s_delay_alu instid0(VALU_DEP_2)
	v_cndmask_b32_e32 v16, v3, v5, vcc_lo
	s_branch .LBB70_2087
.LBB70_2092:
	s_or_b32 exec_lo, exec_lo, s17
	v_mov_b64_e32 v[12:13], v[14:15]
.LBB70_2093:
	s_or_b32 exec_lo, exec_lo, s16
	v_mov_b64_e32 v[2:3], 0
	s_mov_b32 s16, exec_lo
	s_delay_alu instid0(VALU_DEP_2)
	v_cmpx_ne_u64_e32 0, v[12:13]
	s_cbranch_execz .LBB70_2099
; %bb.2094:
	v_dual_mov_b32 v2, 0 :: v_dual_bitop2_b32 v3, v9, v13 bitop3:0x54
                                        ; implicit-def: $vgpr14_vgpr15
	s_mov_b32 s0, exec_lo
	s_delay_alu instid0(VALU_DEP_1)
	v_cmpx_ne_u64_e32 0, v[2:3]
	s_xor_b32 s17, exec_lo, s0
	s_cbranch_execz .LBB70_2096
; %bb.2095:
	v_dual_mov_b32 v17, v2 :: v_dual_ashrrev_i32 v14, 31, v13
	v_dual_mov_b32 v27, v2 :: v_dual_mov_b32 v29, v2
	s_delay_alu instid0(VALU_DEP_2) | instskip(NEXT) | instid1(VALU_DEP_1)
	v_mov_b32_e32 v15, v14
	v_add_nc_u64_e32 v[12:13], v[12:13], v[14:15]
	s_delay_alu instid0(VALU_DEP_1) | instskip(NEXT) | instid1(VALU_DEP_2)
	v_xor_b32_e32 v12, v12, v14
	v_xor_b32_e32 v13, v13, v14
	s_delay_alu instid0(VALU_DEP_2) | instskip(NEXT) | instid1(VALU_DEP_2)
	v_cvt_f32_u32_e32 v3, v12
	v_cvt_f32_u32_e32 v5, v13
	s_delay_alu instid0(VALU_DEP_1) | instskip(NEXT) | instid1(VALU_DEP_1)
	v_fmamk_f32 v3, v5, 0x4f800000, v3
	v_rcp_f32_e32 v3, v3
	v_nop
	s_delay_alu instid0(TRANS32_DEP_1) | instskip(NEXT) | instid1(VALU_DEP_1)
	v_mul_f32_e32 v3, 0x5f7ffffc, v3
	v_mul_f32_e32 v5, 0x2f800000, v3
	s_delay_alu instid0(VALU_DEP_1) | instskip(NEXT) | instid1(VALU_DEP_1)
	v_trunc_f32_e32 v5, v5
	v_fmamk_f32 v3, v5, 0xcf800000, v3
	v_cvt_u32_f32_e32 v23, v5
	s_delay_alu instid0(VALU_DEP_2) | instskip(NEXT) | instid1(VALU_DEP_1)
	v_cvt_u32_f32_e32 v16, v3
	v_dual_mov_b32 v28, v23 :: v_dual_mov_b32 v22, v16
	v_sub_nc_u64_e32 v[18:19], 0, v[12:13]
	s_delay_alu instid0(VALU_DEP_1) | instskip(NEXT) | instid1(VALU_DEP_1)
	v_mul_u64_e32 v[24:25], v[18:19], v[22:23]
	v_dual_mov_b32 v26, v25 :: v_dual_mov_b32 v25, v2
	s_delay_alu instid0(VALU_DEP_1) | instskip(NEXT) | instid1(VALU_DEP_2)
	v_mul_u64_e32 v[30:31], v[16:17], v[26:27]
	v_mul_u64_e32 v[32:33], v[28:29], v[24:25]
	;; [unrolled: 1-line block ×3, first 2 shown]
	v_mul_hi_u32 v24, v16, v24
	s_delay_alu instid0(VALU_DEP_1) | instskip(SKIP_1) | instid1(VALU_DEP_2)
	v_add_nc_u64_e32 v[24:25], v[24:25], v[30:31]
	v_ashrrev_i32_e32 v30, 31, v9
	v_add_co_u32 v3, vcc_lo, v24, v32
	s_delay_alu instid0(VALU_DEP_3) | instskip(SKIP_1) | instid1(VALU_DEP_1)
	v_add_co_ci_u32_e32 v28, vcc_lo, v25, v33, vcc_lo
	v_add_co_ci_u32_e32 v27, vcc_lo, 0, v27, vcc_lo
	v_add_nc_u64_e32 v[24:25], v[28:29], v[26:27]
	s_delay_alu instid0(VALU_DEP_1) | instskip(NEXT) | instid1(VALU_DEP_1)
	v_add_co_u32 v16, vcc_lo, v16, v24
	v_add_co_ci_u32_e64 v22, null, v23, v25, vcc_lo
	v_dual_mov_b32 v25, v2 :: v_dual_mov_b32 v23, v2
	s_delay_alu instid0(VALU_DEP_2) | instskip(NEXT) | instid1(VALU_DEP_1)
	v_mov_b32_e32 v17, v22
	v_mul_u64_e32 v[18:19], v[18:19], v[16:17]
	s_delay_alu instid0(VALU_DEP_1) | instskip(NEXT) | instid1(VALU_DEP_2)
	v_dual_mov_b32 v17, v2 :: v_dual_mov_b32 v24, v19
	v_dual_mov_b32 v28, v18 :: v_dual_mov_b32 v19, v2
	v_mul_hi_u32 v18, v16, v18
	s_delay_alu instid0(VALU_DEP_3) | instskip(NEXT) | instid1(VALU_DEP_3)
	v_mul_u64_e32 v[26:27], v[16:17], v[24:25]
	v_mul_u64_e32 v[28:29], v[22:23], v[28:29]
	;; [unrolled: 1-line block ×3, first 2 shown]
	s_delay_alu instid0(VALU_DEP_3) | instskip(SKIP_1) | instid1(VALU_DEP_2)
	v_add_nc_u64_e32 v[18:19], v[18:19], v[26:27]
	v_dual_mov_b32 v27, v2 :: v_dual_mov_b32 v31, v30
	v_add_co_u32 v3, vcc_lo, v18, v28
	s_delay_alu instid0(VALU_DEP_3) | instskip(SKIP_2) | instid1(VALU_DEP_2)
	v_add_co_ci_u32_e32 v26, vcc_lo, v19, v29, vcc_lo
	v_add_co_ci_u32_e32 v25, vcc_lo, 0, v25, vcc_lo
	v_mov_b32_e32 v3, v2
	v_add_nc_u64_e32 v[18:19], v[26:27], v[24:25]
	v_mov_b32_e32 v25, v2
	v_add_nc_u64_e32 v[8:9], v[8:9], v[30:31]
	s_delay_alu instid0(VALU_DEP_3) | instskip(NEXT) | instid1(VALU_DEP_2)
	v_add_co_u32 v18, vcc_lo, v16, v18
	v_xor_b32_e32 v24, v8, v30
	v_add_co_ci_u32_e64 v16, null, v22, v19, vcc_lo
	s_delay_alu instid0(VALU_DEP_4) | instskip(NEXT) | instid1(VALU_DEP_2)
	v_dual_mov_b32 v19, v2 :: v_dual_bitop2_b32 v22, v9, v30 bitop3:0x14
	v_mul_u64_e32 v[26:27], v[24:25], v[16:17]
	s_delay_alu instid0(VALU_DEP_2) | instskip(SKIP_2) | instid1(VALU_DEP_1)
	v_mul_u64_e32 v[8:9], v[22:23], v[18:19]
	v_mul_u64_e32 v[16:17], v[22:23], v[16:17]
	v_mul_hi_u32 v18, v24, v18
	v_add_nc_u64_e32 v[18:19], v[18:19], v[26:27]
	s_delay_alu instid0(VALU_DEP_1) | instskip(NEXT) | instid1(VALU_DEP_2)
	v_add_co_u32 v2, vcc_lo, v18, v8
	v_add_co_ci_u32_e32 v2, vcc_lo, v19, v9, vcc_lo
	v_add_co_ci_u32_e32 v17, vcc_lo, 0, v17, vcc_lo
	s_delay_alu instid0(VALU_DEP_1) | instskip(NEXT) | instid1(VALU_DEP_1)
	v_add_nc_u64_e32 v[2:3], v[2:3], v[16:17]
	v_mul_u64_e32 v[8:9], v[12:13], v[2:3]
	v_add_nc_u64_e32 v[16:17], 1, v[2:3]
	s_delay_alu instid0(VALU_DEP_2) | instskip(NEXT) | instid1(VALU_DEP_3)
	v_sub_nc_u32_e32 v5, v22, v9
	v_sub_co_u32 v7, vcc_lo, v24, v8
	s_delay_alu instid0(VALU_DEP_1) | instskip(NEXT) | instid1(VALU_DEP_3)
	v_sub_co_ci_u32_e64 v15, null, v22, v9, vcc_lo
	v_sub_co_ci_u32_e64 v5, null, v5, v13, vcc_lo
	s_delay_alu instid0(VALU_DEP_3) | instskip(NEXT) | instid1(VALU_DEP_1)
	v_sub_co_u32 v8, s0, v7, v12
	v_subrev_co_ci_u32_e64 v5, null, 0, v5, s0
	s_delay_alu instid0(VALU_DEP_2) | instskip(SKIP_1) | instid1(VALU_DEP_3)
	v_cmp_ge_u32_e32 vcc_lo, v8, v12
	v_cndmask_b32_e64 v8, 0, -1, vcc_lo
	v_cmp_ge_u32_e32 vcc_lo, v5, v13
	v_cndmask_b32_e64 v9, 0, -1, vcc_lo
	;; [unrolled: 2-line block ×4, first 2 shown]
	v_cmp_eq_u32_e32 vcc_lo, v5, v13
	v_cndmask_b32_e32 v5, v9, v8, vcc_lo
	v_cmp_eq_u32_e32 vcc_lo, v15, v13
	v_add_nc_u64_e32 v[8:9], 2, v[2:3]
	v_cndmask_b32_e32 v7, v12, v7, vcc_lo
	s_delay_alu instid0(VALU_DEP_4) | instskip(NEXT) | instid1(VALU_DEP_2)
	v_cmp_ne_u32_e32 vcc_lo, 0, v5
                                        ; implicit-def: $vgpr12_vgpr13
	v_cmp_ne_u32_e64 s0, 0, v7
	s_delay_alu instid0(VALU_DEP_4) | instskip(NEXT) | instid1(VALU_DEP_1)
	v_dual_cndmask_b32 v5, v17, v9, vcc_lo :: v_dual_cndmask_b32 v7, v16, v8, vcc_lo
	v_dual_cndmask_b32 v3, v3, v5, s0 :: v_dual_bitop2_b32 v8, v30, v14 bitop3:0x14
	s_delay_alu instid0(VALU_DEP_1) | instskip(NEXT) | instid1(VALU_DEP_2)
	v_dual_cndmask_b32 v2, v2, v7, s0 :: v_dual_mov_b32 v9, v8
	v_xor_b32_e32 v3, v3, v8
	s_delay_alu instid0(VALU_DEP_2) | instskip(NEXT) | instid1(VALU_DEP_1)
	v_xor_b32_e32 v2, v2, v8
	v_sub_nc_u64_e32 v[14:15], v[2:3], v[8:9]
                                        ; implicit-def: $vgpr8_vgpr9
.LBB70_2096:
	s_and_not1_saveexec_b32 s0, s17
	s_cbranch_execz .LBB70_2098
; %bb.2097:
	v_cvt_f32_u32_e32 v2, v12
	v_dual_sub_nc_u32 v3, 0, v12 :: v_dual_mov_b32 v15, 0
	s_delay_alu instid0(VALU_DEP_2) | instskip(SKIP_1) | instid1(TRANS32_DEP_1)
	v_rcp_iflag_f32_e32 v2, v2
	v_nop
	v_mul_f32_e32 v2, 0x4f7ffffe, v2
	s_delay_alu instid0(VALU_DEP_1) | instskip(NEXT) | instid1(VALU_DEP_1)
	v_cvt_u32_f32_e32 v2, v2
	v_mul_lo_u32 v3, v3, v2
	s_delay_alu instid0(VALU_DEP_1) | instskip(NEXT) | instid1(VALU_DEP_1)
	v_mul_hi_u32 v3, v2, v3
	v_add_nc_u32_e32 v2, v2, v3
	s_delay_alu instid0(VALU_DEP_1) | instskip(NEXT) | instid1(VALU_DEP_1)
	v_mul_hi_u32 v2, v8, v2
	v_mul_lo_u32 v3, v2, v12
	s_delay_alu instid0(VALU_DEP_1) | instskip(NEXT) | instid1(VALU_DEP_1)
	v_dual_sub_nc_u32 v3, v8, v3 :: v_dual_add_nc_u32 v5, 1, v2
	v_sub_nc_u32_e32 v7, v3, v12
	v_cmp_ge_u32_e32 vcc_lo, v3, v12
	s_delay_alu instid0(VALU_DEP_2) | instskip(NEXT) | instid1(VALU_DEP_1)
	v_dual_cndmask_b32 v3, v3, v7 :: v_dual_cndmask_b32 v2, v2, v5
	v_cmp_ge_u32_e32 vcc_lo, v3, v12
	s_delay_alu instid0(VALU_DEP_2) | instskip(NEXT) | instid1(VALU_DEP_1)
	v_add_nc_u32_e32 v5, 1, v2
	v_cndmask_b32_e32 v14, v2, v5, vcc_lo
.LBB70_2098:
	s_or_b32 exec_lo, exec_lo, s0
	s_delay_alu instid0(VALU_DEP_1) | instskip(NEXT) | instid1(VALU_DEP_1)
	v_mul_u64_e32 v[2:3], v[14:15], v[10:11]
	v_sub_nc_u64_e32 v[8:9], 0, v[2:3]
	s_delay_alu instid0(VALU_DEP_1)
	v_max_i64 v[2:3], v[2:3], v[8:9]
.LBB70_2099:
	s_or_b32 exec_lo, exec_lo, s16
	v_add_nc_u32_e32 v6, s9, v6
	s_cmp_lt_i32 s13, 11
	s_delay_alu instid0(VALU_DEP_1) | instskip(NEXT) | instid1(VALU_DEP_1)
	v_ashrrev_i32_e32 v7, 31, v6
	v_add_nc_u64_e32 v[8:9], s[6:7], v[6:7]
	s_cbranch_scc1 .LBB70_2106
; %bb.2100:
	s_and_b32 s0, 0xffff, s13
	s_mov_b32 s17, 0
	s_cmp_gt_i32 s0, 25
	s_cbranch_scc0 .LBB70_2107
; %bb.2101:
	s_cmp_gt_i32 s0, 28
	s_cbranch_scc0 .LBB70_2108
; %bb.2102:
	;; [unrolled: 3-line block ×4, first 2 shown]
	s_cmp_eq_u32 s0, 46
	s_mov_b32 s19, 0
	s_cbranch_scc0 .LBB70_2112
; %bb.2105:
	global_load_b32 v5, v[8:9], off
	s_mov_b32 s16, 0
	s_mov_b32 s18, -1
	s_wait_loadcnt 0x0
	v_lshlrev_b32_e32 v5, 16, v5
	s_delay_alu instid0(VALU_DEP_1) | instskip(NEXT) | instid1(VALU_DEP_1)
	v_trunc_f32_e32 v5, v5
	v_mul_f32_e64 v7, 0x2f800000, |v5|
	v_ashrrev_i32_e32 v10, 31, v5
	s_delay_alu instid0(VALU_DEP_2) | instskip(NEXT) | instid1(VALU_DEP_1)
	v_floor_f32_e32 v7, v7
	v_fma_f32 v11, 0xcf800000, v7, |v5|
	v_cvt_u32_f32_e32 v5, v7
	s_delay_alu instid0(VALU_DEP_2) | instskip(NEXT) | instid1(VALU_DEP_2)
	v_cvt_u32_f32_e32 v7, v11
	v_dual_mov_b32 v11, v10 :: v_dual_bitop2_b32 v13, v5, v10 bitop3:0x14
	s_delay_alu instid0(VALU_DEP_2) | instskip(NEXT) | instid1(VALU_DEP_1)
	v_xor_b32_e32 v12, v7, v10
	v_sub_nc_u64_e32 v[10:11], v[12:13], v[10:11]
	s_branch .LBB70_2114
.LBB70_2106:
	s_mov_b32 s0, -1
	s_mov_b32 s18, 0
                                        ; implicit-def: $vgpr10_vgpr11
	s_branch .LBB70_2176
.LBB70_2107:
	s_mov_b32 s19, -1
	s_mov_b32 s18, 0
	s_mov_b32 s16, 0
                                        ; implicit-def: $vgpr10_vgpr11
	s_branch .LBB70_2141
.LBB70_2108:
	s_mov_b32 s19, -1
	s_mov_b32 s18, 0
	s_mov_b32 s16, 0
                                        ; implicit-def: $vgpr10_vgpr11
	s_branch .LBB70_2124
.LBB70_2109:
	s_mov_b32 s19, -1
	s_mov_b32 s18, 0
	s_mov_b32 s16, 0
                                        ; implicit-def: $vgpr10_vgpr11
	s_branch .LBB70_2119
.LBB70_2110:
	s_or_b32 s12, s12, exec_lo
	s_trap 2
	s_cbranch_execz .LBB70_2033
	s_branch .LBB70_2034
.LBB70_2111:
	s_mov_b32 s19, -1
	s_mov_b32 s18, 0
	s_mov_b32 s16, 0
	s_branch .LBB70_2113
.LBB70_2112:
	s_mov_b32 s16, -1
	s_mov_b32 s18, 0
.LBB70_2113:
                                        ; implicit-def: $vgpr10_vgpr11
.LBB70_2114:
	s_and_b32 vcc_lo, exec_lo, s19
	s_cbranch_vccz .LBB70_2118
; %bb.2115:
	s_cmp_eq_u32 s0, 44
	s_cbranch_scc0 .LBB70_2117
; %bb.2116:
	global_load_u8 v5, v[8:9], off
	s_mov_b32 s16, 0
	s_mov_b32 s18, -1
	s_wait_loadcnt 0x0
	v_lshlrev_b32_e32 v7, 23, v5
	v_cmp_ne_u32_e32 vcc_lo, 0, v5
	s_delay_alu instid0(VALU_DEP_2) | instskip(NEXT) | instid1(VALU_DEP_1)
	v_trunc_f32_e32 v7, v7
	v_mul_f32_e64 v10, 0x2f800000, |v7|
	s_delay_alu instid0(VALU_DEP_1) | instskip(SKIP_1) | instid1(VALU_DEP_2)
	v_floor_f32_e32 v11, v10
	v_ashrrev_i32_e32 v10, 31, v7
	v_fma_f32 v12, 0xcf800000, v11, |v7|
	v_cvt_u32_f32_e32 v7, v11
	s_delay_alu instid0(VALU_DEP_3) | instskip(NEXT) | instid1(VALU_DEP_3)
	v_mov_b32_e32 v11, v10
	v_cvt_u32_f32_e32 v12, v12
	s_delay_alu instid0(VALU_DEP_3) | instskip(NEXT) | instid1(VALU_DEP_2)
	v_xor_b32_e32 v13, v7, v10
	v_xor_b32_e32 v12, v12, v10
	s_delay_alu instid0(VALU_DEP_1) | instskip(NEXT) | instid1(VALU_DEP_1)
	v_sub_nc_u64_e32 v[10:11], v[12:13], v[10:11]
	v_dual_cndmask_b32 v11, 0, v11 :: v_dual_cndmask_b32 v10, 0, v10
	s_branch .LBB70_2118
.LBB70_2117:
	s_mov_b32 s16, -1
                                        ; implicit-def: $vgpr10_vgpr11
.LBB70_2118:
	s_mov_b32 s19, 0
.LBB70_2119:
	s_delay_alu instid0(SALU_CYCLE_1)
	s_and_b32 vcc_lo, exec_lo, s19
	s_cbranch_vccz .LBB70_2123
; %bb.2120:
	s_cmp_eq_u32 s0, 29
	s_cbranch_scc0 .LBB70_2122
; %bb.2121:
	global_load_b64 v[10:11], v[8:9], off
	s_mov_b32 s16, 0
	s_mov_b32 s18, -1
	s_branch .LBB70_2123
.LBB70_2122:
	s_mov_b32 s16, -1
                                        ; implicit-def: $vgpr10_vgpr11
.LBB70_2123:
	s_mov_b32 s19, 0
.LBB70_2124:
	s_delay_alu instid0(SALU_CYCLE_1)
	s_and_b32 vcc_lo, exec_lo, s19
	s_cbranch_vccz .LBB70_2140
; %bb.2125:
	s_cmp_lt_i32 s0, 27
	s_cbranch_scc1 .LBB70_2128
; %bb.2126:
	s_cmp_gt_i32 s0, 27
	s_cbranch_scc0 .LBB70_2129
; %bb.2127:
	s_wait_loadcnt 0x0
	global_load_b32 v10, v[8:9], off
	v_mov_b32_e32 v11, 0
	s_mov_b32 s18, 0
	s_branch .LBB70_2130
.LBB70_2128:
	s_mov_b32 s18, -1
                                        ; implicit-def: $vgpr10_vgpr11
	s_branch .LBB70_2133
.LBB70_2129:
	s_mov_b32 s18, -1
                                        ; implicit-def: $vgpr10_vgpr11
.LBB70_2130:
	s_delay_alu instid0(SALU_CYCLE_1)
	s_and_not1_b32 vcc_lo, exec_lo, s18
	s_cbranch_vccnz .LBB70_2132
; %bb.2131:
	global_load_u16 v5, v[8:9], off
	s_mov_b32 s18, 0
	s_wait_loadcnt 0x1
	v_mov_b32_e32 v11, s18
	s_wait_loadcnt 0x0
	v_and_b32_e32 v10, 0xffff, v5
.LBB70_2132:
	s_mov_b32 s18, 0
.LBB70_2133:
	s_delay_alu instid0(SALU_CYCLE_1)
	s_and_not1_b32 vcc_lo, exec_lo, s18
	s_cbranch_vccnz .LBB70_2139
; %bb.2134:
	global_load_u8 v5, v[8:9], off
	s_mov_b32 s19, 0
	s_mov_b32 s18, exec_lo
	s_wait_loadcnt 0x0
	v_cmpx_lt_i16_e32 0x7f, v5
	s_xor_b32 s18, exec_lo, s18
	s_cbranch_execz .LBB70_2151
; %bb.2135:
	v_cmp_ne_u16_e32 vcc_lo, 0x80, v5
	s_and_b32 s19, vcc_lo, exec_lo
	s_and_not1_saveexec_b32 s18, s18
	s_cbranch_execnz .LBB70_2152
.LBB70_2136:
	s_or_b32 exec_lo, exec_lo, s18
	v_mov_b64_e32 v[10:11], 0
	s_and_saveexec_b32 s18, s19
	s_cbranch_execz .LBB70_2138
.LBB70_2137:
	v_and_b32_e32 v7, 0xffff, v5
	s_delay_alu instid0(VALU_DEP_1) | instskip(SKIP_1) | instid1(VALU_DEP_2)
	v_dual_lshlrev_b32 v5, 24, v5 :: v_dual_bitop2_b32 v10, 7, v7 bitop3:0x40
	v_bfe_u32 v13, v7, 3, 4
	v_and_b32_e32 v5, 0x80000000, v5
	s_delay_alu instid0(VALU_DEP_3) | instskip(NEXT) | instid1(VALU_DEP_3)
	v_clz_i32_u32_e32 v11, v10
	v_cmp_eq_u32_e32 vcc_lo, 0, v13
	s_delay_alu instid0(VALU_DEP_2) | instskip(NEXT) | instid1(VALU_DEP_1)
	v_min_u32_e32 v11, 32, v11
	v_subrev_nc_u32_e32 v12, 28, v11
	v_sub_nc_u32_e32 v11, 29, v11
	s_delay_alu instid0(VALU_DEP_2) | instskip(NEXT) | instid1(VALU_DEP_2)
	v_lshlrev_b32_e32 v7, v12, v7
	v_cndmask_b32_e32 v11, v13, v11, vcc_lo
	s_delay_alu instid0(VALU_DEP_2) | instskip(NEXT) | instid1(VALU_DEP_1)
	v_and_b32_e32 v7, 7, v7
	v_cndmask_b32_e32 v7, v10, v7, vcc_lo
	s_delay_alu instid0(VALU_DEP_3) | instskip(NEXT) | instid1(VALU_DEP_2)
	v_lshl_add_u32 v10, v11, 23, 0x3b800000
	v_lshlrev_b32_e32 v7, 20, v7
	s_delay_alu instid0(VALU_DEP_1) | instskip(NEXT) | instid1(VALU_DEP_1)
	v_or3_b32 v5, v5, v10, v7
	v_trunc_f32_e32 v5, v5
	s_delay_alu instid0(VALU_DEP_1) | instskip(SKIP_1) | instid1(VALU_DEP_2)
	v_mul_f32_e64 v7, 0x2f800000, |v5|
	v_ashrrev_i32_e32 v10, 31, v5
	v_floor_f32_e32 v7, v7
	s_delay_alu instid0(VALU_DEP_1) | instskip(SKIP_1) | instid1(VALU_DEP_2)
	v_fma_f32 v11, 0xcf800000, v7, |v5|
	v_cvt_u32_f32_e32 v5, v7
	v_cvt_u32_f32_e32 v7, v11
	s_delay_alu instid0(VALU_DEP_2) | instskip(NEXT) | instid1(VALU_DEP_2)
	v_dual_mov_b32 v11, v10 :: v_dual_bitop2_b32 v13, v5, v10 bitop3:0x14
	v_xor_b32_e32 v12, v7, v10
	s_delay_alu instid0(VALU_DEP_1)
	v_sub_nc_u64_e32 v[10:11], v[12:13], v[10:11]
.LBB70_2138:
	s_or_b32 exec_lo, exec_lo, s18
.LBB70_2139:
	s_mov_b32 s18, -1
.LBB70_2140:
	s_mov_b32 s19, 0
.LBB70_2141:
	s_delay_alu instid0(SALU_CYCLE_1)
	s_and_b32 vcc_lo, exec_lo, s19
	s_cbranch_vccz .LBB70_2172
; %bb.2142:
	s_cmp_gt_i32 s0, 22
	s_cbranch_scc0 .LBB70_2150
; %bb.2143:
	s_cmp_lt_i32 s0, 24
	s_cbranch_scc1 .LBB70_2153
; %bb.2144:
	s_cmp_gt_i32 s0, 24
	s_cbranch_scc0 .LBB70_2154
; %bb.2145:
	global_load_u8 v5, v[8:9], off
	s_mov_b32 s18, 0
	s_mov_b32 s17, exec_lo
	s_wait_loadcnt 0x0
	v_cmpx_lt_i16_e32 0x7f, v5
	s_xor_b32 s17, exec_lo, s17
	s_cbranch_execz .LBB70_2166
; %bb.2146:
	v_cmp_ne_u16_e32 vcc_lo, 0x80, v5
	s_and_b32 s18, vcc_lo, exec_lo
	s_and_not1_saveexec_b32 s17, s17
	s_cbranch_execnz .LBB70_2167
.LBB70_2147:
	s_or_b32 exec_lo, exec_lo, s17
	v_mov_b64_e32 v[10:11], 0
	s_and_saveexec_b32 s17, s18
	s_cbranch_execz .LBB70_2149
.LBB70_2148:
	v_and_b32_e32 v7, 0xffff, v5
	s_delay_alu instid0(VALU_DEP_1) | instskip(SKIP_1) | instid1(VALU_DEP_2)
	v_dual_lshlrev_b32 v5, 24, v5 :: v_dual_bitop2_b32 v10, 3, v7 bitop3:0x40
	v_bfe_u32 v13, v7, 2, 5
	v_and_b32_e32 v5, 0x80000000, v5
	s_delay_alu instid0(VALU_DEP_3) | instskip(NEXT) | instid1(VALU_DEP_3)
	v_clz_i32_u32_e32 v11, v10
	v_cmp_eq_u32_e32 vcc_lo, 0, v13
	s_delay_alu instid0(VALU_DEP_2) | instskip(NEXT) | instid1(VALU_DEP_1)
	v_min_u32_e32 v11, 32, v11
	v_subrev_nc_u32_e32 v12, 29, v11
	v_sub_nc_u32_e32 v11, 30, v11
	s_delay_alu instid0(VALU_DEP_2) | instskip(NEXT) | instid1(VALU_DEP_2)
	v_lshlrev_b32_e32 v7, v12, v7
	v_cndmask_b32_e32 v11, v13, v11, vcc_lo
	s_delay_alu instid0(VALU_DEP_2) | instskip(NEXT) | instid1(VALU_DEP_1)
	v_and_b32_e32 v7, 3, v7
	v_cndmask_b32_e32 v7, v10, v7, vcc_lo
	s_delay_alu instid0(VALU_DEP_3) | instskip(NEXT) | instid1(VALU_DEP_2)
	v_lshl_add_u32 v10, v11, 23, 0x37800000
	v_lshlrev_b32_e32 v7, 21, v7
	s_delay_alu instid0(VALU_DEP_1) | instskip(NEXT) | instid1(VALU_DEP_1)
	v_or3_b32 v5, v5, v10, v7
	v_trunc_f32_e32 v5, v5
	s_delay_alu instid0(VALU_DEP_1) | instskip(SKIP_1) | instid1(VALU_DEP_2)
	v_mul_f32_e64 v7, 0x2f800000, |v5|
	v_ashrrev_i32_e32 v10, 31, v5
	v_floor_f32_e32 v7, v7
	s_delay_alu instid0(VALU_DEP_1) | instskip(SKIP_1) | instid1(VALU_DEP_2)
	v_fma_f32 v11, 0xcf800000, v7, |v5|
	v_cvt_u32_f32_e32 v5, v7
	v_cvt_u32_f32_e32 v7, v11
	s_delay_alu instid0(VALU_DEP_2) | instskip(NEXT) | instid1(VALU_DEP_2)
	v_dual_mov_b32 v11, v10 :: v_dual_bitop2_b32 v13, v5, v10 bitop3:0x14
	v_xor_b32_e32 v12, v7, v10
	s_delay_alu instid0(VALU_DEP_1)
	v_sub_nc_u64_e32 v[10:11], v[12:13], v[10:11]
.LBB70_2149:
	s_or_b32 exec_lo, exec_lo, s17
	s_mov_b32 s17, 0
	s_branch .LBB70_2155
.LBB70_2150:
	s_mov_b32 s17, -1
                                        ; implicit-def: $vgpr10_vgpr11
	s_branch .LBB70_2161
.LBB70_2151:
	s_and_not1_saveexec_b32 s18, s18
	s_cbranch_execz .LBB70_2136
.LBB70_2152:
	v_cmp_ne_u16_e32 vcc_lo, 0, v5
	s_and_not1_b32 s19, s19, exec_lo
	s_and_b32 s20, vcc_lo, exec_lo
	s_delay_alu instid0(SALU_CYCLE_1)
	s_or_b32 s19, s19, s20
	s_or_b32 exec_lo, exec_lo, s18
	v_mov_b64_e32 v[10:11], 0
	s_and_saveexec_b32 s18, s19
	s_cbranch_execnz .LBB70_2137
	s_branch .LBB70_2138
.LBB70_2153:
	s_mov_b32 s17, -1
                                        ; implicit-def: $vgpr10_vgpr11
	s_branch .LBB70_2158
.LBB70_2154:
	s_mov_b32 s17, -1
                                        ; implicit-def: $vgpr10_vgpr11
.LBB70_2155:
	s_delay_alu instid0(SALU_CYCLE_1)
	s_and_b32 vcc_lo, exec_lo, s17
	s_cbranch_vccz .LBB70_2157
; %bb.2156:
	global_load_u8 v5, v[8:9], off
	s_wait_loadcnt 0x0
	v_lshlrev_b32_e32 v5, 24, v5
	s_delay_alu instid0(VALU_DEP_1) | instskip(NEXT) | instid1(VALU_DEP_1)
	v_and_b32_e32 v7, 0x7f000000, v5
	v_clz_i32_u32_e32 v10, v7
	v_cmp_ne_u32_e32 vcc_lo, 0, v7
	v_add_nc_u32_e32 v12, 0x1000000, v7
	s_delay_alu instid0(VALU_DEP_3) | instskip(NEXT) | instid1(VALU_DEP_1)
	v_min_u32_e32 v10, 32, v10
	v_sub_nc_u32_e64 v10, v10, 4 clamp
	s_delay_alu instid0(VALU_DEP_1) | instskip(NEXT) | instid1(VALU_DEP_1)
	v_dual_lshlrev_b32 v11, v10, v7 :: v_dual_lshlrev_b32 v10, 23, v10
	v_lshrrev_b32_e32 v11, 4, v11
	s_delay_alu instid0(VALU_DEP_1) | instskip(NEXT) | instid1(VALU_DEP_1)
	v_dual_sub_nc_u32 v10, v11, v10 :: v_dual_ashrrev_i32 v11, 8, v12
	v_add_nc_u32_e32 v10, 0x3c000000, v10
	s_delay_alu instid0(VALU_DEP_1) | instskip(NEXT) | instid1(VALU_DEP_1)
	v_and_or_b32 v10, 0x7f800000, v11, v10
	v_cndmask_b32_e32 v7, 0, v10, vcc_lo
	s_delay_alu instid0(VALU_DEP_1) | instskip(NEXT) | instid1(VALU_DEP_1)
	v_and_or_b32 v5, 0x80000000, v5, v7
	v_trunc_f32_e32 v5, v5
	s_delay_alu instid0(VALU_DEP_1) | instskip(SKIP_1) | instid1(VALU_DEP_2)
	v_mul_f32_e64 v7, 0x2f800000, |v5|
	v_ashrrev_i32_e32 v10, 31, v5
	v_floor_f32_e32 v7, v7
	s_delay_alu instid0(VALU_DEP_1) | instskip(SKIP_1) | instid1(VALU_DEP_2)
	v_fma_f32 v11, 0xcf800000, v7, |v5|
	v_cvt_u32_f32_e32 v5, v7
	v_cvt_u32_f32_e32 v7, v11
	s_delay_alu instid0(VALU_DEP_2) | instskip(NEXT) | instid1(VALU_DEP_2)
	v_dual_mov_b32 v11, v10 :: v_dual_bitop2_b32 v13, v5, v10 bitop3:0x14
	v_xor_b32_e32 v12, v7, v10
	s_delay_alu instid0(VALU_DEP_1)
	v_sub_nc_u64_e32 v[10:11], v[12:13], v[10:11]
.LBB70_2157:
	s_mov_b32 s17, 0
.LBB70_2158:
	s_delay_alu instid0(SALU_CYCLE_1)
	s_and_not1_b32 vcc_lo, exec_lo, s17
	s_cbranch_vccnz .LBB70_2160
; %bb.2159:
	global_load_u8 v5, v[8:9], off
	s_wait_loadcnt 0x0
	v_lshlrev_b32_e32 v7, 25, v5
	v_lshlrev_b16 v5, 8, v5
	s_delay_alu instid0(VALU_DEP_1) | instskip(SKIP_1) | instid1(VALU_DEP_2)
	v_and_or_b32 v11, 0x7f00, v5, 0.5
	v_bfe_i32 v5, v5, 0, 16
	v_add_f32_e32 v11, -0.5, v11
	v_lshrrev_b32_e32 v10, 4, v7
	v_cmp_gt_u32_e32 vcc_lo, 0x8000000, v7
	s_delay_alu instid0(VALU_DEP_2) | instskip(NEXT) | instid1(VALU_DEP_1)
	v_or_b32_e32 v10, 0x70000000, v10
	v_mul_f32_e32 v10, 0x7800000, v10
	s_delay_alu instid0(VALU_DEP_1) | instskip(NEXT) | instid1(VALU_DEP_1)
	v_cndmask_b32_e32 v7, v10, v11, vcc_lo
	v_and_or_b32 v5, 0x80000000, v5, v7
	s_delay_alu instid0(VALU_DEP_1) | instskip(NEXT) | instid1(VALU_DEP_1)
	v_trunc_f32_e32 v5, v5
	v_mul_f32_e64 v7, 0x2f800000, |v5|
	v_ashrrev_i32_e32 v10, 31, v5
	s_delay_alu instid0(VALU_DEP_2) | instskip(NEXT) | instid1(VALU_DEP_1)
	v_floor_f32_e32 v7, v7
	v_fma_f32 v11, 0xcf800000, v7, |v5|
	v_cvt_u32_f32_e32 v5, v7
	s_delay_alu instid0(VALU_DEP_2) | instskip(NEXT) | instid1(VALU_DEP_2)
	v_cvt_u32_f32_e32 v7, v11
	v_dual_mov_b32 v11, v10 :: v_dual_bitop2_b32 v13, v5, v10 bitop3:0x14
	s_delay_alu instid0(VALU_DEP_2) | instskip(NEXT) | instid1(VALU_DEP_1)
	v_xor_b32_e32 v12, v7, v10
	v_sub_nc_u64_e32 v[10:11], v[12:13], v[10:11]
.LBB70_2160:
	s_mov_b32 s17, 0
	s_mov_b32 s18, -1
.LBB70_2161:
	s_and_not1_b32 vcc_lo, exec_lo, s17
	s_mov_b32 s17, 0
	s_cbranch_vccnz .LBB70_2172
; %bb.2162:
	s_cmp_gt_i32 s0, 14
	s_cbranch_scc0 .LBB70_2165
; %bb.2163:
	s_cmp_eq_u32 s0, 15
	s_cbranch_scc0 .LBB70_2168
; %bb.2164:
	global_load_u16 v5, v[8:9], off
	s_mov_b32 s16, 0
	s_mov_b32 s18, -1
	s_wait_loadcnt 0x0
	v_lshlrev_b32_e32 v5, 16, v5
	s_delay_alu instid0(VALU_DEP_1) | instskip(NEXT) | instid1(VALU_DEP_1)
	v_trunc_f32_e32 v5, v5
	v_mul_f32_e64 v7, 0x2f800000, |v5|
	v_ashrrev_i32_e32 v10, 31, v5
	s_delay_alu instid0(VALU_DEP_2) | instskip(NEXT) | instid1(VALU_DEP_1)
	v_floor_f32_e32 v7, v7
	v_fma_f32 v11, 0xcf800000, v7, |v5|
	v_cvt_u32_f32_e32 v5, v7
	s_delay_alu instid0(VALU_DEP_2) | instskip(NEXT) | instid1(VALU_DEP_2)
	v_cvt_u32_f32_e32 v7, v11
	v_dual_mov_b32 v11, v10 :: v_dual_bitop2_b32 v13, v5, v10 bitop3:0x14
	s_delay_alu instid0(VALU_DEP_2) | instskip(NEXT) | instid1(VALU_DEP_1)
	v_xor_b32_e32 v12, v7, v10
	v_sub_nc_u64_e32 v[10:11], v[12:13], v[10:11]
	s_branch .LBB70_2170
.LBB70_2165:
	s_mov_b32 s17, -1
	s_branch .LBB70_2169
.LBB70_2166:
	s_and_not1_saveexec_b32 s17, s17
	s_cbranch_execz .LBB70_2147
.LBB70_2167:
	v_cmp_ne_u16_e32 vcc_lo, 0, v5
	s_and_not1_b32 s18, s18, exec_lo
	s_and_b32 s19, vcc_lo, exec_lo
	s_delay_alu instid0(SALU_CYCLE_1)
	s_or_b32 s18, s18, s19
	s_or_b32 exec_lo, exec_lo, s17
	v_mov_b64_e32 v[10:11], 0
	s_and_saveexec_b32 s17, s18
	s_cbranch_execnz .LBB70_2148
	s_branch .LBB70_2149
.LBB70_2168:
	s_mov_b32 s16, -1
.LBB70_2169:
                                        ; implicit-def: $vgpr10_vgpr11
.LBB70_2170:
	s_and_b32 vcc_lo, exec_lo, s17
	s_mov_b32 s17, 0
	s_cbranch_vccz .LBB70_2172
; %bb.2171:
	s_cmp_lg_u32 s0, 11
	s_mov_b32 s17, -1
	s_cselect_b32 s16, -1, 0
.LBB70_2172:
	s_delay_alu instid0(SALU_CYCLE_1)
	s_and_b32 vcc_lo, exec_lo, s16
	s_cbranch_vccnz .LBB70_2237
; %bb.2173:
	s_and_not1_b32 vcc_lo, exec_lo, s17
	s_cbranch_vccnz .LBB70_2175
.LBB70_2174:
	global_load_u8 v5, v[8:9], off
	s_mov_b32 s0, 0
	s_mov_b32 s18, -1
	s_wait_loadcnt 0x1
	v_mov_b32_e32 v11, s0
	s_wait_loadcnt 0x0
	v_cmp_ne_u16_e32 vcc_lo, 0, v5
	v_cndmask_b32_e64 v10, 0, 1, vcc_lo
.LBB70_2175:
	s_mov_b32 s0, 0
.LBB70_2176:
	s_delay_alu instid0(SALU_CYCLE_1)
	s_and_b32 vcc_lo, exec_lo, s0
	s_cbranch_vccz .LBB70_2225
; %bb.2177:
	s_and_b32 s0, 0xffff, s13
	s_delay_alu instid0(SALU_CYCLE_1)
	s_cmp_lt_i32 s0, 5
	s_cbranch_scc1 .LBB70_2182
; %bb.2178:
	s_cmp_lt_i32 s0, 8
	s_cbranch_scc1 .LBB70_2183
; %bb.2179:
	;; [unrolled: 3-line block ×3, first 2 shown]
	s_cmp_gt_i32 s0, 9
	s_cbranch_scc0 .LBB70_2185
; %bb.2181:
	s_wait_loadcnt 0x0
	global_load_b64 v[10:11], v[8:9], off
	s_mov_b32 s16, 0
	s_wait_loadcnt 0x0
	v_trunc_f64_e32 v[10:11], v[10:11]
	s_delay_alu instid0(VALU_DEP_1) | instskip(NEXT) | instid1(VALU_DEP_1)
	v_ldexp_f64 v[12:13], v[10:11], 0xffffffe0
	v_floor_f64_e32 v[12:13], v[12:13]
	s_delay_alu instid0(VALU_DEP_1) | instskip(SKIP_1) | instid1(VALU_DEP_2)
	v_fmamk_f64 v[14:15], v[12:13], 0xc1f00000, v[10:11]
	v_cvt_i32_f64_e32 v11, v[12:13]
	v_cvt_u32_f64_e32 v10, v[14:15]
	s_branch .LBB70_2186
.LBB70_2182:
	s_mov_b32 s16, -1
                                        ; implicit-def: $vgpr10_vgpr11
	s_branch .LBB70_2204
.LBB70_2183:
	s_mov_b32 s16, -1
                                        ; implicit-def: $vgpr10_vgpr11
	s_branch .LBB70_2192
.LBB70_2184:
	s_mov_b32 s16, -1
                                        ; implicit-def: $vgpr10_vgpr11
	s_branch .LBB70_2189
.LBB70_2185:
	s_mov_b32 s16, -1
                                        ; implicit-def: $vgpr10_vgpr11
.LBB70_2186:
	s_delay_alu instid0(SALU_CYCLE_1)
	s_and_not1_b32 vcc_lo, exec_lo, s16
	s_cbranch_vccnz .LBB70_2188
; %bb.2187:
	global_load_b32 v5, v[8:9], off
	s_wait_loadcnt 0x0
	v_trunc_f32_e32 v5, v5
	s_delay_alu instid0(VALU_DEP_1) | instskip(SKIP_1) | instid1(VALU_DEP_2)
	v_mul_f32_e64 v7, 0x2f800000, |v5|
	v_ashrrev_i32_e32 v10, 31, v5
	v_floor_f32_e32 v7, v7
	s_delay_alu instid0(VALU_DEP_1) | instskip(SKIP_1) | instid1(VALU_DEP_2)
	v_fma_f32 v11, 0xcf800000, v7, |v5|
	v_cvt_u32_f32_e32 v5, v7
	v_cvt_u32_f32_e32 v7, v11
	s_delay_alu instid0(VALU_DEP_2) | instskip(NEXT) | instid1(VALU_DEP_2)
	v_dual_mov_b32 v11, v10 :: v_dual_bitop2_b32 v13, v5, v10 bitop3:0x14
	v_xor_b32_e32 v12, v7, v10
	s_delay_alu instid0(VALU_DEP_1)
	v_sub_nc_u64_e32 v[10:11], v[12:13], v[10:11]
.LBB70_2188:
	s_mov_b32 s16, 0
.LBB70_2189:
	s_delay_alu instid0(SALU_CYCLE_1)
	s_and_not1_b32 vcc_lo, exec_lo, s16
	s_cbranch_vccnz .LBB70_2191
; %bb.2190:
	global_load_b32 v5, v[8:9], off
	s_wait_loadcnt 0x0
	v_cvt_f32_f16_e32 v5, v5
	s_delay_alu instid0(VALU_DEP_1) | instskip(NEXT) | instid1(VALU_DEP_1)
	v_cvt_i32_f32_e32 v10, v5
	v_ashrrev_i32_e32 v11, 31, v10
.LBB70_2191:
	s_mov_b32 s16, 0
.LBB70_2192:
	s_delay_alu instid0(SALU_CYCLE_1)
	s_and_not1_b32 vcc_lo, exec_lo, s16
	s_cbranch_vccnz .LBB70_2203
; %bb.2193:
	s_cmp_lt_i32 s0, 6
	s_cbranch_scc1 .LBB70_2196
; %bb.2194:
	s_cmp_gt_i32 s0, 6
	s_cbranch_scc0 .LBB70_2197
; %bb.2195:
	s_wait_loadcnt 0x0
	global_load_b64 v[10:11], v[8:9], off
	s_mov_b32 s16, 0
	s_wait_loadcnt 0x0
	v_trunc_f64_e32 v[10:11], v[10:11]
	s_delay_alu instid0(VALU_DEP_1) | instskip(NEXT) | instid1(VALU_DEP_1)
	v_ldexp_f64 v[12:13], v[10:11], 0xffffffe0
	v_floor_f64_e32 v[12:13], v[12:13]
	s_delay_alu instid0(VALU_DEP_1) | instskip(SKIP_1) | instid1(VALU_DEP_2)
	v_fmamk_f64 v[14:15], v[12:13], 0xc1f00000, v[10:11]
	v_cvt_i32_f64_e32 v11, v[12:13]
	v_cvt_u32_f64_e32 v10, v[14:15]
	s_branch .LBB70_2198
.LBB70_2196:
	s_mov_b32 s16, -1
                                        ; implicit-def: $vgpr10_vgpr11
	s_branch .LBB70_2201
.LBB70_2197:
	s_mov_b32 s16, -1
                                        ; implicit-def: $vgpr10_vgpr11
.LBB70_2198:
	s_delay_alu instid0(SALU_CYCLE_1)
	s_and_not1_b32 vcc_lo, exec_lo, s16
	s_cbranch_vccnz .LBB70_2200
; %bb.2199:
	global_load_b32 v5, v[8:9], off
	s_wait_loadcnt 0x0
	v_trunc_f32_e32 v5, v5
	s_delay_alu instid0(VALU_DEP_1) | instskip(SKIP_1) | instid1(VALU_DEP_2)
	v_mul_f32_e64 v7, 0x2f800000, |v5|
	v_ashrrev_i32_e32 v10, 31, v5
	v_floor_f32_e32 v7, v7
	s_delay_alu instid0(VALU_DEP_1) | instskip(SKIP_1) | instid1(VALU_DEP_2)
	v_fma_f32 v11, 0xcf800000, v7, |v5|
	v_cvt_u32_f32_e32 v5, v7
	v_cvt_u32_f32_e32 v7, v11
	s_delay_alu instid0(VALU_DEP_2) | instskip(NEXT) | instid1(VALU_DEP_2)
	v_dual_mov_b32 v11, v10 :: v_dual_bitop2_b32 v13, v5, v10 bitop3:0x14
	v_xor_b32_e32 v12, v7, v10
	s_delay_alu instid0(VALU_DEP_1)
	v_sub_nc_u64_e32 v[10:11], v[12:13], v[10:11]
.LBB70_2200:
	s_mov_b32 s16, 0
.LBB70_2201:
	s_delay_alu instid0(SALU_CYCLE_1)
	s_and_not1_b32 vcc_lo, exec_lo, s16
	s_cbranch_vccnz .LBB70_2203
; %bb.2202:
	global_load_u16 v5, v[8:9], off
	s_wait_loadcnt 0x0
	v_cvt_f32_f16_e32 v5, v5
	s_delay_alu instid0(VALU_DEP_1) | instskip(NEXT) | instid1(VALU_DEP_1)
	v_cvt_i32_f32_e32 v10, v5
	v_ashrrev_i32_e32 v11, 31, v10
.LBB70_2203:
	s_mov_b32 s16, 0
.LBB70_2204:
	s_delay_alu instid0(SALU_CYCLE_1)
	s_and_not1_b32 vcc_lo, exec_lo, s16
	s_cbranch_vccnz .LBB70_2224
; %bb.2205:
	s_cmp_lt_i32 s0, 2
	s_cbranch_scc1 .LBB70_2209
; %bb.2206:
	s_cmp_lt_i32 s0, 3
	s_cbranch_scc1 .LBB70_2210
; %bb.2207:
	s_cmp_gt_i32 s0, 3
	s_cbranch_scc0 .LBB70_2211
; %bb.2208:
	s_wait_loadcnt 0x0
	global_load_b64 v[10:11], v[8:9], off
	s_mov_b32 s16, 0
	s_branch .LBB70_2212
.LBB70_2209:
	s_mov_b32 s16, -1
                                        ; implicit-def: $vgpr10_vgpr11
	s_branch .LBB70_2218
.LBB70_2210:
	s_mov_b32 s16, -1
                                        ; implicit-def: $vgpr10_vgpr11
	s_branch .LBB70_2215
.LBB70_2211:
	s_mov_b32 s16, -1
                                        ; implicit-def: $vgpr10_vgpr11
.LBB70_2212:
	s_delay_alu instid0(SALU_CYCLE_1)
	s_and_not1_b32 vcc_lo, exec_lo, s16
	s_cbranch_vccnz .LBB70_2214
; %bb.2213:
	s_wait_loadcnt 0x0
	global_load_b32 v10, v[8:9], off
	s_wait_loadcnt 0x0
	v_ashrrev_i32_e32 v11, 31, v10
.LBB70_2214:
	s_mov_b32 s16, 0
.LBB70_2215:
	s_delay_alu instid0(SALU_CYCLE_1)
	s_and_not1_b32 vcc_lo, exec_lo, s16
	s_cbranch_vccnz .LBB70_2217
; %bb.2216:
	global_load_u16 v5, v[8:9], off
	s_wait_loadcnt 0x0
	v_bfe_i32 v10, v5, 0, 16
	s_delay_alu instid0(VALU_DEP_1)
	v_ashrrev_i32_e32 v11, 31, v10
.LBB70_2217:
	s_mov_b32 s16, 0
.LBB70_2218:
	s_delay_alu instid0(SALU_CYCLE_1)
	s_and_not1_b32 vcc_lo, exec_lo, s16
	s_cbranch_vccnz .LBB70_2224
; %bb.2219:
	s_cmp_gt_i32 s0, 0
	s_mov_b32 s0, 0
	s_cbranch_scc0 .LBB70_2221
; %bb.2220:
	global_load_i8 v5, v[8:9], off
	s_wait_loadcnt 0x0
	v_bfe_i32 v10, v5, 0, 16
	s_delay_alu instid0(VALU_DEP_1)
	v_ashrrev_i32_e32 v11, 31, v10
	s_branch .LBB70_2222
.LBB70_2221:
	s_mov_b32 s0, -1
                                        ; implicit-def: $vgpr10_vgpr11
.LBB70_2222:
	s_delay_alu instid0(SALU_CYCLE_1)
	s_and_not1_b32 vcc_lo, exec_lo, s0
	s_cbranch_vccnz .LBB70_2224
; %bb.2223:
	global_load_u8 v5, v[8:9], off
	s_mov_b32 s0, 0
	s_wait_loadcnt 0x1
	v_mov_b32_e32 v11, s0
	s_wait_loadcnt 0x0
	v_and_b32_e32 v10, 0xffff, v5
.LBB70_2224:
	s_mov_b32 s18, -1
.LBB70_2225:
	s_delay_alu instid0(SALU_CYCLE_1)
	s_and_not1_b32 vcc_lo, exec_lo, s18
	s_cbranch_vccnz .LBB70_2625
; %bb.2226:
	s_wait_xcnt 0x0
	v_add_nc_u32_e32 v8, s10, v4
	s_cmp_lt_i32 s1, 11
	s_delay_alu instid0(VALU_DEP_1) | instskip(NEXT) | instid1(VALU_DEP_1)
	v_ashrrev_i32_e32 v9, 31, v8
	v_add_nc_u64_e32 v[4:5], s[2:3], v[8:9]
	s_cbranch_scc1 .LBB70_2233
; %bb.2227:
	s_and_b32 s0, 0xffff, s1
	s_mov_b32 s17, 0
	s_cmp_gt_i32 s0, 25
	s_cbranch_scc0 .LBB70_2234
; %bb.2228:
	s_cmp_gt_i32 s0, 28
	s_cbranch_scc0 .LBB70_2235
; %bb.2229:
	;; [unrolled: 3-line block ×4, first 2 shown]
	s_cmp_eq_u32 s0, 46
	s_mov_b32 s19, 0
	s_cbranch_scc0 .LBB70_2241
; %bb.2232:
	global_load_b32 v7, v[4:5], off
	s_mov_b32 s16, 0
	s_mov_b32 s18, -1
	s_wait_loadcnt 0x0
	v_lshlrev_b32_e32 v7, 16, v7
	s_delay_alu instid0(VALU_DEP_1) | instskip(NEXT) | instid1(VALU_DEP_1)
	v_trunc_f32_e32 v7, v7
	v_mul_f32_e64 v9, 0x2f800000, |v7|
	v_ashrrev_i32_e32 v12, 31, v7
	s_delay_alu instid0(VALU_DEP_2) | instskip(NEXT) | instid1(VALU_DEP_1)
	v_floor_f32_e32 v9, v9
	v_fma_f32 v13, 0xcf800000, v9, |v7|
	v_cvt_u32_f32_e32 v7, v9
	s_delay_alu instid0(VALU_DEP_2) | instskip(NEXT) | instid1(VALU_DEP_2)
	v_cvt_u32_f32_e32 v9, v13
	v_dual_mov_b32 v13, v12 :: v_dual_bitop2_b32 v15, v7, v12 bitop3:0x14
	s_delay_alu instid0(VALU_DEP_2) | instskip(NEXT) | instid1(VALU_DEP_1)
	v_xor_b32_e32 v14, v9, v12
	v_sub_nc_u64_e32 v[12:13], v[14:15], v[12:13]
	s_branch .LBB70_2243
.LBB70_2233:
	s_mov_b32 s0, -1
	s_mov_b32 s18, 0
                                        ; implicit-def: $vgpr12_vgpr13
	s_branch .LBB70_2305
.LBB70_2234:
	s_mov_b32 s19, -1
	s_mov_b32 s18, 0
	s_mov_b32 s16, 0
                                        ; implicit-def: $vgpr12_vgpr13
	s_branch .LBB70_2270
.LBB70_2235:
	s_mov_b32 s19, -1
	s_mov_b32 s18, 0
	s_mov_b32 s16, 0
                                        ; implicit-def: $vgpr12_vgpr13
	s_branch .LBB70_2253
.LBB70_2236:
	s_mov_b32 s19, -1
	s_mov_b32 s18, 0
	s_mov_b32 s16, 0
                                        ; implicit-def: $vgpr12_vgpr13
	s_branch .LBB70_2248
.LBB70_2237:
	s_or_b32 s12, s12, exec_lo
	s_trap 2
	s_cbranch_execz .LBB70_2174
	s_branch .LBB70_2175
.LBB70_2238:
	s_mov_b32 s19, -1
	s_mov_b32 s18, 0
	s_mov_b32 s16, 0
	s_branch .LBB70_2242
.LBB70_2239:
	s_and_not1_saveexec_b32 s31, s31
	s_cbranch_execz .LBB70_1105
.LBB70_2240:
	v_add_f32_e32 v2, 0x42800000, v3
	s_and_not1_b32 s30, s30, exec_lo
	s_delay_alu instid0(VALU_DEP_1) | instskip(NEXT) | instid1(VALU_DEP_1)
	v_and_b32_e32 v2, 0xff, v2
	v_cmp_ne_u32_e32 vcc_lo, 0, v2
	s_and_b32 s33, vcc_lo, exec_lo
	s_delay_alu instid0(SALU_CYCLE_1)
	s_or_b32 s30, s30, s33
	s_or_b32 exec_lo, exec_lo, s31
	v_mov_b32_e32 v6, 0
	s_and_saveexec_b32 s31, s30
	s_cbranch_execnz .LBB70_1106
	s_branch .LBB70_1107
.LBB70_2241:
	s_mov_b32 s16, -1
	s_mov_b32 s18, 0
.LBB70_2242:
                                        ; implicit-def: $vgpr12_vgpr13
.LBB70_2243:
	s_and_b32 vcc_lo, exec_lo, s19
	s_cbranch_vccz .LBB70_2247
; %bb.2244:
	s_cmp_eq_u32 s0, 44
	s_cbranch_scc0 .LBB70_2246
; %bb.2245:
	global_load_u8 v7, v[4:5], off
	s_mov_b32 s16, 0
	s_mov_b32 s18, -1
	s_wait_loadcnt 0x0
	v_lshlrev_b32_e32 v9, 23, v7
	v_cmp_ne_u32_e32 vcc_lo, 0, v7
	s_delay_alu instid0(VALU_DEP_2) | instskip(NEXT) | instid1(VALU_DEP_1)
	v_trunc_f32_e32 v9, v9
	v_mul_f32_e64 v12, 0x2f800000, |v9|
	s_delay_alu instid0(VALU_DEP_1) | instskip(SKIP_1) | instid1(VALU_DEP_2)
	v_floor_f32_e32 v13, v12
	v_ashrrev_i32_e32 v12, 31, v9
	v_fma_f32 v14, 0xcf800000, v13, |v9|
	v_cvt_u32_f32_e32 v9, v13
	s_delay_alu instid0(VALU_DEP_3) | instskip(NEXT) | instid1(VALU_DEP_3)
	v_mov_b32_e32 v13, v12
	v_cvt_u32_f32_e32 v14, v14
	s_delay_alu instid0(VALU_DEP_3) | instskip(NEXT) | instid1(VALU_DEP_2)
	v_xor_b32_e32 v15, v9, v12
	v_xor_b32_e32 v14, v14, v12
	s_delay_alu instid0(VALU_DEP_1) | instskip(NEXT) | instid1(VALU_DEP_1)
	v_sub_nc_u64_e32 v[12:13], v[14:15], v[12:13]
	v_dual_cndmask_b32 v13, 0, v13 :: v_dual_cndmask_b32 v12, 0, v12
	s_branch .LBB70_2247
.LBB70_2246:
	s_mov_b32 s16, -1
                                        ; implicit-def: $vgpr12_vgpr13
.LBB70_2247:
	s_mov_b32 s19, 0
.LBB70_2248:
	s_delay_alu instid0(SALU_CYCLE_1)
	s_and_b32 vcc_lo, exec_lo, s19
	s_cbranch_vccz .LBB70_2252
; %bb.2249:
	s_cmp_eq_u32 s0, 29
	s_cbranch_scc0 .LBB70_2251
; %bb.2250:
	global_load_b64 v[12:13], v[4:5], off
	s_mov_b32 s16, 0
	s_mov_b32 s18, -1
	s_branch .LBB70_2252
.LBB70_2251:
	s_mov_b32 s16, -1
                                        ; implicit-def: $vgpr12_vgpr13
.LBB70_2252:
	s_mov_b32 s19, 0
.LBB70_2253:
	s_delay_alu instid0(SALU_CYCLE_1)
	s_and_b32 vcc_lo, exec_lo, s19
	s_cbranch_vccz .LBB70_2269
; %bb.2254:
	s_cmp_lt_i32 s0, 27
	s_cbranch_scc1 .LBB70_2257
; %bb.2255:
	s_cmp_gt_i32 s0, 27
	s_cbranch_scc0 .LBB70_2258
; %bb.2256:
	s_wait_loadcnt 0x0
	global_load_b32 v12, v[4:5], off
	v_mov_b32_e32 v13, 0
	s_mov_b32 s18, 0
	s_branch .LBB70_2259
.LBB70_2257:
	s_mov_b32 s18, -1
                                        ; implicit-def: $vgpr12_vgpr13
	s_branch .LBB70_2262
.LBB70_2258:
	s_mov_b32 s18, -1
                                        ; implicit-def: $vgpr12_vgpr13
.LBB70_2259:
	s_delay_alu instid0(SALU_CYCLE_1)
	s_and_not1_b32 vcc_lo, exec_lo, s18
	s_cbranch_vccnz .LBB70_2261
; %bb.2260:
	global_load_u16 v7, v[4:5], off
	s_mov_b32 s18, 0
	s_wait_loadcnt 0x1
	v_mov_b32_e32 v13, s18
	s_wait_loadcnt 0x0
	v_and_b32_e32 v12, 0xffff, v7
.LBB70_2261:
	s_mov_b32 s18, 0
.LBB70_2262:
	s_delay_alu instid0(SALU_CYCLE_1)
	s_and_not1_b32 vcc_lo, exec_lo, s18
	s_cbranch_vccnz .LBB70_2268
; %bb.2263:
	global_load_u8 v7, v[4:5], off
	s_mov_b32 s19, 0
	s_mov_b32 s18, exec_lo
	s_wait_loadcnt 0x0
	v_cmpx_lt_i16_e32 0x7f, v7
	s_xor_b32 s18, exec_lo, s18
	s_cbranch_execz .LBB70_2280
; %bb.2264:
	v_cmp_ne_u16_e32 vcc_lo, 0x80, v7
	s_and_b32 s19, vcc_lo, exec_lo
	s_and_not1_saveexec_b32 s18, s18
	s_cbranch_execnz .LBB70_2281
.LBB70_2265:
	s_or_b32 exec_lo, exec_lo, s18
	v_mov_b64_e32 v[12:13], 0
	s_and_saveexec_b32 s18, s19
	s_cbranch_execz .LBB70_2267
.LBB70_2266:
	v_and_b32_e32 v9, 0xffff, v7
	s_delay_alu instid0(VALU_DEP_1) | instskip(SKIP_1) | instid1(VALU_DEP_2)
	v_dual_lshlrev_b32 v7, 24, v7 :: v_dual_bitop2_b32 v12, 7, v9 bitop3:0x40
	v_bfe_u32 v15, v9, 3, 4
	v_and_b32_e32 v7, 0x80000000, v7
	s_delay_alu instid0(VALU_DEP_3) | instskip(NEXT) | instid1(VALU_DEP_3)
	v_clz_i32_u32_e32 v13, v12
	v_cmp_eq_u32_e32 vcc_lo, 0, v15
	s_delay_alu instid0(VALU_DEP_2) | instskip(NEXT) | instid1(VALU_DEP_1)
	v_min_u32_e32 v13, 32, v13
	v_subrev_nc_u32_e32 v14, 28, v13
	v_sub_nc_u32_e32 v13, 29, v13
	s_delay_alu instid0(VALU_DEP_2) | instskip(NEXT) | instid1(VALU_DEP_2)
	v_lshlrev_b32_e32 v9, v14, v9
	v_cndmask_b32_e32 v13, v15, v13, vcc_lo
	s_delay_alu instid0(VALU_DEP_2) | instskip(NEXT) | instid1(VALU_DEP_1)
	v_and_b32_e32 v9, 7, v9
	v_cndmask_b32_e32 v9, v12, v9, vcc_lo
	s_delay_alu instid0(VALU_DEP_3) | instskip(NEXT) | instid1(VALU_DEP_2)
	v_lshl_add_u32 v12, v13, 23, 0x3b800000
	v_lshlrev_b32_e32 v9, 20, v9
	s_delay_alu instid0(VALU_DEP_1) | instskip(NEXT) | instid1(VALU_DEP_1)
	v_or3_b32 v7, v7, v12, v9
	v_trunc_f32_e32 v7, v7
	s_delay_alu instid0(VALU_DEP_1) | instskip(SKIP_1) | instid1(VALU_DEP_2)
	v_mul_f32_e64 v9, 0x2f800000, |v7|
	v_ashrrev_i32_e32 v12, 31, v7
	v_floor_f32_e32 v9, v9
	s_delay_alu instid0(VALU_DEP_1) | instskip(SKIP_1) | instid1(VALU_DEP_2)
	v_fma_f32 v13, 0xcf800000, v9, |v7|
	v_cvt_u32_f32_e32 v7, v9
	v_cvt_u32_f32_e32 v9, v13
	s_delay_alu instid0(VALU_DEP_2) | instskip(NEXT) | instid1(VALU_DEP_2)
	v_dual_mov_b32 v13, v12 :: v_dual_bitop2_b32 v15, v7, v12 bitop3:0x14
	v_xor_b32_e32 v14, v9, v12
	s_delay_alu instid0(VALU_DEP_1)
	v_sub_nc_u64_e32 v[12:13], v[14:15], v[12:13]
.LBB70_2267:
	s_or_b32 exec_lo, exec_lo, s18
.LBB70_2268:
	s_mov_b32 s18, -1
.LBB70_2269:
	s_mov_b32 s19, 0
.LBB70_2270:
	s_delay_alu instid0(SALU_CYCLE_1)
	s_and_b32 vcc_lo, exec_lo, s19
	s_cbranch_vccz .LBB70_2301
; %bb.2271:
	s_cmp_gt_i32 s0, 22
	s_cbranch_scc0 .LBB70_2279
; %bb.2272:
	s_cmp_lt_i32 s0, 24
	s_cbranch_scc1 .LBB70_2282
; %bb.2273:
	s_cmp_gt_i32 s0, 24
	s_cbranch_scc0 .LBB70_2283
; %bb.2274:
	global_load_u8 v7, v[4:5], off
	s_mov_b32 s18, 0
	s_mov_b32 s17, exec_lo
	s_wait_loadcnt 0x0
	v_cmpx_lt_i16_e32 0x7f, v7
	s_xor_b32 s17, exec_lo, s17
	s_cbranch_execz .LBB70_2295
; %bb.2275:
	v_cmp_ne_u16_e32 vcc_lo, 0x80, v7
	s_and_b32 s18, vcc_lo, exec_lo
	s_and_not1_saveexec_b32 s17, s17
	s_cbranch_execnz .LBB70_2296
.LBB70_2276:
	s_or_b32 exec_lo, exec_lo, s17
	v_mov_b64_e32 v[12:13], 0
	s_and_saveexec_b32 s17, s18
	s_cbranch_execz .LBB70_2278
.LBB70_2277:
	v_and_b32_e32 v9, 0xffff, v7
	s_delay_alu instid0(VALU_DEP_1) | instskip(SKIP_1) | instid1(VALU_DEP_2)
	v_dual_lshlrev_b32 v7, 24, v7 :: v_dual_bitop2_b32 v12, 3, v9 bitop3:0x40
	v_bfe_u32 v15, v9, 2, 5
	v_and_b32_e32 v7, 0x80000000, v7
	s_delay_alu instid0(VALU_DEP_3) | instskip(NEXT) | instid1(VALU_DEP_3)
	v_clz_i32_u32_e32 v13, v12
	v_cmp_eq_u32_e32 vcc_lo, 0, v15
	s_delay_alu instid0(VALU_DEP_2) | instskip(NEXT) | instid1(VALU_DEP_1)
	v_min_u32_e32 v13, 32, v13
	v_subrev_nc_u32_e32 v14, 29, v13
	v_sub_nc_u32_e32 v13, 30, v13
	s_delay_alu instid0(VALU_DEP_2) | instskip(NEXT) | instid1(VALU_DEP_2)
	v_lshlrev_b32_e32 v9, v14, v9
	v_cndmask_b32_e32 v13, v15, v13, vcc_lo
	s_delay_alu instid0(VALU_DEP_2) | instskip(NEXT) | instid1(VALU_DEP_1)
	v_and_b32_e32 v9, 3, v9
	v_cndmask_b32_e32 v9, v12, v9, vcc_lo
	s_delay_alu instid0(VALU_DEP_3) | instskip(NEXT) | instid1(VALU_DEP_2)
	v_lshl_add_u32 v12, v13, 23, 0x37800000
	v_lshlrev_b32_e32 v9, 21, v9
	s_delay_alu instid0(VALU_DEP_1) | instskip(NEXT) | instid1(VALU_DEP_1)
	v_or3_b32 v7, v7, v12, v9
	v_trunc_f32_e32 v7, v7
	s_delay_alu instid0(VALU_DEP_1) | instskip(SKIP_1) | instid1(VALU_DEP_2)
	v_mul_f32_e64 v9, 0x2f800000, |v7|
	v_ashrrev_i32_e32 v12, 31, v7
	v_floor_f32_e32 v9, v9
	s_delay_alu instid0(VALU_DEP_1) | instskip(SKIP_1) | instid1(VALU_DEP_2)
	v_fma_f32 v13, 0xcf800000, v9, |v7|
	v_cvt_u32_f32_e32 v7, v9
	v_cvt_u32_f32_e32 v9, v13
	s_delay_alu instid0(VALU_DEP_2) | instskip(NEXT) | instid1(VALU_DEP_2)
	v_dual_mov_b32 v13, v12 :: v_dual_bitop2_b32 v15, v7, v12 bitop3:0x14
	v_xor_b32_e32 v14, v9, v12
	s_delay_alu instid0(VALU_DEP_1)
	v_sub_nc_u64_e32 v[12:13], v[14:15], v[12:13]
.LBB70_2278:
	s_or_b32 exec_lo, exec_lo, s17
	s_mov_b32 s17, 0
	s_branch .LBB70_2284
.LBB70_2279:
	s_mov_b32 s17, -1
                                        ; implicit-def: $vgpr12_vgpr13
	s_branch .LBB70_2290
.LBB70_2280:
	s_and_not1_saveexec_b32 s18, s18
	s_cbranch_execz .LBB70_2265
.LBB70_2281:
	v_cmp_ne_u16_e32 vcc_lo, 0, v7
	s_and_not1_b32 s19, s19, exec_lo
	s_and_b32 s20, vcc_lo, exec_lo
	s_delay_alu instid0(SALU_CYCLE_1)
	s_or_b32 s19, s19, s20
	s_or_b32 exec_lo, exec_lo, s18
	v_mov_b64_e32 v[12:13], 0
	s_and_saveexec_b32 s18, s19
	s_cbranch_execnz .LBB70_2266
	s_branch .LBB70_2267
.LBB70_2282:
	s_mov_b32 s17, -1
                                        ; implicit-def: $vgpr12_vgpr13
	s_branch .LBB70_2287
.LBB70_2283:
	s_mov_b32 s17, -1
                                        ; implicit-def: $vgpr12_vgpr13
.LBB70_2284:
	s_delay_alu instid0(SALU_CYCLE_1)
	s_and_b32 vcc_lo, exec_lo, s17
	s_cbranch_vccz .LBB70_2286
; %bb.2285:
	global_load_u8 v7, v[4:5], off
	s_wait_loadcnt 0x0
	v_lshlrev_b32_e32 v7, 24, v7
	s_delay_alu instid0(VALU_DEP_1) | instskip(NEXT) | instid1(VALU_DEP_1)
	v_and_b32_e32 v9, 0x7f000000, v7
	v_clz_i32_u32_e32 v12, v9
	v_cmp_ne_u32_e32 vcc_lo, 0, v9
	v_add_nc_u32_e32 v14, 0x1000000, v9
	s_delay_alu instid0(VALU_DEP_3) | instskip(NEXT) | instid1(VALU_DEP_1)
	v_min_u32_e32 v12, 32, v12
	v_sub_nc_u32_e64 v12, v12, 4 clamp
	s_delay_alu instid0(VALU_DEP_1) | instskip(NEXT) | instid1(VALU_DEP_1)
	v_dual_lshlrev_b32 v13, v12, v9 :: v_dual_lshlrev_b32 v12, 23, v12
	v_lshrrev_b32_e32 v13, 4, v13
	s_delay_alu instid0(VALU_DEP_1) | instskip(NEXT) | instid1(VALU_DEP_1)
	v_dual_sub_nc_u32 v12, v13, v12 :: v_dual_ashrrev_i32 v13, 8, v14
	v_add_nc_u32_e32 v12, 0x3c000000, v12
	s_delay_alu instid0(VALU_DEP_1) | instskip(NEXT) | instid1(VALU_DEP_1)
	v_and_or_b32 v12, 0x7f800000, v13, v12
	v_cndmask_b32_e32 v9, 0, v12, vcc_lo
	s_delay_alu instid0(VALU_DEP_1) | instskip(NEXT) | instid1(VALU_DEP_1)
	v_and_or_b32 v7, 0x80000000, v7, v9
	v_trunc_f32_e32 v7, v7
	s_delay_alu instid0(VALU_DEP_1) | instskip(SKIP_1) | instid1(VALU_DEP_2)
	v_mul_f32_e64 v9, 0x2f800000, |v7|
	v_ashrrev_i32_e32 v12, 31, v7
	v_floor_f32_e32 v9, v9
	s_delay_alu instid0(VALU_DEP_1) | instskip(SKIP_1) | instid1(VALU_DEP_2)
	v_fma_f32 v13, 0xcf800000, v9, |v7|
	v_cvt_u32_f32_e32 v7, v9
	v_cvt_u32_f32_e32 v9, v13
	s_delay_alu instid0(VALU_DEP_2) | instskip(NEXT) | instid1(VALU_DEP_2)
	v_dual_mov_b32 v13, v12 :: v_dual_bitop2_b32 v15, v7, v12 bitop3:0x14
	v_xor_b32_e32 v14, v9, v12
	s_delay_alu instid0(VALU_DEP_1)
	v_sub_nc_u64_e32 v[12:13], v[14:15], v[12:13]
.LBB70_2286:
	s_mov_b32 s17, 0
.LBB70_2287:
	s_delay_alu instid0(SALU_CYCLE_1)
	s_and_not1_b32 vcc_lo, exec_lo, s17
	s_cbranch_vccnz .LBB70_2289
; %bb.2288:
	global_load_u8 v7, v[4:5], off
	s_wait_loadcnt 0x0
	v_lshlrev_b32_e32 v9, 25, v7
	v_lshlrev_b16 v7, 8, v7
	s_delay_alu instid0(VALU_DEP_1) | instskip(SKIP_1) | instid1(VALU_DEP_2)
	v_and_or_b32 v13, 0x7f00, v7, 0.5
	v_bfe_i32 v7, v7, 0, 16
	v_add_f32_e32 v13, -0.5, v13
	v_lshrrev_b32_e32 v12, 4, v9
	v_cmp_gt_u32_e32 vcc_lo, 0x8000000, v9
	s_delay_alu instid0(VALU_DEP_2) | instskip(NEXT) | instid1(VALU_DEP_1)
	v_or_b32_e32 v12, 0x70000000, v12
	v_mul_f32_e32 v12, 0x7800000, v12
	s_delay_alu instid0(VALU_DEP_1) | instskip(NEXT) | instid1(VALU_DEP_1)
	v_cndmask_b32_e32 v9, v12, v13, vcc_lo
	v_and_or_b32 v7, 0x80000000, v7, v9
	s_delay_alu instid0(VALU_DEP_1) | instskip(NEXT) | instid1(VALU_DEP_1)
	v_trunc_f32_e32 v7, v7
	v_mul_f32_e64 v9, 0x2f800000, |v7|
	v_ashrrev_i32_e32 v12, 31, v7
	s_delay_alu instid0(VALU_DEP_2) | instskip(NEXT) | instid1(VALU_DEP_1)
	v_floor_f32_e32 v9, v9
	v_fma_f32 v13, 0xcf800000, v9, |v7|
	v_cvt_u32_f32_e32 v7, v9
	s_delay_alu instid0(VALU_DEP_2) | instskip(NEXT) | instid1(VALU_DEP_2)
	v_cvt_u32_f32_e32 v9, v13
	v_dual_mov_b32 v13, v12 :: v_dual_bitop2_b32 v15, v7, v12 bitop3:0x14
	s_delay_alu instid0(VALU_DEP_2) | instskip(NEXT) | instid1(VALU_DEP_1)
	v_xor_b32_e32 v14, v9, v12
	v_sub_nc_u64_e32 v[12:13], v[14:15], v[12:13]
.LBB70_2289:
	s_mov_b32 s17, 0
	s_mov_b32 s18, -1
.LBB70_2290:
	s_and_not1_b32 vcc_lo, exec_lo, s17
	s_mov_b32 s17, 0
	s_cbranch_vccnz .LBB70_2301
; %bb.2291:
	s_cmp_gt_i32 s0, 14
	s_cbranch_scc0 .LBB70_2294
; %bb.2292:
	s_cmp_eq_u32 s0, 15
	s_cbranch_scc0 .LBB70_2297
; %bb.2293:
	global_load_u16 v7, v[4:5], off
	s_mov_b32 s16, 0
	s_mov_b32 s18, -1
	s_wait_loadcnt 0x0
	v_lshlrev_b32_e32 v7, 16, v7
	s_delay_alu instid0(VALU_DEP_1) | instskip(NEXT) | instid1(VALU_DEP_1)
	v_trunc_f32_e32 v7, v7
	v_mul_f32_e64 v9, 0x2f800000, |v7|
	v_ashrrev_i32_e32 v12, 31, v7
	s_delay_alu instid0(VALU_DEP_2) | instskip(NEXT) | instid1(VALU_DEP_1)
	v_floor_f32_e32 v9, v9
	v_fma_f32 v13, 0xcf800000, v9, |v7|
	v_cvt_u32_f32_e32 v7, v9
	s_delay_alu instid0(VALU_DEP_2) | instskip(NEXT) | instid1(VALU_DEP_2)
	v_cvt_u32_f32_e32 v9, v13
	v_dual_mov_b32 v13, v12 :: v_dual_bitop2_b32 v15, v7, v12 bitop3:0x14
	s_delay_alu instid0(VALU_DEP_2) | instskip(NEXT) | instid1(VALU_DEP_1)
	v_xor_b32_e32 v14, v9, v12
	v_sub_nc_u64_e32 v[12:13], v[14:15], v[12:13]
	s_branch .LBB70_2299
.LBB70_2294:
	s_mov_b32 s17, -1
	s_branch .LBB70_2298
.LBB70_2295:
	s_and_not1_saveexec_b32 s17, s17
	s_cbranch_execz .LBB70_2276
.LBB70_2296:
	v_cmp_ne_u16_e32 vcc_lo, 0, v7
	s_and_not1_b32 s18, s18, exec_lo
	s_and_b32 s19, vcc_lo, exec_lo
	s_delay_alu instid0(SALU_CYCLE_1)
	s_or_b32 s18, s18, s19
	s_or_b32 exec_lo, exec_lo, s17
	v_mov_b64_e32 v[12:13], 0
	s_and_saveexec_b32 s17, s18
	s_cbranch_execnz .LBB70_2277
	s_branch .LBB70_2278
.LBB70_2297:
	s_mov_b32 s16, -1
.LBB70_2298:
                                        ; implicit-def: $vgpr12_vgpr13
.LBB70_2299:
	s_and_b32 vcc_lo, exec_lo, s17
	s_mov_b32 s17, 0
	s_cbranch_vccz .LBB70_2301
; %bb.2300:
	s_cmp_lg_u32 s0, 11
	s_mov_b32 s17, -1
	s_cselect_b32 s16, -1, 0
.LBB70_2301:
	s_delay_alu instid0(SALU_CYCLE_1)
	s_and_b32 vcc_lo, exec_lo, s16
	s_cbranch_vccnz .LBB70_2380
; %bb.2302:
	s_and_not1_b32 vcc_lo, exec_lo, s17
	s_cbranch_vccnz .LBB70_2304
.LBB70_2303:
	global_load_u8 v7, v[4:5], off
	s_mov_b32 s0, 0
	s_mov_b32 s18, -1
	s_wait_loadcnt 0x1
	v_mov_b32_e32 v13, s0
	s_wait_loadcnt 0x0
	v_cmp_ne_u16_e32 vcc_lo, 0, v7
	v_cndmask_b32_e64 v12, 0, 1, vcc_lo
.LBB70_2304:
	s_mov_b32 s0, 0
.LBB70_2305:
	s_delay_alu instid0(SALU_CYCLE_1)
	s_and_b32 vcc_lo, exec_lo, s0
	s_cbranch_vccz .LBB70_2354
; %bb.2306:
	s_and_b32 s0, 0xffff, s1
	s_delay_alu instid0(SALU_CYCLE_1)
	s_cmp_lt_i32 s0, 5
	s_cbranch_scc1 .LBB70_2311
; %bb.2307:
	s_cmp_lt_i32 s0, 8
	s_cbranch_scc1 .LBB70_2312
; %bb.2308:
	;; [unrolled: 3-line block ×3, first 2 shown]
	s_cmp_gt_i32 s0, 9
	s_cbranch_scc0 .LBB70_2314
; %bb.2310:
	s_wait_loadcnt 0x0
	global_load_b64 v[12:13], v[4:5], off
	s_mov_b32 s16, 0
	s_wait_loadcnt 0x0
	v_trunc_f64_e32 v[12:13], v[12:13]
	s_delay_alu instid0(VALU_DEP_1) | instskip(NEXT) | instid1(VALU_DEP_1)
	v_ldexp_f64 v[14:15], v[12:13], 0xffffffe0
	v_floor_f64_e32 v[14:15], v[14:15]
	s_delay_alu instid0(VALU_DEP_1) | instskip(SKIP_1) | instid1(VALU_DEP_2)
	v_fmamk_f64 v[16:17], v[14:15], 0xc1f00000, v[12:13]
	v_cvt_i32_f64_e32 v13, v[14:15]
	v_cvt_u32_f64_e32 v12, v[16:17]
	s_branch .LBB70_2315
.LBB70_2311:
	s_mov_b32 s16, -1
                                        ; implicit-def: $vgpr12_vgpr13
	s_branch .LBB70_2333
.LBB70_2312:
	s_mov_b32 s16, -1
                                        ; implicit-def: $vgpr12_vgpr13
	s_branch .LBB70_2321
.LBB70_2313:
	s_mov_b32 s16, -1
                                        ; implicit-def: $vgpr12_vgpr13
	s_branch .LBB70_2318
.LBB70_2314:
	s_mov_b32 s16, -1
                                        ; implicit-def: $vgpr12_vgpr13
.LBB70_2315:
	s_delay_alu instid0(SALU_CYCLE_1)
	s_and_not1_b32 vcc_lo, exec_lo, s16
	s_cbranch_vccnz .LBB70_2317
; %bb.2316:
	global_load_b32 v7, v[4:5], off
	s_wait_loadcnt 0x0
	v_trunc_f32_e32 v7, v7
	s_delay_alu instid0(VALU_DEP_1) | instskip(SKIP_1) | instid1(VALU_DEP_2)
	v_mul_f32_e64 v9, 0x2f800000, |v7|
	v_ashrrev_i32_e32 v12, 31, v7
	v_floor_f32_e32 v9, v9
	s_delay_alu instid0(VALU_DEP_1) | instskip(SKIP_1) | instid1(VALU_DEP_2)
	v_fma_f32 v13, 0xcf800000, v9, |v7|
	v_cvt_u32_f32_e32 v7, v9
	v_cvt_u32_f32_e32 v9, v13
	s_delay_alu instid0(VALU_DEP_2) | instskip(NEXT) | instid1(VALU_DEP_2)
	v_dual_mov_b32 v13, v12 :: v_dual_bitop2_b32 v15, v7, v12 bitop3:0x14
	v_xor_b32_e32 v14, v9, v12
	s_delay_alu instid0(VALU_DEP_1)
	v_sub_nc_u64_e32 v[12:13], v[14:15], v[12:13]
.LBB70_2317:
	s_mov_b32 s16, 0
.LBB70_2318:
	s_delay_alu instid0(SALU_CYCLE_1)
	s_and_not1_b32 vcc_lo, exec_lo, s16
	s_cbranch_vccnz .LBB70_2320
; %bb.2319:
	global_load_b32 v7, v[4:5], off
	s_wait_loadcnt 0x0
	v_cvt_f32_f16_e32 v7, v7
	s_delay_alu instid0(VALU_DEP_1) | instskip(NEXT) | instid1(VALU_DEP_1)
	v_cvt_i32_f32_e32 v12, v7
	v_ashrrev_i32_e32 v13, 31, v12
.LBB70_2320:
	s_mov_b32 s16, 0
.LBB70_2321:
	s_delay_alu instid0(SALU_CYCLE_1)
	s_and_not1_b32 vcc_lo, exec_lo, s16
	s_cbranch_vccnz .LBB70_2332
; %bb.2322:
	s_cmp_lt_i32 s0, 6
	s_cbranch_scc1 .LBB70_2325
; %bb.2323:
	s_cmp_gt_i32 s0, 6
	s_cbranch_scc0 .LBB70_2326
; %bb.2324:
	s_wait_loadcnt 0x0
	global_load_b64 v[12:13], v[4:5], off
	s_mov_b32 s16, 0
	s_wait_loadcnt 0x0
	v_trunc_f64_e32 v[12:13], v[12:13]
	s_delay_alu instid0(VALU_DEP_1) | instskip(NEXT) | instid1(VALU_DEP_1)
	v_ldexp_f64 v[14:15], v[12:13], 0xffffffe0
	v_floor_f64_e32 v[14:15], v[14:15]
	s_delay_alu instid0(VALU_DEP_1) | instskip(SKIP_1) | instid1(VALU_DEP_2)
	v_fmamk_f64 v[16:17], v[14:15], 0xc1f00000, v[12:13]
	v_cvt_i32_f64_e32 v13, v[14:15]
	v_cvt_u32_f64_e32 v12, v[16:17]
	s_branch .LBB70_2327
.LBB70_2325:
	s_mov_b32 s16, -1
                                        ; implicit-def: $vgpr12_vgpr13
	s_branch .LBB70_2330
.LBB70_2326:
	s_mov_b32 s16, -1
                                        ; implicit-def: $vgpr12_vgpr13
.LBB70_2327:
	s_delay_alu instid0(SALU_CYCLE_1)
	s_and_not1_b32 vcc_lo, exec_lo, s16
	s_cbranch_vccnz .LBB70_2329
; %bb.2328:
	global_load_b32 v7, v[4:5], off
	s_wait_loadcnt 0x0
	v_trunc_f32_e32 v7, v7
	s_delay_alu instid0(VALU_DEP_1) | instskip(SKIP_1) | instid1(VALU_DEP_2)
	v_mul_f32_e64 v9, 0x2f800000, |v7|
	v_ashrrev_i32_e32 v12, 31, v7
	v_floor_f32_e32 v9, v9
	s_delay_alu instid0(VALU_DEP_1) | instskip(SKIP_1) | instid1(VALU_DEP_2)
	v_fma_f32 v13, 0xcf800000, v9, |v7|
	v_cvt_u32_f32_e32 v7, v9
	v_cvt_u32_f32_e32 v9, v13
	s_delay_alu instid0(VALU_DEP_2) | instskip(NEXT) | instid1(VALU_DEP_2)
	v_dual_mov_b32 v13, v12 :: v_dual_bitop2_b32 v15, v7, v12 bitop3:0x14
	v_xor_b32_e32 v14, v9, v12
	s_delay_alu instid0(VALU_DEP_1)
	v_sub_nc_u64_e32 v[12:13], v[14:15], v[12:13]
.LBB70_2329:
	s_mov_b32 s16, 0
.LBB70_2330:
	s_delay_alu instid0(SALU_CYCLE_1)
	s_and_not1_b32 vcc_lo, exec_lo, s16
	s_cbranch_vccnz .LBB70_2332
; %bb.2331:
	global_load_u16 v7, v[4:5], off
	s_wait_loadcnt 0x0
	v_cvt_f32_f16_e32 v7, v7
	s_delay_alu instid0(VALU_DEP_1) | instskip(NEXT) | instid1(VALU_DEP_1)
	v_cvt_i32_f32_e32 v12, v7
	v_ashrrev_i32_e32 v13, 31, v12
.LBB70_2332:
	s_mov_b32 s16, 0
.LBB70_2333:
	s_delay_alu instid0(SALU_CYCLE_1)
	s_and_not1_b32 vcc_lo, exec_lo, s16
	s_cbranch_vccnz .LBB70_2353
; %bb.2334:
	s_cmp_lt_i32 s0, 2
	s_cbranch_scc1 .LBB70_2338
; %bb.2335:
	s_cmp_lt_i32 s0, 3
	s_cbranch_scc1 .LBB70_2339
; %bb.2336:
	s_cmp_gt_i32 s0, 3
	s_cbranch_scc0 .LBB70_2340
; %bb.2337:
	s_wait_loadcnt 0x0
	global_load_b64 v[12:13], v[4:5], off
	s_mov_b32 s16, 0
	s_branch .LBB70_2341
.LBB70_2338:
	s_mov_b32 s16, -1
                                        ; implicit-def: $vgpr12_vgpr13
	s_branch .LBB70_2347
.LBB70_2339:
	s_mov_b32 s16, -1
                                        ; implicit-def: $vgpr12_vgpr13
	s_branch .LBB70_2344
.LBB70_2340:
	s_mov_b32 s16, -1
                                        ; implicit-def: $vgpr12_vgpr13
.LBB70_2341:
	s_delay_alu instid0(SALU_CYCLE_1)
	s_and_not1_b32 vcc_lo, exec_lo, s16
	s_cbranch_vccnz .LBB70_2343
; %bb.2342:
	s_wait_loadcnt 0x0
	global_load_b32 v12, v[4:5], off
	s_wait_loadcnt 0x0
	v_ashrrev_i32_e32 v13, 31, v12
.LBB70_2343:
	s_mov_b32 s16, 0
.LBB70_2344:
	s_delay_alu instid0(SALU_CYCLE_1)
	s_and_not1_b32 vcc_lo, exec_lo, s16
	s_cbranch_vccnz .LBB70_2346
; %bb.2345:
	global_load_u16 v7, v[4:5], off
	s_wait_loadcnt 0x0
	v_bfe_i32 v12, v7, 0, 16
	s_delay_alu instid0(VALU_DEP_1)
	v_ashrrev_i32_e32 v13, 31, v12
.LBB70_2346:
	s_mov_b32 s16, 0
.LBB70_2347:
	s_delay_alu instid0(SALU_CYCLE_1)
	s_and_not1_b32 vcc_lo, exec_lo, s16
	s_cbranch_vccnz .LBB70_2353
; %bb.2348:
	s_cmp_gt_i32 s0, 0
	s_mov_b32 s0, 0
	s_cbranch_scc0 .LBB70_2350
; %bb.2349:
	global_load_i8 v7, v[4:5], off
	s_wait_loadcnt 0x0
	v_bfe_i32 v12, v7, 0, 16
	s_delay_alu instid0(VALU_DEP_1)
	v_ashrrev_i32_e32 v13, 31, v12
	s_branch .LBB70_2351
.LBB70_2350:
	s_mov_b32 s0, -1
                                        ; implicit-def: $vgpr12_vgpr13
.LBB70_2351:
	s_delay_alu instid0(SALU_CYCLE_1)
	s_and_not1_b32 vcc_lo, exec_lo, s0
	s_cbranch_vccnz .LBB70_2353
; %bb.2352:
	global_load_u8 v4, v[4:5], off
	s_mov_b32 s0, 0
	s_wait_loadcnt 0x1
	v_mov_b32_e32 v13, s0
	s_wait_loadcnt 0x0
	v_and_b32_e32 v12, 0xffff, v4
.LBB70_2353:
	s_mov_b32 s18, -1
.LBB70_2354:
	s_delay_alu instid0(SALU_CYCLE_1)
	s_and_not1_b32 vcc_lo, exec_lo, s18
	s_cbranch_vccnz .LBB70_2625
; %bb.2355:
	s_wait_loadcnt 0x0
	s_delay_alu instid0(VALU_DEP_1) | instskip(SKIP_1) | instid1(VALU_DEP_1)
	v_sub_nc_u64_e32 v[4:5], 0, v[12:13]
	s_mov_b32 s16, exec_lo
	v_max_i64 v[14:15], v[12:13], v[4:5]
	v_cmpx_ne_u64_e32 0, v[10:11]
	s_cbranch_execz .LBB70_2363
; %bb.2356:
	v_sub_nc_u64_e32 v[4:5], 0, v[10:11]
	s_mov_b32 s17, 0
	s_delay_alu instid0(VALU_DEP_1)
	v_max_i64 v[18:19], v[10:11], v[4:5]
	v_mov_b32_e32 v4, 0
	s_branch .LBB70_2358
.LBB70_2357:                            ;   in Loop: Header=BB70_2358 Depth=1
	s_or_b32 exec_lo, exec_lo, s0
	s_delay_alu instid0(VALU_DEP_1) | instskip(SKIP_2) | instid1(SALU_CYCLE_1)
	v_cmp_eq_u64_e32 vcc_lo, 0, v[18:19]
	v_mov_b64_e32 v[14:15], v[16:17]
	s_or_b32 s17, vcc_lo, s17
	s_and_not1_b32 exec_lo, exec_lo, s17
	s_cbranch_execz .LBB70_2362
.LBB70_2358:                            ; =>This Inner Loop Header: Depth=1
	s_delay_alu instid0(VALU_DEP_2) | instskip(SKIP_1) | instid1(VALU_DEP_1)
	v_mov_b64_e32 v[16:17], v[18:19]
                                        ; implicit-def: $vgpr18_vgpr19
	s_mov_b32 s0, exec_lo
	v_or_b32_e32 v5, v15, v17
	s_delay_alu instid0(VALU_DEP_1)
	v_cmpx_ne_u64_e32 0, v[4:5]
	s_xor_b32 s18, exec_lo, s0
	s_cbranch_execz .LBB70_2360
; %bb.2359:                             ;   in Loop: Header=BB70_2358 Depth=1
	s_delay_alu instid0(VALU_DEP_3) | instskip(SKIP_4) | instid1(VALU_DEP_4)
	v_cvt_f32_u32_e32 v5, v16
	v_cvt_f32_u32_e32 v7, v17
	v_sub_nc_u64_e32 v[22:23], 0, v[16:17]
	v_dual_mov_b32 v19, v4 :: v_dual_mov_b32 v29, v4
	v_mov_b32_e32 v31, v4
	v_fmac_f32_e32 v5, 0x4f800000, v7
	s_delay_alu instid0(VALU_DEP_1) | instskip(SKIP_1) | instid1(TRANS32_DEP_1)
	v_rcp_f32_e32 v5, v5
	v_nop
	v_mul_f32_e32 v5, 0x5f7ffffc, v5
	s_delay_alu instid0(VALU_DEP_1) | instskip(NEXT) | instid1(VALU_DEP_1)
	v_mul_f32_e32 v7, 0x2f800000, v5
	v_trunc_f32_e32 v7, v7
	s_delay_alu instid0(VALU_DEP_1) | instskip(SKIP_1) | instid1(VALU_DEP_2)
	v_fmac_f32_e32 v5, 0xcf800000, v7
	v_cvt_u32_f32_e32 v25, v7
	v_cvt_u32_f32_e32 v18, v5
	s_delay_alu instid0(VALU_DEP_1) | instskip(NEXT) | instid1(VALU_DEP_1)
	v_dual_mov_b32 v30, v25 :: v_dual_mov_b32 v24, v18
	v_mul_u64_e32 v[26:27], v[22:23], v[24:25]
	s_delay_alu instid0(VALU_DEP_1) | instskip(NEXT) | instid1(VALU_DEP_1)
	v_dual_mov_b32 v28, v27 :: v_dual_mov_b32 v27, v4
	v_mul_u64_e32 v[32:33], v[18:19], v[28:29]
	s_delay_alu instid0(VALU_DEP_2) | instskip(SKIP_2) | instid1(VALU_DEP_1)
	v_mul_u64_e32 v[34:35], v[30:31], v[26:27]
	v_mul_u64_e32 v[28:29], v[30:31], v[28:29]
	v_mul_hi_u32 v26, v18, v26
	v_add_nc_u64_e32 v[26:27], v[26:27], v[32:33]
	s_delay_alu instid0(VALU_DEP_1) | instskip(NEXT) | instid1(VALU_DEP_2)
	v_add_co_u32 v5, vcc_lo, v26, v34
	v_add_co_ci_u32_e32 v30, vcc_lo, v27, v35, vcc_lo
	v_add_co_ci_u32_e32 v29, vcc_lo, 0, v29, vcc_lo
	s_delay_alu instid0(VALU_DEP_1) | instskip(NEXT) | instid1(VALU_DEP_1)
	v_add_nc_u64_e32 v[26:27], v[30:31], v[28:29]
	v_add_co_u32 v18, vcc_lo, v18, v26
	s_delay_alu instid0(VALU_DEP_1) | instskip(SKIP_1) | instid1(VALU_DEP_2)
	v_add_co_ci_u32_e64 v24, null, v25, v27, vcc_lo
	v_dual_mov_b32 v27, v4 :: v_dual_mov_b32 v25, v4
	v_mov_b32_e32 v19, v24
	s_delay_alu instid0(VALU_DEP_1) | instskip(NEXT) | instid1(VALU_DEP_1)
	v_mul_u64_e32 v[22:23], v[22:23], v[18:19]
	v_dual_mov_b32 v19, v4 :: v_dual_mov_b32 v26, v23
	s_delay_alu instid0(VALU_DEP_2) | instskip(SKIP_1) | instid1(VALU_DEP_3)
	v_dual_mov_b32 v30, v22 :: v_dual_mov_b32 v23, v4
	v_mul_hi_u32 v22, v18, v22
	v_mul_u64_e32 v[28:29], v[18:19], v[26:27]
	s_delay_alu instid0(VALU_DEP_3) | instskip(SKIP_1) | instid1(VALU_DEP_3)
	v_mul_u64_e32 v[30:31], v[24:25], v[30:31]
	v_mul_u64_e32 v[26:27], v[24:25], v[26:27]
	v_add_nc_u64_e32 v[22:23], v[22:23], v[28:29]
	v_mov_b32_e32 v29, v4
	s_delay_alu instid0(VALU_DEP_2) | instskip(NEXT) | instid1(VALU_DEP_3)
	v_add_co_u32 v5, vcc_lo, v22, v30
	v_add_co_ci_u32_e32 v28, vcc_lo, v23, v31, vcc_lo
	v_add_co_ci_u32_e32 v27, vcc_lo, 0, v27, vcc_lo
	s_delay_alu instid0(VALU_DEP_1) | instskip(SKIP_1) | instid1(VALU_DEP_2)
	v_add_nc_u64_e32 v[22:23], v[28:29], v[26:27]
	v_dual_mov_b32 v26, v14 :: v_dual_mov_b32 v27, v4
	v_add_co_u32 v22, vcc_lo, v18, v22
	s_delay_alu instid0(VALU_DEP_1) | instskip(SKIP_1) | instid1(VALU_DEP_2)
	v_add_co_ci_u32_e64 v18, null, v24, v23, vcc_lo
	v_dual_mov_b32 v24, v15 :: v_dual_mov_b32 v23, v4
	v_mul_u64_e32 v[26:27], v[26:27], v[18:19]
	s_delay_alu instid0(VALU_DEP_2) | instskip(NEXT) | instid1(VALU_DEP_3)
	v_mul_u64_e32 v[18:19], v[24:25], v[18:19]
	v_mul_u64_e32 v[28:29], v[24:25], v[22:23]
	v_mul_hi_u32 v22, v14, v22
	s_delay_alu instid0(VALU_DEP_1) | instskip(NEXT) | instid1(VALU_DEP_1)
	v_add_nc_u64_e32 v[22:23], v[22:23], v[26:27]
	v_add_co_u32 v5, vcc_lo, v22, v28
	s_delay_alu instid0(VALU_DEP_2) | instskip(SKIP_1) | instid1(VALU_DEP_1)
	v_add_co_ci_u32_e32 v24, vcc_lo, v23, v29, vcc_lo
	v_add_co_ci_u32_e32 v19, vcc_lo, 0, v19, vcc_lo
	v_add_nc_u64_e32 v[18:19], v[24:25], v[18:19]
	s_delay_alu instid0(VALU_DEP_1) | instskip(NEXT) | instid1(VALU_DEP_1)
	v_mul_u64_e32 v[18:19], v[16:17], v[18:19]
	v_sub_nc_u32_e32 v5, v15, v19
	s_delay_alu instid0(VALU_DEP_2) | instskip(NEXT) | instid1(VALU_DEP_1)
	v_sub_co_u32 v7, vcc_lo, v14, v18
	v_sub_co_ci_u32_e64 v9, null, v15, v19, vcc_lo
	s_delay_alu instid0(VALU_DEP_3) | instskip(NEXT) | instid1(VALU_DEP_3)
	v_sub_co_ci_u32_e64 v5, null, v5, v17, vcc_lo
	v_sub_co_u32 v14, vcc_lo, v7, v16
	v_cmp_ge_u32_e64 s0, v7, v16
	s_delay_alu instid0(VALU_DEP_3) | instskip(SKIP_1) | instid1(VALU_DEP_3)
	v_subrev_co_ci_u32_e64 v15, null, 0, v5, vcc_lo
	v_sub_co_ci_u32_e64 v5, null, v5, v17, vcc_lo
	v_cndmask_b32_e64 v18, 0, -1, s0
	v_cmp_ge_u32_e64 s0, v14, v16
	v_cmp_ge_u32_e32 vcc_lo, v9, v17
	s_delay_alu instid0(VALU_DEP_2) | instskip(SKIP_3) | instid1(VALU_DEP_3)
	v_cndmask_b32_e64 v19, 0, -1, s0
	v_cmp_ge_u32_e64 s0, v15, v17
	v_cndmask_b32_e64 v22, 0, -1, vcc_lo
	v_cmp_eq_u32_e32 vcc_lo, v15, v17
	v_cndmask_b32_e64 v21, 0, -1, s0
	v_cmp_eq_u32_e64 s0, v9, v17
	s_delay_alu instid0(VALU_DEP_1) | instskip(SKIP_1) | instid1(VALU_DEP_1)
	v_dual_cndmask_b32 v19, v21, v19, vcc_lo :: v_dual_cndmask_b32 v18, v22, v18, s0
	v_sub_co_u32 v21, vcc_lo, v14, v16
	v_subrev_co_ci_u32_e64 v5, null, 0, v5, vcc_lo
	s_delay_alu instid0(VALU_DEP_3) | instskip(NEXT) | instid1(VALU_DEP_2)
	v_cmp_ne_u32_e32 vcc_lo, 0, v19
	v_cndmask_b32_e32 v5, v15, v5, vcc_lo
	s_delay_alu instid0(VALU_DEP_4) | instskip(SKIP_1) | instid1(VALU_DEP_2)
	v_cndmask_b32_e32 v14, v14, v21, vcc_lo
	v_cmp_ne_u32_e32 vcc_lo, 0, v18
	v_dual_cndmask_b32 v19, v9, v5 :: v_dual_cndmask_b32 v18, v7, v14
                                        ; implicit-def: $vgpr14_vgpr15
.LBB70_2360:                            ;   in Loop: Header=BB70_2358 Depth=1
	s_and_not1_saveexec_b32 s0, s18
	s_cbranch_execz .LBB70_2357
; %bb.2361:                             ;   in Loop: Header=BB70_2358 Depth=1
	v_cvt_f32_u32_e32 v5, v16
	v_dual_sub_nc_u32 v7, 0, v16 :: v_dual_mov_b32 v19, v4
	s_delay_alu instid0(VALU_DEP_2) | instskip(SKIP_1) | instid1(TRANS32_DEP_1)
	v_rcp_iflag_f32_e32 v5, v5
	v_nop
	v_mul_f32_e32 v5, 0x4f7ffffe, v5
	s_delay_alu instid0(VALU_DEP_1) | instskip(NEXT) | instid1(VALU_DEP_1)
	v_cvt_u32_f32_e32 v5, v5
	v_mul_lo_u32 v7, v7, v5
	s_delay_alu instid0(VALU_DEP_1) | instskip(NEXT) | instid1(VALU_DEP_1)
	v_mul_hi_u32 v7, v5, v7
	v_add_nc_u32_e32 v5, v5, v7
	s_delay_alu instid0(VALU_DEP_1) | instskip(NEXT) | instid1(VALU_DEP_1)
	v_mul_hi_u32 v5, v14, v5
	v_mul_lo_u32 v5, v5, v16
	s_delay_alu instid0(VALU_DEP_1) | instskip(NEXT) | instid1(VALU_DEP_1)
	v_sub_nc_u32_e32 v5, v14, v5
	v_sub_nc_u32_e32 v7, v5, v16
	v_cmp_ge_u32_e32 vcc_lo, v5, v16
	s_delay_alu instid0(VALU_DEP_2) | instskip(NEXT) | instid1(VALU_DEP_1)
	v_cndmask_b32_e32 v5, v5, v7, vcc_lo
	v_sub_nc_u32_e32 v7, v5, v16
	v_cmp_ge_u32_e32 vcc_lo, v5, v16
	s_delay_alu instid0(VALU_DEP_2)
	v_cndmask_b32_e32 v18, v5, v7, vcc_lo
	s_branch .LBB70_2357
.LBB70_2362:
	s_or_b32 exec_lo, exec_lo, s17
	v_mov_b64_e32 v[14:15], v[16:17]
.LBB70_2363:
	s_or_b32 exec_lo, exec_lo, s16
	v_mov_b64_e32 v[4:5], 0
	s_mov_b32 s16, exec_lo
	s_delay_alu instid0(VALU_DEP_2)
	v_cmpx_ne_u64_e32 0, v[14:15]
	s_cbranch_execz .LBB70_2369
; %bb.2364:
	v_dual_mov_b32 v4, 0 :: v_dual_bitop2_b32 v5, v11, v15 bitop3:0x54
                                        ; implicit-def: $vgpr16_vgpr17
	s_mov_b32 s0, exec_lo
	s_delay_alu instid0(VALU_DEP_1)
	v_cmpx_ne_u64_e32 0, v[4:5]
	s_xor_b32 s17, exec_lo, s0
	s_cbranch_execz .LBB70_2366
; %bb.2365:
	v_dual_mov_b32 v19, v4 :: v_dual_ashrrev_i32 v16, 31, v15
	v_dual_mov_b32 v29, v4 :: v_dual_mov_b32 v31, v4
	s_delay_alu instid0(VALU_DEP_2) | instskip(NEXT) | instid1(VALU_DEP_1)
	v_mov_b32_e32 v17, v16
	v_add_nc_u64_e32 v[14:15], v[14:15], v[16:17]
	s_delay_alu instid0(VALU_DEP_1) | instskip(NEXT) | instid1(VALU_DEP_2)
	v_xor_b32_e32 v14, v14, v16
	v_xor_b32_e32 v15, v15, v16
	s_delay_alu instid0(VALU_DEP_2) | instskip(NEXT) | instid1(VALU_DEP_2)
	v_cvt_f32_u32_e32 v5, v14
	v_cvt_f32_u32_e32 v7, v15
	s_delay_alu instid0(VALU_DEP_1) | instskip(NEXT) | instid1(VALU_DEP_1)
	v_fmamk_f32 v5, v7, 0x4f800000, v5
	v_rcp_f32_e32 v5, v5
	v_nop
	s_delay_alu instid0(TRANS32_DEP_1) | instskip(NEXT) | instid1(VALU_DEP_1)
	v_mul_f32_e32 v5, 0x5f7ffffc, v5
	v_mul_f32_e32 v7, 0x2f800000, v5
	s_delay_alu instid0(VALU_DEP_1) | instskip(NEXT) | instid1(VALU_DEP_1)
	v_trunc_f32_e32 v7, v7
	v_fmamk_f32 v5, v7, 0xcf800000, v5
	v_cvt_u32_f32_e32 v25, v7
	s_delay_alu instid0(VALU_DEP_2) | instskip(NEXT) | instid1(VALU_DEP_1)
	v_cvt_u32_f32_e32 v18, v5
	v_dual_mov_b32 v30, v25 :: v_dual_mov_b32 v24, v18
	v_sub_nc_u64_e32 v[22:23], 0, v[14:15]
	s_delay_alu instid0(VALU_DEP_1) | instskip(NEXT) | instid1(VALU_DEP_1)
	v_mul_u64_e32 v[26:27], v[22:23], v[24:25]
	v_dual_mov_b32 v28, v27 :: v_dual_mov_b32 v27, v4
	s_delay_alu instid0(VALU_DEP_1) | instskip(NEXT) | instid1(VALU_DEP_2)
	v_mul_u64_e32 v[32:33], v[18:19], v[28:29]
	v_mul_u64_e32 v[34:35], v[30:31], v[26:27]
	;; [unrolled: 1-line block ×3, first 2 shown]
	v_mul_hi_u32 v26, v18, v26
	s_delay_alu instid0(VALU_DEP_1) | instskip(SKIP_1) | instid1(VALU_DEP_2)
	v_add_nc_u64_e32 v[26:27], v[26:27], v[32:33]
	v_ashrrev_i32_e32 v32, 31, v11
	v_add_co_u32 v5, vcc_lo, v26, v34
	s_delay_alu instid0(VALU_DEP_3) | instskip(SKIP_1) | instid1(VALU_DEP_1)
	v_add_co_ci_u32_e32 v30, vcc_lo, v27, v35, vcc_lo
	v_add_co_ci_u32_e32 v29, vcc_lo, 0, v29, vcc_lo
	v_add_nc_u64_e32 v[26:27], v[30:31], v[28:29]
	s_delay_alu instid0(VALU_DEP_1) | instskip(NEXT) | instid1(VALU_DEP_1)
	v_add_co_u32 v18, vcc_lo, v18, v26
	v_add_co_ci_u32_e64 v24, null, v25, v27, vcc_lo
	v_dual_mov_b32 v25, v4 :: v_dual_mov_b32 v27, v4
	s_delay_alu instid0(VALU_DEP_2) | instskip(NEXT) | instid1(VALU_DEP_1)
	v_mov_b32_e32 v19, v24
	v_mul_u64_e32 v[22:23], v[22:23], v[18:19]
	s_delay_alu instid0(VALU_DEP_1) | instskip(NEXT) | instid1(VALU_DEP_2)
	v_dual_mov_b32 v19, v4 :: v_dual_mov_b32 v26, v23
	v_dual_mov_b32 v30, v22 :: v_dual_mov_b32 v23, v4
	v_mul_hi_u32 v22, v18, v22
	s_delay_alu instid0(VALU_DEP_3) | instskip(NEXT) | instid1(VALU_DEP_3)
	v_mul_u64_e32 v[28:29], v[18:19], v[26:27]
	v_mul_u64_e32 v[30:31], v[24:25], v[30:31]
	;; [unrolled: 1-line block ×3, first 2 shown]
	s_delay_alu instid0(VALU_DEP_3) | instskip(SKIP_1) | instid1(VALU_DEP_2)
	v_add_nc_u64_e32 v[22:23], v[22:23], v[28:29]
	v_dual_mov_b32 v29, v4 :: v_dual_mov_b32 v33, v32
	v_add_co_u32 v5, vcc_lo, v22, v30
	s_delay_alu instid0(VALU_DEP_3) | instskip(SKIP_2) | instid1(VALU_DEP_2)
	v_add_co_ci_u32_e32 v28, vcc_lo, v23, v31, vcc_lo
	v_add_co_ci_u32_e32 v27, vcc_lo, 0, v27, vcc_lo
	v_mov_b32_e32 v5, v4
	v_add_nc_u64_e32 v[22:23], v[28:29], v[26:27]
	v_mov_b32_e32 v27, v4
	v_add_nc_u64_e32 v[10:11], v[10:11], v[32:33]
	s_delay_alu instid0(VALU_DEP_3) | instskip(NEXT) | instid1(VALU_DEP_2)
	v_add_co_u32 v22, vcc_lo, v18, v22
	v_xor_b32_e32 v26, v10, v32
	v_add_co_ci_u32_e64 v18, null, v24, v23, vcc_lo
	s_delay_alu instid0(VALU_DEP_4) | instskip(NEXT) | instid1(VALU_DEP_2)
	v_dual_mov_b32 v23, v4 :: v_dual_bitop2_b32 v24, v11, v32 bitop3:0x14
	v_mul_u64_e32 v[28:29], v[26:27], v[18:19]
	s_delay_alu instid0(VALU_DEP_2) | instskip(SKIP_2) | instid1(VALU_DEP_1)
	v_mul_u64_e32 v[10:11], v[24:25], v[22:23]
	v_mul_u64_e32 v[18:19], v[24:25], v[18:19]
	v_mul_hi_u32 v22, v26, v22
	v_add_nc_u64_e32 v[22:23], v[22:23], v[28:29]
	s_delay_alu instid0(VALU_DEP_1) | instskip(NEXT) | instid1(VALU_DEP_2)
	v_add_co_u32 v4, vcc_lo, v22, v10
	v_add_co_ci_u32_e32 v4, vcc_lo, v23, v11, vcc_lo
	v_add_co_ci_u32_e32 v19, vcc_lo, 0, v19, vcc_lo
	s_delay_alu instid0(VALU_DEP_1) | instskip(NEXT) | instid1(VALU_DEP_1)
	v_add_nc_u64_e32 v[4:5], v[4:5], v[18:19]
	v_mul_u64_e32 v[10:11], v[14:15], v[4:5]
	v_add_nc_u64_e32 v[18:19], 1, v[4:5]
	s_delay_alu instid0(VALU_DEP_2) | instskip(NEXT) | instid1(VALU_DEP_3)
	v_sub_nc_u32_e32 v7, v24, v11
	v_sub_co_u32 v9, vcc_lo, v26, v10
	s_delay_alu instid0(VALU_DEP_1) | instskip(NEXT) | instid1(VALU_DEP_3)
	v_sub_co_ci_u32_e64 v17, null, v24, v11, vcc_lo
	v_sub_co_ci_u32_e64 v7, null, v7, v15, vcc_lo
	s_delay_alu instid0(VALU_DEP_3) | instskip(NEXT) | instid1(VALU_DEP_1)
	v_sub_co_u32 v10, s0, v9, v14
	v_subrev_co_ci_u32_e64 v7, null, 0, v7, s0
	s_delay_alu instid0(VALU_DEP_2) | instskip(SKIP_1) | instid1(VALU_DEP_3)
	v_cmp_ge_u32_e32 vcc_lo, v10, v14
	v_cndmask_b32_e64 v10, 0, -1, vcc_lo
	v_cmp_ge_u32_e32 vcc_lo, v7, v15
	v_cndmask_b32_e64 v11, 0, -1, vcc_lo
	v_cmp_ge_u32_e32 vcc_lo, v9, v14
	v_cndmask_b32_e64 v9, 0, -1, vcc_lo
	v_cmp_ge_u32_e32 vcc_lo, v17, v15
	v_cndmask_b32_e64 v14, 0, -1, vcc_lo
	v_cmp_eq_u32_e32 vcc_lo, v7, v15
	v_cndmask_b32_e32 v7, v11, v10, vcc_lo
	v_cmp_eq_u32_e32 vcc_lo, v17, v15
	v_add_nc_u64_e32 v[10:11], 2, v[4:5]
	v_cndmask_b32_e32 v9, v14, v9, vcc_lo
	s_delay_alu instid0(VALU_DEP_4) | instskip(NEXT) | instid1(VALU_DEP_2)
	v_cmp_ne_u32_e32 vcc_lo, 0, v7
                                        ; implicit-def: $vgpr14_vgpr15
	v_cmp_ne_u32_e64 s0, 0, v9
	s_delay_alu instid0(VALU_DEP_4) | instskip(NEXT) | instid1(VALU_DEP_1)
	v_dual_cndmask_b32 v7, v19, v11, vcc_lo :: v_dual_cndmask_b32 v9, v18, v10, vcc_lo
	v_dual_cndmask_b32 v5, v5, v7, s0 :: v_dual_bitop2_b32 v10, v32, v16 bitop3:0x14
	s_delay_alu instid0(VALU_DEP_1) | instskip(NEXT) | instid1(VALU_DEP_2)
	v_dual_cndmask_b32 v4, v4, v9, s0 :: v_dual_mov_b32 v11, v10
	v_xor_b32_e32 v5, v5, v10
	s_delay_alu instid0(VALU_DEP_2) | instskip(NEXT) | instid1(VALU_DEP_1)
	v_xor_b32_e32 v4, v4, v10
	v_sub_nc_u64_e32 v[16:17], v[4:5], v[10:11]
                                        ; implicit-def: $vgpr10_vgpr11
.LBB70_2366:
	s_and_not1_saveexec_b32 s0, s17
	s_cbranch_execz .LBB70_2368
; %bb.2367:
	v_cvt_f32_u32_e32 v4, v14
	v_dual_sub_nc_u32 v5, 0, v14 :: v_dual_mov_b32 v17, 0
	s_delay_alu instid0(VALU_DEP_2) | instskip(SKIP_1) | instid1(TRANS32_DEP_1)
	v_rcp_iflag_f32_e32 v4, v4
	v_nop
	v_mul_f32_e32 v4, 0x4f7ffffe, v4
	s_delay_alu instid0(VALU_DEP_1) | instskip(NEXT) | instid1(VALU_DEP_1)
	v_cvt_u32_f32_e32 v4, v4
	v_mul_lo_u32 v5, v5, v4
	s_delay_alu instid0(VALU_DEP_1) | instskip(NEXT) | instid1(VALU_DEP_1)
	v_mul_hi_u32 v5, v4, v5
	v_add_nc_u32_e32 v4, v4, v5
	s_delay_alu instid0(VALU_DEP_1) | instskip(NEXT) | instid1(VALU_DEP_1)
	v_mul_hi_u32 v4, v10, v4
	v_mul_lo_u32 v5, v4, v14
	s_delay_alu instid0(VALU_DEP_1) | instskip(NEXT) | instid1(VALU_DEP_1)
	v_dual_sub_nc_u32 v5, v10, v5 :: v_dual_add_nc_u32 v7, 1, v4
	v_sub_nc_u32_e32 v9, v5, v14
	v_cmp_ge_u32_e32 vcc_lo, v5, v14
	s_delay_alu instid0(VALU_DEP_2) | instskip(NEXT) | instid1(VALU_DEP_1)
	v_dual_cndmask_b32 v5, v5, v9 :: v_dual_cndmask_b32 v4, v4, v7
	v_cmp_ge_u32_e32 vcc_lo, v5, v14
	s_delay_alu instid0(VALU_DEP_2) | instskip(NEXT) | instid1(VALU_DEP_1)
	v_add_nc_u32_e32 v7, 1, v4
	v_cndmask_b32_e32 v16, v4, v7, vcc_lo
.LBB70_2368:
	s_or_b32 exec_lo, exec_lo, s0
	s_delay_alu instid0(VALU_DEP_1) | instskip(NEXT) | instid1(VALU_DEP_1)
	v_mul_u64_e32 v[4:5], v[16:17], v[12:13]
	v_sub_nc_u64_e32 v[10:11], 0, v[4:5]
	s_delay_alu instid0(VALU_DEP_1)
	v_max_i64 v[4:5], v[4:5], v[10:11]
.LBB70_2369:
	s_or_b32 exec_lo, exec_lo, s16
	v_add_nc_u32_e32 v6, s9, v6
	s_cmp_lt_i32 s13, 11
	s_delay_alu instid0(VALU_DEP_1) | instskip(NEXT) | instid1(VALU_DEP_1)
	v_ashrrev_i32_e32 v7, 31, v6
	v_add_nc_u64_e32 v[6:7], s[6:7], v[6:7]
	s_cbranch_scc1 .LBB70_2376
; %bb.2370:
	s_and_b32 s0, 0xffff, s13
	s_mov_b32 s7, 0
	s_cmp_gt_i32 s0, 25
	s_cbranch_scc0 .LBB70_2377
; %bb.2371:
	s_cmp_gt_i32 s0, 28
	s_cbranch_scc0 .LBB70_2378
; %bb.2372:
	;; [unrolled: 3-line block ×4, first 2 shown]
	s_cmp_eq_u32 s0, 46
	s_mov_b32 s16, 0
	s_cbranch_scc0 .LBB70_2382
; %bb.2375:
	global_load_b32 v9, v[6:7], off
	s_mov_b32 s6, 0
	s_mov_b32 s9, -1
	s_wait_loadcnt 0x0
	v_lshlrev_b32_e32 v9, 16, v9
	s_delay_alu instid0(VALU_DEP_1) | instskip(NEXT) | instid1(VALU_DEP_1)
	v_trunc_f32_e32 v9, v9
	v_mul_f32_e64 v10, 0x2f800000, |v9|
	s_delay_alu instid0(VALU_DEP_1) | instskip(SKIP_1) | instid1(VALU_DEP_2)
	v_floor_f32_e32 v11, v10
	v_ashrrev_i32_e32 v10, 31, v9
	v_fma_f32 v12, 0xcf800000, v11, |v9|
	v_cvt_u32_f32_e32 v9, v11
	s_delay_alu instid0(VALU_DEP_3) | instskip(NEXT) | instid1(VALU_DEP_3)
	v_mov_b32_e32 v11, v10
	v_cvt_u32_f32_e32 v12, v12
	s_delay_alu instid0(VALU_DEP_3) | instskip(NEXT) | instid1(VALU_DEP_2)
	v_xor_b32_e32 v13, v9, v10
	v_xor_b32_e32 v12, v12, v10
	s_delay_alu instid0(VALU_DEP_1)
	v_sub_nc_u64_e32 v[10:11], v[12:13], v[10:11]
	s_branch .LBB70_2384
.LBB70_2376:
	s_mov_b32 s0, -1
	s_mov_b32 s9, 0
                                        ; implicit-def: $vgpr10_vgpr11
	s_branch .LBB70_2446
.LBB70_2377:
	s_mov_b32 s16, -1
	s_mov_b32 s9, 0
	s_mov_b32 s6, 0
                                        ; implicit-def: $vgpr10_vgpr11
	s_branch .LBB70_2411
.LBB70_2378:
	s_mov_b32 s16, -1
	s_mov_b32 s9, 0
	s_mov_b32 s6, 0
                                        ; implicit-def: $vgpr10_vgpr11
	s_branch .LBB70_2394
.LBB70_2379:
	s_mov_b32 s16, -1
	s_mov_b32 s9, 0
	s_mov_b32 s6, 0
                                        ; implicit-def: $vgpr10_vgpr11
	s_branch .LBB70_2389
.LBB70_2380:
	s_or_b32 s12, s12, exec_lo
	s_trap 2
	s_cbranch_execz .LBB70_2303
	s_branch .LBB70_2304
.LBB70_2381:
	s_mov_b32 s16, -1
	s_mov_b32 s9, 0
	s_mov_b32 s6, 0
	s_branch .LBB70_2383
.LBB70_2382:
	s_mov_b32 s6, -1
	s_mov_b32 s9, 0
.LBB70_2383:
                                        ; implicit-def: $vgpr10_vgpr11
.LBB70_2384:
	s_and_b32 vcc_lo, exec_lo, s16
	s_cbranch_vccz .LBB70_2388
; %bb.2385:
	s_cmp_eq_u32 s0, 44
	s_cbranch_scc0 .LBB70_2387
; %bb.2386:
	global_load_u8 v9, v[6:7], off
	s_mov_b32 s6, 0
	s_mov_b32 s9, -1
	s_wait_loadcnt 0x0
	v_cmp_ne_u32_e32 vcc_lo, 0, v9
	v_lshlrev_b32_e32 v10, 23, v9
	s_delay_alu instid0(VALU_DEP_1) | instskip(NEXT) | instid1(VALU_DEP_1)
	v_trunc_f32_e32 v10, v10
	v_mul_f32_e64 v11, 0x2f800000, |v10|
	s_delay_alu instid0(VALU_DEP_1) | instskip(NEXT) | instid1(VALU_DEP_1)
	v_floor_f32_e32 v11, v11
	v_fma_f32 v12, 0xcf800000, v11, |v10|
	v_ashrrev_i32_e32 v10, 31, v10
	v_cvt_u32_f32_e32 v13, v11
	s_delay_alu instid0(VALU_DEP_3) | instskip(NEXT) | instid1(VALU_DEP_2)
	v_cvt_u32_f32_e32 v12, v12
	v_dual_mov_b32 v11, v10 :: v_dual_bitop2_b32 v13, v13, v10 bitop3:0x14
	s_delay_alu instid0(VALU_DEP_2) | instskip(NEXT) | instid1(VALU_DEP_1)
	v_xor_b32_e32 v12, v12, v10
	v_sub_nc_u64_e32 v[10:11], v[12:13], v[10:11]
	s_delay_alu instid0(VALU_DEP_1)
	v_dual_cndmask_b32 v11, 0, v11 :: v_dual_cndmask_b32 v10, 0, v10
	s_branch .LBB70_2388
.LBB70_2387:
	s_mov_b32 s6, -1
                                        ; implicit-def: $vgpr10_vgpr11
.LBB70_2388:
	s_mov_b32 s16, 0
.LBB70_2389:
	s_delay_alu instid0(SALU_CYCLE_1)
	s_and_b32 vcc_lo, exec_lo, s16
	s_cbranch_vccz .LBB70_2393
; %bb.2390:
	s_cmp_eq_u32 s0, 29
	s_cbranch_scc0 .LBB70_2392
; %bb.2391:
	global_load_b64 v[10:11], v[6:7], off
	s_mov_b32 s6, 0
	s_mov_b32 s9, -1
	s_branch .LBB70_2393
.LBB70_2392:
	s_mov_b32 s6, -1
                                        ; implicit-def: $vgpr10_vgpr11
.LBB70_2393:
	s_mov_b32 s16, 0
.LBB70_2394:
	s_delay_alu instid0(SALU_CYCLE_1)
	s_and_b32 vcc_lo, exec_lo, s16
	s_cbranch_vccz .LBB70_2410
; %bb.2395:
	s_cmp_lt_i32 s0, 27
	s_cbranch_scc1 .LBB70_2398
; %bb.2396:
	s_cmp_gt_i32 s0, 27
	s_cbranch_scc0 .LBB70_2399
; %bb.2397:
	s_wait_loadcnt 0x0
	global_load_b32 v10, v[6:7], off
	v_mov_b32_e32 v11, 0
	s_mov_b32 s9, 0
	s_branch .LBB70_2400
.LBB70_2398:
	s_mov_b32 s9, -1
                                        ; implicit-def: $vgpr10_vgpr11
	s_branch .LBB70_2403
.LBB70_2399:
	s_mov_b32 s9, -1
                                        ; implicit-def: $vgpr10_vgpr11
.LBB70_2400:
	s_delay_alu instid0(SALU_CYCLE_1)
	s_and_not1_b32 vcc_lo, exec_lo, s9
	s_cbranch_vccnz .LBB70_2402
; %bb.2401:
	global_load_u16 v9, v[6:7], off
	s_mov_b32 s9, 0
	s_wait_loadcnt 0x1
	v_mov_b32_e32 v11, s9
	s_wait_loadcnt 0x0
	v_and_b32_e32 v10, 0xffff, v9
.LBB70_2402:
	s_mov_b32 s9, 0
.LBB70_2403:
	s_delay_alu instid0(SALU_CYCLE_1)
	s_and_not1_b32 vcc_lo, exec_lo, s9
	s_cbranch_vccnz .LBB70_2409
; %bb.2404:
	global_load_u8 v9, v[6:7], off
	s_mov_b32 s16, 0
	s_mov_b32 s9, exec_lo
	s_wait_loadcnt 0x0
	v_cmpx_lt_i16_e32 0x7f, v9
	s_xor_b32 s9, exec_lo, s9
	s_cbranch_execz .LBB70_2421
; %bb.2405:
	v_cmp_ne_u16_e32 vcc_lo, 0x80, v9
	s_and_b32 s16, vcc_lo, exec_lo
	s_and_not1_saveexec_b32 s9, s9
	s_cbranch_execnz .LBB70_2422
.LBB70_2406:
	s_or_b32 exec_lo, exec_lo, s9
	v_mov_b64_e32 v[10:11], 0
	s_and_saveexec_b32 s9, s16
	s_cbranch_execz .LBB70_2408
.LBB70_2407:
	v_and_b32_e32 v10, 0xffff, v9
	s_delay_alu instid0(VALU_DEP_1) | instskip(SKIP_1) | instid1(VALU_DEP_2)
	v_and_b32_e32 v11, 7, v10
	v_bfe_u32 v14, v10, 3, 4
	v_clz_i32_u32_e32 v12, v11
	s_delay_alu instid0(VALU_DEP_2) | instskip(NEXT) | instid1(VALU_DEP_2)
	v_cmp_eq_u32_e32 vcc_lo, 0, v14
	v_min_u32_e32 v12, 32, v12
	s_delay_alu instid0(VALU_DEP_1) | instskip(NEXT) | instid1(VALU_DEP_1)
	v_subrev_nc_u32_e32 v13, 28, v12
	v_dual_lshlrev_b32 v10, v13, v10 :: v_dual_sub_nc_u32 v12, 29, v12
	s_delay_alu instid0(VALU_DEP_1) | instskip(NEXT) | instid1(VALU_DEP_1)
	v_dual_lshlrev_b32 v9, 24, v9 :: v_dual_bitop2_b32 v10, 7, v10 bitop3:0x40
	v_dual_cndmask_b32 v12, v14, v12, vcc_lo :: v_dual_cndmask_b32 v10, v11, v10, vcc_lo
	s_delay_alu instid0(VALU_DEP_2) | instskip(NEXT) | instid1(VALU_DEP_2)
	v_and_b32_e32 v9, 0x80000000, v9
	v_lshl_add_u32 v11, v12, 23, 0x3b800000
	s_delay_alu instid0(VALU_DEP_3) | instskip(NEXT) | instid1(VALU_DEP_1)
	v_lshlrev_b32_e32 v10, 20, v10
	v_or3_b32 v9, v9, v11, v10
	s_delay_alu instid0(VALU_DEP_1) | instskip(NEXT) | instid1(VALU_DEP_1)
	v_trunc_f32_e32 v9, v9
	v_mul_f32_e64 v10, 0x2f800000, |v9|
	s_delay_alu instid0(VALU_DEP_1) | instskip(SKIP_1) | instid1(VALU_DEP_2)
	v_floor_f32_e32 v11, v10
	v_ashrrev_i32_e32 v10, 31, v9
	v_fma_f32 v12, 0xcf800000, v11, |v9|
	v_cvt_u32_f32_e32 v9, v11
	s_delay_alu instid0(VALU_DEP_3) | instskip(NEXT) | instid1(VALU_DEP_3)
	v_mov_b32_e32 v11, v10
	v_cvt_u32_f32_e32 v12, v12
	s_delay_alu instid0(VALU_DEP_3) | instskip(NEXT) | instid1(VALU_DEP_2)
	v_xor_b32_e32 v13, v9, v10
	v_xor_b32_e32 v12, v12, v10
	s_delay_alu instid0(VALU_DEP_1)
	v_sub_nc_u64_e32 v[10:11], v[12:13], v[10:11]
.LBB70_2408:
	s_or_b32 exec_lo, exec_lo, s9
.LBB70_2409:
	s_mov_b32 s9, -1
.LBB70_2410:
	s_mov_b32 s16, 0
.LBB70_2411:
	s_delay_alu instid0(SALU_CYCLE_1)
	s_and_b32 vcc_lo, exec_lo, s16
	s_cbranch_vccz .LBB70_2442
; %bb.2412:
	s_cmp_gt_i32 s0, 22
	s_cbranch_scc0 .LBB70_2420
; %bb.2413:
	s_cmp_lt_i32 s0, 24
	s_cbranch_scc1 .LBB70_2423
; %bb.2414:
	s_cmp_gt_i32 s0, 24
	s_cbranch_scc0 .LBB70_2424
; %bb.2415:
	global_load_u8 v9, v[6:7], off
	s_mov_b32 s9, 0
	s_mov_b32 s7, exec_lo
	s_wait_loadcnt 0x0
	v_cmpx_lt_i16_e32 0x7f, v9
	s_xor_b32 s7, exec_lo, s7
	s_cbranch_execz .LBB70_2436
; %bb.2416:
	v_cmp_ne_u16_e32 vcc_lo, 0x80, v9
	s_and_b32 s9, vcc_lo, exec_lo
	s_and_not1_saveexec_b32 s7, s7
	s_cbranch_execnz .LBB70_2437
.LBB70_2417:
	s_or_b32 exec_lo, exec_lo, s7
	v_mov_b64_e32 v[10:11], 0
	s_and_saveexec_b32 s7, s9
	s_cbranch_execz .LBB70_2419
.LBB70_2418:
	v_and_b32_e32 v10, 0xffff, v9
	s_delay_alu instid0(VALU_DEP_1) | instskip(SKIP_1) | instid1(VALU_DEP_2)
	v_and_b32_e32 v11, 3, v10
	v_bfe_u32 v14, v10, 2, 5
	v_clz_i32_u32_e32 v12, v11
	s_delay_alu instid0(VALU_DEP_2) | instskip(NEXT) | instid1(VALU_DEP_2)
	v_cmp_eq_u32_e32 vcc_lo, 0, v14
	v_min_u32_e32 v12, 32, v12
	s_delay_alu instid0(VALU_DEP_1) | instskip(NEXT) | instid1(VALU_DEP_1)
	v_subrev_nc_u32_e32 v13, 29, v12
	v_dual_lshlrev_b32 v10, v13, v10 :: v_dual_sub_nc_u32 v12, 30, v12
	s_delay_alu instid0(VALU_DEP_1) | instskip(NEXT) | instid1(VALU_DEP_1)
	v_dual_lshlrev_b32 v9, 24, v9 :: v_dual_bitop2_b32 v10, 3, v10 bitop3:0x40
	v_dual_cndmask_b32 v12, v14, v12, vcc_lo :: v_dual_cndmask_b32 v10, v11, v10, vcc_lo
	s_delay_alu instid0(VALU_DEP_2) | instskip(NEXT) | instid1(VALU_DEP_2)
	v_and_b32_e32 v9, 0x80000000, v9
	v_lshl_add_u32 v11, v12, 23, 0x37800000
	s_delay_alu instid0(VALU_DEP_3) | instskip(NEXT) | instid1(VALU_DEP_1)
	v_lshlrev_b32_e32 v10, 21, v10
	v_or3_b32 v9, v9, v11, v10
	s_delay_alu instid0(VALU_DEP_1) | instskip(NEXT) | instid1(VALU_DEP_1)
	v_trunc_f32_e32 v9, v9
	v_mul_f32_e64 v10, 0x2f800000, |v9|
	s_delay_alu instid0(VALU_DEP_1) | instskip(SKIP_1) | instid1(VALU_DEP_2)
	v_floor_f32_e32 v11, v10
	v_ashrrev_i32_e32 v10, 31, v9
	v_fma_f32 v12, 0xcf800000, v11, |v9|
	v_cvt_u32_f32_e32 v9, v11
	s_delay_alu instid0(VALU_DEP_3) | instskip(NEXT) | instid1(VALU_DEP_3)
	v_mov_b32_e32 v11, v10
	v_cvt_u32_f32_e32 v12, v12
	s_delay_alu instid0(VALU_DEP_3) | instskip(NEXT) | instid1(VALU_DEP_2)
	v_xor_b32_e32 v13, v9, v10
	v_xor_b32_e32 v12, v12, v10
	s_delay_alu instid0(VALU_DEP_1)
	v_sub_nc_u64_e32 v[10:11], v[12:13], v[10:11]
.LBB70_2419:
	s_or_b32 exec_lo, exec_lo, s7
	s_mov_b32 s7, 0
	s_branch .LBB70_2425
.LBB70_2420:
	s_mov_b32 s7, -1
                                        ; implicit-def: $vgpr10_vgpr11
	s_branch .LBB70_2431
.LBB70_2421:
	s_and_not1_saveexec_b32 s9, s9
	s_cbranch_execz .LBB70_2406
.LBB70_2422:
	v_cmp_ne_u16_e32 vcc_lo, 0, v9
	s_and_not1_b32 s16, s16, exec_lo
	s_and_b32 s17, vcc_lo, exec_lo
	s_delay_alu instid0(SALU_CYCLE_1)
	s_or_b32 s16, s16, s17
	s_or_b32 exec_lo, exec_lo, s9
	v_mov_b64_e32 v[10:11], 0
	s_and_saveexec_b32 s9, s16
	s_cbranch_execnz .LBB70_2407
	s_branch .LBB70_2408
.LBB70_2423:
	s_mov_b32 s7, -1
                                        ; implicit-def: $vgpr10_vgpr11
	s_branch .LBB70_2428
.LBB70_2424:
	s_mov_b32 s7, -1
                                        ; implicit-def: $vgpr10_vgpr11
.LBB70_2425:
	s_delay_alu instid0(SALU_CYCLE_1)
	s_and_b32 vcc_lo, exec_lo, s7
	s_cbranch_vccz .LBB70_2427
; %bb.2426:
	global_load_u8 v9, v[6:7], off
	s_wait_loadcnt 0x0
	v_lshlrev_b32_e32 v9, 24, v9
	s_delay_alu instid0(VALU_DEP_1) | instskip(NEXT) | instid1(VALU_DEP_1)
	v_and_b32_e32 v10, 0x7f000000, v9
	v_clz_i32_u32_e32 v11, v10
	v_cmp_ne_u32_e32 vcc_lo, 0, v10
	v_add_nc_u32_e32 v13, 0x1000000, v10
	s_delay_alu instid0(VALU_DEP_3) | instskip(NEXT) | instid1(VALU_DEP_1)
	v_min_u32_e32 v11, 32, v11
	v_sub_nc_u32_e64 v11, v11, 4 clamp
	s_delay_alu instid0(VALU_DEP_1) | instskip(NEXT) | instid1(VALU_DEP_1)
	v_dual_lshlrev_b32 v12, v11, v10 :: v_dual_lshlrev_b32 v11, 23, v11
	v_lshrrev_b32_e32 v12, 4, v12
	s_delay_alu instid0(VALU_DEP_1) | instskip(NEXT) | instid1(VALU_DEP_1)
	v_dual_sub_nc_u32 v11, v12, v11 :: v_dual_ashrrev_i32 v12, 8, v13
	v_add_nc_u32_e32 v11, 0x3c000000, v11
	s_delay_alu instid0(VALU_DEP_1) | instskip(NEXT) | instid1(VALU_DEP_1)
	v_and_or_b32 v11, 0x7f800000, v12, v11
	v_cndmask_b32_e32 v10, 0, v11, vcc_lo
	s_delay_alu instid0(VALU_DEP_1) | instskip(NEXT) | instid1(VALU_DEP_1)
	v_and_or_b32 v9, 0x80000000, v9, v10
	v_trunc_f32_e32 v9, v9
	s_delay_alu instid0(VALU_DEP_1) | instskip(NEXT) | instid1(VALU_DEP_1)
	v_mul_f32_e64 v10, 0x2f800000, |v9|
	v_floor_f32_e32 v11, v10
	v_ashrrev_i32_e32 v10, 31, v9
	s_delay_alu instid0(VALU_DEP_2) | instskip(SKIP_1) | instid1(VALU_DEP_3)
	v_fma_f32 v12, 0xcf800000, v11, |v9|
	v_cvt_u32_f32_e32 v9, v11
	v_mov_b32_e32 v11, v10
	s_delay_alu instid0(VALU_DEP_3) | instskip(NEXT) | instid1(VALU_DEP_3)
	v_cvt_u32_f32_e32 v12, v12
	v_xor_b32_e32 v13, v9, v10
	s_delay_alu instid0(VALU_DEP_2) | instskip(NEXT) | instid1(VALU_DEP_1)
	v_xor_b32_e32 v12, v12, v10
	v_sub_nc_u64_e32 v[10:11], v[12:13], v[10:11]
.LBB70_2427:
	s_mov_b32 s7, 0
.LBB70_2428:
	s_delay_alu instid0(SALU_CYCLE_1)
	s_and_not1_b32 vcc_lo, exec_lo, s7
	s_cbranch_vccnz .LBB70_2430
; %bb.2429:
	global_load_u8 v9, v[6:7], off
	s_wait_loadcnt 0x0
	v_lshlrev_b32_e32 v10, 25, v9
	v_lshlrev_b16 v9, 8, v9
	s_delay_alu instid0(VALU_DEP_1) | instskip(SKIP_1) | instid1(VALU_DEP_2)
	v_and_or_b32 v12, 0x7f00, v9, 0.5
	v_bfe_i32 v9, v9, 0, 16
	v_dual_add_f32 v12, -0.5, v12 :: v_dual_lshrrev_b32 v11, 4, v10
	v_cmp_gt_u32_e32 vcc_lo, 0x8000000, v10
	s_delay_alu instid0(VALU_DEP_2) | instskip(NEXT) | instid1(VALU_DEP_1)
	v_or_b32_e32 v11, 0x70000000, v11
	v_mul_f32_e32 v11, 0x7800000, v11
	s_delay_alu instid0(VALU_DEP_1) | instskip(NEXT) | instid1(VALU_DEP_1)
	v_cndmask_b32_e32 v10, v11, v12, vcc_lo
	v_and_or_b32 v9, 0x80000000, v9, v10
	s_delay_alu instid0(VALU_DEP_1) | instskip(NEXT) | instid1(VALU_DEP_1)
	v_trunc_f32_e32 v9, v9
	v_mul_f32_e64 v10, 0x2f800000, |v9|
	s_delay_alu instid0(VALU_DEP_1) | instskip(SKIP_1) | instid1(VALU_DEP_2)
	v_floor_f32_e32 v11, v10
	v_ashrrev_i32_e32 v10, 31, v9
	v_fma_f32 v12, 0xcf800000, v11, |v9|
	v_cvt_u32_f32_e32 v9, v11
	s_delay_alu instid0(VALU_DEP_3) | instskip(NEXT) | instid1(VALU_DEP_3)
	v_mov_b32_e32 v11, v10
	v_cvt_u32_f32_e32 v12, v12
	s_delay_alu instid0(VALU_DEP_3) | instskip(NEXT) | instid1(VALU_DEP_2)
	v_xor_b32_e32 v13, v9, v10
	v_xor_b32_e32 v12, v12, v10
	s_delay_alu instid0(VALU_DEP_1)
	v_sub_nc_u64_e32 v[10:11], v[12:13], v[10:11]
.LBB70_2430:
	s_mov_b32 s7, 0
	s_mov_b32 s9, -1
.LBB70_2431:
	s_and_not1_b32 vcc_lo, exec_lo, s7
	s_mov_b32 s7, 0
	s_cbranch_vccnz .LBB70_2442
; %bb.2432:
	s_cmp_gt_i32 s0, 14
	s_cbranch_scc0 .LBB70_2435
; %bb.2433:
	s_cmp_eq_u32 s0, 15
	s_cbranch_scc0 .LBB70_2438
; %bb.2434:
	global_load_u16 v9, v[6:7], off
	s_mov_b32 s6, 0
	s_mov_b32 s9, -1
	s_wait_loadcnt 0x0
	v_lshlrev_b32_e32 v9, 16, v9
	s_delay_alu instid0(VALU_DEP_1) | instskip(NEXT) | instid1(VALU_DEP_1)
	v_trunc_f32_e32 v9, v9
	v_mul_f32_e64 v10, 0x2f800000, |v9|
	s_delay_alu instid0(VALU_DEP_1) | instskip(SKIP_1) | instid1(VALU_DEP_2)
	v_floor_f32_e32 v11, v10
	v_ashrrev_i32_e32 v10, 31, v9
	v_fma_f32 v12, 0xcf800000, v11, |v9|
	v_cvt_u32_f32_e32 v9, v11
	s_delay_alu instid0(VALU_DEP_3) | instskip(NEXT) | instid1(VALU_DEP_3)
	v_mov_b32_e32 v11, v10
	v_cvt_u32_f32_e32 v12, v12
	s_delay_alu instid0(VALU_DEP_3) | instskip(NEXT) | instid1(VALU_DEP_2)
	v_xor_b32_e32 v13, v9, v10
	v_xor_b32_e32 v12, v12, v10
	s_delay_alu instid0(VALU_DEP_1)
	v_sub_nc_u64_e32 v[10:11], v[12:13], v[10:11]
	s_branch .LBB70_2440
.LBB70_2435:
	s_mov_b32 s7, -1
	s_branch .LBB70_2439
.LBB70_2436:
	s_and_not1_saveexec_b32 s7, s7
	s_cbranch_execz .LBB70_2417
.LBB70_2437:
	v_cmp_ne_u16_e32 vcc_lo, 0, v9
	s_and_not1_b32 s9, s9, exec_lo
	s_and_b32 s16, vcc_lo, exec_lo
	s_delay_alu instid0(SALU_CYCLE_1)
	s_or_b32 s9, s9, s16
	s_or_b32 exec_lo, exec_lo, s7
	v_mov_b64_e32 v[10:11], 0
	s_and_saveexec_b32 s7, s9
	s_cbranch_execnz .LBB70_2418
	s_branch .LBB70_2419
.LBB70_2438:
	s_mov_b32 s6, -1
.LBB70_2439:
                                        ; implicit-def: $vgpr10_vgpr11
.LBB70_2440:
	s_and_b32 vcc_lo, exec_lo, s7
	s_mov_b32 s7, 0
	s_cbranch_vccz .LBB70_2442
; %bb.2441:
	s_cmp_lg_u32 s0, 11
	s_mov_b32 s7, -1
	s_cselect_b32 s6, -1, 0
.LBB70_2442:
	s_delay_alu instid0(SALU_CYCLE_1)
	s_and_b32 vcc_lo, exec_lo, s6
	s_cbranch_vccnz .LBB70_2507
; %bb.2443:
	s_and_not1_b32 vcc_lo, exec_lo, s7
	s_cbranch_vccnz .LBB70_2445
.LBB70_2444:
	global_load_u8 v9, v[6:7], off
	s_mov_b32 s0, 0
	s_mov_b32 s9, -1
	s_wait_loadcnt 0x1
	v_mov_b32_e32 v11, s0
	s_wait_loadcnt 0x0
	v_cmp_ne_u16_e32 vcc_lo, 0, v9
	v_cndmask_b32_e64 v10, 0, 1, vcc_lo
.LBB70_2445:
	s_mov_b32 s0, 0
.LBB70_2446:
	s_delay_alu instid0(SALU_CYCLE_1)
	s_and_b32 vcc_lo, exec_lo, s0
	s_cbranch_vccz .LBB70_2495
; %bb.2447:
	s_and_b32 s0, 0xffff, s13
	s_delay_alu instid0(SALU_CYCLE_1)
	s_cmp_lt_i32 s0, 5
	s_cbranch_scc1 .LBB70_2452
; %bb.2448:
	s_cmp_lt_i32 s0, 8
	s_cbranch_scc1 .LBB70_2453
; %bb.2449:
	;; [unrolled: 3-line block ×3, first 2 shown]
	s_cmp_gt_i32 s0, 9
	s_cbranch_scc0 .LBB70_2455
; %bb.2451:
	s_wait_loadcnt 0x0
	global_load_b64 v[10:11], v[6:7], off
	s_mov_b32 s6, 0
	s_wait_loadcnt 0x0
	v_trunc_f64_e32 v[10:11], v[10:11]
	s_delay_alu instid0(VALU_DEP_1) | instskip(NEXT) | instid1(VALU_DEP_1)
	v_ldexp_f64 v[12:13], v[10:11], 0xffffffe0
	v_floor_f64_e32 v[12:13], v[12:13]
	s_delay_alu instid0(VALU_DEP_1) | instskip(SKIP_1) | instid1(VALU_DEP_2)
	v_fmamk_f64 v[14:15], v[12:13], 0xc1f00000, v[10:11]
	v_cvt_i32_f64_e32 v11, v[12:13]
	v_cvt_u32_f64_e32 v10, v[14:15]
	s_branch .LBB70_2456
.LBB70_2452:
	s_mov_b32 s6, -1
                                        ; implicit-def: $vgpr10_vgpr11
	s_branch .LBB70_2474
.LBB70_2453:
	s_mov_b32 s6, -1
                                        ; implicit-def: $vgpr10_vgpr11
	s_branch .LBB70_2462
.LBB70_2454:
	s_mov_b32 s6, -1
                                        ; implicit-def: $vgpr10_vgpr11
	s_branch .LBB70_2459
.LBB70_2455:
	s_mov_b32 s6, -1
                                        ; implicit-def: $vgpr10_vgpr11
.LBB70_2456:
	s_delay_alu instid0(SALU_CYCLE_1)
	s_and_not1_b32 vcc_lo, exec_lo, s6
	s_cbranch_vccnz .LBB70_2458
; %bb.2457:
	global_load_b32 v9, v[6:7], off
	s_wait_loadcnt 0x0
	v_trunc_f32_e32 v9, v9
	s_delay_alu instid0(VALU_DEP_1) | instskip(NEXT) | instid1(VALU_DEP_1)
	v_mul_f32_e64 v10, 0x2f800000, |v9|
	v_floor_f32_e32 v11, v10
	v_ashrrev_i32_e32 v10, 31, v9
	s_delay_alu instid0(VALU_DEP_2) | instskip(SKIP_1) | instid1(VALU_DEP_3)
	v_fma_f32 v12, 0xcf800000, v11, |v9|
	v_cvt_u32_f32_e32 v9, v11
	v_mov_b32_e32 v11, v10
	s_delay_alu instid0(VALU_DEP_3) | instskip(NEXT) | instid1(VALU_DEP_3)
	v_cvt_u32_f32_e32 v12, v12
	v_xor_b32_e32 v13, v9, v10
	s_delay_alu instid0(VALU_DEP_2) | instskip(NEXT) | instid1(VALU_DEP_1)
	v_xor_b32_e32 v12, v12, v10
	v_sub_nc_u64_e32 v[10:11], v[12:13], v[10:11]
.LBB70_2458:
	s_mov_b32 s6, 0
.LBB70_2459:
	s_delay_alu instid0(SALU_CYCLE_1)
	s_and_not1_b32 vcc_lo, exec_lo, s6
	s_cbranch_vccnz .LBB70_2461
; %bb.2460:
	global_load_b32 v9, v[6:7], off
	s_wait_loadcnt 0x0
	v_cvt_f32_f16_e32 v9, v9
	s_delay_alu instid0(VALU_DEP_1) | instskip(NEXT) | instid1(VALU_DEP_1)
	v_cvt_i32_f32_e32 v10, v9
	v_ashrrev_i32_e32 v11, 31, v10
.LBB70_2461:
	s_mov_b32 s6, 0
.LBB70_2462:
	s_delay_alu instid0(SALU_CYCLE_1)
	s_and_not1_b32 vcc_lo, exec_lo, s6
	s_cbranch_vccnz .LBB70_2473
; %bb.2463:
	s_cmp_lt_i32 s0, 6
	s_cbranch_scc1 .LBB70_2466
; %bb.2464:
	s_cmp_gt_i32 s0, 6
	s_cbranch_scc0 .LBB70_2467
; %bb.2465:
	s_wait_loadcnt 0x0
	global_load_b64 v[10:11], v[6:7], off
	s_mov_b32 s6, 0
	s_wait_loadcnt 0x0
	v_trunc_f64_e32 v[10:11], v[10:11]
	s_delay_alu instid0(VALU_DEP_1) | instskip(NEXT) | instid1(VALU_DEP_1)
	v_ldexp_f64 v[12:13], v[10:11], 0xffffffe0
	v_floor_f64_e32 v[12:13], v[12:13]
	s_delay_alu instid0(VALU_DEP_1) | instskip(SKIP_1) | instid1(VALU_DEP_2)
	v_fmamk_f64 v[14:15], v[12:13], 0xc1f00000, v[10:11]
	v_cvt_i32_f64_e32 v11, v[12:13]
	v_cvt_u32_f64_e32 v10, v[14:15]
	s_branch .LBB70_2468
.LBB70_2466:
	s_mov_b32 s6, -1
                                        ; implicit-def: $vgpr10_vgpr11
	s_branch .LBB70_2471
.LBB70_2467:
	s_mov_b32 s6, -1
                                        ; implicit-def: $vgpr10_vgpr11
.LBB70_2468:
	s_delay_alu instid0(SALU_CYCLE_1)
	s_and_not1_b32 vcc_lo, exec_lo, s6
	s_cbranch_vccnz .LBB70_2470
; %bb.2469:
	global_load_b32 v9, v[6:7], off
	s_wait_loadcnt 0x0
	v_trunc_f32_e32 v9, v9
	s_delay_alu instid0(VALU_DEP_1) | instskip(NEXT) | instid1(VALU_DEP_1)
	v_mul_f32_e64 v10, 0x2f800000, |v9|
	v_floor_f32_e32 v11, v10
	v_ashrrev_i32_e32 v10, 31, v9
	s_delay_alu instid0(VALU_DEP_2) | instskip(SKIP_1) | instid1(VALU_DEP_3)
	v_fma_f32 v12, 0xcf800000, v11, |v9|
	v_cvt_u32_f32_e32 v9, v11
	v_mov_b32_e32 v11, v10
	s_delay_alu instid0(VALU_DEP_3) | instskip(NEXT) | instid1(VALU_DEP_3)
	v_cvt_u32_f32_e32 v12, v12
	v_xor_b32_e32 v13, v9, v10
	s_delay_alu instid0(VALU_DEP_2) | instskip(NEXT) | instid1(VALU_DEP_1)
	v_xor_b32_e32 v12, v12, v10
	v_sub_nc_u64_e32 v[10:11], v[12:13], v[10:11]
.LBB70_2470:
	s_mov_b32 s6, 0
.LBB70_2471:
	s_delay_alu instid0(SALU_CYCLE_1)
	s_and_not1_b32 vcc_lo, exec_lo, s6
	s_cbranch_vccnz .LBB70_2473
; %bb.2472:
	global_load_u16 v9, v[6:7], off
	s_wait_loadcnt 0x0
	v_cvt_f32_f16_e32 v9, v9
	s_delay_alu instid0(VALU_DEP_1) | instskip(NEXT) | instid1(VALU_DEP_1)
	v_cvt_i32_f32_e32 v10, v9
	v_ashrrev_i32_e32 v11, 31, v10
.LBB70_2473:
	s_mov_b32 s6, 0
.LBB70_2474:
	s_delay_alu instid0(SALU_CYCLE_1)
	s_and_not1_b32 vcc_lo, exec_lo, s6
	s_cbranch_vccnz .LBB70_2494
; %bb.2475:
	s_cmp_lt_i32 s0, 2
	s_cbranch_scc1 .LBB70_2479
; %bb.2476:
	s_cmp_lt_i32 s0, 3
	s_cbranch_scc1 .LBB70_2480
; %bb.2477:
	s_cmp_gt_i32 s0, 3
	s_cbranch_scc0 .LBB70_2481
; %bb.2478:
	s_wait_loadcnt 0x0
	global_load_b64 v[10:11], v[6:7], off
	s_mov_b32 s6, 0
	s_branch .LBB70_2482
.LBB70_2479:
	s_mov_b32 s6, -1
                                        ; implicit-def: $vgpr10_vgpr11
	s_branch .LBB70_2488
.LBB70_2480:
	s_mov_b32 s6, -1
                                        ; implicit-def: $vgpr10_vgpr11
	s_branch .LBB70_2485
.LBB70_2481:
	s_mov_b32 s6, -1
                                        ; implicit-def: $vgpr10_vgpr11
.LBB70_2482:
	s_delay_alu instid0(SALU_CYCLE_1)
	s_and_not1_b32 vcc_lo, exec_lo, s6
	s_cbranch_vccnz .LBB70_2484
; %bb.2483:
	s_wait_loadcnt 0x0
	global_load_b32 v10, v[6:7], off
	s_wait_loadcnt 0x0
	v_ashrrev_i32_e32 v11, 31, v10
.LBB70_2484:
	s_mov_b32 s6, 0
.LBB70_2485:
	s_delay_alu instid0(SALU_CYCLE_1)
	s_and_not1_b32 vcc_lo, exec_lo, s6
	s_cbranch_vccnz .LBB70_2487
; %bb.2486:
	global_load_u16 v9, v[6:7], off
	s_wait_loadcnt 0x0
	v_bfe_i32 v10, v9, 0, 16
	s_delay_alu instid0(VALU_DEP_1)
	v_ashrrev_i32_e32 v11, 31, v10
.LBB70_2487:
	s_mov_b32 s6, 0
.LBB70_2488:
	s_delay_alu instid0(SALU_CYCLE_1)
	s_and_not1_b32 vcc_lo, exec_lo, s6
	s_cbranch_vccnz .LBB70_2494
; %bb.2489:
	s_cmp_gt_i32 s0, 0
	s_mov_b32 s0, 0
	s_cbranch_scc0 .LBB70_2491
; %bb.2490:
	global_load_i8 v9, v[6:7], off
	s_wait_loadcnt 0x0
	v_bfe_i32 v10, v9, 0, 16
	s_delay_alu instid0(VALU_DEP_1)
	v_ashrrev_i32_e32 v11, 31, v10
	s_branch .LBB70_2492
.LBB70_2491:
	s_mov_b32 s0, -1
                                        ; implicit-def: $vgpr10_vgpr11
.LBB70_2492:
	s_delay_alu instid0(SALU_CYCLE_1)
	s_and_not1_b32 vcc_lo, exec_lo, s0
	s_cbranch_vccnz .LBB70_2494
; %bb.2493:
	global_load_u8 v6, v[6:7], off
	s_mov_b32 s0, 0
	s_wait_loadcnt 0x1
	v_mov_b32_e32 v11, s0
	s_wait_loadcnt 0x0
	v_and_b32_e32 v10, 0xffff, v6
.LBB70_2494:
	s_mov_b32 s9, -1
.LBB70_2495:
	s_delay_alu instid0(SALU_CYCLE_1)
	s_and_not1_b32 vcc_lo, exec_lo, s9
	s_cbranch_vccnz .LBB70_2625
; %bb.2496:
	s_wait_xcnt 0x0
	v_add_nc_u32_e32 v6, s10, v8
	s_cmp_lt_i32 s1, 11
	s_delay_alu instid0(VALU_DEP_1) | instskip(NEXT) | instid1(VALU_DEP_1)
	v_ashrrev_i32_e32 v7, 31, v6
	v_add_nc_u64_e32 v[6:7], s[2:3], v[6:7]
	s_cbranch_scc1 .LBB70_2503
; %bb.2497:
	s_and_b32 s0, 0xffff, s1
	s_mov_b32 s3, 0
	s_cmp_gt_i32 s0, 25
	s_cbranch_scc0 .LBB70_2504
; %bb.2498:
	s_cmp_gt_i32 s0, 28
	s_cbranch_scc0 .LBB70_2505
; %bb.2499:
	;; [unrolled: 3-line block ×4, first 2 shown]
	s_cmp_eq_u32 s0, 46
	s_mov_b32 s7, 0
	s_cbranch_scc0 .LBB70_2509
; %bb.2502:
	global_load_b32 v8, v[6:7], off
	s_mov_b32 s2, 0
	s_mov_b32 s6, -1
	s_wait_loadcnt 0x0
	v_lshlrev_b32_e32 v8, 16, v8
	s_delay_alu instid0(VALU_DEP_1) | instskip(NEXT) | instid1(VALU_DEP_1)
	v_trunc_f32_e32 v8, v8
	v_mul_f32_e64 v9, 0x2f800000, |v8|
	s_delay_alu instid0(VALU_DEP_1) | instskip(NEXT) | instid1(VALU_DEP_1)
	v_floor_f32_e32 v9, v9
	v_fma_f32 v12, 0xcf800000, v9, |v8|
	v_ashrrev_i32_e32 v8, 31, v8
	v_cvt_u32_f32_e32 v13, v9
	s_delay_alu instid0(VALU_DEP_3) | instskip(NEXT) | instid1(VALU_DEP_2)
	v_cvt_u32_f32_e32 v12, v12
	v_dual_mov_b32 v9, v8 :: v_dual_bitop2_b32 v13, v13, v8 bitop3:0x14
	s_delay_alu instid0(VALU_DEP_2) | instskip(NEXT) | instid1(VALU_DEP_1)
	v_xor_b32_e32 v12, v12, v8
	v_sub_nc_u64_e32 v[8:9], v[12:13], v[8:9]
	s_branch .LBB70_2511
.LBB70_2503:
	s_mov_b32 s0, -1
	s_mov_b32 s6, 0
                                        ; implicit-def: $vgpr8_vgpr9
	s_branch .LBB70_2573
.LBB70_2504:
	s_mov_b32 s7, -1
	s_mov_b32 s6, 0
	s_mov_b32 s2, 0
                                        ; implicit-def: $vgpr8_vgpr9
	s_branch .LBB70_2538
.LBB70_2505:
	s_mov_b32 s7, -1
	s_mov_b32 s6, 0
	s_mov_b32 s2, 0
                                        ; implicit-def: $vgpr8_vgpr9
	s_branch .LBB70_2521
.LBB70_2506:
	s_mov_b32 s7, -1
	s_mov_b32 s6, 0
	s_mov_b32 s2, 0
                                        ; implicit-def: $vgpr8_vgpr9
	s_branch .LBB70_2516
.LBB70_2507:
	s_or_b32 s12, s12, exec_lo
	s_trap 2
	s_cbranch_execz .LBB70_2444
	s_branch .LBB70_2445
.LBB70_2508:
	s_mov_b32 s7, -1
	s_mov_b32 s6, 0
	s_mov_b32 s2, 0
	s_branch .LBB70_2510
.LBB70_2509:
	s_mov_b32 s2, -1
	s_mov_b32 s6, 0
.LBB70_2510:
                                        ; implicit-def: $vgpr8_vgpr9
.LBB70_2511:
	s_and_b32 vcc_lo, exec_lo, s7
	s_cbranch_vccz .LBB70_2515
; %bb.2512:
	s_cmp_eq_u32 s0, 44
	s_cbranch_scc0 .LBB70_2514
; %bb.2513:
	global_load_u8 v14, v[6:7], off
	s_mov_b32 s2, 0
	s_mov_b32 s6, -1
	s_wait_loadcnt 0x0
	v_cmp_ne_u32_e32 vcc_lo, 0, v14
	v_lshlrev_b32_e32 v8, 23, v14
	s_delay_alu instid0(VALU_DEP_1) | instskip(NEXT) | instid1(VALU_DEP_1)
	v_trunc_f32_e32 v8, v8
	v_mul_f32_e64 v9, 0x2f800000, |v8|
	s_delay_alu instid0(VALU_DEP_1) | instskip(NEXT) | instid1(VALU_DEP_1)
	v_floor_f32_e32 v9, v9
	v_fma_f32 v12, 0xcf800000, v9, |v8|
	v_ashrrev_i32_e32 v8, 31, v8
	v_cvt_u32_f32_e32 v13, v9
	s_delay_alu instid0(VALU_DEP_3) | instskip(NEXT) | instid1(VALU_DEP_2)
	v_cvt_u32_f32_e32 v12, v12
	v_dual_mov_b32 v9, v8 :: v_dual_bitop2_b32 v13, v13, v8 bitop3:0x14
	s_delay_alu instid0(VALU_DEP_2) | instskip(NEXT) | instid1(VALU_DEP_1)
	v_xor_b32_e32 v12, v12, v8
	v_sub_nc_u64_e32 v[8:9], v[12:13], v[8:9]
	s_delay_alu instid0(VALU_DEP_1)
	v_dual_cndmask_b32 v9, 0, v9 :: v_dual_cndmask_b32 v8, 0, v8
	s_branch .LBB70_2515
.LBB70_2514:
	s_mov_b32 s2, -1
                                        ; implicit-def: $vgpr8_vgpr9
.LBB70_2515:
	s_mov_b32 s7, 0
.LBB70_2516:
	s_delay_alu instid0(SALU_CYCLE_1)
	s_and_b32 vcc_lo, exec_lo, s7
	s_cbranch_vccz .LBB70_2520
; %bb.2517:
	s_cmp_eq_u32 s0, 29
	s_cbranch_scc0 .LBB70_2519
; %bb.2518:
	global_load_b64 v[8:9], v[6:7], off
	s_mov_b32 s2, 0
	s_mov_b32 s6, -1
	s_branch .LBB70_2520
.LBB70_2519:
	s_mov_b32 s2, -1
                                        ; implicit-def: $vgpr8_vgpr9
.LBB70_2520:
	s_mov_b32 s7, 0
.LBB70_2521:
	s_delay_alu instid0(SALU_CYCLE_1)
	s_and_b32 vcc_lo, exec_lo, s7
	s_cbranch_vccz .LBB70_2537
; %bb.2522:
	s_cmp_lt_i32 s0, 27
	s_cbranch_scc1 .LBB70_2525
; %bb.2523:
	s_cmp_gt_i32 s0, 27
	s_cbranch_scc0 .LBB70_2526
; %bb.2524:
	s_wait_loadcnt 0x0
	global_load_b32 v8, v[6:7], off
	v_mov_b32_e32 v9, 0
	s_mov_b32 s6, 0
	s_branch .LBB70_2527
.LBB70_2525:
	s_mov_b32 s6, -1
                                        ; implicit-def: $vgpr8_vgpr9
	s_branch .LBB70_2530
.LBB70_2526:
	s_mov_b32 s6, -1
                                        ; implicit-def: $vgpr8_vgpr9
.LBB70_2527:
	s_delay_alu instid0(SALU_CYCLE_1)
	s_and_not1_b32 vcc_lo, exec_lo, s6
	s_cbranch_vccnz .LBB70_2529
; %bb.2528:
	s_wait_loadcnt 0x0
	global_load_u16 v8, v[6:7], off
	s_mov_b32 s6, 0
	s_delay_alu instid0(SALU_CYCLE_1)
	v_mov_b32_e32 v9, s6
	s_wait_loadcnt 0x0
	v_and_b32_e32 v8, 0xffff, v8
.LBB70_2529:
	s_mov_b32 s6, 0
.LBB70_2530:
	s_delay_alu instid0(SALU_CYCLE_1)
	s_and_not1_b32 vcc_lo, exec_lo, s6
	s_cbranch_vccnz .LBB70_2536
; %bb.2531:
	global_load_u8 v12, v[6:7], off
	s_mov_b32 s7, 0
	s_mov_b32 s6, exec_lo
	s_wait_loadcnt 0x0
	v_cmpx_lt_i16_e32 0x7f, v12
	s_xor_b32 s6, exec_lo, s6
	s_cbranch_execz .LBB70_2548
; %bb.2532:
	v_cmp_ne_u16_e32 vcc_lo, 0x80, v12
	s_and_b32 s7, vcc_lo, exec_lo
	s_and_not1_saveexec_b32 s6, s6
	s_cbranch_execnz .LBB70_2549
.LBB70_2533:
	s_or_b32 exec_lo, exec_lo, s6
	v_mov_b64_e32 v[8:9], 0
	s_and_saveexec_b32 s6, s7
	s_cbranch_execz .LBB70_2535
.LBB70_2534:
	v_and_b32_e32 v8, 0xffff, v12
	s_delay_alu instid0(VALU_DEP_1) | instskip(SKIP_1) | instid1(VALU_DEP_2)
	v_and_b32_e32 v9, 7, v8
	v_bfe_u32 v15, v8, 3, 4
	v_clz_i32_u32_e32 v13, v9
	s_delay_alu instid0(VALU_DEP_2) | instskip(NEXT) | instid1(VALU_DEP_2)
	v_cmp_eq_u32_e32 vcc_lo, 0, v15
	v_min_u32_e32 v13, 32, v13
	s_delay_alu instid0(VALU_DEP_1) | instskip(NEXT) | instid1(VALU_DEP_1)
	v_subrev_nc_u32_e32 v14, 28, v13
	v_dual_lshlrev_b32 v8, v14, v8 :: v_dual_sub_nc_u32 v13, 29, v13
	s_delay_alu instid0(VALU_DEP_1) | instskip(NEXT) | instid1(VALU_DEP_2)
	v_and_b32_e32 v8, 7, v8
	v_dual_cndmask_b32 v13, v15, v13 :: v_dual_lshlrev_b32 v12, 24, v12
	s_delay_alu instid0(VALU_DEP_2) | instskip(NEXT) | instid1(VALU_DEP_2)
	v_cndmask_b32_e32 v8, v9, v8, vcc_lo
	v_and_b32_e32 v9, 0x80000000, v12
	s_delay_alu instid0(VALU_DEP_3) | instskip(NEXT) | instid1(VALU_DEP_3)
	v_lshl_add_u32 v12, v13, 23, 0x3b800000
	v_lshlrev_b32_e32 v8, 20, v8
	s_delay_alu instid0(VALU_DEP_1) | instskip(NEXT) | instid1(VALU_DEP_1)
	v_or3_b32 v8, v9, v12, v8
	v_trunc_f32_e32 v8, v8
	s_delay_alu instid0(VALU_DEP_1) | instskip(NEXT) | instid1(VALU_DEP_1)
	v_mul_f32_e64 v9, 0x2f800000, |v8|
	v_floor_f32_e32 v9, v9
	s_delay_alu instid0(VALU_DEP_1) | instskip(SKIP_2) | instid1(VALU_DEP_3)
	v_fma_f32 v12, 0xcf800000, v9, |v8|
	v_ashrrev_i32_e32 v8, 31, v8
	v_cvt_u32_f32_e32 v13, v9
	v_cvt_u32_f32_e32 v12, v12
	s_delay_alu instid0(VALU_DEP_2) | instskip(NEXT) | instid1(VALU_DEP_2)
	v_dual_mov_b32 v9, v8 :: v_dual_bitop2_b32 v13, v13, v8 bitop3:0x14
	v_xor_b32_e32 v12, v12, v8
	s_delay_alu instid0(VALU_DEP_1)
	v_sub_nc_u64_e32 v[8:9], v[12:13], v[8:9]
.LBB70_2535:
	s_or_b32 exec_lo, exec_lo, s6
.LBB70_2536:
	s_mov_b32 s6, -1
.LBB70_2537:
	s_mov_b32 s7, 0
.LBB70_2538:
	s_delay_alu instid0(SALU_CYCLE_1)
	s_and_b32 vcc_lo, exec_lo, s7
	s_cbranch_vccz .LBB70_2569
; %bb.2539:
	s_cmp_gt_i32 s0, 22
	s_cbranch_scc0 .LBB70_2547
; %bb.2540:
	s_cmp_lt_i32 s0, 24
	s_cbranch_scc1 .LBB70_2550
; %bb.2541:
	s_cmp_gt_i32 s0, 24
	s_cbranch_scc0 .LBB70_2551
; %bb.2542:
	global_load_u8 v12, v[6:7], off
	s_mov_b32 s6, 0
	s_mov_b32 s3, exec_lo
	s_wait_loadcnt 0x0
	v_cmpx_lt_i16_e32 0x7f, v12
	s_xor_b32 s3, exec_lo, s3
	s_cbranch_execz .LBB70_2563
; %bb.2543:
	v_cmp_ne_u16_e32 vcc_lo, 0x80, v12
	s_and_b32 s6, vcc_lo, exec_lo
	s_and_not1_saveexec_b32 s3, s3
	s_cbranch_execnz .LBB70_2564
.LBB70_2544:
	s_or_b32 exec_lo, exec_lo, s3
	v_mov_b64_e32 v[8:9], 0
	s_and_saveexec_b32 s3, s6
	s_cbranch_execz .LBB70_2546
.LBB70_2545:
	v_and_b32_e32 v8, 0xffff, v12
	s_delay_alu instid0(VALU_DEP_1) | instskip(SKIP_1) | instid1(VALU_DEP_2)
	v_and_b32_e32 v9, 3, v8
	v_bfe_u32 v15, v8, 2, 5
	v_clz_i32_u32_e32 v13, v9
	s_delay_alu instid0(VALU_DEP_2) | instskip(NEXT) | instid1(VALU_DEP_2)
	v_cmp_eq_u32_e32 vcc_lo, 0, v15
	v_min_u32_e32 v13, 32, v13
	s_delay_alu instid0(VALU_DEP_1) | instskip(NEXT) | instid1(VALU_DEP_1)
	v_subrev_nc_u32_e32 v14, 29, v13
	v_dual_lshlrev_b32 v8, v14, v8 :: v_dual_sub_nc_u32 v13, 30, v13
	s_delay_alu instid0(VALU_DEP_1) | instskip(NEXT) | instid1(VALU_DEP_2)
	v_and_b32_e32 v8, 3, v8
	v_dual_cndmask_b32 v13, v15, v13 :: v_dual_lshlrev_b32 v12, 24, v12
	s_delay_alu instid0(VALU_DEP_2) | instskip(NEXT) | instid1(VALU_DEP_2)
	v_cndmask_b32_e32 v8, v9, v8, vcc_lo
	v_and_b32_e32 v9, 0x80000000, v12
	s_delay_alu instid0(VALU_DEP_3) | instskip(NEXT) | instid1(VALU_DEP_3)
	v_lshl_add_u32 v12, v13, 23, 0x37800000
	v_lshlrev_b32_e32 v8, 21, v8
	s_delay_alu instid0(VALU_DEP_1) | instskip(NEXT) | instid1(VALU_DEP_1)
	v_or3_b32 v8, v9, v12, v8
	v_trunc_f32_e32 v8, v8
	s_delay_alu instid0(VALU_DEP_1) | instskip(NEXT) | instid1(VALU_DEP_1)
	v_mul_f32_e64 v9, 0x2f800000, |v8|
	v_floor_f32_e32 v9, v9
	s_delay_alu instid0(VALU_DEP_1) | instskip(SKIP_2) | instid1(VALU_DEP_3)
	v_fma_f32 v12, 0xcf800000, v9, |v8|
	v_ashrrev_i32_e32 v8, 31, v8
	v_cvt_u32_f32_e32 v13, v9
	v_cvt_u32_f32_e32 v12, v12
	s_delay_alu instid0(VALU_DEP_2) | instskip(NEXT) | instid1(VALU_DEP_2)
	v_dual_mov_b32 v9, v8 :: v_dual_bitop2_b32 v13, v13, v8 bitop3:0x14
	v_xor_b32_e32 v12, v12, v8
	s_delay_alu instid0(VALU_DEP_1)
	v_sub_nc_u64_e32 v[8:9], v[12:13], v[8:9]
.LBB70_2546:
	s_or_b32 exec_lo, exec_lo, s3
	s_mov_b32 s3, 0
	s_branch .LBB70_2552
.LBB70_2547:
	s_mov_b32 s3, -1
                                        ; implicit-def: $vgpr8_vgpr9
	s_branch .LBB70_2558
.LBB70_2548:
	s_and_not1_saveexec_b32 s6, s6
	s_cbranch_execz .LBB70_2533
.LBB70_2549:
	v_cmp_ne_u16_e32 vcc_lo, 0, v12
	s_and_not1_b32 s7, s7, exec_lo
	s_and_b32 s9, vcc_lo, exec_lo
	s_delay_alu instid0(SALU_CYCLE_1)
	s_or_b32 s7, s7, s9
	s_or_b32 exec_lo, exec_lo, s6
	v_mov_b64_e32 v[8:9], 0
	s_and_saveexec_b32 s6, s7
	s_cbranch_execnz .LBB70_2534
	s_branch .LBB70_2535
.LBB70_2550:
	s_mov_b32 s3, -1
                                        ; implicit-def: $vgpr8_vgpr9
	s_branch .LBB70_2555
.LBB70_2551:
	s_mov_b32 s3, -1
                                        ; implicit-def: $vgpr8_vgpr9
.LBB70_2552:
	s_delay_alu instid0(SALU_CYCLE_1)
	s_and_b32 vcc_lo, exec_lo, s3
	s_cbranch_vccz .LBB70_2554
; %bb.2553:
	s_wait_loadcnt 0x0
	global_load_u8 v8, v[6:7], off
	s_wait_loadcnt 0x0
	v_lshlrev_b32_e32 v8, 24, v8
	s_delay_alu instid0(VALU_DEP_1) | instskip(NEXT) | instid1(VALU_DEP_1)
	v_and_b32_e32 v9, 0x7f000000, v8
	v_clz_i32_u32_e32 v12, v9
	v_cmp_ne_u32_e32 vcc_lo, 0, v9
	v_add_nc_u32_e32 v14, 0x1000000, v9
	s_delay_alu instid0(VALU_DEP_3) | instskip(NEXT) | instid1(VALU_DEP_1)
	v_min_u32_e32 v12, 32, v12
	v_sub_nc_u32_e64 v12, v12, 4 clamp
	s_delay_alu instid0(VALU_DEP_1) | instskip(NEXT) | instid1(VALU_DEP_1)
	v_dual_lshlrev_b32 v13, v12, v9 :: v_dual_lshlrev_b32 v12, 23, v12
	v_lshrrev_b32_e32 v13, 4, v13
	s_delay_alu instid0(VALU_DEP_1) | instskip(NEXT) | instid1(VALU_DEP_1)
	v_dual_sub_nc_u32 v12, v13, v12 :: v_dual_ashrrev_i32 v13, 8, v14
	v_add_nc_u32_e32 v12, 0x3c000000, v12
	s_delay_alu instid0(VALU_DEP_1) | instskip(NEXT) | instid1(VALU_DEP_1)
	v_and_or_b32 v12, 0x7f800000, v13, v12
	v_cndmask_b32_e32 v9, 0, v12, vcc_lo
	s_delay_alu instid0(VALU_DEP_1) | instskip(NEXT) | instid1(VALU_DEP_1)
	v_and_or_b32 v8, 0x80000000, v8, v9
	v_trunc_f32_e32 v8, v8
	s_delay_alu instid0(VALU_DEP_1) | instskip(NEXT) | instid1(VALU_DEP_1)
	v_mul_f32_e64 v9, 0x2f800000, |v8|
	v_floor_f32_e32 v9, v9
	s_delay_alu instid0(VALU_DEP_1) | instskip(SKIP_2) | instid1(VALU_DEP_3)
	v_fma_f32 v12, 0xcf800000, v9, |v8|
	v_ashrrev_i32_e32 v8, 31, v8
	v_cvt_u32_f32_e32 v13, v9
	v_cvt_u32_f32_e32 v12, v12
	s_delay_alu instid0(VALU_DEP_2) | instskip(NEXT) | instid1(VALU_DEP_2)
	v_dual_mov_b32 v9, v8 :: v_dual_bitop2_b32 v13, v13, v8 bitop3:0x14
	v_xor_b32_e32 v12, v12, v8
	s_delay_alu instid0(VALU_DEP_1)
	v_sub_nc_u64_e32 v[8:9], v[12:13], v[8:9]
.LBB70_2554:
	s_mov_b32 s3, 0
.LBB70_2555:
	s_delay_alu instid0(SALU_CYCLE_1)
	s_and_not1_b32 vcc_lo, exec_lo, s3
	s_cbranch_vccnz .LBB70_2557
; %bb.2556:
	s_wait_loadcnt 0x0
	global_load_u8 v8, v[6:7], off
	s_wait_loadcnt 0x0
	v_lshlrev_b32_e32 v9, 25, v8
	v_lshlrev_b16 v8, 8, v8
	s_delay_alu instid0(VALU_DEP_1) | instskip(SKIP_1) | instid1(VALU_DEP_2)
	v_and_or_b32 v13, 0x7f00, v8, 0.5
	v_bfe_i32 v8, v8, 0, 16
	v_add_f32_e32 v13, -0.5, v13
	v_lshrrev_b32_e32 v12, 4, v9
	v_cmp_gt_u32_e32 vcc_lo, 0x8000000, v9
	s_delay_alu instid0(VALU_DEP_2) | instskip(NEXT) | instid1(VALU_DEP_1)
	v_or_b32_e32 v12, 0x70000000, v12
	v_mul_f32_e32 v12, 0x7800000, v12
	s_delay_alu instid0(VALU_DEP_1) | instskip(NEXT) | instid1(VALU_DEP_1)
	v_cndmask_b32_e32 v9, v12, v13, vcc_lo
	v_and_or_b32 v8, 0x80000000, v8, v9
	s_delay_alu instid0(VALU_DEP_1) | instskip(NEXT) | instid1(VALU_DEP_1)
	v_trunc_f32_e32 v8, v8
	v_mul_f32_e64 v9, 0x2f800000, |v8|
	s_delay_alu instid0(VALU_DEP_1) | instskip(NEXT) | instid1(VALU_DEP_1)
	v_floor_f32_e32 v9, v9
	v_fma_f32 v12, 0xcf800000, v9, |v8|
	v_ashrrev_i32_e32 v8, 31, v8
	v_cvt_u32_f32_e32 v13, v9
	s_delay_alu instid0(VALU_DEP_3) | instskip(NEXT) | instid1(VALU_DEP_2)
	v_cvt_u32_f32_e32 v12, v12
	v_dual_mov_b32 v9, v8 :: v_dual_bitop2_b32 v13, v13, v8 bitop3:0x14
	s_delay_alu instid0(VALU_DEP_2) | instskip(NEXT) | instid1(VALU_DEP_1)
	v_xor_b32_e32 v12, v12, v8
	v_sub_nc_u64_e32 v[8:9], v[12:13], v[8:9]
.LBB70_2557:
	s_mov_b32 s3, 0
	s_mov_b32 s6, -1
.LBB70_2558:
	s_and_not1_b32 vcc_lo, exec_lo, s3
	s_mov_b32 s3, 0
	s_cbranch_vccnz .LBB70_2569
; %bb.2559:
	s_cmp_gt_i32 s0, 14
	s_cbranch_scc0 .LBB70_2562
; %bb.2560:
	s_cmp_eq_u32 s0, 15
	s_cbranch_scc0 .LBB70_2565
; %bb.2561:
	s_wait_loadcnt 0x0
	global_load_u16 v8, v[6:7], off
	s_mov_b32 s2, 0
	s_mov_b32 s6, -1
	s_wait_loadcnt 0x0
	v_lshlrev_b32_e32 v8, 16, v8
	s_delay_alu instid0(VALU_DEP_1) | instskip(NEXT) | instid1(VALU_DEP_1)
	v_trunc_f32_e32 v8, v8
	v_mul_f32_e64 v9, 0x2f800000, |v8|
	s_delay_alu instid0(VALU_DEP_1) | instskip(NEXT) | instid1(VALU_DEP_1)
	v_floor_f32_e32 v9, v9
	v_fma_f32 v12, 0xcf800000, v9, |v8|
	v_ashrrev_i32_e32 v8, 31, v8
	v_cvt_u32_f32_e32 v13, v9
	s_delay_alu instid0(VALU_DEP_3) | instskip(NEXT) | instid1(VALU_DEP_2)
	v_cvt_u32_f32_e32 v12, v12
	v_dual_mov_b32 v9, v8 :: v_dual_bitop2_b32 v13, v13, v8 bitop3:0x14
	s_delay_alu instid0(VALU_DEP_2) | instskip(NEXT) | instid1(VALU_DEP_1)
	v_xor_b32_e32 v12, v12, v8
	v_sub_nc_u64_e32 v[8:9], v[12:13], v[8:9]
	s_branch .LBB70_2567
.LBB70_2562:
	s_mov_b32 s3, -1
	s_branch .LBB70_2566
.LBB70_2563:
	s_and_not1_saveexec_b32 s3, s3
	s_cbranch_execz .LBB70_2544
.LBB70_2564:
	v_cmp_ne_u16_e32 vcc_lo, 0, v12
	s_and_not1_b32 s6, s6, exec_lo
	s_and_b32 s7, vcc_lo, exec_lo
	s_delay_alu instid0(SALU_CYCLE_1)
	s_or_b32 s6, s6, s7
	s_or_b32 exec_lo, exec_lo, s3
	v_mov_b64_e32 v[8:9], 0
	s_and_saveexec_b32 s3, s6
	s_cbranch_execnz .LBB70_2545
	s_branch .LBB70_2546
.LBB70_2565:
	s_mov_b32 s2, -1
.LBB70_2566:
                                        ; implicit-def: $vgpr8_vgpr9
.LBB70_2567:
	s_and_b32 vcc_lo, exec_lo, s3
	s_mov_b32 s3, 0
	s_cbranch_vccz .LBB70_2569
; %bb.2568:
	s_cmp_lg_u32 s0, 11
	s_mov_b32 s3, -1
	s_cselect_b32 s2, -1, 0
.LBB70_2569:
	s_delay_alu instid0(SALU_CYCLE_1)
	s_and_b32 vcc_lo, exec_lo, s2
	s_cbranch_vccnz .LBB70_3117
; %bb.2570:
	s_and_not1_b32 vcc_lo, exec_lo, s3
	s_cbranch_vccnz .LBB70_2572
.LBB70_2571:
	s_wait_loadcnt 0x0
	global_load_u8 v8, v[6:7], off
	s_mov_b32 s0, 0
	s_mov_b32 s6, -1
	v_mov_b32_e32 v9, s0
	s_wait_loadcnt 0x0
	v_cmp_ne_u16_e32 vcc_lo, 0, v8
	v_cndmask_b32_e64 v8, 0, 1, vcc_lo
.LBB70_2572:
	s_mov_b32 s0, 0
.LBB70_2573:
	s_delay_alu instid0(SALU_CYCLE_1)
	s_and_b32 vcc_lo, exec_lo, s0
	s_cbranch_vccz .LBB70_2622
; %bb.2574:
	s_and_b32 s0, 0xffff, s1
	s_delay_alu instid0(SALU_CYCLE_1)
	s_cmp_lt_i32 s0, 5
	s_cbranch_scc1 .LBB70_2579
; %bb.2575:
	s_cmp_lt_i32 s0, 8
	s_cbranch_scc1 .LBB70_2580
; %bb.2576:
	s_cmp_lt_i32 s0, 9
	s_cbranch_scc1 .LBB70_2581
; %bb.2577:
	s_cmp_gt_i32 s0, 9
	s_cbranch_scc0 .LBB70_2582
; %bb.2578:
	s_wait_loadcnt 0x0
	global_load_b64 v[8:9], v[6:7], off
	s_mov_b32 s1, 0
	s_wait_loadcnt 0x0
	v_trunc_f64_e32 v[8:9], v[8:9]
	s_delay_alu instid0(VALU_DEP_1) | instskip(NEXT) | instid1(VALU_DEP_1)
	v_ldexp_f64 v[12:13], v[8:9], 0xffffffe0
	v_floor_f64_e32 v[12:13], v[12:13]
	s_delay_alu instid0(VALU_DEP_1) | instskip(SKIP_1) | instid1(VALU_DEP_2)
	v_fmamk_f64 v[14:15], v[12:13], 0xc1f00000, v[8:9]
	v_cvt_i32_f64_e32 v9, v[12:13]
	v_cvt_u32_f64_e32 v8, v[14:15]
	s_branch .LBB70_2583
.LBB70_2579:
	s_mov_b32 s1, -1
                                        ; implicit-def: $vgpr8_vgpr9
	s_branch .LBB70_2601
.LBB70_2580:
	s_mov_b32 s1, -1
                                        ; implicit-def: $vgpr8_vgpr9
	s_branch .LBB70_2589
.LBB70_2581:
	s_mov_b32 s1, -1
                                        ; implicit-def: $vgpr8_vgpr9
	s_branch .LBB70_2586
.LBB70_2582:
	s_mov_b32 s1, -1
                                        ; implicit-def: $vgpr8_vgpr9
.LBB70_2583:
	s_delay_alu instid0(SALU_CYCLE_1)
	s_and_not1_b32 vcc_lo, exec_lo, s1
	s_cbranch_vccnz .LBB70_2585
; %bb.2584:
	s_wait_loadcnt 0x0
	global_load_b32 v8, v[6:7], off
	s_wait_loadcnt 0x0
	v_trunc_f32_e32 v8, v8
	s_delay_alu instid0(VALU_DEP_1) | instskip(NEXT) | instid1(VALU_DEP_1)
	v_mul_f32_e64 v9, 0x2f800000, |v8|
	v_floor_f32_e32 v9, v9
	s_delay_alu instid0(VALU_DEP_1) | instskip(SKIP_2) | instid1(VALU_DEP_3)
	v_fma_f32 v12, 0xcf800000, v9, |v8|
	v_ashrrev_i32_e32 v8, 31, v8
	v_cvt_u32_f32_e32 v13, v9
	v_cvt_u32_f32_e32 v12, v12
	s_delay_alu instid0(VALU_DEP_2) | instskip(NEXT) | instid1(VALU_DEP_2)
	v_dual_mov_b32 v9, v8 :: v_dual_bitop2_b32 v13, v13, v8 bitop3:0x14
	v_xor_b32_e32 v12, v12, v8
	s_delay_alu instid0(VALU_DEP_1)
	v_sub_nc_u64_e32 v[8:9], v[12:13], v[8:9]
.LBB70_2585:
	s_mov_b32 s1, 0
.LBB70_2586:
	s_delay_alu instid0(SALU_CYCLE_1)
	s_and_not1_b32 vcc_lo, exec_lo, s1
	s_cbranch_vccnz .LBB70_2588
; %bb.2587:
	s_wait_loadcnt 0x0
	global_load_b32 v8, v[6:7], off
	s_wait_loadcnt 0x0
	v_cvt_f32_f16_e32 v8, v8
	s_delay_alu instid0(VALU_DEP_1) | instskip(NEXT) | instid1(VALU_DEP_1)
	v_cvt_i32_f32_e32 v8, v8
	v_ashrrev_i32_e32 v9, 31, v8
.LBB70_2588:
	s_mov_b32 s1, 0
.LBB70_2589:
	s_delay_alu instid0(SALU_CYCLE_1)
	s_and_not1_b32 vcc_lo, exec_lo, s1
	s_cbranch_vccnz .LBB70_2600
; %bb.2590:
	s_cmp_lt_i32 s0, 6
	s_cbranch_scc1 .LBB70_2593
; %bb.2591:
	s_cmp_gt_i32 s0, 6
	s_cbranch_scc0 .LBB70_2594
; %bb.2592:
	s_wait_loadcnt 0x0
	global_load_b64 v[8:9], v[6:7], off
	s_mov_b32 s1, 0
	s_wait_loadcnt 0x0
	v_trunc_f64_e32 v[8:9], v[8:9]
	s_delay_alu instid0(VALU_DEP_1) | instskip(NEXT) | instid1(VALU_DEP_1)
	v_ldexp_f64 v[12:13], v[8:9], 0xffffffe0
	v_floor_f64_e32 v[12:13], v[12:13]
	s_delay_alu instid0(VALU_DEP_1) | instskip(SKIP_1) | instid1(VALU_DEP_2)
	v_fmamk_f64 v[14:15], v[12:13], 0xc1f00000, v[8:9]
	v_cvt_i32_f64_e32 v9, v[12:13]
	v_cvt_u32_f64_e32 v8, v[14:15]
	s_branch .LBB70_2595
.LBB70_2593:
	s_mov_b32 s1, -1
                                        ; implicit-def: $vgpr8_vgpr9
	s_branch .LBB70_2598
.LBB70_2594:
	s_mov_b32 s1, -1
                                        ; implicit-def: $vgpr8_vgpr9
.LBB70_2595:
	s_delay_alu instid0(SALU_CYCLE_1)
	s_and_not1_b32 vcc_lo, exec_lo, s1
	s_cbranch_vccnz .LBB70_2597
; %bb.2596:
	s_wait_loadcnt 0x0
	global_load_b32 v8, v[6:7], off
	s_wait_loadcnt 0x0
	v_trunc_f32_e32 v8, v8
	s_delay_alu instid0(VALU_DEP_1) | instskip(NEXT) | instid1(VALU_DEP_1)
	v_mul_f32_e64 v9, 0x2f800000, |v8|
	v_floor_f32_e32 v9, v9
	s_delay_alu instid0(VALU_DEP_1) | instskip(SKIP_2) | instid1(VALU_DEP_3)
	v_fma_f32 v12, 0xcf800000, v9, |v8|
	v_ashrrev_i32_e32 v8, 31, v8
	v_cvt_u32_f32_e32 v13, v9
	v_cvt_u32_f32_e32 v12, v12
	s_delay_alu instid0(VALU_DEP_2) | instskip(NEXT) | instid1(VALU_DEP_2)
	v_dual_mov_b32 v9, v8 :: v_dual_bitop2_b32 v13, v13, v8 bitop3:0x14
	v_xor_b32_e32 v12, v12, v8
	s_delay_alu instid0(VALU_DEP_1)
	v_sub_nc_u64_e32 v[8:9], v[12:13], v[8:9]
.LBB70_2597:
	s_mov_b32 s1, 0
.LBB70_2598:
	s_delay_alu instid0(SALU_CYCLE_1)
	s_and_not1_b32 vcc_lo, exec_lo, s1
	s_cbranch_vccnz .LBB70_2600
; %bb.2599:
	s_wait_loadcnt 0x0
	global_load_u16 v8, v[6:7], off
	s_wait_loadcnt 0x0
	v_cvt_f32_f16_e32 v8, v8
	s_delay_alu instid0(VALU_DEP_1) | instskip(NEXT) | instid1(VALU_DEP_1)
	v_cvt_i32_f32_e32 v8, v8
	v_ashrrev_i32_e32 v9, 31, v8
.LBB70_2600:
	s_mov_b32 s1, 0
.LBB70_2601:
	s_delay_alu instid0(SALU_CYCLE_1)
	s_and_not1_b32 vcc_lo, exec_lo, s1
	s_cbranch_vccnz .LBB70_2621
; %bb.2602:
	s_cmp_lt_i32 s0, 2
	s_cbranch_scc1 .LBB70_2606
; %bb.2603:
	s_cmp_lt_i32 s0, 3
	s_cbranch_scc1 .LBB70_2607
; %bb.2604:
	s_cmp_gt_i32 s0, 3
	s_cbranch_scc0 .LBB70_2608
; %bb.2605:
	s_wait_loadcnt 0x0
	global_load_b64 v[8:9], v[6:7], off
	s_mov_b32 s1, 0
	s_branch .LBB70_2609
.LBB70_2606:
	s_mov_b32 s1, -1
                                        ; implicit-def: $vgpr8_vgpr9
	s_branch .LBB70_2615
.LBB70_2607:
	s_mov_b32 s1, -1
                                        ; implicit-def: $vgpr8_vgpr9
	s_branch .LBB70_2612
.LBB70_2608:
	s_mov_b32 s1, -1
                                        ; implicit-def: $vgpr8_vgpr9
.LBB70_2609:
	s_delay_alu instid0(SALU_CYCLE_1)
	s_and_not1_b32 vcc_lo, exec_lo, s1
	s_cbranch_vccnz .LBB70_2611
; %bb.2610:
	s_wait_loadcnt 0x0
	global_load_b32 v8, v[6:7], off
	s_wait_loadcnt 0x0
	v_ashrrev_i32_e32 v9, 31, v8
.LBB70_2611:
	s_mov_b32 s1, 0
.LBB70_2612:
	s_delay_alu instid0(SALU_CYCLE_1)
	s_and_not1_b32 vcc_lo, exec_lo, s1
	s_cbranch_vccnz .LBB70_2614
; %bb.2613:
	s_wait_loadcnt 0x0
	global_load_u16 v8, v[6:7], off
	s_wait_loadcnt 0x0
	v_bfe_i32 v8, v8, 0, 16
	s_delay_alu instid0(VALU_DEP_1)
	v_ashrrev_i32_e32 v9, 31, v8
.LBB70_2614:
	s_mov_b32 s1, 0
.LBB70_2615:
	s_delay_alu instid0(SALU_CYCLE_1)
	s_and_not1_b32 vcc_lo, exec_lo, s1
	s_cbranch_vccnz .LBB70_2621
; %bb.2616:
	s_cmp_gt_i32 s0, 0
	s_mov_b32 s0, 0
	s_cbranch_scc0 .LBB70_2618
; %bb.2617:
	s_wait_loadcnt 0x0
	global_load_i8 v8, v[6:7], off
	s_wait_loadcnt 0x0
	v_bfe_i32 v8, v8, 0, 16
	s_delay_alu instid0(VALU_DEP_1)
	v_ashrrev_i32_e32 v9, 31, v8
	s_branch .LBB70_2619
.LBB70_2618:
	s_mov_b32 s0, -1
                                        ; implicit-def: $vgpr8_vgpr9
.LBB70_2619:
	s_delay_alu instid0(SALU_CYCLE_1)
	s_and_not1_b32 vcc_lo, exec_lo, s0
	s_cbranch_vccnz .LBB70_2621
; %bb.2620:
	global_load_u8 v6, v[6:7], off
	s_mov_b32 s0, 0
	s_wait_loadcnt 0x1
	v_mov_b32_e32 v9, s0
	s_wait_loadcnt 0x0
	v_and_b32_e32 v8, 0xffff, v6
.LBB70_2621:
	s_mov_b32 s6, -1
.LBB70_2622:
	s_delay_alu instid0(SALU_CYCLE_1)
	s_and_not1_b32 vcc_lo, exec_lo, s6
	s_cbranch_vccnz .LBB70_2625
; %bb.2623:
	s_wait_loadcnt 0x0
	s_delay_alu instid0(VALU_DEP_1) | instskip(SKIP_1) | instid1(VALU_DEP_1)
	v_sub_nc_u64_e32 v[6:7], 0, v[8:9]
	s_mov_b32 s1, exec_lo
	v_max_i64 v[12:13], v[8:9], v[6:7]
	v_cmpx_ne_u64_e32 0, v[10:11]
	s_cbranch_execz .LBB70_2676
; %bb.2624:
	v_sub_nc_u64_e32 v[6:7], 0, v[10:11]
	s_mov_b32 s2, 0
	s_delay_alu instid0(VALU_DEP_1)
	v_max_i64 v[16:17], v[10:11], v[6:7]
	v_mov_b32_e32 v6, 0
	s_branch .LBB70_2671
.LBB70_2625:
	s_mov_b32 s0, 0
	s_mov_b32 s2, 0
                                        ; implicit-def: $sgpr16
                                        ; implicit-def: $vgpr0_vgpr1
                                        ; implicit-def: $vgpr6_vgpr7
.LBB70_2626:
	s_and_not1_b32 s1, s15, exec_lo
	s_and_b32 s3, s12, exec_lo
	s_and_b32 s0, s0, exec_lo
	;; [unrolled: 1-line block ×3, first 2 shown]
	s_or_b32 s15, s1, s3
.LBB70_2627:
	s_wait_xcnt 0x0
	s_or_b32 exec_lo, exec_lo, s14
	s_and_saveexec_b32 s1, s15
	s_cbranch_execz .LBB70_2630
; %bb.2628:
	; divergent unreachable
	s_or_b32 exec_lo, exec_lo, s1
	s_and_saveexec_b32 s1, s12
	s_delay_alu instid0(SALU_CYCLE_1)
	s_xor_b32 s1, exec_lo, s1
	s_cbranch_execnz .LBB70_2631
.LBB70_2629:
	s_or_b32 exec_lo, exec_lo, s1
	s_and_saveexec_b32 s1, s0
	s_cbranch_execnz .LBB70_2632
	s_branch .LBB70_2669
.LBB70_2630:
	s_or_b32 exec_lo, exec_lo, s1
	s_and_saveexec_b32 s1, s12
	s_delay_alu instid0(SALU_CYCLE_1)
	s_xor_b32 s1, exec_lo, s1
	s_cbranch_execz .LBB70_2629
.LBB70_2631:
	s_wait_loadcnt 0x0
	s_delay_alu instid0(VALU_DEP_4)
	v_cmp_ne_u64_e32 vcc_lo, 0, v[6:7]
	v_cndmask_b32_e64 v2, 0, 1, vcc_lo
	global_store_b8 v[0:1], v2, off
	s_wait_xcnt 0x0
	s_or_b32 exec_lo, exec_lo, s1
	s_and_saveexec_b32 s1, s0
	s_cbranch_execz .LBB70_2669
.LBB70_2632:
	s_sext_i32_i16 s1, s16
	s_mov_b32 s0, -1
	s_cmp_lt_i32 s1, 5
	s_cbranch_scc1 .LBB70_2653
; %bb.2633:
	s_cmp_lt_i32 s1, 8
	s_cbranch_scc1 .LBB70_2643
; %bb.2634:
	;; [unrolled: 3-line block ×3, first 2 shown]
	s_cmp_gt_i32 s1, 9
	s_cbranch_scc0 .LBB70_2637
; %bb.2636:
	s_wait_loadcnt 0x0
	v_cvt_f64_u32_e32 v[2:3], v7
	v_cvt_f64_u32_e32 v[4:5], v6
	s_mov_b32 s0, 0
	s_delay_alu instid0(VALU_DEP_2) | instskip(NEXT) | instid1(VALU_DEP_1)
	v_ldexp_f64 v[2:3], v[2:3], 32
	v_dual_add_f64 v[2:3], v[2:3], v[4:5] :: v_dual_mov_b32 v4, 0
	s_delay_alu instid0(VALU_DEP_1)
	v_mov_b32_e32 v5, v4
	global_store_b128 v[0:1], v[2:5], off
.LBB70_2637:
	s_and_not1_b32 vcc_lo, exec_lo, s0
	s_cbranch_vccnz .LBB70_2639
; %bb.2638:
	s_wait_loadcnt 0x0
	v_clz_i32_u32_e32 v2, v7
	s_delay_alu instid0(VALU_DEP_1) | instskip(NEXT) | instid1(VALU_DEP_1)
	v_min_u32_e32 v4, 32, v2
	v_lshlrev_b64_e32 v[2:3], v4, v[6:7]
	s_delay_alu instid0(VALU_DEP_1) | instskip(NEXT) | instid1(VALU_DEP_1)
	v_min_u32_e32 v2, 1, v2
	v_dual_sub_nc_u32 v3, 32, v4 :: v_dual_bitop2_b32 v2, v3, v2 bitop3:0x54
	s_delay_alu instid0(VALU_DEP_1) | instskip(NEXT) | instid1(VALU_DEP_1)
	v_cvt_f32_u32_e32 v2, v2
	v_ldexp_f32 v2, v2, v3
	v_mov_b32_e32 v3, 0
	global_store_b64 v[0:1], v[2:3], off
.LBB70_2639:
	s_mov_b32 s0, 0
.LBB70_2640:
	s_delay_alu instid0(SALU_CYCLE_1)
	s_and_not1_b32 vcc_lo, exec_lo, s0
	s_cbranch_vccnz .LBB70_2642
; %bb.2641:
	s_wait_loadcnt 0x0
	v_clz_i32_u32_e32 v2, v7
	s_delay_alu instid0(VALU_DEP_1) | instskip(NEXT) | instid1(VALU_DEP_1)
	v_min_u32_e32 v4, 32, v2
	v_lshlrev_b64_e32 v[2:3], v4, v[6:7]
	s_delay_alu instid0(VALU_DEP_1) | instskip(NEXT) | instid1(VALU_DEP_1)
	v_min_u32_e32 v2, 1, v2
	v_dual_sub_nc_u32 v3, 32, v4 :: v_dual_bitop2_b32 v2, v3, v2 bitop3:0x54
	s_delay_alu instid0(VALU_DEP_1) | instskip(NEXT) | instid1(VALU_DEP_1)
	v_cvt_f32_u32_e32 v2, v2
	v_ldexp_f32 v2, v2, v3
	s_delay_alu instid0(VALU_DEP_1) | instskip(NEXT) | instid1(VALU_DEP_1)
	v_cvt_f16_f32_e32 v2, v2
	v_and_b32_e32 v2, 0xffff, v2
	global_store_b32 v[0:1], v2, off
.LBB70_2642:
	s_mov_b32 s0, 0
.LBB70_2643:
	s_delay_alu instid0(SALU_CYCLE_1)
	s_and_not1_b32 vcc_lo, exec_lo, s0
	s_cbranch_vccnz .LBB70_2652
; %bb.2644:
	s_sext_i32_i16 s1, s16
	s_mov_b32 s0, -1
	s_cmp_lt_i32 s1, 6
	s_cbranch_scc1 .LBB70_2650
; %bb.2645:
	s_cmp_gt_i32 s1, 6
	s_cbranch_scc0 .LBB70_2647
; %bb.2646:
	s_wait_loadcnt 0x0
	v_cvt_f64_u32_e32 v[2:3], v7
	v_cvt_f64_u32_e32 v[4:5], v6
	s_mov_b32 s0, 0
	s_delay_alu instid0(VALU_DEP_2) | instskip(NEXT) | instid1(VALU_DEP_1)
	v_ldexp_f64 v[2:3], v[2:3], 32
	v_add_f64_e32 v[2:3], v[2:3], v[4:5]
	global_store_b64 v[0:1], v[2:3], off
.LBB70_2647:
	s_and_not1_b32 vcc_lo, exec_lo, s0
	s_cbranch_vccnz .LBB70_2649
; %bb.2648:
	s_wait_loadcnt 0x0
	v_clz_i32_u32_e32 v2, v7
	s_delay_alu instid0(VALU_DEP_1) | instskip(NEXT) | instid1(VALU_DEP_1)
	v_min_u32_e32 v4, 32, v2
	v_lshlrev_b64_e32 v[2:3], v4, v[6:7]
	s_delay_alu instid0(VALU_DEP_1) | instskip(NEXT) | instid1(VALU_DEP_1)
	v_min_u32_e32 v2, 1, v2
	v_dual_sub_nc_u32 v3, 32, v4 :: v_dual_bitop2_b32 v2, v3, v2 bitop3:0x54
	s_delay_alu instid0(VALU_DEP_1) | instskip(NEXT) | instid1(VALU_DEP_1)
	v_cvt_f32_u32_e32 v2, v2
	v_ldexp_f32 v2, v2, v3
	global_store_b32 v[0:1], v2, off
.LBB70_2649:
	s_mov_b32 s0, 0
.LBB70_2650:
	s_delay_alu instid0(SALU_CYCLE_1)
	s_and_not1_b32 vcc_lo, exec_lo, s0
	s_cbranch_vccnz .LBB70_2652
; %bb.2651:
	s_wait_loadcnt 0x0
	v_clz_i32_u32_e32 v2, v7
	s_delay_alu instid0(VALU_DEP_1) | instskip(NEXT) | instid1(VALU_DEP_1)
	v_min_u32_e32 v4, 32, v2
	v_lshlrev_b64_e32 v[2:3], v4, v[6:7]
	s_delay_alu instid0(VALU_DEP_1) | instskip(NEXT) | instid1(VALU_DEP_1)
	v_min_u32_e32 v2, 1, v2
	v_dual_sub_nc_u32 v3, 32, v4 :: v_dual_bitop2_b32 v2, v3, v2 bitop3:0x54
	s_delay_alu instid0(VALU_DEP_1) | instskip(NEXT) | instid1(VALU_DEP_1)
	v_cvt_f32_u32_e32 v2, v2
	v_ldexp_f32 v2, v2, v3
	s_delay_alu instid0(VALU_DEP_1)
	v_cvt_f16_f32_e32 v2, v2
	global_store_b16 v[0:1], v2, off
.LBB70_2652:
	s_mov_b32 s0, 0
.LBB70_2653:
	s_delay_alu instid0(SALU_CYCLE_1)
	s_and_not1_b32 vcc_lo, exec_lo, s0
	s_cbranch_vccnz .LBB70_2669
; %bb.2654:
	s_sext_i32_i16 s1, s16
	s_mov_b32 s0, -1
	s_cmp_lt_i32 s1, 2
	s_cbranch_scc1 .LBB70_2664
; %bb.2655:
	s_cmp_lt_i32 s1, 3
	s_cbranch_scc1 .LBB70_2661
; %bb.2656:
	s_cmp_gt_i32 s1, 3
	s_cbranch_scc0 .LBB70_2658
; %bb.2657:
	s_mov_b32 s0, 0
	s_wait_loadcnt 0x0
	global_store_b64 v[0:1], v[6:7], off
.LBB70_2658:
	s_and_not1_b32 vcc_lo, exec_lo, s0
	s_cbranch_vccnz .LBB70_2660
; %bb.2659:
	s_wait_loadcnt 0x0
	global_store_b32 v[0:1], v6, off
.LBB70_2660:
	s_mov_b32 s0, 0
.LBB70_2661:
	s_delay_alu instid0(SALU_CYCLE_1)
	s_and_not1_b32 vcc_lo, exec_lo, s0
	s_cbranch_vccnz .LBB70_2663
; %bb.2662:
	s_wait_loadcnt 0x0
	global_store_b16 v[0:1], v6, off
.LBB70_2663:
	s_mov_b32 s0, 0
.LBB70_2664:
	s_delay_alu instid0(SALU_CYCLE_1)
	s_and_not1_b32 vcc_lo, exec_lo, s0
	s_cbranch_vccnz .LBB70_2669
; %bb.2665:
	s_sext_i32_i16 s0, s16
	s_delay_alu instid0(SALU_CYCLE_1)
	s_cmp_gt_i32 s0, 0
	s_mov_b32 s0, -1
	s_cbranch_scc0 .LBB70_2667
; %bb.2666:
	s_mov_b32 s0, 0
	s_wait_loadcnt 0x0
	global_store_b8 v[0:1], v6, off
.LBB70_2667:
	s_and_not1_b32 vcc_lo, exec_lo, s0
	s_cbranch_vccnz .LBB70_2669
; %bb.2668:
	s_wait_loadcnt 0x0
	global_store_b8 v[0:1], v6, off
	s_endpgm
.LBB70_2669:
	s_endpgm
.LBB70_2670:                            ;   in Loop: Header=BB70_2671 Depth=1
	s_or_b32 exec_lo, exec_lo, s0
	s_delay_alu instid0(VALU_DEP_1) | instskip(SKIP_2) | instid1(SALU_CYCLE_1)
	v_cmp_eq_u64_e32 vcc_lo, 0, v[16:17]
	v_mov_b64_e32 v[12:13], v[14:15]
	s_or_b32 s2, vcc_lo, s2
	s_and_not1_b32 exec_lo, exec_lo, s2
	s_cbranch_execz .LBB70_2675
.LBB70_2671:                            ; =>This Inner Loop Header: Depth=1
	s_delay_alu instid0(VALU_DEP_2) | instskip(SKIP_1) | instid1(VALU_DEP_1)
	v_mov_b64_e32 v[14:15], v[16:17]
                                        ; implicit-def: $vgpr16_vgpr17
	s_mov_b32 s0, exec_lo
	v_or_b32_e32 v7, v13, v15
	s_delay_alu instid0(VALU_DEP_1)
	v_cmpx_ne_u64_e32 0, v[6:7]
	s_xor_b32 s3, exec_lo, s0
	s_cbranch_execz .LBB70_2673
; %bb.2672:                             ;   in Loop: Header=BB70_2671 Depth=1
	s_delay_alu instid0(VALU_DEP_3) | instskip(SKIP_3) | instid1(VALU_DEP_3)
	v_cvt_f32_u32_e32 v7, v14
	v_cvt_f32_u32_e32 v16, v15
	v_sub_nc_u64_e32 v[18:19], 0, v[14:15]
	v_dual_mov_b32 v27, v6 :: v_dual_mov_b32 v29, v6
	v_fmac_f32_e32 v7, 0x4f800000, v16
	s_delay_alu instid0(VALU_DEP_1) | instskip(SKIP_1) | instid1(TRANS32_DEP_1)
	v_rcp_f32_e32 v7, v7
	v_nop
	v_mul_f32_e32 v7, 0x5f7ffffc, v7
	s_delay_alu instid0(VALU_DEP_1) | instskip(NEXT) | instid1(VALU_DEP_1)
	v_mul_f32_e32 v16, 0x2f800000, v7
	v_trunc_f32_e32 v17, v16
	s_delay_alu instid0(VALU_DEP_1) | instskip(SKIP_1) | instid1(VALU_DEP_2)
	v_cvt_u32_f32_e32 v23, v17
	v_fmac_f32_e32 v7, 0xcf800000, v17
	v_dual_mov_b32 v17, v6 :: v_dual_mov_b32 v28, v23
	s_delay_alu instid0(VALU_DEP_2) | instskip(NEXT) | instid1(VALU_DEP_1)
	v_cvt_u32_f32_e32 v16, v7
	v_mov_b32_e32 v22, v16
	s_delay_alu instid0(VALU_DEP_1) | instskip(NEXT) | instid1(VALU_DEP_1)
	v_mul_u64_e32 v[24:25], v[18:19], v[22:23]
	v_dual_mov_b32 v26, v25 :: v_dual_mov_b32 v25, v6
	s_delay_alu instid0(VALU_DEP_1) | instskip(NEXT) | instid1(VALU_DEP_2)
	v_mul_u64_e32 v[30:31], v[16:17], v[26:27]
	v_mul_u64_e32 v[32:33], v[28:29], v[24:25]
	;; [unrolled: 1-line block ×3, first 2 shown]
	v_mul_hi_u32 v24, v16, v24
	s_delay_alu instid0(VALU_DEP_1) | instskip(NEXT) | instid1(VALU_DEP_1)
	v_add_nc_u64_e32 v[24:25], v[24:25], v[30:31]
	v_add_co_u32 v7, vcc_lo, v24, v32
	s_delay_alu instid0(VALU_DEP_2) | instskip(SKIP_1) | instid1(VALU_DEP_1)
	v_add_co_ci_u32_e32 v28, vcc_lo, v25, v33, vcc_lo
	v_add_co_ci_u32_e32 v27, vcc_lo, 0, v27, vcc_lo
	v_add_nc_u64_e32 v[24:25], v[28:29], v[26:27]
	s_delay_alu instid0(VALU_DEP_1) | instskip(NEXT) | instid1(VALU_DEP_1)
	v_add_co_u32 v16, vcc_lo, v16, v24
	v_add_co_ci_u32_e64 v22, null, v23, v25, vcc_lo
	v_dual_mov_b32 v25, v6 :: v_dual_mov_b32 v23, v6
	s_delay_alu instid0(VALU_DEP_2) | instskip(NEXT) | instid1(VALU_DEP_1)
	v_mov_b32_e32 v17, v22
	v_mul_u64_e32 v[18:19], v[18:19], v[16:17]
	s_delay_alu instid0(VALU_DEP_1) | instskip(NEXT) | instid1(VALU_DEP_2)
	v_dual_mov_b32 v17, v6 :: v_dual_mov_b32 v24, v19
	v_dual_mov_b32 v28, v18 :: v_dual_mov_b32 v19, v6
	v_mul_hi_u32 v18, v16, v18
	s_delay_alu instid0(VALU_DEP_3) | instskip(NEXT) | instid1(VALU_DEP_3)
	v_mul_u64_e32 v[26:27], v[16:17], v[24:25]
	v_mul_u64_e32 v[28:29], v[22:23], v[28:29]
	;; [unrolled: 1-line block ×3, first 2 shown]
	s_delay_alu instid0(VALU_DEP_3) | instskip(SKIP_1) | instid1(VALU_DEP_2)
	v_add_nc_u64_e32 v[18:19], v[18:19], v[26:27]
	v_mov_b32_e32 v27, v6
	v_add_co_u32 v7, vcc_lo, v18, v28
	s_delay_alu instid0(VALU_DEP_3) | instskip(SKIP_1) | instid1(VALU_DEP_1)
	v_add_co_ci_u32_e32 v26, vcc_lo, v19, v29, vcc_lo
	v_add_co_ci_u32_e32 v25, vcc_lo, 0, v25, vcc_lo
	v_add_nc_u64_e32 v[18:19], v[26:27], v[24:25]
	v_dual_mov_b32 v24, v12 :: v_dual_mov_b32 v25, v6
	s_delay_alu instid0(VALU_DEP_2) | instskip(NEXT) | instid1(VALU_DEP_1)
	v_add_co_u32 v18, vcc_lo, v16, v18
	v_add_co_ci_u32_e64 v16, null, v22, v19, vcc_lo
	v_dual_mov_b32 v22, v13 :: v_dual_mov_b32 v19, v6
	s_delay_alu instid0(VALU_DEP_2) | instskip(NEXT) | instid1(VALU_DEP_2)
	v_mul_u64_e32 v[24:25], v[24:25], v[16:17]
	v_mul_u64_e32 v[16:17], v[22:23], v[16:17]
	s_delay_alu instid0(VALU_DEP_3) | instskip(SKIP_1) | instid1(VALU_DEP_1)
	v_mul_u64_e32 v[26:27], v[22:23], v[18:19]
	v_mul_hi_u32 v18, v12, v18
	v_add_nc_u64_e32 v[18:19], v[18:19], v[24:25]
	s_delay_alu instid0(VALU_DEP_1) | instskip(NEXT) | instid1(VALU_DEP_2)
	v_add_co_u32 v7, vcc_lo, v18, v26
	v_add_co_ci_u32_e32 v22, vcc_lo, v19, v27, vcc_lo
	v_add_co_ci_u32_e32 v17, vcc_lo, 0, v17, vcc_lo
	s_delay_alu instid0(VALU_DEP_1) | instskip(NEXT) | instid1(VALU_DEP_1)
	v_add_nc_u64_e32 v[16:17], v[22:23], v[16:17]
	v_mul_u64_e32 v[16:17], v[14:15], v[16:17]
	s_delay_alu instid0(VALU_DEP_1) | instskip(NEXT) | instid1(VALU_DEP_2)
	v_sub_nc_u32_e32 v7, v13, v17
	v_sub_co_u32 v12, vcc_lo, v12, v16
	s_delay_alu instid0(VALU_DEP_1) | instskip(NEXT) | instid1(VALU_DEP_3)
	v_sub_co_ci_u32_e64 v13, null, v13, v17, vcc_lo
	v_sub_co_ci_u32_e64 v7, null, v7, v15, vcc_lo
	s_delay_alu instid0(VALU_DEP_3) | instskip(SKIP_1) | instid1(VALU_DEP_3)
	v_sub_co_u32 v16, vcc_lo, v12, v14
	v_cmp_ge_u32_e64 s0, v12, v14
	v_subrev_co_ci_u32_e64 v17, null, 0, v7, vcc_lo
	v_sub_co_ci_u32_e64 v7, null, v7, v15, vcc_lo
	s_delay_alu instid0(VALU_DEP_3) | instskip(SKIP_2) | instid1(VALU_DEP_2)
	v_cndmask_b32_e64 v18, 0, -1, s0
	v_cmp_ge_u32_e64 s0, v16, v14
	v_cmp_ge_u32_e32 vcc_lo, v13, v15
	v_cndmask_b32_e64 v19, 0, -1, s0
	v_cmp_ge_u32_e64 s0, v17, v15
	v_cndmask_b32_e64 v22, 0, -1, vcc_lo
	v_cmp_eq_u32_e32 vcc_lo, v17, v15
	s_delay_alu instid0(VALU_DEP_3) | instskip(SKIP_1) | instid1(VALU_DEP_1)
	v_cndmask_b32_e64 v21, 0, -1, s0
	v_cmp_eq_u32_e64 s0, v13, v15
	v_dual_cndmask_b32 v19, v21, v19, vcc_lo :: v_dual_cndmask_b32 v18, v22, v18, s0
	v_sub_co_u32 v21, vcc_lo, v16, v14
	s_delay_alu instid0(VALU_DEP_1) | instskip(NEXT) | instid1(VALU_DEP_3)
	v_subrev_co_ci_u32_e64 v7, null, 0, v7, vcc_lo
	v_cmp_ne_u32_e32 vcc_lo, 0, v19
	s_delay_alu instid0(VALU_DEP_2) | instskip(SKIP_1) | instid1(VALU_DEP_2)
	v_dual_cndmask_b32 v7, v17, v7 :: v_dual_cndmask_b32 v16, v16, v21
	v_cmp_ne_u32_e32 vcc_lo, 0, v18
	v_dual_cndmask_b32 v17, v13, v7 :: v_dual_cndmask_b32 v16, v12, v16
                                        ; implicit-def: $vgpr12_vgpr13
.LBB70_2673:                            ;   in Loop: Header=BB70_2671 Depth=1
	s_and_not1_saveexec_b32 s0, s3
	s_cbranch_execz .LBB70_2670
; %bb.2674:                             ;   in Loop: Header=BB70_2671 Depth=1
	v_cvt_f32_u32_e32 v7, v14
	v_dual_sub_nc_u32 v13, 0, v14 :: v_dual_mov_b32 v17, v6
	s_delay_alu instid0(VALU_DEP_2) | instskip(SKIP_1) | instid1(TRANS32_DEP_1)
	v_rcp_iflag_f32_e32 v7, v7
	v_nop
	v_mul_f32_e32 v7, 0x4f7ffffe, v7
	s_delay_alu instid0(VALU_DEP_1) | instskip(NEXT) | instid1(VALU_DEP_1)
	v_cvt_u32_f32_e32 v7, v7
	v_mul_lo_u32 v13, v13, v7
	s_delay_alu instid0(VALU_DEP_1) | instskip(NEXT) | instid1(VALU_DEP_1)
	v_mul_hi_u32 v13, v7, v13
	v_add_nc_u32_e32 v7, v7, v13
	s_delay_alu instid0(VALU_DEP_1) | instskip(NEXT) | instid1(VALU_DEP_1)
	v_mul_hi_u32 v7, v12, v7
	v_mul_lo_u32 v7, v7, v14
	s_delay_alu instid0(VALU_DEP_1) | instskip(NEXT) | instid1(VALU_DEP_1)
	v_sub_nc_u32_e32 v7, v12, v7
	v_sub_nc_u32_e32 v12, v7, v14
	v_cmp_ge_u32_e32 vcc_lo, v7, v14
	s_delay_alu instid0(VALU_DEP_2) | instskip(NEXT) | instid1(VALU_DEP_1)
	v_cndmask_b32_e32 v7, v7, v12, vcc_lo
	v_sub_nc_u32_e32 v12, v7, v14
	v_cmp_ge_u32_e32 vcc_lo, v7, v14
	s_delay_alu instid0(VALU_DEP_2)
	v_cndmask_b32_e32 v16, v7, v12, vcc_lo
	s_branch .LBB70_2670
.LBB70_2675:
	s_or_b32 exec_lo, exec_lo, s2
	v_mov_b64_e32 v[12:13], v[14:15]
.LBB70_2676:
	s_or_b32 exec_lo, exec_lo, s1
	v_mov_b64_e32 v[6:7], 0
	s_mov_b32 s1, exec_lo
	s_delay_alu instid0(VALU_DEP_2)
	v_cmpx_ne_u64_e32 0, v[12:13]
	s_cbranch_execz .LBB70_2682
; %bb.2677:
	v_dual_mov_b32 v6, 0 :: v_dual_bitop2_b32 v7, v11, v13 bitop3:0x54
                                        ; implicit-def: $vgpr14_vgpr15
	s_mov_b32 s0, exec_lo
	s_delay_alu instid0(VALU_DEP_1)
	v_cmpx_ne_u64_e32 0, v[6:7]
	s_xor_b32 s2, exec_lo, s0
	s_cbranch_execz .LBB70_2679
; %bb.2678:
	v_dual_mov_b32 v17, v6 :: v_dual_ashrrev_i32 v14, 31, v13
	v_dual_mov_b32 v27, v6 :: v_dual_mov_b32 v29, v6
	s_delay_alu instid0(VALU_DEP_2) | instskip(NEXT) | instid1(VALU_DEP_1)
	v_mov_b32_e32 v15, v14
	v_add_nc_u64_e32 v[12:13], v[12:13], v[14:15]
	s_delay_alu instid0(VALU_DEP_1) | instskip(NEXT) | instid1(VALU_DEP_2)
	v_xor_b32_e32 v12, v12, v14
	v_xor_b32_e32 v13, v13, v14
	s_delay_alu instid0(VALU_DEP_2) | instskip(NEXT) | instid1(VALU_DEP_2)
	v_cvt_f32_u32_e32 v7, v12
	v_cvt_f32_u32_e32 v15, v13
	s_delay_alu instid0(VALU_DEP_1) | instskip(NEXT) | instid1(VALU_DEP_1)
	v_fmamk_f32 v7, v15, 0x4f800000, v7
	v_rcp_f32_e32 v7, v7
	v_nop
	s_delay_alu instid0(TRANS32_DEP_1) | instskip(NEXT) | instid1(VALU_DEP_1)
	v_mul_f32_e32 v7, 0x5f7ffffc, v7
	v_mul_f32_e32 v15, 0x2f800000, v7
	s_delay_alu instid0(VALU_DEP_1) | instskip(NEXT) | instid1(VALU_DEP_1)
	v_trunc_f32_e32 v15, v15
	v_fmamk_f32 v7, v15, 0xcf800000, v7
	v_cvt_u32_f32_e32 v23, v15
	s_delay_alu instid0(VALU_DEP_2) | instskip(NEXT) | instid1(VALU_DEP_1)
	v_cvt_u32_f32_e32 v16, v7
	v_dual_mov_b32 v28, v23 :: v_dual_mov_b32 v22, v16
	v_sub_nc_u64_e32 v[18:19], 0, v[12:13]
	s_delay_alu instid0(VALU_DEP_1) | instskip(NEXT) | instid1(VALU_DEP_1)
	v_mul_u64_e32 v[24:25], v[18:19], v[22:23]
	v_dual_mov_b32 v26, v25 :: v_dual_mov_b32 v25, v6
	s_delay_alu instid0(VALU_DEP_1) | instskip(NEXT) | instid1(VALU_DEP_2)
	v_mul_u64_e32 v[30:31], v[16:17], v[26:27]
	v_mul_u64_e32 v[32:33], v[28:29], v[24:25]
	;; [unrolled: 1-line block ×3, first 2 shown]
	v_mul_hi_u32 v24, v16, v24
	s_delay_alu instid0(VALU_DEP_1) | instskip(SKIP_1) | instid1(VALU_DEP_2)
	v_add_nc_u64_e32 v[24:25], v[24:25], v[30:31]
	v_ashrrev_i32_e32 v30, 31, v11
	v_add_co_u32 v7, vcc_lo, v24, v32
	s_delay_alu instid0(VALU_DEP_3) | instskip(SKIP_1) | instid1(VALU_DEP_1)
	v_add_co_ci_u32_e32 v28, vcc_lo, v25, v33, vcc_lo
	v_add_co_ci_u32_e32 v27, vcc_lo, 0, v27, vcc_lo
	v_add_nc_u64_e32 v[24:25], v[28:29], v[26:27]
	s_delay_alu instid0(VALU_DEP_1) | instskip(NEXT) | instid1(VALU_DEP_1)
	v_add_co_u32 v16, vcc_lo, v16, v24
	v_add_co_ci_u32_e64 v22, null, v23, v25, vcc_lo
	v_dual_mov_b32 v23, v6 :: v_dual_mov_b32 v25, v6
	s_delay_alu instid0(VALU_DEP_2) | instskip(NEXT) | instid1(VALU_DEP_1)
	v_mov_b32_e32 v17, v22
	v_mul_u64_e32 v[18:19], v[18:19], v[16:17]
	s_delay_alu instid0(VALU_DEP_1) | instskip(NEXT) | instid1(VALU_DEP_2)
	v_dual_mov_b32 v17, v6 :: v_dual_mov_b32 v24, v19
	v_dual_mov_b32 v28, v18 :: v_dual_mov_b32 v19, v6
	v_mul_hi_u32 v18, v16, v18
	s_delay_alu instid0(VALU_DEP_3) | instskip(NEXT) | instid1(VALU_DEP_3)
	v_mul_u64_e32 v[26:27], v[16:17], v[24:25]
	v_mul_u64_e32 v[28:29], v[22:23], v[28:29]
	v_mul_u64_e32 v[24:25], v[22:23], v[24:25]
	s_delay_alu instid0(VALU_DEP_3) | instskip(SKIP_1) | instid1(VALU_DEP_2)
	v_add_nc_u64_e32 v[18:19], v[18:19], v[26:27]
	v_dual_mov_b32 v27, v6 :: v_dual_mov_b32 v31, v30
	v_add_co_u32 v7, vcc_lo, v18, v28
	s_delay_alu instid0(VALU_DEP_3) | instskip(SKIP_2) | instid1(VALU_DEP_2)
	v_add_co_ci_u32_e32 v26, vcc_lo, v19, v29, vcc_lo
	v_add_co_ci_u32_e32 v25, vcc_lo, 0, v25, vcc_lo
	v_mov_b32_e32 v7, v6
	v_add_nc_u64_e32 v[18:19], v[26:27], v[24:25]
	v_mov_b32_e32 v25, v6
	v_add_nc_u64_e32 v[10:11], v[10:11], v[30:31]
	s_delay_alu instid0(VALU_DEP_3) | instskip(NEXT) | instid1(VALU_DEP_2)
	v_add_co_u32 v18, vcc_lo, v16, v18
	v_xor_b32_e32 v24, v10, v30
	v_add_co_ci_u32_e64 v16, null, v22, v19, vcc_lo
	s_delay_alu instid0(VALU_DEP_4) | instskip(NEXT) | instid1(VALU_DEP_2)
	v_dual_mov_b32 v19, v6 :: v_dual_bitop2_b32 v22, v11, v30 bitop3:0x14
	v_mul_u64_e32 v[26:27], v[24:25], v[16:17]
	s_delay_alu instid0(VALU_DEP_2) | instskip(SKIP_2) | instid1(VALU_DEP_1)
	v_mul_u64_e32 v[10:11], v[22:23], v[18:19]
	v_mul_u64_e32 v[16:17], v[22:23], v[16:17]
	v_mul_hi_u32 v18, v24, v18
	v_add_nc_u64_e32 v[18:19], v[18:19], v[26:27]
	s_delay_alu instid0(VALU_DEP_1) | instskip(NEXT) | instid1(VALU_DEP_2)
	v_add_co_u32 v6, vcc_lo, v18, v10
	v_add_co_ci_u32_e32 v6, vcc_lo, v19, v11, vcc_lo
	v_add_co_ci_u32_e32 v17, vcc_lo, 0, v17, vcc_lo
	s_delay_alu instid0(VALU_DEP_1) | instskip(NEXT) | instid1(VALU_DEP_1)
	v_add_nc_u64_e32 v[6:7], v[6:7], v[16:17]
	v_mul_u64_e32 v[10:11], v[12:13], v[6:7]
	s_delay_alu instid0(VALU_DEP_1) | instskip(NEXT) | instid1(VALU_DEP_2)
	v_sub_nc_u32_e32 v15, v22, v11
	v_sub_co_u32 v10, vcc_lo, v24, v10
	s_delay_alu instid0(VALU_DEP_1) | instskip(NEXT) | instid1(VALU_DEP_3)
	v_sub_co_ci_u32_e64 v18, null, v22, v11, vcc_lo
	v_sub_co_ci_u32_e64 v15, null, v15, v13, vcc_lo
	s_delay_alu instid0(VALU_DEP_3) | instskip(NEXT) | instid1(VALU_DEP_1)
	v_sub_co_u32 v16, s0, v10, v12
	v_subrev_co_ci_u32_e64 v15, null, 0, v15, s0
	s_delay_alu instid0(VALU_DEP_2) | instskip(SKIP_1) | instid1(VALU_DEP_3)
	v_cmp_ge_u32_e32 vcc_lo, v16, v12
	v_cndmask_b32_e64 v11, 0, -1, vcc_lo
	v_cmp_ge_u32_e32 vcc_lo, v15, v13
	v_cndmask_b32_e64 v16, 0, -1, vcc_lo
	v_cmp_ge_u32_e32 vcc_lo, v10, v12
	v_cndmask_b32_e64 v12, 0, -1, vcc_lo
	v_cmp_ge_u32_e32 vcc_lo, v18, v13
	v_cndmask_b32_e64 v19, 0, -1, vcc_lo
	v_cmp_eq_u32_e32 vcc_lo, v15, v13
	v_cndmask_b32_e32 v15, v16, v11, vcc_lo
	v_cmp_eq_u32_e32 vcc_lo, v18, v13
	v_add_nc_u64_e32 v[10:11], 2, v[6:7]
	v_add_nc_u64_e32 v[16:17], 1, v[6:7]
	v_cndmask_b32_e32 v12, v19, v12, vcc_lo
	v_cmp_ne_u32_e32 vcc_lo, 0, v15
	s_delay_alu instid0(VALU_DEP_2) | instskip(NEXT) | instid1(VALU_DEP_4)
	v_cmp_ne_u32_e64 s0, 0, v12
	v_dual_cndmask_b32 v11, v17, v11 :: v_dual_cndmask_b32 v12, v16, v10
	s_delay_alu instid0(VALU_DEP_1) | instskip(NEXT) | instid1(VALU_DEP_2)
	v_dual_cndmask_b32 v7, v7, v11, s0 :: v_dual_bitop2_b32 v10, v30, v14 bitop3:0x14
	v_cndmask_b32_e64 v6, v6, v12, s0
	s_delay_alu instid0(VALU_DEP_2) | instskip(NEXT) | instid1(VALU_DEP_3)
	v_mov_b32_e32 v11, v10
                                        ; implicit-def: $vgpr12_vgpr13
	v_xor_b32_e32 v7, v7, v10
	s_delay_alu instid0(VALU_DEP_3) | instskip(NEXT) | instid1(VALU_DEP_1)
	v_xor_b32_e32 v6, v6, v10
	v_sub_nc_u64_e32 v[14:15], v[6:7], v[10:11]
                                        ; implicit-def: $vgpr10_vgpr11
.LBB70_2679:
	s_and_not1_saveexec_b32 s0, s2
	s_cbranch_execz .LBB70_2681
; %bb.2680:
	v_cvt_f32_u32_e32 v6, v12
	v_dual_sub_nc_u32 v7, 0, v12 :: v_dual_mov_b32 v15, 0
	s_delay_alu instid0(VALU_DEP_2) | instskip(SKIP_1) | instid1(TRANS32_DEP_1)
	v_rcp_iflag_f32_e32 v6, v6
	v_nop
	v_mul_f32_e32 v6, 0x4f7ffffe, v6
	s_delay_alu instid0(VALU_DEP_1) | instskip(NEXT) | instid1(VALU_DEP_1)
	v_cvt_u32_f32_e32 v6, v6
	v_mul_lo_u32 v7, v7, v6
	s_delay_alu instid0(VALU_DEP_1) | instskip(NEXT) | instid1(VALU_DEP_1)
	v_mul_hi_u32 v7, v6, v7
	v_add_nc_u32_e32 v6, v6, v7
	s_delay_alu instid0(VALU_DEP_1) | instskip(NEXT) | instid1(VALU_DEP_1)
	v_mul_hi_u32 v6, v10, v6
	v_mul_lo_u32 v7, v6, v12
	s_delay_alu instid0(VALU_DEP_1) | instskip(NEXT) | instid1(VALU_DEP_1)
	v_dual_sub_nc_u32 v7, v10, v7 :: v_dual_add_nc_u32 v10, 1, v6
	v_sub_nc_u32_e32 v11, v7, v12
	v_cmp_ge_u32_e32 vcc_lo, v7, v12
	s_delay_alu instid0(VALU_DEP_2) | instskip(NEXT) | instid1(VALU_DEP_1)
	v_dual_cndmask_b32 v7, v7, v11 :: v_dual_cndmask_b32 v6, v6, v10
	v_cmp_ge_u32_e32 vcc_lo, v7, v12
	s_delay_alu instid0(VALU_DEP_2) | instskip(NEXT) | instid1(VALU_DEP_1)
	v_add_nc_u32_e32 v10, 1, v6
	v_cndmask_b32_e32 v14, v6, v10, vcc_lo
.LBB70_2681:
	s_or_b32 exec_lo, exec_lo, s0
	s_delay_alu instid0(VALU_DEP_1) | instskip(NEXT) | instid1(VALU_DEP_1)
	v_mul_u64_e32 v[6:7], v[14:15], v[8:9]
	v_sub_nc_u64_e32 v[8:9], 0, v[6:7]
	s_delay_alu instid0(VALU_DEP_1)
	v_max_i64 v[6:7], v[6:7], v[8:9]
.LBB70_2682:
	s_or_b32 exec_lo, exec_lo, s1
	v_mul_lo_u32 v8, s8, v20
	s_and_b32 s16, s11, 0xff
	s_delay_alu instid0(SALU_CYCLE_1) | instskip(NEXT) | instid1(VALU_DEP_1)
	s_cmp_lt_i32 s16, 11
	v_ashrrev_i32_e32 v9, 31, v8
	s_delay_alu instid0(VALU_DEP_1)
	v_add_nc_u64_e32 v[10:11], s[4:5], v[8:9]
	s_cbranch_scc1 .LBB70_2760
; %bb.2683:
	s_and_b32 s1, 0xffff, s16
	s_mov_b32 s6, -1
	s_mov_b32 s2, 0
	s_cmp_gt_i32 s1, 25
	s_mov_b32 s3, 0
	s_mov_b32 s0, 0
	s_cbranch_scc0 .LBB70_2716
; %bb.2684:
	s_cmp_gt_i32 s1, 28
	s_cbranch_scc0 .LBB70_2699
; %bb.2685:
	s_cmp_gt_i32 s1, 43
	;; [unrolled: 3-line block ×3, first 2 shown]
	s_cbranch_scc0 .LBB70_2689
; %bb.2687:
	s_mov_b32 s0, -1
	s_mov_b32 s6, 0
	s_cmp_eq_u32 s1, 46
	s_cbranch_scc0 .LBB70_2689
; %bb.2688:
	v_clz_i32_u32_e32 v9, v1
	s_mov_b32 s0, 0
	s_mov_b32 s3, -1
	s_delay_alu instid0(VALU_DEP_1) | instskip(NEXT) | instid1(VALU_DEP_1)
	v_min_u32_e32 v9, 32, v9
	v_lshlrev_b64_e32 v[12:13], v9, v[0:1]
	v_sub_nc_u32_e32 v9, 32, v9
	s_delay_alu instid0(VALU_DEP_2) | instskip(NEXT) | instid1(VALU_DEP_1)
	v_min_u32_e32 v12, 1, v12
	v_or_b32_e32 v12, v13, v12
	s_delay_alu instid0(VALU_DEP_1) | instskip(NEXT) | instid1(VALU_DEP_1)
	v_cvt_f32_u32_e32 v12, v12
	v_ldexp_f32 v9, v12, v9
	s_delay_alu instid0(VALU_DEP_1) | instskip(NEXT) | instid1(VALU_DEP_1)
	v_bfe_u32 v12, v9, 16, 1
	v_add3_u32 v9, v9, v12, 0x7fff
	s_delay_alu instid0(VALU_DEP_1)
	v_lshrrev_b32_e32 v9, 16, v9
	global_store_b32 v[10:11], v9, off
.LBB70_2689:
	s_and_b32 vcc_lo, exec_lo, s6
	s_cbranch_vccz .LBB70_2694
; %bb.2690:
	s_cmp_eq_u32 s1, 44
	s_mov_b32 s0, -1
	s_cbranch_scc0 .LBB70_2694
; %bb.2691:
	s_wait_xcnt 0x0
	v_clz_i32_u32_e32 v9, v1
	s_mov_b32 s3, exec_lo
	s_delay_alu instid0(VALU_DEP_1) | instskip(NEXT) | instid1(VALU_DEP_1)
	v_min_u32_e32 v9, 32, v9
	v_lshlrev_b64_e32 v[12:13], v9, v[0:1]
	v_sub_nc_u32_e32 v9, 32, v9
	s_delay_alu instid0(VALU_DEP_2) | instskip(NEXT) | instid1(VALU_DEP_1)
	v_min_u32_e32 v12, 1, v12
	v_or_b32_e32 v12, v13, v12
	s_delay_alu instid0(VALU_DEP_1) | instskip(NEXT) | instid1(VALU_DEP_1)
	v_cvt_f32_u32_e32 v12, v12
	v_ldexp_f32 v13, v12, v9
	s_delay_alu instid0(VALU_DEP_1) | instskip(NEXT) | instid1(VALU_DEP_1)
	v_dual_mov_b32 v12, 0xff :: v_dual_lshrrev_b32 v9, 23, v13
	v_cmpx_ne_u32_e32 0xff, v9
; %bb.2692:
	v_and_b32_e32 v12, 0x400000, v13
	v_and_or_b32 v13, 0x3fffff, v13, v9
	s_delay_alu instid0(VALU_DEP_2) | instskip(NEXT) | instid1(VALU_DEP_2)
	v_cmp_ne_u32_e32 vcc_lo, 0, v12
	v_cmp_ne_u32_e64 s0, 0, v13
	s_and_b32 s0, vcc_lo, s0
	s_delay_alu instid0(SALU_CYCLE_1) | instskip(NEXT) | instid1(VALU_DEP_1)
	v_cndmask_b32_e64 v12, 0, 1, s0
	v_add_nc_u32_e32 v12, v9, v12
; %bb.2693:
	s_or_b32 exec_lo, exec_lo, s3
	s_mov_b32 s0, 0
	s_mov_b32 s3, -1
	global_store_b8 v[10:11], v12, off
.LBB70_2694:
	s_mov_b32 s6, 0
.LBB70_2695:
	s_delay_alu instid0(SALU_CYCLE_1)
	s_and_b32 vcc_lo, exec_lo, s6
	s_cbranch_vccz .LBB70_2698
; %bb.2696:
	s_cmp_eq_u32 s1, 29
	s_mov_b32 s0, -1
	s_cbranch_scc0 .LBB70_2698
; %bb.2697:
	s_mov_b32 s0, 0
	s_mov_b32 s3, -1
	global_store_b64 v[10:11], v[0:1], off
.LBB70_2698:
	s_mov_b32 s6, 0
.LBB70_2699:
	s_delay_alu instid0(SALU_CYCLE_1)
	s_and_b32 vcc_lo, exec_lo, s6
	s_cbranch_vccz .LBB70_2715
; %bb.2700:
	s_cmp_lt_i32 s1, 27
	s_mov_b32 s3, -1
	s_cbranch_scc1 .LBB70_2706
; %bb.2701:
	s_cmp_gt_i32 s1, 27
	s_cbranch_scc0 .LBB70_2703
; %bb.2702:
	s_mov_b32 s3, 0
	global_store_b32 v[10:11], v0, off
.LBB70_2703:
	s_and_not1_b32 vcc_lo, exec_lo, s3
	s_cbranch_vccnz .LBB70_2705
; %bb.2704:
	global_store_b16 v[10:11], v0, off
.LBB70_2705:
	s_mov_b32 s3, 0
.LBB70_2706:
	s_delay_alu instid0(SALU_CYCLE_1)
	s_and_not1_b32 vcc_lo, exec_lo, s3
	s_cbranch_vccnz .LBB70_2714
; %bb.2707:
	s_wait_xcnt 0x0
	v_clz_i32_u32_e32 v9, v1
	s_mov_b32 s3, exec_lo
	s_delay_alu instid0(VALU_DEP_1) | instskip(NEXT) | instid1(VALU_DEP_1)
	v_min_u32_e32 v9, 32, v9
	v_lshlrev_b64_e32 v[12:13], v9, v[0:1]
	v_sub_nc_u32_e32 v9, 32, v9
	s_delay_alu instid0(VALU_DEP_2) | instskip(NEXT) | instid1(VALU_DEP_1)
	v_min_u32_e32 v12, 1, v12
	v_or_b32_e32 v12, v13, v12
	v_mov_b32_e32 v13, 0x80
	s_delay_alu instid0(VALU_DEP_2) | instskip(NEXT) | instid1(VALU_DEP_1)
	v_cvt_f32_u32_e32 v12, v12
	v_ldexp_f32 v12, v12, v9
	s_delay_alu instid0(VALU_DEP_1)
	v_cmpx_gt_u32_e32 0x43800000, v12
	s_cbranch_execz .LBB70_2713
; %bb.2708:
	s_mov_b32 s6, 0
	s_mov_b32 s7, exec_lo
                                        ; implicit-def: $vgpr9
	v_cmpx_lt_u32_e32 0x3bffffff, v12
	s_xor_b32 s7, exec_lo, s7
	s_cbranch_execz .LBB70_3118
; %bb.2709:
	v_bfe_u32 v9, v12, 20, 1
	s_mov_b32 s6, exec_lo
	s_delay_alu instid0(VALU_DEP_1) | instskip(NEXT) | instid1(VALU_DEP_1)
	v_add3_u32 v9, v12, v9, 0x487ffff
                                        ; implicit-def: $vgpr12
	v_lshrrev_b32_e32 v9, 20, v9
	s_and_not1_saveexec_b32 s7, s7
	s_cbranch_execnz .LBB70_3119
.LBB70_2710:
	s_or_b32 exec_lo, exec_lo, s7
	v_mov_b32_e32 v13, 0
	s_and_saveexec_b32 s7, s6
.LBB70_2711:
	v_mov_b32_e32 v13, v9
.LBB70_2712:
	s_or_b32 exec_lo, exec_lo, s7
.LBB70_2713:
	s_delay_alu instid0(SALU_CYCLE_1)
	s_or_b32 exec_lo, exec_lo, s3
	global_store_b8 v[10:11], v13, off
.LBB70_2714:
	s_mov_b32 s3, -1
.LBB70_2715:
	s_mov_b32 s6, 0
.LBB70_2716:
	s_delay_alu instid0(SALU_CYCLE_1)
	s_and_b32 vcc_lo, exec_lo, s6
	s_cbranch_vccz .LBB70_2756
; %bb.2717:
	s_cmp_gt_i32 s1, 22
	s_mov_b32 s2, -1
	s_cbranch_scc0 .LBB70_2749
; %bb.2718:
	s_cmp_lt_i32 s1, 24
	s_cbranch_scc1 .LBB70_2738
; %bb.2719:
	s_cmp_gt_i32 s1, 24
	s_cbranch_scc0 .LBB70_2727
; %bb.2720:
	s_wait_xcnt 0x0
	v_clz_i32_u32_e32 v9, v1
	s_mov_b32 s2, exec_lo
	s_delay_alu instid0(VALU_DEP_1) | instskip(NEXT) | instid1(VALU_DEP_1)
	v_min_u32_e32 v9, 32, v9
	v_lshlrev_b64_e32 v[12:13], v9, v[0:1]
	v_sub_nc_u32_e32 v9, 32, v9
	s_delay_alu instid0(VALU_DEP_2) | instskip(NEXT) | instid1(VALU_DEP_1)
	v_min_u32_e32 v12, 1, v12
	v_or_b32_e32 v12, v13, v12
	v_mov_b32_e32 v13, 0x80
	s_delay_alu instid0(VALU_DEP_2) | instskip(NEXT) | instid1(VALU_DEP_1)
	v_cvt_f32_u32_e32 v12, v12
	v_ldexp_f32 v12, v12, v9
	s_delay_alu instid0(VALU_DEP_1)
	v_cmpx_gt_u32_e32 0x47800000, v12
	s_cbranch_execz .LBB70_2726
; %bb.2721:
	s_mov_b32 s3, 0
	s_mov_b32 s6, exec_lo
                                        ; implicit-def: $vgpr9
	v_cmpx_lt_u32_e32 0x37ffffff, v12
	s_xor_b32 s6, exec_lo, s6
	s_cbranch_execz .LBB70_3121
; %bb.2722:
	v_bfe_u32 v9, v12, 21, 1
	s_mov_b32 s3, exec_lo
	s_delay_alu instid0(VALU_DEP_1) | instskip(NEXT) | instid1(VALU_DEP_1)
	v_add3_u32 v9, v12, v9, 0x88fffff
                                        ; implicit-def: $vgpr12
	v_lshrrev_b32_e32 v9, 21, v9
	s_and_not1_saveexec_b32 s6, s6
	s_cbranch_execnz .LBB70_3122
.LBB70_2723:
	s_or_b32 exec_lo, exec_lo, s6
	v_mov_b32_e32 v13, 0
	s_and_saveexec_b32 s6, s3
.LBB70_2724:
	v_mov_b32_e32 v13, v9
.LBB70_2725:
	s_or_b32 exec_lo, exec_lo, s6
.LBB70_2726:
	s_delay_alu instid0(SALU_CYCLE_1)
	s_or_b32 exec_lo, exec_lo, s2
	s_mov_b32 s2, 0
	global_store_b8 v[10:11], v13, off
.LBB70_2727:
	s_and_b32 vcc_lo, exec_lo, s2
	s_cbranch_vccz .LBB70_2737
; %bb.2728:
	s_wait_xcnt 0x0
	v_clz_i32_u32_e32 v9, v1
	s_mov_b32 s2, exec_lo
	s_delay_alu instid0(VALU_DEP_1) | instskip(NEXT) | instid1(VALU_DEP_1)
	v_min_u32_e32 v9, 32, v9
	v_lshlrev_b64_e32 v[12:13], v9, v[0:1]
	v_sub_nc_u32_e32 v9, 32, v9
	s_delay_alu instid0(VALU_DEP_2) | instskip(NEXT) | instid1(VALU_DEP_1)
	v_min_u32_e32 v12, 1, v12
	v_or_b32_e32 v12, v13, v12
	s_delay_alu instid0(VALU_DEP_1) | instskip(NEXT) | instid1(VALU_DEP_1)
	v_cvt_f32_u32_e32 v12, v12
	v_ldexp_f32 v12, v12, v9
                                        ; implicit-def: $vgpr9
	s_delay_alu instid0(VALU_DEP_1)
	v_cmpx_gt_u32_e32 0x43f00000, v12
	s_xor_b32 s2, exec_lo, s2
	s_cbranch_execz .LBB70_2734
; %bb.2729:
	s_mov_b32 s3, exec_lo
                                        ; implicit-def: $vgpr9
	v_cmpx_lt_u32_e32 0x3c7fffff, v12
	s_xor_b32 s3, exec_lo, s3
; %bb.2730:
	v_bfe_u32 v9, v12, 20, 1
	s_delay_alu instid0(VALU_DEP_1) | instskip(NEXT) | instid1(VALU_DEP_1)
	v_add3_u32 v9, v12, v9, 0x407ffff
	v_and_b32_e32 v12, 0xff00000, v9
	v_lshrrev_b32_e32 v9, 20, v9
	s_delay_alu instid0(VALU_DEP_2) | instskip(NEXT) | instid1(VALU_DEP_2)
	v_cmp_ne_u32_e32 vcc_lo, 0x7f00000, v12
                                        ; implicit-def: $vgpr12
	v_cndmask_b32_e32 v9, 0x7e, v9, vcc_lo
; %bb.2731:
	s_and_not1_saveexec_b32 s3, s3
; %bb.2732:
	v_add_f32_e32 v9, 0x46800000, v12
; %bb.2733:
	s_or_b32 exec_lo, exec_lo, s3
                                        ; implicit-def: $vgpr12
.LBB70_2734:
	s_and_not1_saveexec_b32 s2, s2
; %bb.2735:
	v_mov_b32_e32 v9, 0x7f
	v_cmp_lt_u32_e32 vcc_lo, 0x7f800000, v12
	s_delay_alu instid0(VALU_DEP_2)
	v_cndmask_b32_e32 v9, 0x7e, v9, vcc_lo
; %bb.2736:
	s_or_b32 exec_lo, exec_lo, s2
	global_store_b8 v[10:11], v9, off
.LBB70_2737:
	s_mov_b32 s2, 0
.LBB70_2738:
	s_delay_alu instid0(SALU_CYCLE_1)
	s_and_not1_b32 vcc_lo, exec_lo, s2
	s_cbranch_vccnz .LBB70_2748
; %bb.2739:
	s_wait_xcnt 0x0
	v_clz_i32_u32_e32 v9, v1
	s_mov_b32 s2, exec_lo
	s_delay_alu instid0(VALU_DEP_1) | instskip(NEXT) | instid1(VALU_DEP_1)
	v_min_u32_e32 v9, 32, v9
	v_lshlrev_b64_e32 v[12:13], v9, v[0:1]
	v_sub_nc_u32_e32 v9, 32, v9
	s_delay_alu instid0(VALU_DEP_2) | instskip(NEXT) | instid1(VALU_DEP_1)
	v_min_u32_e32 v12, 1, v12
	v_or_b32_e32 v12, v13, v12
	s_delay_alu instid0(VALU_DEP_1) | instskip(NEXT) | instid1(VALU_DEP_1)
	v_cvt_f32_u32_e32 v12, v12
	v_ldexp_f32 v12, v12, v9
                                        ; implicit-def: $vgpr9
	s_delay_alu instid0(VALU_DEP_1)
	v_cmpx_gt_u32_e32 0x47800000, v12
	s_xor_b32 s2, exec_lo, s2
	s_cbranch_execz .LBB70_2745
; %bb.2740:
	s_mov_b32 s3, exec_lo
                                        ; implicit-def: $vgpr9
	v_cmpx_lt_u32_e32 0x387fffff, v12
	s_xor_b32 s3, exec_lo, s3
; %bb.2741:
	v_bfe_u32 v9, v12, 21, 1
	s_delay_alu instid0(VALU_DEP_1) | instskip(NEXT) | instid1(VALU_DEP_1)
	v_add3_u32 v9, v12, v9, 0x80fffff
                                        ; implicit-def: $vgpr12
	v_lshrrev_b32_e32 v9, 21, v9
; %bb.2742:
	s_and_not1_saveexec_b32 s3, s3
; %bb.2743:
	v_add_f32_e32 v9, 0x43000000, v12
; %bb.2744:
	s_or_b32 exec_lo, exec_lo, s3
                                        ; implicit-def: $vgpr12
.LBB70_2745:
	s_and_not1_saveexec_b32 s2, s2
; %bb.2746:
	v_mov_b32_e32 v9, 0x7f
	v_cmp_lt_u32_e32 vcc_lo, 0x7f800000, v12
	s_delay_alu instid0(VALU_DEP_2)
	v_cndmask_b32_e32 v9, 0x7c, v9, vcc_lo
; %bb.2747:
	s_or_b32 exec_lo, exec_lo, s2
	global_store_b8 v[10:11], v9, off
.LBB70_2748:
	s_mov_b32 s2, 0
	s_mov_b32 s3, -1
.LBB70_2749:
	s_and_not1_b32 vcc_lo, exec_lo, s2
	s_mov_b32 s2, 0
	s_cbranch_vccnz .LBB70_2756
; %bb.2750:
	s_cmp_gt_i32 s1, 14
	s_mov_b32 s2, -1
	s_cbranch_scc0 .LBB70_2754
; %bb.2751:
	s_cmp_eq_u32 s1, 15
	s_mov_b32 s0, -1
	s_cbranch_scc0 .LBB70_2753
; %bb.2752:
	s_wait_xcnt 0x0
	v_clz_i32_u32_e32 v9, v1
	s_mov_b32 s0, 0
	s_mov_b32 s3, -1
	s_delay_alu instid0(VALU_DEP_1) | instskip(NEXT) | instid1(VALU_DEP_1)
	v_min_u32_e32 v9, 32, v9
	v_lshlrev_b64_e32 v[12:13], v9, v[0:1]
	v_sub_nc_u32_e32 v9, 32, v9
	s_delay_alu instid0(VALU_DEP_2) | instskip(NEXT) | instid1(VALU_DEP_1)
	v_min_u32_e32 v12, 1, v12
	v_or_b32_e32 v12, v13, v12
	s_delay_alu instid0(VALU_DEP_1) | instskip(NEXT) | instid1(VALU_DEP_1)
	v_cvt_f32_u32_e32 v12, v12
	v_ldexp_f32 v9, v12, v9
	s_delay_alu instid0(VALU_DEP_1) | instskip(NEXT) | instid1(VALU_DEP_1)
	v_bfe_u32 v12, v9, 16, 1
	v_add3_u32 v9, v9, v12, 0x7fff
	global_store_d16_hi_b16 v[10:11], v9, off
.LBB70_2753:
	s_mov_b32 s2, 0
.LBB70_2754:
	s_delay_alu instid0(SALU_CYCLE_1)
	s_and_b32 vcc_lo, exec_lo, s2
	s_mov_b32 s2, 0
	s_cbranch_vccz .LBB70_2756
; %bb.2755:
	s_cmp_lg_u32 s1, 11
	s_mov_b32 s2, -1
	s_cselect_b32 s0, -1, 0
.LBB70_2756:
	s_delay_alu instid0(SALU_CYCLE_1)
	s_and_b32 vcc_lo, exec_lo, s0
	s_cbranch_vccnz .LBB70_3120
; %bb.2757:
	s_and_not1_b32 vcc_lo, exec_lo, s2
	s_cbranch_vccnz .LBB70_2759
.LBB70_2758:
	v_cmp_ne_u64_e32 vcc_lo, 0, v[0:1]
	s_mov_b32 s3, -1
	s_wait_xcnt 0x0
	v_cndmask_b32_e64 v9, 0, 1, vcc_lo
	global_store_b8 v[10:11], v9, off
.LBB70_2759:
	s_mov_b32 s0, 0
	s_branch .LBB70_2761
.LBB70_2760:
	s_mov_b32 s0, -1
	s_mov_b32 s3, 0
.LBB70_2761:
	s_and_b32 vcc_lo, exec_lo, s0
	s_cbranch_vccz .LBB70_2800
; %bb.2762:
	s_and_b32 s0, 0xffff, s16
	s_mov_b32 s1, -1
	s_cmp_lt_i32 s0, 5
	s_cbranch_scc1 .LBB70_2783
; %bb.2763:
	s_cmp_lt_i32 s0, 8
	s_cbranch_scc1 .LBB70_2773
; %bb.2764:
	;; [unrolled: 3-line block ×3, first 2 shown]
	s_cmp_gt_i32 s0, 9
	s_cbranch_scc0 .LBB70_2767
; %bb.2766:
	s_wait_xcnt 0x0
	v_cvt_f64_u32_e32 v[12:13], v1
	v_cvt_f64_u32_e32 v[14:15], v0
	s_mov_b32 s1, 0
	s_delay_alu instid0(VALU_DEP_2) | instskip(NEXT) | instid1(VALU_DEP_1)
	v_ldexp_f64 v[12:13], v[12:13], 32
	v_dual_add_f64 v[12:13], v[12:13], v[14:15] :: v_dual_mov_b32 v14, 0
	s_delay_alu instid0(VALU_DEP_1)
	v_mov_b32_e32 v15, v14
	global_store_b128 v[10:11], v[12:15], off
.LBB70_2767:
	s_and_not1_b32 vcc_lo, exec_lo, s1
	s_cbranch_vccnz .LBB70_2769
; %bb.2768:
	s_wait_xcnt 0x0
	v_clz_i32_u32_e32 v9, v1
	s_delay_alu instid0(VALU_DEP_1) | instskip(NEXT) | instid1(VALU_DEP_1)
	v_min_u32_e32 v9, 32, v9
	v_lshlrev_b64_e32 v[12:13], v9, v[0:1]
	v_sub_nc_u32_e32 v9, 32, v9
	s_delay_alu instid0(VALU_DEP_2) | instskip(NEXT) | instid1(VALU_DEP_1)
	v_min_u32_e32 v12, 1, v12
	v_dual_mov_b32 v13, 0 :: v_dual_bitop2_b32 v12, v13, v12 bitop3:0x54
	s_delay_alu instid0(VALU_DEP_1) | instskip(NEXT) | instid1(VALU_DEP_1)
	v_cvt_f32_u32_e32 v12, v12
	v_ldexp_f32 v12, v12, v9
	global_store_b64 v[10:11], v[12:13], off
.LBB70_2769:
	s_mov_b32 s1, 0
.LBB70_2770:
	s_delay_alu instid0(SALU_CYCLE_1)
	s_and_not1_b32 vcc_lo, exec_lo, s1
	s_cbranch_vccnz .LBB70_2772
; %bb.2771:
	s_wait_xcnt 0x0
	v_clz_i32_u32_e32 v9, v1
	s_delay_alu instid0(VALU_DEP_1) | instskip(NEXT) | instid1(VALU_DEP_1)
	v_min_u32_e32 v9, 32, v9
	v_lshlrev_b64_e32 v[12:13], v9, v[0:1]
	v_sub_nc_u32_e32 v9, 32, v9
	s_delay_alu instid0(VALU_DEP_2) | instskip(NEXT) | instid1(VALU_DEP_1)
	v_min_u32_e32 v12, 1, v12
	v_or_b32_e32 v12, v13, v12
	s_delay_alu instid0(VALU_DEP_1) | instskip(NEXT) | instid1(VALU_DEP_1)
	v_cvt_f32_u32_e32 v12, v12
	v_ldexp_f32 v9, v12, v9
	s_delay_alu instid0(VALU_DEP_1) | instskip(NEXT) | instid1(VALU_DEP_1)
	v_cvt_f16_f32_e32 v9, v9
	v_and_b32_e32 v9, 0xffff, v9
	global_store_b32 v[10:11], v9, off
.LBB70_2772:
	s_mov_b32 s1, 0
.LBB70_2773:
	s_delay_alu instid0(SALU_CYCLE_1)
	s_and_not1_b32 vcc_lo, exec_lo, s1
	s_cbranch_vccnz .LBB70_2782
; %bb.2774:
	s_cmp_lt_i32 s0, 6
	s_mov_b32 s1, -1
	s_cbranch_scc1 .LBB70_2780
; %bb.2775:
	s_cmp_gt_i32 s0, 6
	s_cbranch_scc0 .LBB70_2777
; %bb.2776:
	s_wait_xcnt 0x0
	v_cvt_f64_u32_e32 v[12:13], v1
	v_cvt_f64_u32_e32 v[14:15], v0
	s_mov_b32 s1, 0
	s_delay_alu instid0(VALU_DEP_2) | instskip(NEXT) | instid1(VALU_DEP_1)
	v_ldexp_f64 v[12:13], v[12:13], 32
	v_add_f64_e32 v[12:13], v[12:13], v[14:15]
	global_store_b64 v[10:11], v[12:13], off
.LBB70_2777:
	s_and_not1_b32 vcc_lo, exec_lo, s1
	s_cbranch_vccnz .LBB70_2779
; %bb.2778:
	s_wait_xcnt 0x0
	v_clz_i32_u32_e32 v9, v1
	s_delay_alu instid0(VALU_DEP_1) | instskip(NEXT) | instid1(VALU_DEP_1)
	v_min_u32_e32 v9, 32, v9
	v_lshlrev_b64_e32 v[12:13], v9, v[0:1]
	v_sub_nc_u32_e32 v9, 32, v9
	s_delay_alu instid0(VALU_DEP_2) | instskip(NEXT) | instid1(VALU_DEP_1)
	v_min_u32_e32 v12, 1, v12
	v_or_b32_e32 v12, v13, v12
	s_delay_alu instid0(VALU_DEP_1) | instskip(NEXT) | instid1(VALU_DEP_1)
	v_cvt_f32_u32_e32 v12, v12
	v_ldexp_f32 v9, v12, v9
	global_store_b32 v[10:11], v9, off
.LBB70_2779:
	s_mov_b32 s1, 0
.LBB70_2780:
	s_delay_alu instid0(SALU_CYCLE_1)
	s_and_not1_b32 vcc_lo, exec_lo, s1
	s_cbranch_vccnz .LBB70_2782
; %bb.2781:
	s_wait_xcnt 0x0
	v_clz_i32_u32_e32 v9, v1
	s_delay_alu instid0(VALU_DEP_1) | instskip(NEXT) | instid1(VALU_DEP_1)
	v_min_u32_e32 v9, 32, v9
	v_lshlrev_b64_e32 v[12:13], v9, v[0:1]
	v_sub_nc_u32_e32 v9, 32, v9
	s_delay_alu instid0(VALU_DEP_2) | instskip(NEXT) | instid1(VALU_DEP_1)
	v_min_u32_e32 v12, 1, v12
	v_or_b32_e32 v12, v13, v12
	s_delay_alu instid0(VALU_DEP_1) | instskip(NEXT) | instid1(VALU_DEP_1)
	v_cvt_f32_u32_e32 v12, v12
	v_ldexp_f32 v9, v12, v9
	s_delay_alu instid0(VALU_DEP_1)
	v_cvt_f16_f32_e32 v9, v9
	global_store_b16 v[10:11], v9, off
.LBB70_2782:
	s_mov_b32 s1, 0
.LBB70_2783:
	s_delay_alu instid0(SALU_CYCLE_1)
	s_and_not1_b32 vcc_lo, exec_lo, s1
	s_cbranch_vccnz .LBB70_2799
; %bb.2784:
	s_cmp_lt_i32 s0, 2
	s_mov_b32 s1, -1
	s_cbranch_scc1 .LBB70_2794
; %bb.2785:
	s_cmp_lt_i32 s0, 3
	s_cbranch_scc1 .LBB70_2791
; %bb.2786:
	s_cmp_gt_i32 s0, 3
	s_cbranch_scc0 .LBB70_2788
; %bb.2787:
	s_mov_b32 s1, 0
	global_store_b64 v[10:11], v[0:1], off
.LBB70_2788:
	s_and_not1_b32 vcc_lo, exec_lo, s1
	s_cbranch_vccnz .LBB70_2790
; %bb.2789:
	global_store_b32 v[10:11], v0, off
.LBB70_2790:
	s_mov_b32 s1, 0
.LBB70_2791:
	s_delay_alu instid0(SALU_CYCLE_1)
	s_and_not1_b32 vcc_lo, exec_lo, s1
	s_cbranch_vccnz .LBB70_2793
; %bb.2792:
	global_store_b16 v[10:11], v0, off
.LBB70_2793:
	s_mov_b32 s1, 0
.LBB70_2794:
	s_delay_alu instid0(SALU_CYCLE_1)
	s_and_not1_b32 vcc_lo, exec_lo, s1
	s_cbranch_vccnz .LBB70_2799
; %bb.2795:
	s_cmp_gt_i32 s0, 0
	s_mov_b32 s0, -1
	s_cbranch_scc0 .LBB70_2797
; %bb.2796:
	s_mov_b32 s0, 0
	global_store_b8 v[10:11], v0, off
.LBB70_2797:
	s_and_not1_b32 vcc_lo, exec_lo, s0
	s_cbranch_vccnz .LBB70_2799
; %bb.2798:
	global_store_b8 v[10:11], v0, off
.LBB70_2799:
	s_mov_b32 s3, -1
.LBB70_2800:
	s_delay_alu instid0(SALU_CYCLE_1)
	s_and_not1_b32 vcc_lo, exec_lo, s3
	s_cbranch_vccnz .LBB70_3115
; %bb.2801:
	s_lshl_b32 s1, s8, 7
	s_cmp_lt_i32 s16, 11
	s_wait_xcnt 0x0
	v_add_nc_u32_e32 v0, s1, v8
	s_delay_alu instid0(VALU_DEP_1) | instskip(NEXT) | instid1(VALU_DEP_1)
	v_ashrrev_i32_e32 v1, 31, v0
	v_add_nc_u64_e32 v[8:9], s[4:5], v[0:1]
	s_cbranch_scc1 .LBB70_2879
; %bb.2802:
	s_and_b32 s2, 0xffff, s16
	s_mov_b32 s7, -1
	s_mov_b32 s3, 0
	s_cmp_gt_i32 s2, 25
	s_mov_b32 s6, 0
	s_mov_b32 s0, 0
	s_cbranch_scc0 .LBB70_2835
; %bb.2803:
	s_cmp_gt_i32 s2, 28
	s_cbranch_scc0 .LBB70_2818
; %bb.2804:
	s_cmp_gt_i32 s2, 43
	;; [unrolled: 3-line block ×3, first 2 shown]
	s_cbranch_scc0 .LBB70_2808
; %bb.2806:
	s_mov_b32 s0, -1
	s_mov_b32 s7, 0
	s_cmp_eq_u32 s2, 46
	s_cbranch_scc0 .LBB70_2808
; %bb.2807:
	v_clz_i32_u32_e32 v1, v3
	s_mov_b32 s0, 0
	s_mov_b32 s6, -1
	s_delay_alu instid0(VALU_DEP_1) | instskip(NEXT) | instid1(VALU_DEP_1)
	v_min_u32_e32 v1, 32, v1
	v_lshlrev_b64_e32 v[10:11], v1, v[2:3]
	v_sub_nc_u32_e32 v1, 32, v1
	s_delay_alu instid0(VALU_DEP_2) | instskip(NEXT) | instid1(VALU_DEP_1)
	v_min_u32_e32 v10, 1, v10
	v_or_b32_e32 v10, v11, v10
	s_delay_alu instid0(VALU_DEP_1) | instskip(NEXT) | instid1(VALU_DEP_1)
	v_cvt_f32_u32_e32 v10, v10
	v_ldexp_f32 v1, v10, v1
	s_delay_alu instid0(VALU_DEP_1) | instskip(NEXT) | instid1(VALU_DEP_1)
	v_bfe_u32 v10, v1, 16, 1
	v_add3_u32 v1, v1, v10, 0x7fff
	s_delay_alu instid0(VALU_DEP_1)
	v_lshrrev_b32_e32 v1, 16, v1
	global_store_b32 v[8:9], v1, off
.LBB70_2808:
	s_and_b32 vcc_lo, exec_lo, s7
	s_cbranch_vccz .LBB70_2813
; %bb.2809:
	s_cmp_eq_u32 s2, 44
	s_mov_b32 s0, -1
	s_cbranch_scc0 .LBB70_2813
; %bb.2810:
	s_wait_xcnt 0x0
	v_clz_i32_u32_e32 v1, v3
	s_mov_b32 s6, exec_lo
	s_delay_alu instid0(VALU_DEP_1) | instskip(NEXT) | instid1(VALU_DEP_1)
	v_min_u32_e32 v1, 32, v1
	v_lshlrev_b64_e32 v[10:11], v1, v[2:3]
	v_sub_nc_u32_e32 v1, 32, v1
	s_delay_alu instid0(VALU_DEP_2) | instskip(NEXT) | instid1(VALU_DEP_1)
	v_min_u32_e32 v10, 1, v10
	v_or_b32_e32 v10, v11, v10
	s_delay_alu instid0(VALU_DEP_1) | instskip(NEXT) | instid1(VALU_DEP_1)
	v_cvt_f32_u32_e32 v10, v10
	v_ldexp_f32 v11, v10, v1
	s_delay_alu instid0(VALU_DEP_1) | instskip(NEXT) | instid1(VALU_DEP_1)
	v_dual_mov_b32 v10, 0xff :: v_dual_lshrrev_b32 v1, 23, v11
	v_cmpx_ne_u32_e32 0xff, v1
; %bb.2811:
	v_and_b32_e32 v10, 0x400000, v11
	v_and_or_b32 v11, 0x3fffff, v11, v1
	s_delay_alu instid0(VALU_DEP_2) | instskip(NEXT) | instid1(VALU_DEP_2)
	v_cmp_ne_u32_e32 vcc_lo, 0, v10
	v_cmp_ne_u32_e64 s0, 0, v11
	s_and_b32 s0, vcc_lo, s0
	s_delay_alu instid0(SALU_CYCLE_1) | instskip(NEXT) | instid1(VALU_DEP_1)
	v_cndmask_b32_e64 v10, 0, 1, s0
	v_add_nc_u32_e32 v10, v1, v10
; %bb.2812:
	s_or_b32 exec_lo, exec_lo, s6
	s_mov_b32 s0, 0
	s_mov_b32 s6, -1
	global_store_b8 v[8:9], v10, off
.LBB70_2813:
	s_mov_b32 s7, 0
.LBB70_2814:
	s_delay_alu instid0(SALU_CYCLE_1)
	s_and_b32 vcc_lo, exec_lo, s7
	s_cbranch_vccz .LBB70_2817
; %bb.2815:
	s_cmp_eq_u32 s2, 29
	s_mov_b32 s0, -1
	s_cbranch_scc0 .LBB70_2817
; %bb.2816:
	s_mov_b32 s0, 0
	s_mov_b32 s6, -1
	global_store_b64 v[8:9], v[2:3], off
.LBB70_2817:
	s_mov_b32 s7, 0
.LBB70_2818:
	s_delay_alu instid0(SALU_CYCLE_1)
	s_and_b32 vcc_lo, exec_lo, s7
	s_cbranch_vccz .LBB70_2834
; %bb.2819:
	s_cmp_lt_i32 s2, 27
	s_mov_b32 s6, -1
	s_cbranch_scc1 .LBB70_2825
; %bb.2820:
	s_cmp_gt_i32 s2, 27
	s_cbranch_scc0 .LBB70_2822
; %bb.2821:
	s_mov_b32 s6, 0
	global_store_b32 v[8:9], v2, off
.LBB70_2822:
	s_and_not1_b32 vcc_lo, exec_lo, s6
	s_cbranch_vccnz .LBB70_2824
; %bb.2823:
	global_store_b16 v[8:9], v2, off
.LBB70_2824:
	s_mov_b32 s6, 0
.LBB70_2825:
	s_delay_alu instid0(SALU_CYCLE_1)
	s_and_not1_b32 vcc_lo, exec_lo, s6
	s_cbranch_vccnz .LBB70_2833
; %bb.2826:
	s_wait_xcnt 0x0
	v_clz_i32_u32_e32 v1, v3
	s_mov_b32 s6, exec_lo
	s_delay_alu instid0(VALU_DEP_1) | instskip(NEXT) | instid1(VALU_DEP_1)
	v_min_u32_e32 v1, 32, v1
	v_lshlrev_b64_e32 v[10:11], v1, v[2:3]
	v_sub_nc_u32_e32 v1, 32, v1
	s_delay_alu instid0(VALU_DEP_2) | instskip(NEXT) | instid1(VALU_DEP_1)
	v_min_u32_e32 v10, 1, v10
	v_or_b32_e32 v10, v11, v10
	v_mov_b32_e32 v11, 0x80
	s_delay_alu instid0(VALU_DEP_2) | instskip(NEXT) | instid1(VALU_DEP_1)
	v_cvt_f32_u32_e32 v10, v10
	v_ldexp_f32 v10, v10, v1
	s_delay_alu instid0(VALU_DEP_1)
	v_cmpx_gt_u32_e32 0x43800000, v10
	s_cbranch_execz .LBB70_2832
; %bb.2827:
	s_mov_b32 s7, 0
	s_mov_b32 s8, exec_lo
                                        ; implicit-def: $vgpr1
	v_cmpx_lt_u32_e32 0x3bffffff, v10
	s_xor_b32 s8, exec_lo, s8
	s_cbranch_execz .LBB70_3123
; %bb.2828:
	v_bfe_u32 v1, v10, 20, 1
	s_mov_b32 s7, exec_lo
	s_delay_alu instid0(VALU_DEP_1) | instskip(NEXT) | instid1(VALU_DEP_1)
	v_add3_u32 v1, v10, v1, 0x487ffff
                                        ; implicit-def: $vgpr10
	v_lshrrev_b32_e32 v1, 20, v1
	s_and_not1_saveexec_b32 s8, s8
	s_cbranch_execnz .LBB70_3124
.LBB70_2829:
	s_or_b32 exec_lo, exec_lo, s8
	v_mov_b32_e32 v11, 0
	s_and_saveexec_b32 s8, s7
.LBB70_2830:
	v_mov_b32_e32 v11, v1
.LBB70_2831:
	s_or_b32 exec_lo, exec_lo, s8
.LBB70_2832:
	s_delay_alu instid0(SALU_CYCLE_1)
	s_or_b32 exec_lo, exec_lo, s6
	global_store_b8 v[8:9], v11, off
.LBB70_2833:
	s_mov_b32 s6, -1
.LBB70_2834:
	s_mov_b32 s7, 0
.LBB70_2835:
	s_delay_alu instid0(SALU_CYCLE_1)
	s_and_b32 vcc_lo, exec_lo, s7
	s_cbranch_vccz .LBB70_2875
; %bb.2836:
	s_cmp_gt_i32 s2, 22
	s_mov_b32 s3, -1
	s_cbranch_scc0 .LBB70_2868
; %bb.2837:
	s_cmp_lt_i32 s2, 24
	s_cbranch_scc1 .LBB70_2857
; %bb.2838:
	s_cmp_gt_i32 s2, 24
	s_cbranch_scc0 .LBB70_2846
; %bb.2839:
	s_wait_xcnt 0x0
	v_clz_i32_u32_e32 v1, v3
	s_mov_b32 s3, exec_lo
	s_delay_alu instid0(VALU_DEP_1) | instskip(NEXT) | instid1(VALU_DEP_1)
	v_min_u32_e32 v1, 32, v1
	v_lshlrev_b64_e32 v[10:11], v1, v[2:3]
	v_sub_nc_u32_e32 v1, 32, v1
	s_delay_alu instid0(VALU_DEP_2) | instskip(NEXT) | instid1(VALU_DEP_1)
	v_min_u32_e32 v10, 1, v10
	v_or_b32_e32 v10, v11, v10
	v_mov_b32_e32 v11, 0x80
	s_delay_alu instid0(VALU_DEP_2) | instskip(NEXT) | instid1(VALU_DEP_1)
	v_cvt_f32_u32_e32 v10, v10
	v_ldexp_f32 v10, v10, v1
	s_delay_alu instid0(VALU_DEP_1)
	v_cmpx_gt_u32_e32 0x47800000, v10
	s_cbranch_execz .LBB70_2845
; %bb.2840:
	s_mov_b32 s6, 0
	s_mov_b32 s7, exec_lo
                                        ; implicit-def: $vgpr1
	v_cmpx_lt_u32_e32 0x37ffffff, v10
	s_xor_b32 s7, exec_lo, s7
	s_cbranch_execz .LBB70_3126
; %bb.2841:
	v_bfe_u32 v1, v10, 21, 1
	s_mov_b32 s6, exec_lo
	s_delay_alu instid0(VALU_DEP_1) | instskip(NEXT) | instid1(VALU_DEP_1)
	v_add3_u32 v1, v10, v1, 0x88fffff
                                        ; implicit-def: $vgpr10
	v_lshrrev_b32_e32 v1, 21, v1
	s_and_not1_saveexec_b32 s7, s7
	s_cbranch_execnz .LBB70_3127
.LBB70_2842:
	s_or_b32 exec_lo, exec_lo, s7
	v_mov_b32_e32 v11, 0
	s_and_saveexec_b32 s7, s6
.LBB70_2843:
	v_mov_b32_e32 v11, v1
.LBB70_2844:
	s_or_b32 exec_lo, exec_lo, s7
.LBB70_2845:
	s_delay_alu instid0(SALU_CYCLE_1)
	s_or_b32 exec_lo, exec_lo, s3
	s_mov_b32 s3, 0
	global_store_b8 v[8:9], v11, off
.LBB70_2846:
	s_and_b32 vcc_lo, exec_lo, s3
	s_cbranch_vccz .LBB70_2856
; %bb.2847:
	s_wait_xcnt 0x0
	v_clz_i32_u32_e32 v1, v3
	s_mov_b32 s3, exec_lo
	s_delay_alu instid0(VALU_DEP_1) | instskip(NEXT) | instid1(VALU_DEP_1)
	v_min_u32_e32 v1, 32, v1
	v_lshlrev_b64_e32 v[10:11], v1, v[2:3]
	v_sub_nc_u32_e32 v1, 32, v1
	s_delay_alu instid0(VALU_DEP_2) | instskip(NEXT) | instid1(VALU_DEP_1)
	v_min_u32_e32 v10, 1, v10
	v_or_b32_e32 v10, v11, v10
	s_delay_alu instid0(VALU_DEP_1) | instskip(NEXT) | instid1(VALU_DEP_1)
	v_cvt_f32_u32_e32 v10, v10
	v_ldexp_f32 v10, v10, v1
                                        ; implicit-def: $vgpr1
	s_delay_alu instid0(VALU_DEP_1)
	v_cmpx_gt_u32_e32 0x43f00000, v10
	s_xor_b32 s3, exec_lo, s3
	s_cbranch_execz .LBB70_2853
; %bb.2848:
	s_mov_b32 s6, exec_lo
                                        ; implicit-def: $vgpr1
	v_cmpx_lt_u32_e32 0x3c7fffff, v10
	s_xor_b32 s6, exec_lo, s6
; %bb.2849:
	v_bfe_u32 v1, v10, 20, 1
	s_delay_alu instid0(VALU_DEP_1) | instskip(NEXT) | instid1(VALU_DEP_1)
	v_add3_u32 v1, v10, v1, 0x407ffff
	v_and_b32_e32 v10, 0xff00000, v1
	v_lshrrev_b32_e32 v1, 20, v1
	s_delay_alu instid0(VALU_DEP_2) | instskip(NEXT) | instid1(VALU_DEP_2)
	v_cmp_ne_u32_e32 vcc_lo, 0x7f00000, v10
                                        ; implicit-def: $vgpr10
	v_cndmask_b32_e32 v1, 0x7e, v1, vcc_lo
; %bb.2850:
	s_and_not1_saveexec_b32 s6, s6
; %bb.2851:
	v_add_f32_e32 v1, 0x46800000, v10
; %bb.2852:
	s_or_b32 exec_lo, exec_lo, s6
                                        ; implicit-def: $vgpr10
.LBB70_2853:
	s_and_not1_saveexec_b32 s3, s3
; %bb.2854:
	v_mov_b32_e32 v1, 0x7f
	v_cmp_lt_u32_e32 vcc_lo, 0x7f800000, v10
	s_delay_alu instid0(VALU_DEP_2)
	v_cndmask_b32_e32 v1, 0x7e, v1, vcc_lo
; %bb.2855:
	s_or_b32 exec_lo, exec_lo, s3
	global_store_b8 v[8:9], v1, off
.LBB70_2856:
	s_mov_b32 s3, 0
.LBB70_2857:
	s_delay_alu instid0(SALU_CYCLE_1)
	s_and_not1_b32 vcc_lo, exec_lo, s3
	s_cbranch_vccnz .LBB70_2867
; %bb.2858:
	s_wait_xcnt 0x0
	v_clz_i32_u32_e32 v1, v3
	s_mov_b32 s3, exec_lo
	s_delay_alu instid0(VALU_DEP_1) | instskip(NEXT) | instid1(VALU_DEP_1)
	v_min_u32_e32 v1, 32, v1
	v_lshlrev_b64_e32 v[10:11], v1, v[2:3]
	v_sub_nc_u32_e32 v1, 32, v1
	s_delay_alu instid0(VALU_DEP_2) | instskip(NEXT) | instid1(VALU_DEP_1)
	v_min_u32_e32 v10, 1, v10
	v_or_b32_e32 v10, v11, v10
	s_delay_alu instid0(VALU_DEP_1) | instskip(NEXT) | instid1(VALU_DEP_1)
	v_cvt_f32_u32_e32 v10, v10
	v_ldexp_f32 v10, v10, v1
                                        ; implicit-def: $vgpr1
	s_delay_alu instid0(VALU_DEP_1)
	v_cmpx_gt_u32_e32 0x47800000, v10
	s_xor_b32 s3, exec_lo, s3
	s_cbranch_execz .LBB70_2864
; %bb.2859:
	s_mov_b32 s6, exec_lo
                                        ; implicit-def: $vgpr1
	v_cmpx_lt_u32_e32 0x387fffff, v10
	s_xor_b32 s6, exec_lo, s6
; %bb.2860:
	v_bfe_u32 v1, v10, 21, 1
	s_delay_alu instid0(VALU_DEP_1) | instskip(NEXT) | instid1(VALU_DEP_1)
	v_add3_u32 v1, v10, v1, 0x80fffff
                                        ; implicit-def: $vgpr10
	v_lshrrev_b32_e32 v1, 21, v1
; %bb.2861:
	s_and_not1_saveexec_b32 s6, s6
; %bb.2862:
	v_add_f32_e32 v1, 0x43000000, v10
; %bb.2863:
	s_or_b32 exec_lo, exec_lo, s6
                                        ; implicit-def: $vgpr10
.LBB70_2864:
	s_and_not1_saveexec_b32 s3, s3
; %bb.2865:
	v_mov_b32_e32 v1, 0x7f
	v_cmp_lt_u32_e32 vcc_lo, 0x7f800000, v10
	s_delay_alu instid0(VALU_DEP_2)
	v_cndmask_b32_e32 v1, 0x7c, v1, vcc_lo
; %bb.2866:
	s_or_b32 exec_lo, exec_lo, s3
	global_store_b8 v[8:9], v1, off
.LBB70_2867:
	s_mov_b32 s3, 0
	s_mov_b32 s6, -1
.LBB70_2868:
	s_and_not1_b32 vcc_lo, exec_lo, s3
	s_mov_b32 s3, 0
	s_cbranch_vccnz .LBB70_2875
; %bb.2869:
	s_cmp_gt_i32 s2, 14
	s_mov_b32 s3, -1
	s_cbranch_scc0 .LBB70_2873
; %bb.2870:
	s_cmp_eq_u32 s2, 15
	s_mov_b32 s0, -1
	s_cbranch_scc0 .LBB70_2872
; %bb.2871:
	s_wait_xcnt 0x0
	v_clz_i32_u32_e32 v1, v3
	s_mov_b32 s0, 0
	s_mov_b32 s6, -1
	s_delay_alu instid0(VALU_DEP_1) | instskip(NEXT) | instid1(VALU_DEP_1)
	v_min_u32_e32 v1, 32, v1
	v_lshlrev_b64_e32 v[10:11], v1, v[2:3]
	v_sub_nc_u32_e32 v1, 32, v1
	s_delay_alu instid0(VALU_DEP_2) | instskip(NEXT) | instid1(VALU_DEP_1)
	v_min_u32_e32 v10, 1, v10
	v_or_b32_e32 v10, v11, v10
	s_delay_alu instid0(VALU_DEP_1) | instskip(NEXT) | instid1(VALU_DEP_1)
	v_cvt_f32_u32_e32 v10, v10
	v_ldexp_f32 v1, v10, v1
	s_delay_alu instid0(VALU_DEP_1) | instskip(NEXT) | instid1(VALU_DEP_1)
	v_bfe_u32 v10, v1, 16, 1
	v_add3_u32 v1, v1, v10, 0x7fff
	global_store_d16_hi_b16 v[8:9], v1, off
.LBB70_2872:
	s_mov_b32 s3, 0
.LBB70_2873:
	s_delay_alu instid0(SALU_CYCLE_1)
	s_and_b32 vcc_lo, exec_lo, s3
	s_mov_b32 s3, 0
	s_cbranch_vccz .LBB70_2875
; %bb.2874:
	s_cmp_lg_u32 s2, 11
	s_mov_b32 s3, -1
	s_cselect_b32 s0, -1, 0
.LBB70_2875:
	s_delay_alu instid0(SALU_CYCLE_1)
	s_and_b32 vcc_lo, exec_lo, s0
	s_cbranch_vccnz .LBB70_3125
; %bb.2876:
	s_and_not1_b32 vcc_lo, exec_lo, s3
	s_cbranch_vccnz .LBB70_2878
.LBB70_2877:
	v_cmp_ne_u64_e32 vcc_lo, 0, v[2:3]
	s_mov_b32 s6, -1
	s_wait_xcnt 0x0
	v_cndmask_b32_e64 v1, 0, 1, vcc_lo
	global_store_b8 v[8:9], v1, off
.LBB70_2878:
	s_mov_b32 s0, 0
	s_branch .LBB70_2880
.LBB70_2879:
	s_mov_b32 s0, -1
	s_mov_b32 s6, 0
.LBB70_2880:
	s_and_b32 vcc_lo, exec_lo, s0
	s_cbranch_vccz .LBB70_2919
; %bb.2881:
	s_and_b32 s0, 0xffff, s16
	s_mov_b32 s2, -1
	s_cmp_lt_i32 s0, 5
	s_cbranch_scc1 .LBB70_2902
; %bb.2882:
	s_cmp_lt_i32 s0, 8
	s_cbranch_scc1 .LBB70_2892
; %bb.2883:
	;; [unrolled: 3-line block ×3, first 2 shown]
	s_cmp_gt_i32 s0, 9
	s_cbranch_scc0 .LBB70_2886
; %bb.2885:
	s_wait_xcnt 0x0
	v_cvt_f64_u32_e32 v[10:11], v3
	v_cvt_f64_u32_e32 v[12:13], v2
	s_mov_b32 s2, 0
	s_delay_alu instid0(VALU_DEP_2) | instskip(NEXT) | instid1(VALU_DEP_1)
	v_ldexp_f64 v[10:11], v[10:11], 32
	v_dual_add_f64 v[10:11], v[10:11], v[12:13] :: v_dual_mov_b32 v12, 0
	s_delay_alu instid0(VALU_DEP_1)
	v_mov_b32_e32 v13, v12
	global_store_b128 v[8:9], v[10:13], off
.LBB70_2886:
	s_and_not1_b32 vcc_lo, exec_lo, s2
	s_cbranch_vccnz .LBB70_2888
; %bb.2887:
	s_wait_xcnt 0x0
	v_clz_i32_u32_e32 v1, v3
	s_delay_alu instid0(VALU_DEP_1) | instskip(NEXT) | instid1(VALU_DEP_1)
	v_min_u32_e32 v1, 32, v1
	v_lshlrev_b64_e32 v[10:11], v1, v[2:3]
	v_sub_nc_u32_e32 v1, 32, v1
	s_delay_alu instid0(VALU_DEP_2) | instskip(NEXT) | instid1(VALU_DEP_1)
	v_min_u32_e32 v10, 1, v10
	v_dual_mov_b32 v11, 0 :: v_dual_bitop2_b32 v10, v11, v10 bitop3:0x54
	s_delay_alu instid0(VALU_DEP_1) | instskip(NEXT) | instid1(VALU_DEP_1)
	v_cvt_f32_u32_e32 v10, v10
	v_ldexp_f32 v10, v10, v1
	global_store_b64 v[8:9], v[10:11], off
.LBB70_2888:
	s_mov_b32 s2, 0
.LBB70_2889:
	s_delay_alu instid0(SALU_CYCLE_1)
	s_and_not1_b32 vcc_lo, exec_lo, s2
	s_cbranch_vccnz .LBB70_2891
; %bb.2890:
	s_wait_xcnt 0x0
	v_clz_i32_u32_e32 v1, v3
	s_delay_alu instid0(VALU_DEP_1) | instskip(NEXT) | instid1(VALU_DEP_1)
	v_min_u32_e32 v1, 32, v1
	v_lshlrev_b64_e32 v[10:11], v1, v[2:3]
	v_sub_nc_u32_e32 v1, 32, v1
	s_delay_alu instid0(VALU_DEP_2) | instskip(NEXT) | instid1(VALU_DEP_1)
	v_min_u32_e32 v10, 1, v10
	v_or_b32_e32 v10, v11, v10
	s_delay_alu instid0(VALU_DEP_1) | instskip(NEXT) | instid1(VALU_DEP_1)
	v_cvt_f32_u32_e32 v10, v10
	v_ldexp_f32 v1, v10, v1
	s_delay_alu instid0(VALU_DEP_1) | instskip(NEXT) | instid1(VALU_DEP_1)
	v_cvt_f16_f32_e32 v1, v1
	v_and_b32_e32 v1, 0xffff, v1
	global_store_b32 v[8:9], v1, off
.LBB70_2891:
	s_mov_b32 s2, 0
.LBB70_2892:
	s_delay_alu instid0(SALU_CYCLE_1)
	s_and_not1_b32 vcc_lo, exec_lo, s2
	s_cbranch_vccnz .LBB70_2901
; %bb.2893:
	s_cmp_lt_i32 s0, 6
	s_mov_b32 s2, -1
	s_cbranch_scc1 .LBB70_2899
; %bb.2894:
	s_cmp_gt_i32 s0, 6
	s_cbranch_scc0 .LBB70_2896
; %bb.2895:
	s_wait_xcnt 0x0
	v_cvt_f64_u32_e32 v[10:11], v3
	v_cvt_f64_u32_e32 v[12:13], v2
	s_mov_b32 s2, 0
	s_delay_alu instid0(VALU_DEP_2) | instskip(NEXT) | instid1(VALU_DEP_1)
	v_ldexp_f64 v[10:11], v[10:11], 32
	v_add_f64_e32 v[10:11], v[10:11], v[12:13]
	global_store_b64 v[8:9], v[10:11], off
.LBB70_2896:
	s_and_not1_b32 vcc_lo, exec_lo, s2
	s_cbranch_vccnz .LBB70_2898
; %bb.2897:
	s_wait_xcnt 0x0
	v_clz_i32_u32_e32 v1, v3
	s_delay_alu instid0(VALU_DEP_1) | instskip(NEXT) | instid1(VALU_DEP_1)
	v_min_u32_e32 v1, 32, v1
	v_lshlrev_b64_e32 v[10:11], v1, v[2:3]
	v_sub_nc_u32_e32 v1, 32, v1
	s_delay_alu instid0(VALU_DEP_2) | instskip(NEXT) | instid1(VALU_DEP_1)
	v_min_u32_e32 v10, 1, v10
	v_or_b32_e32 v10, v11, v10
	s_delay_alu instid0(VALU_DEP_1) | instskip(NEXT) | instid1(VALU_DEP_1)
	v_cvt_f32_u32_e32 v10, v10
	v_ldexp_f32 v1, v10, v1
	global_store_b32 v[8:9], v1, off
.LBB70_2898:
	s_mov_b32 s2, 0
.LBB70_2899:
	s_delay_alu instid0(SALU_CYCLE_1)
	s_and_not1_b32 vcc_lo, exec_lo, s2
	s_cbranch_vccnz .LBB70_2901
; %bb.2900:
	s_wait_xcnt 0x0
	v_clz_i32_u32_e32 v1, v3
	s_delay_alu instid0(VALU_DEP_1) | instskip(NEXT) | instid1(VALU_DEP_1)
	v_min_u32_e32 v1, 32, v1
	v_lshlrev_b64_e32 v[10:11], v1, v[2:3]
	v_sub_nc_u32_e32 v1, 32, v1
	s_delay_alu instid0(VALU_DEP_2) | instskip(NEXT) | instid1(VALU_DEP_1)
	v_min_u32_e32 v10, 1, v10
	v_or_b32_e32 v10, v11, v10
	s_delay_alu instid0(VALU_DEP_1) | instskip(NEXT) | instid1(VALU_DEP_1)
	v_cvt_f32_u32_e32 v10, v10
	v_ldexp_f32 v1, v10, v1
	s_delay_alu instid0(VALU_DEP_1)
	v_cvt_f16_f32_e32 v1, v1
	global_store_b16 v[8:9], v1, off
.LBB70_2901:
	s_mov_b32 s2, 0
.LBB70_2902:
	s_delay_alu instid0(SALU_CYCLE_1)
	s_and_not1_b32 vcc_lo, exec_lo, s2
	s_cbranch_vccnz .LBB70_2918
; %bb.2903:
	s_cmp_lt_i32 s0, 2
	s_mov_b32 s2, -1
	s_cbranch_scc1 .LBB70_2913
; %bb.2904:
	s_cmp_lt_i32 s0, 3
	s_cbranch_scc1 .LBB70_2910
; %bb.2905:
	s_cmp_gt_i32 s0, 3
	s_cbranch_scc0 .LBB70_2907
; %bb.2906:
	s_mov_b32 s2, 0
	global_store_b64 v[8:9], v[2:3], off
.LBB70_2907:
	s_and_not1_b32 vcc_lo, exec_lo, s2
	s_cbranch_vccnz .LBB70_2909
; %bb.2908:
	global_store_b32 v[8:9], v2, off
.LBB70_2909:
	s_mov_b32 s2, 0
.LBB70_2910:
	s_delay_alu instid0(SALU_CYCLE_1)
	s_and_not1_b32 vcc_lo, exec_lo, s2
	s_cbranch_vccnz .LBB70_2912
; %bb.2911:
	global_store_b16 v[8:9], v2, off
.LBB70_2912:
	s_mov_b32 s2, 0
.LBB70_2913:
	s_delay_alu instid0(SALU_CYCLE_1)
	s_and_not1_b32 vcc_lo, exec_lo, s2
	s_cbranch_vccnz .LBB70_2918
; %bb.2914:
	s_cmp_gt_i32 s0, 0
	s_mov_b32 s0, -1
	s_cbranch_scc0 .LBB70_2916
; %bb.2915:
	s_mov_b32 s0, 0
	global_store_b8 v[8:9], v2, off
.LBB70_2916:
	s_and_not1_b32 vcc_lo, exec_lo, s0
	s_cbranch_vccnz .LBB70_2918
; %bb.2917:
	global_store_b8 v[8:9], v2, off
.LBB70_2918:
	s_mov_b32 s6, -1
.LBB70_2919:
	s_delay_alu instid0(SALU_CYCLE_1)
	s_and_not1_b32 vcc_lo, exec_lo, s6
	s_cbranch_vccnz .LBB70_3115
; %bb.2920:
	v_add_nc_u32_e32 v0, s1, v0
	s_cmp_lt_i32 s16, 11
	s_wait_xcnt 0x0
	s_delay_alu instid0(VALU_DEP_1) | instskip(NEXT) | instid1(VALU_DEP_1)
	v_ashrrev_i32_e32 v1, 31, v0
	v_add_nc_u64_e32 v[2:3], s[4:5], v[0:1]
	s_cbranch_scc1 .LBB70_2998
; %bb.2921:
	s_and_b32 s2, 0xffff, s16
	s_mov_b32 s7, -1
	s_mov_b32 s3, 0
	s_cmp_gt_i32 s2, 25
	s_mov_b32 s6, 0
	s_mov_b32 s0, 0
	s_cbranch_scc0 .LBB70_2954
; %bb.2922:
	s_cmp_gt_i32 s2, 28
	s_cbranch_scc0 .LBB70_2937
; %bb.2923:
	s_cmp_gt_i32 s2, 43
	;; [unrolled: 3-line block ×3, first 2 shown]
	s_cbranch_scc0 .LBB70_2927
; %bb.2925:
	s_mov_b32 s0, -1
	s_mov_b32 s7, 0
	s_cmp_eq_u32 s2, 46
	s_cbranch_scc0 .LBB70_2927
; %bb.2926:
	v_clz_i32_u32_e32 v1, v5
	s_mov_b32 s0, 0
	s_mov_b32 s6, -1
	s_delay_alu instid0(VALU_DEP_1) | instskip(NEXT) | instid1(VALU_DEP_1)
	v_min_u32_e32 v1, 32, v1
	v_lshlrev_b64_e32 v[8:9], v1, v[4:5]
	v_sub_nc_u32_e32 v1, 32, v1
	s_delay_alu instid0(VALU_DEP_2) | instskip(NEXT) | instid1(VALU_DEP_1)
	v_min_u32_e32 v8, 1, v8
	v_or_b32_e32 v8, v9, v8
	s_delay_alu instid0(VALU_DEP_1) | instskip(NEXT) | instid1(VALU_DEP_1)
	v_cvt_f32_u32_e32 v8, v8
	v_ldexp_f32 v1, v8, v1
	s_delay_alu instid0(VALU_DEP_1) | instskip(NEXT) | instid1(VALU_DEP_1)
	v_bfe_u32 v8, v1, 16, 1
	v_add3_u32 v1, v1, v8, 0x7fff
	s_delay_alu instid0(VALU_DEP_1)
	v_lshrrev_b32_e32 v1, 16, v1
	global_store_b32 v[2:3], v1, off
.LBB70_2927:
	s_and_b32 vcc_lo, exec_lo, s7
	s_cbranch_vccz .LBB70_2932
; %bb.2928:
	s_cmp_eq_u32 s2, 44
	s_mov_b32 s0, -1
	s_cbranch_scc0 .LBB70_2932
; %bb.2929:
	s_wait_xcnt 0x0
	v_clz_i32_u32_e32 v1, v5
	s_mov_b32 s6, exec_lo
	s_delay_alu instid0(VALU_DEP_1) | instskip(NEXT) | instid1(VALU_DEP_1)
	v_min_u32_e32 v1, 32, v1
	v_lshlrev_b64_e32 v[8:9], v1, v[4:5]
	v_sub_nc_u32_e32 v1, 32, v1
	s_delay_alu instid0(VALU_DEP_2) | instskip(NEXT) | instid1(VALU_DEP_1)
	v_min_u32_e32 v8, 1, v8
	v_or_b32_e32 v8, v9, v8
	s_delay_alu instid0(VALU_DEP_1) | instskip(NEXT) | instid1(VALU_DEP_1)
	v_cvt_f32_u32_e32 v8, v8
	v_ldexp_f32 v9, v8, v1
	s_delay_alu instid0(VALU_DEP_1) | instskip(NEXT) | instid1(VALU_DEP_1)
	v_dual_mov_b32 v8, 0xff :: v_dual_lshrrev_b32 v1, 23, v9
	v_cmpx_ne_u32_e32 0xff, v1
; %bb.2930:
	v_and_b32_e32 v8, 0x400000, v9
	v_and_or_b32 v9, 0x3fffff, v9, v1
	s_delay_alu instid0(VALU_DEP_2) | instskip(NEXT) | instid1(VALU_DEP_2)
	v_cmp_ne_u32_e32 vcc_lo, 0, v8
	v_cmp_ne_u32_e64 s0, 0, v9
	s_and_b32 s0, vcc_lo, s0
	s_delay_alu instid0(SALU_CYCLE_1) | instskip(NEXT) | instid1(VALU_DEP_1)
	v_cndmask_b32_e64 v8, 0, 1, s0
	v_add_nc_u32_e32 v8, v1, v8
; %bb.2931:
	s_or_b32 exec_lo, exec_lo, s6
	s_mov_b32 s0, 0
	s_mov_b32 s6, -1
	global_store_b8 v[2:3], v8, off
.LBB70_2932:
	s_mov_b32 s7, 0
.LBB70_2933:
	s_delay_alu instid0(SALU_CYCLE_1)
	s_and_b32 vcc_lo, exec_lo, s7
	s_cbranch_vccz .LBB70_2936
; %bb.2934:
	s_cmp_eq_u32 s2, 29
	s_mov_b32 s0, -1
	s_cbranch_scc0 .LBB70_2936
; %bb.2935:
	s_mov_b32 s0, 0
	s_mov_b32 s6, -1
	global_store_b64 v[2:3], v[4:5], off
.LBB70_2936:
	s_mov_b32 s7, 0
.LBB70_2937:
	s_delay_alu instid0(SALU_CYCLE_1)
	s_and_b32 vcc_lo, exec_lo, s7
	s_cbranch_vccz .LBB70_2953
; %bb.2938:
	s_cmp_lt_i32 s2, 27
	s_mov_b32 s6, -1
	s_cbranch_scc1 .LBB70_2944
; %bb.2939:
	s_cmp_gt_i32 s2, 27
	s_cbranch_scc0 .LBB70_2941
; %bb.2940:
	s_mov_b32 s6, 0
	global_store_b32 v[2:3], v4, off
.LBB70_2941:
	s_and_not1_b32 vcc_lo, exec_lo, s6
	s_cbranch_vccnz .LBB70_2943
; %bb.2942:
	global_store_b16 v[2:3], v4, off
.LBB70_2943:
	s_mov_b32 s6, 0
.LBB70_2944:
	s_delay_alu instid0(SALU_CYCLE_1)
	s_and_not1_b32 vcc_lo, exec_lo, s6
	s_cbranch_vccnz .LBB70_2952
; %bb.2945:
	s_wait_xcnt 0x0
	v_clz_i32_u32_e32 v1, v5
	s_mov_b32 s6, exec_lo
	s_delay_alu instid0(VALU_DEP_1) | instskip(NEXT) | instid1(VALU_DEP_1)
	v_min_u32_e32 v1, 32, v1
	v_lshlrev_b64_e32 v[8:9], v1, v[4:5]
	v_sub_nc_u32_e32 v1, 32, v1
	s_delay_alu instid0(VALU_DEP_2) | instskip(NEXT) | instid1(VALU_DEP_1)
	v_min_u32_e32 v8, 1, v8
	v_or_b32_e32 v8, v9, v8
	v_mov_b32_e32 v9, 0x80
	s_delay_alu instid0(VALU_DEP_2) | instskip(NEXT) | instid1(VALU_DEP_1)
	v_cvt_f32_u32_e32 v8, v8
	v_ldexp_f32 v8, v8, v1
	s_delay_alu instid0(VALU_DEP_1)
	v_cmpx_gt_u32_e32 0x43800000, v8
	s_cbranch_execz .LBB70_2951
; %bb.2946:
	s_mov_b32 s7, 0
	s_mov_b32 s8, exec_lo
                                        ; implicit-def: $vgpr1
	v_cmpx_lt_u32_e32 0x3bffffff, v8
	s_xor_b32 s8, exec_lo, s8
	s_cbranch_execz .LBB70_3128
; %bb.2947:
	v_bfe_u32 v1, v8, 20, 1
	s_mov_b32 s7, exec_lo
	s_delay_alu instid0(VALU_DEP_1) | instskip(NEXT) | instid1(VALU_DEP_1)
	v_add3_u32 v1, v8, v1, 0x487ffff
                                        ; implicit-def: $vgpr8
	v_lshrrev_b32_e32 v1, 20, v1
	s_and_not1_saveexec_b32 s8, s8
	s_cbranch_execnz .LBB70_3129
.LBB70_2948:
	s_or_b32 exec_lo, exec_lo, s8
	v_mov_b32_e32 v9, 0
	s_and_saveexec_b32 s8, s7
.LBB70_2949:
	v_mov_b32_e32 v9, v1
.LBB70_2950:
	s_or_b32 exec_lo, exec_lo, s8
.LBB70_2951:
	s_delay_alu instid0(SALU_CYCLE_1)
	s_or_b32 exec_lo, exec_lo, s6
	global_store_b8 v[2:3], v9, off
.LBB70_2952:
	s_mov_b32 s6, -1
.LBB70_2953:
	s_mov_b32 s7, 0
.LBB70_2954:
	s_delay_alu instid0(SALU_CYCLE_1)
	s_and_b32 vcc_lo, exec_lo, s7
	s_cbranch_vccz .LBB70_2994
; %bb.2955:
	s_cmp_gt_i32 s2, 22
	s_mov_b32 s3, -1
	s_cbranch_scc0 .LBB70_2987
; %bb.2956:
	s_cmp_lt_i32 s2, 24
	s_cbranch_scc1 .LBB70_2976
; %bb.2957:
	s_cmp_gt_i32 s2, 24
	s_cbranch_scc0 .LBB70_2965
; %bb.2958:
	s_wait_xcnt 0x0
	v_clz_i32_u32_e32 v1, v5
	s_mov_b32 s3, exec_lo
	s_delay_alu instid0(VALU_DEP_1) | instskip(NEXT) | instid1(VALU_DEP_1)
	v_min_u32_e32 v1, 32, v1
	v_lshlrev_b64_e32 v[8:9], v1, v[4:5]
	v_sub_nc_u32_e32 v1, 32, v1
	s_delay_alu instid0(VALU_DEP_2) | instskip(NEXT) | instid1(VALU_DEP_1)
	v_min_u32_e32 v8, 1, v8
	v_or_b32_e32 v8, v9, v8
	v_mov_b32_e32 v9, 0x80
	s_delay_alu instid0(VALU_DEP_2) | instskip(NEXT) | instid1(VALU_DEP_1)
	v_cvt_f32_u32_e32 v8, v8
	v_ldexp_f32 v8, v8, v1
	s_delay_alu instid0(VALU_DEP_1)
	v_cmpx_gt_u32_e32 0x47800000, v8
	s_cbranch_execz .LBB70_2964
; %bb.2959:
	s_mov_b32 s6, 0
	s_mov_b32 s7, exec_lo
                                        ; implicit-def: $vgpr1
	v_cmpx_lt_u32_e32 0x37ffffff, v8
	s_xor_b32 s7, exec_lo, s7
	s_cbranch_execz .LBB70_3131
; %bb.2960:
	v_bfe_u32 v1, v8, 21, 1
	s_mov_b32 s6, exec_lo
	s_delay_alu instid0(VALU_DEP_1) | instskip(NEXT) | instid1(VALU_DEP_1)
	v_add3_u32 v1, v8, v1, 0x88fffff
                                        ; implicit-def: $vgpr8
	v_lshrrev_b32_e32 v1, 21, v1
	s_and_not1_saveexec_b32 s7, s7
	s_cbranch_execnz .LBB70_3132
.LBB70_2961:
	s_or_b32 exec_lo, exec_lo, s7
	v_mov_b32_e32 v9, 0
	s_and_saveexec_b32 s7, s6
.LBB70_2962:
	v_mov_b32_e32 v9, v1
.LBB70_2963:
	s_or_b32 exec_lo, exec_lo, s7
.LBB70_2964:
	s_delay_alu instid0(SALU_CYCLE_1)
	s_or_b32 exec_lo, exec_lo, s3
	s_mov_b32 s3, 0
	global_store_b8 v[2:3], v9, off
.LBB70_2965:
	s_and_b32 vcc_lo, exec_lo, s3
	s_cbranch_vccz .LBB70_2975
; %bb.2966:
	s_wait_xcnt 0x0
	v_clz_i32_u32_e32 v1, v5
	s_mov_b32 s3, exec_lo
	s_delay_alu instid0(VALU_DEP_1) | instskip(NEXT) | instid1(VALU_DEP_1)
	v_min_u32_e32 v1, 32, v1
	v_lshlrev_b64_e32 v[8:9], v1, v[4:5]
	v_sub_nc_u32_e32 v1, 32, v1
	s_delay_alu instid0(VALU_DEP_2) | instskip(NEXT) | instid1(VALU_DEP_1)
	v_min_u32_e32 v8, 1, v8
	v_or_b32_e32 v8, v9, v8
	s_delay_alu instid0(VALU_DEP_1) | instskip(NEXT) | instid1(VALU_DEP_1)
	v_cvt_f32_u32_e32 v8, v8
	v_ldexp_f32 v8, v8, v1
                                        ; implicit-def: $vgpr1
	s_delay_alu instid0(VALU_DEP_1)
	v_cmpx_gt_u32_e32 0x43f00000, v8
	s_xor_b32 s3, exec_lo, s3
	s_cbranch_execz .LBB70_2972
; %bb.2967:
	s_mov_b32 s6, exec_lo
                                        ; implicit-def: $vgpr1
	v_cmpx_lt_u32_e32 0x3c7fffff, v8
	s_xor_b32 s6, exec_lo, s6
; %bb.2968:
	v_bfe_u32 v1, v8, 20, 1
	s_delay_alu instid0(VALU_DEP_1) | instskip(NEXT) | instid1(VALU_DEP_1)
	v_add3_u32 v1, v8, v1, 0x407ffff
	v_and_b32_e32 v8, 0xff00000, v1
	v_lshrrev_b32_e32 v1, 20, v1
	s_delay_alu instid0(VALU_DEP_2) | instskip(NEXT) | instid1(VALU_DEP_2)
	v_cmp_ne_u32_e32 vcc_lo, 0x7f00000, v8
                                        ; implicit-def: $vgpr8
	v_cndmask_b32_e32 v1, 0x7e, v1, vcc_lo
; %bb.2969:
	s_and_not1_saveexec_b32 s6, s6
; %bb.2970:
	v_add_f32_e32 v1, 0x46800000, v8
; %bb.2971:
	s_or_b32 exec_lo, exec_lo, s6
                                        ; implicit-def: $vgpr8
.LBB70_2972:
	s_and_not1_saveexec_b32 s3, s3
; %bb.2973:
	v_mov_b32_e32 v1, 0x7f
	v_cmp_lt_u32_e32 vcc_lo, 0x7f800000, v8
	s_delay_alu instid0(VALU_DEP_2)
	v_cndmask_b32_e32 v1, 0x7e, v1, vcc_lo
; %bb.2974:
	s_or_b32 exec_lo, exec_lo, s3
	global_store_b8 v[2:3], v1, off
.LBB70_2975:
	s_mov_b32 s3, 0
.LBB70_2976:
	s_delay_alu instid0(SALU_CYCLE_1)
	s_and_not1_b32 vcc_lo, exec_lo, s3
	s_cbranch_vccnz .LBB70_2986
; %bb.2977:
	s_wait_xcnt 0x0
	v_clz_i32_u32_e32 v1, v5
	s_mov_b32 s3, exec_lo
	s_delay_alu instid0(VALU_DEP_1) | instskip(NEXT) | instid1(VALU_DEP_1)
	v_min_u32_e32 v1, 32, v1
	v_lshlrev_b64_e32 v[8:9], v1, v[4:5]
	v_sub_nc_u32_e32 v1, 32, v1
	s_delay_alu instid0(VALU_DEP_2) | instskip(NEXT) | instid1(VALU_DEP_1)
	v_min_u32_e32 v8, 1, v8
	v_or_b32_e32 v8, v9, v8
	s_delay_alu instid0(VALU_DEP_1) | instskip(NEXT) | instid1(VALU_DEP_1)
	v_cvt_f32_u32_e32 v8, v8
	v_ldexp_f32 v8, v8, v1
                                        ; implicit-def: $vgpr1
	s_delay_alu instid0(VALU_DEP_1)
	v_cmpx_gt_u32_e32 0x47800000, v8
	s_xor_b32 s3, exec_lo, s3
	s_cbranch_execz .LBB70_2983
; %bb.2978:
	s_mov_b32 s6, exec_lo
                                        ; implicit-def: $vgpr1
	v_cmpx_lt_u32_e32 0x387fffff, v8
	s_xor_b32 s6, exec_lo, s6
; %bb.2979:
	v_bfe_u32 v1, v8, 21, 1
	s_delay_alu instid0(VALU_DEP_1) | instskip(NEXT) | instid1(VALU_DEP_1)
	v_add3_u32 v1, v8, v1, 0x80fffff
                                        ; implicit-def: $vgpr8
	v_lshrrev_b32_e32 v1, 21, v1
; %bb.2980:
	s_and_not1_saveexec_b32 s6, s6
; %bb.2981:
	v_add_f32_e32 v1, 0x43000000, v8
; %bb.2982:
	s_or_b32 exec_lo, exec_lo, s6
                                        ; implicit-def: $vgpr8
.LBB70_2983:
	s_and_not1_saveexec_b32 s3, s3
; %bb.2984:
	v_mov_b32_e32 v1, 0x7f
	v_cmp_lt_u32_e32 vcc_lo, 0x7f800000, v8
	s_delay_alu instid0(VALU_DEP_2)
	v_cndmask_b32_e32 v1, 0x7c, v1, vcc_lo
; %bb.2985:
	s_or_b32 exec_lo, exec_lo, s3
	global_store_b8 v[2:3], v1, off
.LBB70_2986:
	s_mov_b32 s3, 0
	s_mov_b32 s6, -1
.LBB70_2987:
	s_and_not1_b32 vcc_lo, exec_lo, s3
	s_mov_b32 s3, 0
	s_cbranch_vccnz .LBB70_2994
; %bb.2988:
	s_cmp_gt_i32 s2, 14
	s_mov_b32 s3, -1
	s_cbranch_scc0 .LBB70_2992
; %bb.2989:
	s_cmp_eq_u32 s2, 15
	s_mov_b32 s0, -1
	s_cbranch_scc0 .LBB70_2991
; %bb.2990:
	s_wait_xcnt 0x0
	v_clz_i32_u32_e32 v1, v5
	s_mov_b32 s0, 0
	s_mov_b32 s6, -1
	s_delay_alu instid0(VALU_DEP_1) | instskip(NEXT) | instid1(VALU_DEP_1)
	v_min_u32_e32 v1, 32, v1
	v_lshlrev_b64_e32 v[8:9], v1, v[4:5]
	v_sub_nc_u32_e32 v1, 32, v1
	s_delay_alu instid0(VALU_DEP_2) | instskip(NEXT) | instid1(VALU_DEP_1)
	v_min_u32_e32 v8, 1, v8
	v_or_b32_e32 v8, v9, v8
	s_delay_alu instid0(VALU_DEP_1) | instskip(NEXT) | instid1(VALU_DEP_1)
	v_cvt_f32_u32_e32 v8, v8
	v_ldexp_f32 v1, v8, v1
	s_delay_alu instid0(VALU_DEP_1) | instskip(NEXT) | instid1(VALU_DEP_1)
	v_bfe_u32 v8, v1, 16, 1
	v_add3_u32 v1, v1, v8, 0x7fff
	global_store_d16_hi_b16 v[2:3], v1, off
.LBB70_2991:
	s_mov_b32 s3, 0
.LBB70_2992:
	s_delay_alu instid0(SALU_CYCLE_1)
	s_and_b32 vcc_lo, exec_lo, s3
	s_mov_b32 s3, 0
	s_cbranch_vccz .LBB70_2994
; %bb.2993:
	s_cmp_lg_u32 s2, 11
	s_mov_b32 s3, -1
	s_cselect_b32 s0, -1, 0
.LBB70_2994:
	s_delay_alu instid0(SALU_CYCLE_1)
	s_and_b32 vcc_lo, exec_lo, s0
	s_cbranch_vccnz .LBB70_3130
; %bb.2995:
	s_and_not1_b32 vcc_lo, exec_lo, s3
	s_cbranch_vccnz .LBB70_2997
.LBB70_2996:
	v_cmp_ne_u64_e32 vcc_lo, 0, v[4:5]
	s_mov_b32 s6, -1
	s_wait_xcnt 0x0
	v_cndmask_b32_e64 v1, 0, 1, vcc_lo
	global_store_b8 v[2:3], v1, off
.LBB70_2997:
	s_mov_b32 s0, 0
	s_branch .LBB70_2999
.LBB70_2998:
	s_mov_b32 s0, -1
	s_mov_b32 s6, 0
.LBB70_2999:
	s_and_b32 vcc_lo, exec_lo, s0
	s_cbranch_vccz .LBB70_3038
; %bb.3000:
	s_and_b32 s0, 0xffff, s16
	s_mov_b32 s2, -1
	s_cmp_lt_i32 s0, 5
	s_cbranch_scc1 .LBB70_3021
; %bb.3001:
	s_cmp_lt_i32 s0, 8
	s_cbranch_scc1 .LBB70_3011
; %bb.3002:
	;; [unrolled: 3-line block ×3, first 2 shown]
	s_cmp_gt_i32 s0, 9
	s_cbranch_scc0 .LBB70_3005
; %bb.3004:
	s_wait_xcnt 0x0
	v_cvt_f64_u32_e32 v[8:9], v5
	v_cvt_f64_u32_e32 v[10:11], v4
	s_mov_b32 s2, 0
	s_delay_alu instid0(VALU_DEP_2) | instskip(NEXT) | instid1(VALU_DEP_1)
	v_ldexp_f64 v[8:9], v[8:9], 32
	v_dual_add_f64 v[8:9], v[8:9], v[10:11] :: v_dual_mov_b32 v10, 0
	s_delay_alu instid0(VALU_DEP_1)
	v_mov_b32_e32 v11, v10
	global_store_b128 v[2:3], v[8:11], off
.LBB70_3005:
	s_and_not1_b32 vcc_lo, exec_lo, s2
	s_cbranch_vccnz .LBB70_3007
; %bb.3006:
	s_wait_xcnt 0x0
	v_clz_i32_u32_e32 v1, v5
	s_delay_alu instid0(VALU_DEP_1) | instskip(NEXT) | instid1(VALU_DEP_1)
	v_min_u32_e32 v1, 32, v1
	v_lshlrev_b64_e32 v[8:9], v1, v[4:5]
	v_sub_nc_u32_e32 v1, 32, v1
	s_delay_alu instid0(VALU_DEP_2) | instskip(NEXT) | instid1(VALU_DEP_1)
	v_min_u32_e32 v8, 1, v8
	v_dual_mov_b32 v9, 0 :: v_dual_bitop2_b32 v8, v9, v8 bitop3:0x54
	s_delay_alu instid0(VALU_DEP_1) | instskip(NEXT) | instid1(VALU_DEP_1)
	v_cvt_f32_u32_e32 v8, v8
	v_ldexp_f32 v8, v8, v1
	global_store_b64 v[2:3], v[8:9], off
.LBB70_3007:
	s_mov_b32 s2, 0
.LBB70_3008:
	s_delay_alu instid0(SALU_CYCLE_1)
	s_and_not1_b32 vcc_lo, exec_lo, s2
	s_cbranch_vccnz .LBB70_3010
; %bb.3009:
	s_wait_xcnt 0x0
	v_clz_i32_u32_e32 v1, v5
	s_delay_alu instid0(VALU_DEP_1) | instskip(NEXT) | instid1(VALU_DEP_1)
	v_min_u32_e32 v1, 32, v1
	v_lshlrev_b64_e32 v[8:9], v1, v[4:5]
	v_sub_nc_u32_e32 v1, 32, v1
	s_delay_alu instid0(VALU_DEP_2) | instskip(NEXT) | instid1(VALU_DEP_1)
	v_min_u32_e32 v8, 1, v8
	v_or_b32_e32 v8, v9, v8
	s_delay_alu instid0(VALU_DEP_1) | instskip(NEXT) | instid1(VALU_DEP_1)
	v_cvt_f32_u32_e32 v8, v8
	v_ldexp_f32 v1, v8, v1
	s_delay_alu instid0(VALU_DEP_1) | instskip(NEXT) | instid1(VALU_DEP_1)
	v_cvt_f16_f32_e32 v1, v1
	v_and_b32_e32 v1, 0xffff, v1
	global_store_b32 v[2:3], v1, off
.LBB70_3010:
	s_mov_b32 s2, 0
.LBB70_3011:
	s_delay_alu instid0(SALU_CYCLE_1)
	s_and_not1_b32 vcc_lo, exec_lo, s2
	s_cbranch_vccnz .LBB70_3020
; %bb.3012:
	s_cmp_lt_i32 s0, 6
	s_mov_b32 s2, -1
	s_cbranch_scc1 .LBB70_3018
; %bb.3013:
	s_cmp_gt_i32 s0, 6
	s_cbranch_scc0 .LBB70_3015
; %bb.3014:
	s_wait_xcnt 0x0
	v_cvt_f64_u32_e32 v[8:9], v5
	v_cvt_f64_u32_e32 v[10:11], v4
	s_mov_b32 s2, 0
	s_delay_alu instid0(VALU_DEP_2) | instskip(NEXT) | instid1(VALU_DEP_1)
	v_ldexp_f64 v[8:9], v[8:9], 32
	v_add_f64_e32 v[8:9], v[8:9], v[10:11]
	global_store_b64 v[2:3], v[8:9], off
.LBB70_3015:
	s_and_not1_b32 vcc_lo, exec_lo, s2
	s_cbranch_vccnz .LBB70_3017
; %bb.3016:
	s_wait_xcnt 0x0
	v_clz_i32_u32_e32 v1, v5
	s_delay_alu instid0(VALU_DEP_1) | instskip(NEXT) | instid1(VALU_DEP_1)
	v_min_u32_e32 v1, 32, v1
	v_lshlrev_b64_e32 v[8:9], v1, v[4:5]
	v_sub_nc_u32_e32 v1, 32, v1
	s_delay_alu instid0(VALU_DEP_2) | instskip(NEXT) | instid1(VALU_DEP_1)
	v_min_u32_e32 v8, 1, v8
	v_or_b32_e32 v8, v9, v8
	s_delay_alu instid0(VALU_DEP_1) | instskip(NEXT) | instid1(VALU_DEP_1)
	v_cvt_f32_u32_e32 v8, v8
	v_ldexp_f32 v1, v8, v1
	global_store_b32 v[2:3], v1, off
.LBB70_3017:
	s_mov_b32 s2, 0
.LBB70_3018:
	s_delay_alu instid0(SALU_CYCLE_1)
	s_and_not1_b32 vcc_lo, exec_lo, s2
	s_cbranch_vccnz .LBB70_3020
; %bb.3019:
	s_wait_xcnt 0x0
	v_clz_i32_u32_e32 v1, v5
	s_delay_alu instid0(VALU_DEP_1) | instskip(NEXT) | instid1(VALU_DEP_1)
	v_min_u32_e32 v1, 32, v1
	v_lshlrev_b64_e32 v[8:9], v1, v[4:5]
	v_sub_nc_u32_e32 v1, 32, v1
	s_delay_alu instid0(VALU_DEP_2) | instskip(NEXT) | instid1(VALU_DEP_1)
	v_min_u32_e32 v8, 1, v8
	v_or_b32_e32 v8, v9, v8
	s_delay_alu instid0(VALU_DEP_1) | instskip(NEXT) | instid1(VALU_DEP_1)
	v_cvt_f32_u32_e32 v8, v8
	v_ldexp_f32 v1, v8, v1
	s_delay_alu instid0(VALU_DEP_1)
	v_cvt_f16_f32_e32 v1, v1
	global_store_b16 v[2:3], v1, off
.LBB70_3020:
	s_mov_b32 s2, 0
.LBB70_3021:
	s_delay_alu instid0(SALU_CYCLE_1)
	s_and_not1_b32 vcc_lo, exec_lo, s2
	s_cbranch_vccnz .LBB70_3037
; %bb.3022:
	s_cmp_lt_i32 s0, 2
	s_mov_b32 s2, -1
	s_cbranch_scc1 .LBB70_3032
; %bb.3023:
	s_cmp_lt_i32 s0, 3
	s_cbranch_scc1 .LBB70_3029
; %bb.3024:
	s_cmp_gt_i32 s0, 3
	s_cbranch_scc0 .LBB70_3026
; %bb.3025:
	s_mov_b32 s2, 0
	global_store_b64 v[2:3], v[4:5], off
.LBB70_3026:
	s_and_not1_b32 vcc_lo, exec_lo, s2
	s_cbranch_vccnz .LBB70_3028
; %bb.3027:
	global_store_b32 v[2:3], v4, off
.LBB70_3028:
	s_mov_b32 s2, 0
.LBB70_3029:
	s_delay_alu instid0(SALU_CYCLE_1)
	s_and_not1_b32 vcc_lo, exec_lo, s2
	s_cbranch_vccnz .LBB70_3031
; %bb.3030:
	global_store_b16 v[2:3], v4, off
.LBB70_3031:
	s_mov_b32 s2, 0
.LBB70_3032:
	s_delay_alu instid0(SALU_CYCLE_1)
	s_and_not1_b32 vcc_lo, exec_lo, s2
	s_cbranch_vccnz .LBB70_3037
; %bb.3033:
	s_cmp_gt_i32 s0, 0
	s_mov_b32 s0, -1
	s_cbranch_scc0 .LBB70_3035
; %bb.3034:
	s_mov_b32 s0, 0
	global_store_b8 v[2:3], v4, off
.LBB70_3035:
	s_and_not1_b32 vcc_lo, exec_lo, s0
	s_cbranch_vccnz .LBB70_3037
; %bb.3036:
	global_store_b8 v[2:3], v4, off
.LBB70_3037:
	s_mov_b32 s6, -1
.LBB70_3038:
	s_delay_alu instid0(SALU_CYCLE_1)
	s_and_not1_b32 vcc_lo, exec_lo, s6
	s_cbranch_vccnz .LBB70_3115
; %bb.3039:
	v_add_nc_u32_e32 v0, s1, v0
	s_cmp_lt_i32 s16, 11
	s_wait_xcnt 0x0
	s_delay_alu instid0(VALU_DEP_1) | instskip(NEXT) | instid1(VALU_DEP_1)
	v_ashrrev_i32_e32 v1, 31, v0
	v_add_nc_u64_e32 v[0:1], s[4:5], v[0:1]
	s_cbranch_scc1 .LBB70_3116
; %bb.3040:
	s_and_b32 s1, 0xffff, s16
	s_mov_b32 s3, -1
	s_mov_b32 s2, 0
	s_cmp_gt_i32 s1, 25
	s_mov_b32 s0, 0
	s_cbranch_scc0 .LBB70_3073
; %bb.3041:
	s_cmp_gt_i32 s1, 28
	s_cbranch_scc0 .LBB70_3057
; %bb.3042:
	s_cmp_gt_i32 s1, 43
	s_cbranch_scc0 .LBB70_3053
; %bb.3043:
	s_cmp_gt_i32 s1, 45
	s_cbranch_scc0 .LBB70_3047
; %bb.3044:
	s_cmp_eq_u32 s1, 46
	s_mov_b32 s0, -1
	s_cbranch_scc0 .LBB70_3046
; %bb.3045:
	v_clz_i32_u32_e32 v2, v7
	s_mov_b32 s0, 0
	s_delay_alu instid0(VALU_DEP_1) | instskip(NEXT) | instid1(VALU_DEP_1)
	v_min_u32_e32 v4, 32, v2
	v_lshlrev_b64_e32 v[2:3], v4, v[6:7]
	s_delay_alu instid0(VALU_DEP_1) | instskip(NEXT) | instid1(VALU_DEP_1)
	v_min_u32_e32 v2, 1, v2
	v_dual_sub_nc_u32 v3, 32, v4 :: v_dual_bitop2_b32 v2, v3, v2 bitop3:0x54
	s_delay_alu instid0(VALU_DEP_1) | instskip(NEXT) | instid1(VALU_DEP_1)
	v_cvt_f32_u32_e32 v2, v2
	v_ldexp_f32 v2, v2, v3
	s_delay_alu instid0(VALU_DEP_1) | instskip(NEXT) | instid1(VALU_DEP_1)
	v_bfe_u32 v3, v2, 16, 1
	v_add3_u32 v2, v2, v3, 0x7fff
	s_delay_alu instid0(VALU_DEP_1)
	v_lshrrev_b32_e32 v2, 16, v2
	global_store_b32 v[0:1], v2, off
.LBB70_3046:
	s_mov_b32 s3, 0
.LBB70_3047:
	s_delay_alu instid0(SALU_CYCLE_1)
	s_and_b32 vcc_lo, exec_lo, s3
	s_cbranch_vccz .LBB70_3052
; %bb.3048:
	s_cmp_eq_u32 s1, 44
	s_mov_b32 s0, -1
	s_cbranch_scc0 .LBB70_3052
; %bb.3049:
	s_wait_xcnt 0x0
	v_clz_i32_u32_e32 v2, v7
	s_mov_b32 s3, exec_lo
	s_delay_alu instid0(VALU_DEP_1) | instskip(NEXT) | instid1(VALU_DEP_1)
	v_min_u32_e32 v4, 32, v2
	v_lshlrev_b64_e32 v[2:3], v4, v[6:7]
	s_delay_alu instid0(VALU_DEP_1) | instskip(NEXT) | instid1(VALU_DEP_1)
	v_min_u32_e32 v2, 1, v2
	v_dual_sub_nc_u32 v3, 32, v4 :: v_dual_bitop2_b32 v2, v3, v2 bitop3:0x54
	s_delay_alu instid0(VALU_DEP_1) | instskip(NEXT) | instid1(VALU_DEP_1)
	v_cvt_f32_u32_e32 v2, v2
	v_ldexp_f32 v4, v2, v3
	s_delay_alu instid0(VALU_DEP_1) | instskip(NEXT) | instid1(VALU_DEP_1)
	v_dual_mov_b32 v3, 0xff :: v_dual_lshrrev_b32 v2, 23, v4
	v_cmpx_ne_u32_e32 0xff, v2
; %bb.3050:
	v_and_b32_e32 v3, 0x400000, v4
	v_and_or_b32 v4, 0x3fffff, v4, v2
	s_delay_alu instid0(VALU_DEP_2) | instskip(NEXT) | instid1(VALU_DEP_2)
	v_cmp_ne_u32_e32 vcc_lo, 0, v3
	v_cmp_ne_u32_e64 s0, 0, v4
	s_and_b32 s0, vcc_lo, s0
	s_delay_alu instid0(SALU_CYCLE_1) | instskip(NEXT) | instid1(VALU_DEP_1)
	v_cndmask_b32_e64 v3, 0, 1, s0
	v_add_nc_u32_e32 v3, v2, v3
; %bb.3051:
	s_or_b32 exec_lo, exec_lo, s3
	s_mov_b32 s0, 0
	global_store_b8 v[0:1], v3, off
.LBB70_3052:
	s_mov_b32 s3, 0
.LBB70_3053:
	s_delay_alu instid0(SALU_CYCLE_1)
	s_and_b32 vcc_lo, exec_lo, s3
	s_cbranch_vccz .LBB70_3056
; %bb.3054:
	s_cmp_eq_u32 s1, 29
	s_mov_b32 s0, -1
	s_cbranch_scc0 .LBB70_3056
; %bb.3055:
	s_mov_b32 s0, 0
	global_store_b64 v[0:1], v[6:7], off
.LBB70_3056:
	s_mov_b32 s3, 0
.LBB70_3057:
	s_delay_alu instid0(SALU_CYCLE_1)
	s_and_b32 vcc_lo, exec_lo, s3
	s_cbranch_vccz .LBB70_3072
; %bb.3058:
	s_cmp_lt_i32 s1, 27
	s_mov_b32 s3, -1
	s_cbranch_scc1 .LBB70_3064
; %bb.3059:
	s_cmp_gt_i32 s1, 27
	s_cbranch_scc0 .LBB70_3061
; %bb.3060:
	s_mov_b32 s3, 0
	global_store_b32 v[0:1], v6, off
.LBB70_3061:
	s_and_not1_b32 vcc_lo, exec_lo, s3
	s_cbranch_vccnz .LBB70_3063
; %bb.3062:
	global_store_b16 v[0:1], v6, off
.LBB70_3063:
	s_mov_b32 s3, 0
.LBB70_3064:
	s_delay_alu instid0(SALU_CYCLE_1)
	s_and_not1_b32 vcc_lo, exec_lo, s3
	s_cbranch_vccnz .LBB70_3072
; %bb.3065:
	s_wait_xcnt 0x0
	v_clz_i32_u32_e32 v2, v7
	s_mov_b32 s3, exec_lo
	s_delay_alu instid0(VALU_DEP_1) | instskip(NEXT) | instid1(VALU_DEP_1)
	v_min_u32_e32 v4, 32, v2
	v_lshlrev_b64_e32 v[2:3], v4, v[6:7]
	s_delay_alu instid0(VALU_DEP_1) | instskip(NEXT) | instid1(VALU_DEP_1)
	v_min_u32_e32 v2, 1, v2
	v_dual_sub_nc_u32 v3, 32, v4 :: v_dual_bitop2_b32 v2, v3, v2 bitop3:0x54
	v_mov_b32_e32 v4, 0x80
	s_delay_alu instid0(VALU_DEP_2) | instskip(NEXT) | instid1(VALU_DEP_1)
	v_cvt_f32_u32_e32 v2, v2
	v_ldexp_f32 v3, v2, v3
	s_delay_alu instid0(VALU_DEP_1)
	v_cmpx_gt_u32_e32 0x43800000, v3
	s_cbranch_execz .LBB70_3071
; %bb.3066:
	s_mov_b32 s4, 0
	s_mov_b32 s5, exec_lo
                                        ; implicit-def: $vgpr2
	v_cmpx_lt_u32_e32 0x3bffffff, v3
	s_xor_b32 s5, exec_lo, s5
	s_cbranch_execz .LBB70_3133
; %bb.3067:
	v_bfe_u32 v2, v3, 20, 1
	s_mov_b32 s4, exec_lo
	s_delay_alu instid0(VALU_DEP_1) | instskip(NEXT) | instid1(VALU_DEP_1)
	v_add3_u32 v2, v3, v2, 0x487ffff
                                        ; implicit-def: $vgpr3
	v_lshrrev_b32_e32 v2, 20, v2
	s_and_not1_saveexec_b32 s5, s5
	s_cbranch_execnz .LBB70_3134
.LBB70_3068:
	s_or_b32 exec_lo, exec_lo, s5
	v_mov_b32_e32 v4, 0
	s_and_saveexec_b32 s5, s4
.LBB70_3069:
	v_mov_b32_e32 v4, v2
.LBB70_3070:
	s_or_b32 exec_lo, exec_lo, s5
.LBB70_3071:
	s_delay_alu instid0(SALU_CYCLE_1)
	s_or_b32 exec_lo, exec_lo, s3
	global_store_b8 v[0:1], v4, off
.LBB70_3072:
	s_mov_b32 s3, 0
.LBB70_3073:
	s_delay_alu instid0(SALU_CYCLE_1)
	s_and_b32 vcc_lo, exec_lo, s3
	s_cbranch_vccz .LBB70_3113
; %bb.3074:
	s_cmp_gt_i32 s1, 22
	s_mov_b32 s2, -1
	s_cbranch_scc0 .LBB70_3106
; %bb.3075:
	s_cmp_lt_i32 s1, 24
	s_cbranch_scc1 .LBB70_3095
; %bb.3076:
	s_cmp_gt_i32 s1, 24
	s_cbranch_scc0 .LBB70_3084
; %bb.3077:
	s_wait_xcnt 0x0
	v_clz_i32_u32_e32 v2, v7
	s_mov_b32 s2, exec_lo
	s_delay_alu instid0(VALU_DEP_1) | instskip(NEXT) | instid1(VALU_DEP_1)
	v_min_u32_e32 v4, 32, v2
	v_lshlrev_b64_e32 v[2:3], v4, v[6:7]
	s_delay_alu instid0(VALU_DEP_1) | instskip(NEXT) | instid1(VALU_DEP_1)
	v_min_u32_e32 v2, 1, v2
	v_dual_sub_nc_u32 v3, 32, v4 :: v_dual_bitop2_b32 v2, v3, v2 bitop3:0x54
	v_mov_b32_e32 v4, 0x80
	s_delay_alu instid0(VALU_DEP_2) | instskip(NEXT) | instid1(VALU_DEP_1)
	v_cvt_f32_u32_e32 v2, v2
	v_ldexp_f32 v3, v2, v3
	s_delay_alu instid0(VALU_DEP_1)
	v_cmpx_gt_u32_e32 0x47800000, v3
	s_cbranch_execz .LBB70_3083
; %bb.3078:
	s_mov_b32 s3, 0
	s_mov_b32 s4, exec_lo
                                        ; implicit-def: $vgpr2
	v_cmpx_lt_u32_e32 0x37ffffff, v3
	s_xor_b32 s4, exec_lo, s4
	s_cbranch_execz .LBB70_3136
; %bb.3079:
	v_bfe_u32 v2, v3, 21, 1
	s_mov_b32 s3, exec_lo
	s_delay_alu instid0(VALU_DEP_1) | instskip(NEXT) | instid1(VALU_DEP_1)
	v_add3_u32 v2, v3, v2, 0x88fffff
                                        ; implicit-def: $vgpr3
	v_lshrrev_b32_e32 v2, 21, v2
	s_and_not1_saveexec_b32 s4, s4
	s_cbranch_execnz .LBB70_3137
.LBB70_3080:
	s_or_b32 exec_lo, exec_lo, s4
	v_mov_b32_e32 v4, 0
	s_and_saveexec_b32 s4, s3
.LBB70_3081:
	v_mov_b32_e32 v4, v2
.LBB70_3082:
	s_or_b32 exec_lo, exec_lo, s4
.LBB70_3083:
	s_delay_alu instid0(SALU_CYCLE_1)
	s_or_b32 exec_lo, exec_lo, s2
	s_mov_b32 s2, 0
	global_store_b8 v[0:1], v4, off
.LBB70_3084:
	s_and_b32 vcc_lo, exec_lo, s2
	s_cbranch_vccz .LBB70_3094
; %bb.3085:
	s_wait_xcnt 0x0
	v_clz_i32_u32_e32 v2, v7
	s_mov_b32 s2, exec_lo
	s_delay_alu instid0(VALU_DEP_1) | instskip(NEXT) | instid1(VALU_DEP_1)
	v_min_u32_e32 v4, 32, v2
	v_lshlrev_b64_e32 v[2:3], v4, v[6:7]
	s_delay_alu instid0(VALU_DEP_1) | instskip(NEXT) | instid1(VALU_DEP_1)
	v_min_u32_e32 v2, 1, v2
	v_dual_sub_nc_u32 v3, 32, v4 :: v_dual_bitop2_b32 v2, v3, v2 bitop3:0x54
	s_delay_alu instid0(VALU_DEP_1) | instskip(NEXT) | instid1(VALU_DEP_1)
	v_cvt_f32_u32_e32 v2, v2
	v_ldexp_f32 v3, v2, v3
                                        ; implicit-def: $vgpr2
	s_delay_alu instid0(VALU_DEP_1)
	v_cmpx_gt_u32_e32 0x43f00000, v3
	s_xor_b32 s2, exec_lo, s2
	s_cbranch_execz .LBB70_3091
; %bb.3086:
	s_mov_b32 s3, exec_lo
                                        ; implicit-def: $vgpr2
	v_cmpx_lt_u32_e32 0x3c7fffff, v3
	s_xor_b32 s3, exec_lo, s3
; %bb.3087:
	v_bfe_u32 v2, v3, 20, 1
	s_delay_alu instid0(VALU_DEP_1) | instskip(NEXT) | instid1(VALU_DEP_1)
	v_add3_u32 v2, v3, v2, 0x407ffff
	v_and_b32_e32 v3, 0xff00000, v2
	v_lshrrev_b32_e32 v2, 20, v2
	s_delay_alu instid0(VALU_DEP_2) | instskip(NEXT) | instid1(VALU_DEP_2)
	v_cmp_ne_u32_e32 vcc_lo, 0x7f00000, v3
                                        ; implicit-def: $vgpr3
	v_cndmask_b32_e32 v2, 0x7e, v2, vcc_lo
; %bb.3088:
	s_and_not1_saveexec_b32 s3, s3
; %bb.3089:
	v_add_f32_e32 v2, 0x46800000, v3
; %bb.3090:
	s_or_b32 exec_lo, exec_lo, s3
                                        ; implicit-def: $vgpr3
.LBB70_3091:
	s_and_not1_saveexec_b32 s2, s2
; %bb.3092:
	v_mov_b32_e32 v2, 0x7f
	v_cmp_lt_u32_e32 vcc_lo, 0x7f800000, v3
	s_delay_alu instid0(VALU_DEP_2)
	v_cndmask_b32_e32 v2, 0x7e, v2, vcc_lo
; %bb.3093:
	s_or_b32 exec_lo, exec_lo, s2
	global_store_b8 v[0:1], v2, off
.LBB70_3094:
	s_mov_b32 s2, 0
.LBB70_3095:
	s_delay_alu instid0(SALU_CYCLE_1)
	s_and_not1_b32 vcc_lo, exec_lo, s2
	s_cbranch_vccnz .LBB70_3105
; %bb.3096:
	s_wait_xcnt 0x0
	v_clz_i32_u32_e32 v2, v7
	s_mov_b32 s2, exec_lo
	s_delay_alu instid0(VALU_DEP_1) | instskip(NEXT) | instid1(VALU_DEP_1)
	v_min_u32_e32 v4, 32, v2
	v_lshlrev_b64_e32 v[2:3], v4, v[6:7]
	s_delay_alu instid0(VALU_DEP_1) | instskip(NEXT) | instid1(VALU_DEP_1)
	v_min_u32_e32 v2, 1, v2
	v_dual_sub_nc_u32 v3, 32, v4 :: v_dual_bitop2_b32 v2, v3, v2 bitop3:0x54
	s_delay_alu instid0(VALU_DEP_1) | instskip(NEXT) | instid1(VALU_DEP_1)
	v_cvt_f32_u32_e32 v2, v2
	v_ldexp_f32 v3, v2, v3
                                        ; implicit-def: $vgpr2
	s_delay_alu instid0(VALU_DEP_1)
	v_cmpx_gt_u32_e32 0x47800000, v3
	s_xor_b32 s2, exec_lo, s2
	s_cbranch_execz .LBB70_3102
; %bb.3097:
	s_mov_b32 s3, exec_lo
                                        ; implicit-def: $vgpr2
	v_cmpx_lt_u32_e32 0x387fffff, v3
	s_xor_b32 s3, exec_lo, s3
; %bb.3098:
	v_bfe_u32 v2, v3, 21, 1
	s_delay_alu instid0(VALU_DEP_1) | instskip(NEXT) | instid1(VALU_DEP_1)
	v_add3_u32 v2, v3, v2, 0x80fffff
                                        ; implicit-def: $vgpr3
	v_lshrrev_b32_e32 v2, 21, v2
; %bb.3099:
	s_and_not1_saveexec_b32 s3, s3
; %bb.3100:
	v_add_f32_e32 v2, 0x43000000, v3
; %bb.3101:
	s_or_b32 exec_lo, exec_lo, s3
                                        ; implicit-def: $vgpr3
.LBB70_3102:
	s_and_not1_saveexec_b32 s2, s2
; %bb.3103:
	v_mov_b32_e32 v2, 0x7f
	v_cmp_lt_u32_e32 vcc_lo, 0x7f800000, v3
	s_delay_alu instid0(VALU_DEP_2)
	v_cndmask_b32_e32 v2, 0x7c, v2, vcc_lo
; %bb.3104:
	s_or_b32 exec_lo, exec_lo, s2
	global_store_b8 v[0:1], v2, off
.LBB70_3105:
	s_mov_b32 s2, 0
.LBB70_3106:
	s_delay_alu instid0(SALU_CYCLE_1)
	s_and_not1_b32 vcc_lo, exec_lo, s2
	s_mov_b32 s2, 0
	s_cbranch_vccnz .LBB70_3113
; %bb.3107:
	s_cmp_gt_i32 s1, 14
	s_mov_b32 s2, -1
	s_cbranch_scc0 .LBB70_3111
; %bb.3108:
	s_cmp_eq_u32 s1, 15
	s_mov_b32 s0, -1
	s_cbranch_scc0 .LBB70_3110
; %bb.3109:
	s_wait_xcnt 0x0
	v_clz_i32_u32_e32 v2, v7
	s_mov_b32 s0, 0
	s_delay_alu instid0(VALU_DEP_1) | instskip(NEXT) | instid1(VALU_DEP_1)
	v_min_u32_e32 v4, 32, v2
	v_lshlrev_b64_e32 v[2:3], v4, v[6:7]
	s_delay_alu instid0(VALU_DEP_1) | instskip(NEXT) | instid1(VALU_DEP_1)
	v_min_u32_e32 v2, 1, v2
	v_dual_sub_nc_u32 v3, 32, v4 :: v_dual_bitop2_b32 v2, v3, v2 bitop3:0x54
	s_delay_alu instid0(VALU_DEP_1) | instskip(NEXT) | instid1(VALU_DEP_1)
	v_cvt_f32_u32_e32 v2, v2
	v_ldexp_f32 v2, v2, v3
	s_delay_alu instid0(VALU_DEP_1) | instskip(NEXT) | instid1(VALU_DEP_1)
	v_bfe_u32 v3, v2, 16, 1
	v_add3_u32 v2, v2, v3, 0x7fff
	global_store_d16_hi_b16 v[0:1], v2, off
.LBB70_3110:
	s_mov_b32 s2, 0
.LBB70_3111:
	s_delay_alu instid0(SALU_CYCLE_1)
	s_and_b32 vcc_lo, exec_lo, s2
	s_mov_b32 s2, 0
	s_cbranch_vccz .LBB70_3113
; %bb.3112:
	s_cmp_lg_u32 s1, 11
	s_mov_b32 s2, -1
	s_cselect_b32 s0, -1, 0
.LBB70_3113:
	s_delay_alu instid0(SALU_CYCLE_1)
	s_and_b32 vcc_lo, exec_lo, s0
	s_cbranch_vccnz .LBB70_3135
.LBB70_3114:
	s_mov_b32 s0, 0
	s_branch .LBB70_2626
.LBB70_3115:
	s_mov_b32 s0, 0
	s_mov_b32 s2, 0
                                        ; implicit-def: $sgpr16
                                        ; implicit-def: $vgpr0_vgpr1
	s_branch .LBB70_2626
.LBB70_3116:
	s_mov_b32 s2, 0
	s_mov_b32 s0, -1
	s_branch .LBB70_2626
.LBB70_3117:
	s_or_b32 s12, s12, exec_lo
	s_trap 2
	s_cbranch_execz .LBB70_2571
	s_branch .LBB70_2572
.LBB70_3118:
	s_and_not1_saveexec_b32 s7, s7
	s_cbranch_execz .LBB70_2710
.LBB70_3119:
	v_add_f32_e32 v9, 0x46000000, v12
	s_and_not1_b32 s6, s6, exec_lo
	s_delay_alu instid0(VALU_DEP_1) | instskip(NEXT) | instid1(VALU_DEP_1)
	v_and_b32_e32 v9, 0xff, v9
	v_cmp_ne_u32_e32 vcc_lo, 0, v9
	s_and_b32 s9, vcc_lo, exec_lo
	s_delay_alu instid0(SALU_CYCLE_1)
	s_or_b32 s6, s6, s9
	s_or_b32 exec_lo, exec_lo, s7
	v_mov_b32_e32 v13, 0
	s_and_saveexec_b32 s7, s6
	s_cbranch_execnz .LBB70_2711
	s_branch .LBB70_2712
.LBB70_3120:
	s_or_b32 s12, s12, exec_lo
	s_trap 2
	s_cbranch_execz .LBB70_2758
	s_branch .LBB70_2759
.LBB70_3121:
	s_and_not1_saveexec_b32 s6, s6
	s_cbranch_execz .LBB70_2723
.LBB70_3122:
	v_add_f32_e32 v9, 0x42800000, v12
	s_and_not1_b32 s3, s3, exec_lo
	s_delay_alu instid0(VALU_DEP_1) | instskip(NEXT) | instid1(VALU_DEP_1)
	v_and_b32_e32 v9, 0xff, v9
	v_cmp_ne_u32_e32 vcc_lo, 0, v9
	s_and_b32 s7, vcc_lo, exec_lo
	s_delay_alu instid0(SALU_CYCLE_1)
	s_or_b32 s3, s3, s7
	s_or_b32 exec_lo, exec_lo, s6
	v_mov_b32_e32 v13, 0
	s_and_saveexec_b32 s6, s3
	s_cbranch_execnz .LBB70_2724
	s_branch .LBB70_2725
.LBB70_3123:
	s_and_not1_saveexec_b32 s8, s8
	s_cbranch_execz .LBB70_2829
.LBB70_3124:
	v_add_f32_e32 v1, 0x46000000, v10
	s_and_not1_b32 s7, s7, exec_lo
	s_delay_alu instid0(VALU_DEP_1) | instskip(NEXT) | instid1(VALU_DEP_1)
	v_and_b32_e32 v1, 0xff, v1
	v_cmp_ne_u32_e32 vcc_lo, 0, v1
	s_and_b32 s9, vcc_lo, exec_lo
	s_delay_alu instid0(SALU_CYCLE_1)
	s_or_b32 s7, s7, s9
	s_or_b32 exec_lo, exec_lo, s8
	v_mov_b32_e32 v11, 0
	s_and_saveexec_b32 s8, s7
	s_cbranch_execnz .LBB70_2830
	s_branch .LBB70_2831
.LBB70_3125:
	s_or_b32 s12, s12, exec_lo
	s_trap 2
	s_cbranch_execz .LBB70_2877
	s_branch .LBB70_2878
.LBB70_3126:
	s_and_not1_saveexec_b32 s7, s7
	s_cbranch_execz .LBB70_2842
.LBB70_3127:
	v_add_f32_e32 v1, 0x42800000, v10
	s_and_not1_b32 s6, s6, exec_lo
	s_delay_alu instid0(VALU_DEP_1) | instskip(NEXT) | instid1(VALU_DEP_1)
	v_and_b32_e32 v1, 0xff, v1
	v_cmp_ne_u32_e32 vcc_lo, 0, v1
	s_and_b32 s8, vcc_lo, exec_lo
	s_delay_alu instid0(SALU_CYCLE_1)
	s_or_b32 s6, s6, s8
	s_or_b32 exec_lo, exec_lo, s7
	v_mov_b32_e32 v11, 0
	s_and_saveexec_b32 s7, s6
	s_cbranch_execnz .LBB70_2843
	s_branch .LBB70_2844
.LBB70_3128:
	s_and_not1_saveexec_b32 s8, s8
	s_cbranch_execz .LBB70_2948
.LBB70_3129:
	v_add_f32_e32 v1, 0x46000000, v8
	s_and_not1_b32 s7, s7, exec_lo
	s_delay_alu instid0(VALU_DEP_1) | instskip(NEXT) | instid1(VALU_DEP_1)
	v_and_b32_e32 v1, 0xff, v1
	v_cmp_ne_u32_e32 vcc_lo, 0, v1
	s_and_b32 s9, vcc_lo, exec_lo
	s_delay_alu instid0(SALU_CYCLE_1)
	s_or_b32 s7, s7, s9
	s_or_b32 exec_lo, exec_lo, s8
	v_mov_b32_e32 v9, 0
	s_and_saveexec_b32 s8, s7
	s_cbranch_execnz .LBB70_2949
	s_branch .LBB70_2950
.LBB70_3130:
	s_or_b32 s12, s12, exec_lo
	s_trap 2
	s_cbranch_execz .LBB70_2996
	s_branch .LBB70_2997
.LBB70_3131:
	s_and_not1_saveexec_b32 s7, s7
	s_cbranch_execz .LBB70_2961
.LBB70_3132:
	v_add_f32_e32 v1, 0x42800000, v8
	s_and_not1_b32 s6, s6, exec_lo
	s_delay_alu instid0(VALU_DEP_1) | instskip(NEXT) | instid1(VALU_DEP_1)
	v_and_b32_e32 v1, 0xff, v1
	v_cmp_ne_u32_e32 vcc_lo, 0, v1
	s_and_b32 s8, vcc_lo, exec_lo
	s_delay_alu instid0(SALU_CYCLE_1)
	s_or_b32 s6, s6, s8
	s_or_b32 exec_lo, exec_lo, s7
	v_mov_b32_e32 v9, 0
	s_and_saveexec_b32 s7, s6
	s_cbranch_execnz .LBB70_2962
	s_branch .LBB70_2963
.LBB70_3133:
	s_and_not1_saveexec_b32 s5, s5
	s_cbranch_execz .LBB70_3068
.LBB70_3134:
	v_add_f32_e32 v2, 0x46000000, v3
	s_and_not1_b32 s4, s4, exec_lo
	s_delay_alu instid0(VALU_DEP_1) | instskip(NEXT) | instid1(VALU_DEP_1)
	v_and_b32_e32 v2, 0xff, v2
	v_cmp_ne_u32_e32 vcc_lo, 0, v2
	s_and_b32 s6, vcc_lo, exec_lo
	s_delay_alu instid0(SALU_CYCLE_1)
	s_or_b32 s4, s4, s6
	s_or_b32 exec_lo, exec_lo, s5
	v_mov_b32_e32 v4, 0
	s_and_saveexec_b32 s5, s4
	s_cbranch_execnz .LBB70_3069
	s_branch .LBB70_3070
.LBB70_3135:
	s_mov_b32 s2, 0
	s_or_b32 s12, s12, exec_lo
	s_trap 2
	s_branch .LBB70_3114
.LBB70_3136:
	s_and_not1_saveexec_b32 s4, s4
	s_cbranch_execz .LBB70_3080
.LBB70_3137:
	v_add_f32_e32 v2, 0x42800000, v3
	s_and_not1_b32 s3, s3, exec_lo
	s_delay_alu instid0(VALU_DEP_1) | instskip(NEXT) | instid1(VALU_DEP_1)
	v_and_b32_e32 v2, 0xff, v2
	v_cmp_ne_u32_e32 vcc_lo, 0, v2
	s_and_b32 s5, vcc_lo, exec_lo
	s_delay_alu instid0(SALU_CYCLE_1)
	s_or_b32 s3, s3, s5
	s_or_b32 exec_lo, exec_lo, s4
	v_mov_b32_e32 v4, 0
	s_and_saveexec_b32 s4, s3
	s_cbranch_execnz .LBB70_3081
	s_branch .LBB70_3082
	.section	.rodata,"a",@progbits
	.p2align	6, 0x0
	.amdhsa_kernel _ZN2at6native32elementwise_kernel_manual_unrollILi128ELi4EZNS0_15gpu_kernel_implIZZZNS0_15lcm_kernel_cudaERNS_18TensorIteratorBaseEENKUlvE_clEvENKUlvE2_clEvEUlllE_EEvS4_RKT_EUlibE_EEviT1_
		.amdhsa_group_segment_fixed_size 0
		.amdhsa_private_segment_fixed_size 0
		.amdhsa_kernarg_size 48
		.amdhsa_user_sgpr_count 2
		.amdhsa_user_sgpr_dispatch_ptr 0
		.amdhsa_user_sgpr_queue_ptr 0
		.amdhsa_user_sgpr_kernarg_segment_ptr 1
		.amdhsa_user_sgpr_dispatch_id 0
		.amdhsa_user_sgpr_kernarg_preload_length 0
		.amdhsa_user_sgpr_kernarg_preload_offset 0
		.amdhsa_user_sgpr_private_segment_size 0
		.amdhsa_wavefront_size32 1
		.amdhsa_uses_dynamic_stack 0
		.amdhsa_enable_private_segment 0
		.amdhsa_system_sgpr_workgroup_id_x 1
		.amdhsa_system_sgpr_workgroup_id_y 0
		.amdhsa_system_sgpr_workgroup_id_z 0
		.amdhsa_system_sgpr_workgroup_info 0
		.amdhsa_system_vgpr_workitem_id 0
		.amdhsa_next_free_vgpr 36
		.amdhsa_next_free_sgpr 35
		.amdhsa_named_barrier_count 0
		.amdhsa_reserve_vcc 1
		.amdhsa_float_round_mode_32 0
		.amdhsa_float_round_mode_16_64 0
		.amdhsa_float_denorm_mode_32 3
		.amdhsa_float_denorm_mode_16_64 3
		.amdhsa_fp16_overflow 0
		.amdhsa_memory_ordered 1
		.amdhsa_forward_progress 1
		.amdhsa_inst_pref_size 255
		.amdhsa_round_robin_scheduling 0
		.amdhsa_exception_fp_ieee_invalid_op 0
		.amdhsa_exception_fp_denorm_src 0
		.amdhsa_exception_fp_ieee_div_zero 0
		.amdhsa_exception_fp_ieee_overflow 0
		.amdhsa_exception_fp_ieee_underflow 0
		.amdhsa_exception_fp_ieee_inexact 0
		.amdhsa_exception_int_div_zero 0
	.end_amdhsa_kernel
	.section	.text._ZN2at6native32elementwise_kernel_manual_unrollILi128ELi4EZNS0_15gpu_kernel_implIZZZNS0_15lcm_kernel_cudaERNS_18TensorIteratorBaseEENKUlvE_clEvENKUlvE2_clEvEUlllE_EEvS4_RKT_EUlibE_EEviT1_,"axG",@progbits,_ZN2at6native32elementwise_kernel_manual_unrollILi128ELi4EZNS0_15gpu_kernel_implIZZZNS0_15lcm_kernel_cudaERNS_18TensorIteratorBaseEENKUlvE_clEvENKUlvE2_clEvEUlllE_EEvS4_RKT_EUlibE_EEviT1_,comdat
.Lfunc_end70:
	.size	_ZN2at6native32elementwise_kernel_manual_unrollILi128ELi4EZNS0_15gpu_kernel_implIZZZNS0_15lcm_kernel_cudaERNS_18TensorIteratorBaseEENKUlvE_clEvENKUlvE2_clEvEUlllE_EEvS4_RKT_EUlibE_EEviT1_, .Lfunc_end70-_ZN2at6native32elementwise_kernel_manual_unrollILi128ELi4EZNS0_15gpu_kernel_implIZZZNS0_15lcm_kernel_cudaERNS_18TensorIteratorBaseEENKUlvE_clEvENKUlvE2_clEvEUlllE_EEvS4_RKT_EUlibE_EEviT1_
                                        ; -- End function
	.set _ZN2at6native32elementwise_kernel_manual_unrollILi128ELi4EZNS0_15gpu_kernel_implIZZZNS0_15lcm_kernel_cudaERNS_18TensorIteratorBaseEENKUlvE_clEvENKUlvE2_clEvEUlllE_EEvS4_RKT_EUlibE_EEviT1_.num_vgpr, 36
	.set _ZN2at6native32elementwise_kernel_manual_unrollILi128ELi4EZNS0_15gpu_kernel_implIZZZNS0_15lcm_kernel_cudaERNS_18TensorIteratorBaseEENKUlvE_clEvENKUlvE2_clEvEUlllE_EEvS4_RKT_EUlibE_EEviT1_.num_agpr, 0
	.set _ZN2at6native32elementwise_kernel_manual_unrollILi128ELi4EZNS0_15gpu_kernel_implIZZZNS0_15lcm_kernel_cudaERNS_18TensorIteratorBaseEENKUlvE_clEvENKUlvE2_clEvEUlllE_EEvS4_RKT_EUlibE_EEviT1_.numbered_sgpr, 35
	.set _ZN2at6native32elementwise_kernel_manual_unrollILi128ELi4EZNS0_15gpu_kernel_implIZZZNS0_15lcm_kernel_cudaERNS_18TensorIteratorBaseEENKUlvE_clEvENKUlvE2_clEvEUlllE_EEvS4_RKT_EUlibE_EEviT1_.num_named_barrier, 0
	.set _ZN2at6native32elementwise_kernel_manual_unrollILi128ELi4EZNS0_15gpu_kernel_implIZZZNS0_15lcm_kernel_cudaERNS_18TensorIteratorBaseEENKUlvE_clEvENKUlvE2_clEvEUlllE_EEvS4_RKT_EUlibE_EEviT1_.private_seg_size, 0
	.set _ZN2at6native32elementwise_kernel_manual_unrollILi128ELi4EZNS0_15gpu_kernel_implIZZZNS0_15lcm_kernel_cudaERNS_18TensorIteratorBaseEENKUlvE_clEvENKUlvE2_clEvEUlllE_EEvS4_RKT_EUlibE_EEviT1_.uses_vcc, 1
	.set _ZN2at6native32elementwise_kernel_manual_unrollILi128ELi4EZNS0_15gpu_kernel_implIZZZNS0_15lcm_kernel_cudaERNS_18TensorIteratorBaseEENKUlvE_clEvENKUlvE2_clEvEUlllE_EEvS4_RKT_EUlibE_EEviT1_.uses_flat_scratch, 0
	.set _ZN2at6native32elementwise_kernel_manual_unrollILi128ELi4EZNS0_15gpu_kernel_implIZZZNS0_15lcm_kernel_cudaERNS_18TensorIteratorBaseEENKUlvE_clEvENKUlvE2_clEvEUlllE_EEvS4_RKT_EUlibE_EEviT1_.has_dyn_sized_stack, 0
	.set _ZN2at6native32elementwise_kernel_manual_unrollILi128ELi4EZNS0_15gpu_kernel_implIZZZNS0_15lcm_kernel_cudaERNS_18TensorIteratorBaseEENKUlvE_clEvENKUlvE2_clEvEUlllE_EEvS4_RKT_EUlibE_EEviT1_.has_recursion, 0
	.set _ZN2at6native32elementwise_kernel_manual_unrollILi128ELi4EZNS0_15gpu_kernel_implIZZZNS0_15lcm_kernel_cudaERNS_18TensorIteratorBaseEENKUlvE_clEvENKUlvE2_clEvEUlllE_EEvS4_RKT_EUlibE_EEviT1_.has_indirect_call, 0
	.section	.AMDGPU.csdata,"",@progbits
; Kernel info:
; codeLenInByte = 82672
; TotalNumSgprs: 37
; NumVgprs: 36
; ScratchSize: 0
; MemoryBound: 1
; FloatMode: 240
; IeeeMode: 1
; LDSByteSize: 0 bytes/workgroup (compile time only)
; SGPRBlocks: 0
; VGPRBlocks: 2
; NumSGPRsForWavesPerEU: 37
; NumVGPRsForWavesPerEU: 36
; NamedBarCnt: 0
; Occupancy: 16
; WaveLimiterHint : 0
; COMPUTE_PGM_RSRC2:SCRATCH_EN: 0
; COMPUTE_PGM_RSRC2:USER_SGPR: 2
; COMPUTE_PGM_RSRC2:TRAP_HANDLER: 0
; COMPUTE_PGM_RSRC2:TGID_X_EN: 1
; COMPUTE_PGM_RSRC2:TGID_Y_EN: 0
; COMPUTE_PGM_RSRC2:TGID_Z_EN: 0
; COMPUTE_PGM_RSRC2:TIDIG_COMP_CNT: 0
	.section	.text._ZN2at6native32elementwise_kernel_manual_unrollILi128ELi4EZNS0_15gpu_kernel_implIZZZNS0_15lcm_kernel_cudaERNS_18TensorIteratorBaseEENKUlvE_clEvENKUlvE2_clEvEUlllE_EEvS4_RKT_EUlibE0_EEviT1_,"axG",@progbits,_ZN2at6native32elementwise_kernel_manual_unrollILi128ELi4EZNS0_15gpu_kernel_implIZZZNS0_15lcm_kernel_cudaERNS_18TensorIteratorBaseEENKUlvE_clEvENKUlvE2_clEvEUlllE_EEvS4_RKT_EUlibE0_EEviT1_,comdat
	.globl	_ZN2at6native32elementwise_kernel_manual_unrollILi128ELi4EZNS0_15gpu_kernel_implIZZZNS0_15lcm_kernel_cudaERNS_18TensorIteratorBaseEENKUlvE_clEvENKUlvE2_clEvEUlllE_EEvS4_RKT_EUlibE0_EEviT1_ ; -- Begin function _ZN2at6native32elementwise_kernel_manual_unrollILi128ELi4EZNS0_15gpu_kernel_implIZZZNS0_15lcm_kernel_cudaERNS_18TensorIteratorBaseEENKUlvE_clEvENKUlvE2_clEvEUlllE_EEvS4_RKT_EUlibE0_EEviT1_
	.p2align	8
	.type	_ZN2at6native32elementwise_kernel_manual_unrollILi128ELi4EZNS0_15gpu_kernel_implIZZZNS0_15lcm_kernel_cudaERNS_18TensorIteratorBaseEENKUlvE_clEvENKUlvE2_clEvEUlllE_EEvS4_RKT_EUlibE0_EEviT1_,@function
_ZN2at6native32elementwise_kernel_manual_unrollILi128ELi4EZNS0_15gpu_kernel_implIZZZNS0_15lcm_kernel_cudaERNS_18TensorIteratorBaseEENKUlvE_clEvENKUlvE2_clEvEUlllE_EEvS4_RKT_EUlibE0_EEviT1_: ; @_ZN2at6native32elementwise_kernel_manual_unrollILi128ELi4EZNS0_15gpu_kernel_implIZZZNS0_15lcm_kernel_cudaERNS_18TensorIteratorBaseEENKUlvE_clEvENKUlvE2_clEvEUlllE_EEvS4_RKT_EUlibE0_EEviT1_
; %bb.0:
	s_clause 0x1
	s_load_b32 s26, s[0:1], 0x8
	s_load_b32 s36, s[0:1], 0x0
	s_bfe_u32 s2, ttmp6, 0x4000c
	s_and_b32 s3, ttmp6, 15
	s_add_co_i32 s2, s2, 1
	s_getreg_b32 s4, hwreg(HW_REG_IB_STS2, 6, 4)
	s_mul_i32 s2, ttmp9, s2
	s_mov_b32 s28, 0
	s_add_co_i32 s3, s3, s2
	s_cmp_eq_u32 s4, 0
	s_mov_b32 s25, -1
	s_cselect_b32 s2, ttmp9, s3
	s_mov_b32 s10, 0
	v_lshl_or_b32 v0, s2, 9, v0
	s_add_nc_u64 s[2:3], s[0:1], 8
	s_wait_xcnt 0x0
	s_mov_b32 s0, exec_lo
	s_delay_alu instid0(VALU_DEP_1) | instskip(SKIP_2) | instid1(SALU_CYCLE_1)
	v_or_b32_e32 v1, 0x180, v0
	s_wait_kmcnt 0x0
	s_add_co_i32 s27, s26, -1
	s_cmp_gt_u32 s27, 1
	s_cselect_b32 s29, -1, 0
	v_cmpx_le_i32_e64 s36, v1
	s_xor_b32 s30, exec_lo, s0
	s_cbranch_execz .LBB71_1617
; %bb.1:
	v_mov_b32_e32 v1, 0
	s_cmp_lg_u32 s26, 0
	s_mov_b32 s19, 0
	s_cselect_b32 s37, -1, 0
	s_min_u32 s35, s27, 15
	s_clause 0x1
	global_load_u16 v2, v1, s[2:3] offset:417
	global_load_i8 v3, v1, s[2:3] offset:419
	s_clause 0x5
	s_load_b128 s[8:11], s[2:3], 0x4
	s_load_b64 s[0:1], s[2:3], 0x14
	s_load_b128 s[12:15], s[2:3], 0xc4
	s_load_b64 s[20:21], s[2:3], 0xd4
	s_load_b64 s[16:17], s[2:3], 0x198
	s_load_b128 s[4:7], s[2:3], 0x188
	s_cmp_gt_u32 s26, 1
	s_mov_b32 s23, s19
	s_mov_b32 s40, s19
	;; [unrolled: 1-line block ×3, first 2 shown]
	s_cselect_b32 s34, -1, 0
	s_mov_b32 s38, s19
	s_mov_b32 s41, exec_lo
	s_wait_kmcnt 0x0
	s_mov_b32 s18, s9
	s_mov_b32 s22, s0
	s_wait_loadcnt 0x1
	v_readfirstlane_b32 s31, v2
	s_wait_loadcnt 0x0
	v_readfirstlane_b32 s9, v3
	s_lshr_b32 s33, s31, 8
	v_cmpx_gt_i32_e64 s36, v0
	s_cbranch_execz .LBB71_399
; %bb.2:
	s_and_not1_b32 vcc_lo, exec_lo, s29
	s_cbranch_vccnz .LBB71_8
; %bb.3:
	s_and_not1_b32 vcc_lo, exec_lo, s37
	s_cbranch_vccnz .LBB71_9
; %bb.4:
	v_dual_mov_b32 v2, 0 :: v_dual_mov_b32 v1, v0
	v_dual_mov_b32 v4, 0 :: v_dual_mov_b32 v6, 0
	s_add_co_i32 s0, s35, 1
	s_mov_b64 s[24:25], 0xffffffffffffffe8
	s_and_b32 s0, s0, 30
	s_add_nc_u64 s[24:25], s[2:3], s[24:25]
.LBB71_5:                               ; =>This Inner Loop Header: Depth=1
	s_clause 0x3
	s_load_b128 s[44:47], s[24:25], 0x1c
	s_load_b64 s[38:39], s[24:25], 0x2c
	s_load_b128 s[48:51], s[24:25], 0xdc
	s_load_b64 s[42:43], s[24:25], 0xec
	s_add_co_i32 s0, s0, -2
	s_wait_xcnt 0x0
	s_add_nc_u64 s[24:25], s[24:25], 24
	s_cmp_lg_u32 s0, 0
	s_wait_kmcnt 0x0
	v_mul_hi_u32 v3, s45, v1
	s_delay_alu instid0(VALU_DEP_1) | instskip(NEXT) | instid1(VALU_DEP_1)
	v_add_nc_u32_e32 v3, v1, v3
	v_lshrrev_b32_e32 v3, s46, v3
	s_delay_alu instid0(VALU_DEP_1) | instskip(SKIP_1) | instid1(VALU_DEP_1)
	v_mul_hi_u32 v5, s38, v3
	v_mul_lo_u32 v7, v3, s44
	v_dual_add_nc_u32 v5, v3, v5 :: v_dual_sub_nc_u32 v7, v1, v7
	s_delay_alu instid0(VALU_DEP_1) | instskip(NEXT) | instid1(VALU_DEP_2)
	v_lshrrev_b32_e32 v1, s39, v5
	v_mad_u32 v2, v7, s48, v2
	v_mad_u32 v6, v7, s50, v6
	;; [unrolled: 1-line block ×3, first 2 shown]
	s_delay_alu instid0(VALU_DEP_4) | instskip(NEXT) | instid1(VALU_DEP_1)
	v_mul_lo_u32 v5, v1, s47
	v_sub_nc_u32_e32 v3, v3, v5
	s_delay_alu instid0(VALU_DEP_1)
	v_mad_u32 v2, v3, s51, v2
	v_mad_u32 v6, v3, s43, v6
	;; [unrolled: 1-line block ×3, first 2 shown]
	s_cbranch_scc1 .LBB71_5
; %bb.6:
	s_bitcmp1_b32 s35, 0
	s_cselect_b32 s0, -1, 0
	s_delay_alu instid0(SALU_CYCLE_1)
	s_and_b32 vcc_lo, exec_lo, s0
	s_cbranch_vccnz .LBB71_10
; %bb.7:
	s_clause 0x1
	s_load_b96 s[44:46], s[24:25], 0x1c
	s_load_b96 s[48:50], s[24:25], 0xdc
	s_wait_kmcnt 0x0
	v_mul_hi_u32 v3, s45, v1
	s_delay_alu instid0(VALU_DEP_1) | instskip(NEXT) | instid1(VALU_DEP_1)
	v_add_nc_u32_e32 v3, v1, v3
	v_lshrrev_b32_e32 v3, s46, v3
	s_delay_alu instid0(VALU_DEP_1) | instskip(NEXT) | instid1(VALU_DEP_1)
	v_mul_lo_u32 v3, v3, s44
	v_sub_nc_u32_e32 v1, v1, v3
	s_delay_alu instid0(VALU_DEP_1)
	v_mad_u32 v2, v1, s48, v2
	v_mad_u32 v4, v1, s49, v4
	;; [unrolled: 1-line block ×3, first 2 shown]
	s_cbranch_execz .LBB71_11
	s_branch .LBB71_13
.LBB71_8:
                                        ; implicit-def: $vgpr6
                                        ; implicit-def: $vgpr4
                                        ; implicit-def: $vgpr2
	s_branch .LBB71_11
.LBB71_9:
	v_dual_mov_b32 v6, 0 :: v_dual_mov_b32 v4, 0
	v_mov_b32_e32 v2, 0
.LBB71_10:
	s_cbranch_execnz .LBB71_13
.LBB71_11:
	v_mov_b32_e32 v1, 0
	s_and_not1_b32 vcc_lo, exec_lo, s34
	s_delay_alu instid0(VALU_DEP_1) | instskip(NEXT) | instid1(VALU_DEP_1)
	v_mul_u64_e32 v[2:3], s[18:19], v[0:1]
	v_add_nc_u32_e32 v2, v0, v3
	s_delay_alu instid0(VALU_DEP_1) | instskip(NEXT) | instid1(VALU_DEP_1)
	v_lshrrev_b32_e32 v8, s10, v2
	v_mul_lo_u32 v2, v8, s8
	s_delay_alu instid0(VALU_DEP_1) | instskip(NEXT) | instid1(VALU_DEP_1)
	v_sub_nc_u32_e32 v3, v0, v2
	v_mul_lo_u32 v2, v3, s12
	v_mul_lo_u32 v6, v3, s14
	;; [unrolled: 1-line block ×3, first 2 shown]
	s_cbranch_vccnz .LBB71_13
; %bb.12:
	v_mov_b32_e32 v9, v1
	s_delay_alu instid0(VALU_DEP_1) | instskip(NEXT) | instid1(VALU_DEP_1)
	v_mul_u64_e32 v[10:11], s[22:23], v[8:9]
	v_add_nc_u32_e32 v1, v8, v11
	s_delay_alu instid0(VALU_DEP_1) | instskip(NEXT) | instid1(VALU_DEP_1)
	v_lshrrev_b32_e32 v1, s1, v1
	v_mul_lo_u32 v1, v1, s11
	s_delay_alu instid0(VALU_DEP_1) | instskip(NEXT) | instid1(VALU_DEP_1)
	v_sub_nc_u32_e32 v1, v8, v1
	v_mad_u32 v2, v1, s15, v2
	v_mad_u32 v4, v1, s20, v4
	;; [unrolled: 1-line block ×3, first 2 shown]
.LBB71_13:
	v_mov_b32_e32 v5, 0
	s_and_b32 s0, s33, 0xff
	s_delay_alu instid0(SALU_CYCLE_1) | instskip(NEXT) | instid1(VALU_DEP_1)
	s_cmp_lt_i32 s0, 11
	v_add_nc_u64_e32 v[8:9], s[6:7], v[4:5]
	s_cbranch_scc1 .LBB71_20
; %bb.14:
	s_and_b32 s25, 0xffff, s0
	s_delay_alu instid0(SALU_CYCLE_1)
	s_cmp_gt_i32 s25, 25
	s_cbranch_scc0 .LBB71_29
; %bb.15:
	s_cmp_gt_i32 s25, 28
	s_cbranch_scc0 .LBB71_39
; %bb.16:
	;; [unrolled: 3-line block ×4, first 2 shown]
	s_cmp_eq_u32 s25, 46
	s_mov_b32 s39, 0
	s_cbranch_scc0 .LBB71_62
; %bb.19:
	global_load_b32 v1, v[8:9], off
	s_mov_b32 s38, -1
	s_mov_b32 s24, 0
	s_wait_loadcnt 0x0
	v_lshlrev_b32_e32 v1, 16, v1
	s_delay_alu instid0(VALU_DEP_1) | instskip(NEXT) | instid1(VALU_DEP_1)
	v_trunc_f32_e32 v1, v1
	v_mul_f32_e64 v3, 0x2f800000, |v1|
	v_ashrrev_i32_e32 v4, 31, v1
	s_delay_alu instid0(VALU_DEP_2) | instskip(NEXT) | instid1(VALU_DEP_1)
	v_floor_f32_e32 v3, v3
	v_fma_f32 v5, 0xcf800000, v3, |v1|
	v_cvt_u32_f32_e32 v1, v3
	s_delay_alu instid0(VALU_DEP_2) | instskip(NEXT) | instid1(VALU_DEP_2)
	v_cvt_u32_f32_e32 v3, v5
	v_dual_mov_b32 v5, v4 :: v_dual_bitop2_b32 v11, v1, v4 bitop3:0x14
	s_delay_alu instid0(VALU_DEP_2) | instskip(NEXT) | instid1(VALU_DEP_1)
	v_xor_b32_e32 v10, v3, v4
	v_sub_nc_u64_e32 v[4:5], v[10:11], v[4:5]
	s_branch .LBB71_64
.LBB71_20:
	s_mov_b32 s24, 0
	s_mov_b32 s38, 0
                                        ; implicit-def: $vgpr4_vgpr5
	s_cbranch_execnz .LBB71_126
.LBB71_21:
	s_and_not1_b32 vcc_lo, exec_lo, s38
	s_cbranch_vccnz .LBB71_173
.LBB71_22:
	v_mov_b32_e32 v7, 0
	s_and_b32 s0, s9, 0xff
	s_delay_alu instid0(SALU_CYCLE_1) | instskip(SKIP_1) | instid1(VALU_DEP_1)
	s_cmp_lt_i32 s0, 11
	s_wait_xcnt 0x0
	v_add_nc_u64_e32 v[8:9], s[16:17], v[6:7]
	s_cbranch_scc1 .LBB71_30
; %bb.23:
	s_and_b32 s38, 0xffff, s0
	s_delay_alu instid0(SALU_CYCLE_1)
	s_cmp_gt_i32 s38, 25
	s_cbranch_scc0 .LBB71_40
; %bb.24:
	s_cmp_gt_i32 s38, 28
	s_cbranch_scc0 .LBB71_57
; %bb.25:
	;; [unrolled: 3-line block ×4, first 2 shown]
	s_cmp_eq_u32 s38, 46
	s_mov_b32 s40, 0
	s_cbranch_scc0 .LBB71_174
; %bb.28:
	global_load_b32 v1, v[8:9], off
	s_mov_b32 s39, -1
	s_mov_b32 s25, 0
	s_wait_loadcnt 0x0
	v_lshlrev_b32_e32 v1, 16, v1
	s_delay_alu instid0(VALU_DEP_1) | instskip(NEXT) | instid1(VALU_DEP_1)
	v_trunc_f32_e32 v1, v1
	v_mul_f32_e64 v3, 0x2f800000, |v1|
	v_ashrrev_i32_e32 v6, 31, v1
	s_delay_alu instid0(VALU_DEP_2) | instskip(NEXT) | instid1(VALU_DEP_1)
	v_floor_f32_e32 v3, v3
	v_fma_f32 v7, 0xcf800000, v3, |v1|
	v_cvt_u32_f32_e32 v1, v3
	s_delay_alu instid0(VALU_DEP_2) | instskip(NEXT) | instid1(VALU_DEP_2)
	v_cvt_u32_f32_e32 v3, v7
	v_dual_mov_b32 v7, v6 :: v_dual_bitop2_b32 v11, v1, v6 bitop3:0x14
	s_delay_alu instid0(VALU_DEP_2) | instskip(NEXT) | instid1(VALU_DEP_1)
	v_xor_b32_e32 v10, v3, v6
	v_sub_nc_u64_e32 v[6:7], v[10:11], v[6:7]
	s_branch .LBB71_176
.LBB71_29:
	s_mov_b32 s24, 0
	s_mov_b32 s38, 0
                                        ; implicit-def: $vgpr4_vgpr5
	s_cbranch_execnz .LBB71_93
	s_branch .LBB71_125
.LBB71_30:
	s_mov_b32 s25, 0
	s_mov_b32 s39, 0
                                        ; implicit-def: $vgpr6_vgpr7
	s_cbranch_execnz .LBB71_348
.LBB71_31:
	s_and_not1_b32 vcc_lo, exec_lo, s39
	s_cbranch_vccnz .LBB71_396
.LBB71_32:
	s_wait_loadcnt 0x0
	s_delay_alu instid0(VALU_DEP_1) | instskip(SKIP_1) | instid1(VALU_DEP_1)
	v_sub_nc_u64_e32 v[8:9], 0, v[6:7]
	s_mov_b32 s38, exec_lo
	v_max_i64 v[10:11], v[6:7], v[8:9]
	v_cmpx_ne_u64_e32 0, v[4:5]
	s_cbranch_execz .LBB71_42
; %bb.33:
	v_sub_nc_u64_e32 v[8:9], 0, v[4:5]
	s_mov_b32 s39, 0
	s_delay_alu instid0(VALU_DEP_1)
	v_max_i64 v[14:15], v[4:5], v[8:9]
	v_mov_b32_e32 v8, 0
	s_branch .LBB71_35
.LBB71_34:                              ;   in Loop: Header=BB71_35 Depth=1
	s_or_b32 exec_lo, exec_lo, s0
	s_delay_alu instid0(VALU_DEP_1) | instskip(SKIP_2) | instid1(SALU_CYCLE_1)
	v_cmp_eq_u64_e32 vcc_lo, 0, v[14:15]
	v_mov_b64_e32 v[10:11], v[12:13]
	s_or_b32 s39, vcc_lo, s39
	s_and_not1_b32 exec_lo, exec_lo, s39
	s_cbranch_execz .LBB71_41
.LBB71_35:                              ; =>This Inner Loop Header: Depth=1
	s_delay_alu instid0(VALU_DEP_2) | instskip(SKIP_1) | instid1(VALU_DEP_1)
	v_mov_b64_e32 v[12:13], v[14:15]
                                        ; implicit-def: $vgpr14_vgpr15
	s_mov_b32 s0, exec_lo
	v_or_b32_e32 v9, v11, v13
	s_delay_alu instid0(VALU_DEP_1)
	v_cmpx_ne_u64_e32 0, v[8:9]
	s_xor_b32 s40, exec_lo, s0
	s_cbranch_execz .LBB71_37
; %bb.36:                               ;   in Loop: Header=BB71_35 Depth=1
	s_delay_alu instid0(VALU_DEP_3) | instskip(SKIP_4) | instid1(VALU_DEP_4)
	v_cvt_f32_u32_e32 v1, v12
	v_cvt_f32_u32_e32 v3, v13
	v_sub_nc_u64_e32 v[16:17], 0, v[12:13]
	v_dual_mov_b32 v15, v8 :: v_dual_mov_b32 v23, v8
	v_mov_b32_e32 v25, v8
	v_fmac_f32_e32 v1, 0x4f800000, v3
	s_delay_alu instid0(VALU_DEP_1) | instskip(SKIP_1) | instid1(TRANS32_DEP_1)
	v_rcp_f32_e32 v1, v1
	v_nop
	v_mul_f32_e32 v1, 0x5f7ffffc, v1
	s_delay_alu instid0(VALU_DEP_1) | instskip(NEXT) | instid1(VALU_DEP_1)
	v_mul_f32_e32 v3, 0x2f800000, v1
	v_trunc_f32_e32 v3, v3
	s_delay_alu instid0(VALU_DEP_1) | instskip(SKIP_1) | instid1(VALU_DEP_2)
	v_fmac_f32_e32 v1, 0xcf800000, v3
	v_cvt_u32_f32_e32 v19, v3
	v_cvt_u32_f32_e32 v14, v1
	s_delay_alu instid0(VALU_DEP_1) | instskip(NEXT) | instid1(VALU_DEP_1)
	v_dual_mov_b32 v24, v19 :: v_dual_mov_b32 v18, v14
	v_mul_u64_e32 v[20:21], v[16:17], v[18:19]
	s_delay_alu instid0(VALU_DEP_1) | instskip(NEXT) | instid1(VALU_DEP_1)
	v_dual_mov_b32 v22, v21 :: v_dual_mov_b32 v21, v8
	v_mul_u64_e32 v[26:27], v[14:15], v[22:23]
	s_delay_alu instid0(VALU_DEP_2) | instskip(SKIP_2) | instid1(VALU_DEP_1)
	v_mul_u64_e32 v[28:29], v[24:25], v[20:21]
	v_mul_u64_e32 v[22:23], v[24:25], v[22:23]
	v_mul_hi_u32 v20, v14, v20
	v_add_nc_u64_e32 v[20:21], v[20:21], v[26:27]
	s_delay_alu instid0(VALU_DEP_1) | instskip(NEXT) | instid1(VALU_DEP_2)
	v_add_co_u32 v1, vcc_lo, v20, v28
	v_add_co_ci_u32_e32 v24, vcc_lo, v21, v29, vcc_lo
	v_add_co_ci_u32_e32 v23, vcc_lo, 0, v23, vcc_lo
	s_delay_alu instid0(VALU_DEP_1) | instskip(NEXT) | instid1(VALU_DEP_1)
	v_add_nc_u64_e32 v[20:21], v[24:25], v[22:23]
	v_add_co_u32 v14, vcc_lo, v14, v20
	s_delay_alu instid0(VALU_DEP_1) | instskip(SKIP_1) | instid1(VALU_DEP_2)
	v_add_co_ci_u32_e64 v18, null, v19, v21, vcc_lo
	v_dual_mov_b32 v21, v8 :: v_dual_mov_b32 v19, v8
	v_mov_b32_e32 v15, v18
	s_delay_alu instid0(VALU_DEP_1) | instskip(NEXT) | instid1(VALU_DEP_1)
	v_mul_u64_e32 v[16:17], v[16:17], v[14:15]
	v_dual_mov_b32 v15, v8 :: v_dual_mov_b32 v20, v17
	s_delay_alu instid0(VALU_DEP_2) | instskip(SKIP_1) | instid1(VALU_DEP_3)
	v_dual_mov_b32 v24, v16 :: v_dual_mov_b32 v17, v8
	v_mul_hi_u32 v16, v14, v16
	v_mul_u64_e32 v[22:23], v[14:15], v[20:21]
	s_delay_alu instid0(VALU_DEP_3) | instskip(SKIP_1) | instid1(VALU_DEP_3)
	v_mul_u64_e32 v[24:25], v[18:19], v[24:25]
	v_mul_u64_e32 v[20:21], v[18:19], v[20:21]
	v_add_nc_u64_e32 v[16:17], v[16:17], v[22:23]
	v_mov_b32_e32 v23, v8
	s_delay_alu instid0(VALU_DEP_2) | instskip(NEXT) | instid1(VALU_DEP_3)
	v_add_co_u32 v1, vcc_lo, v16, v24
	v_add_co_ci_u32_e32 v22, vcc_lo, v17, v25, vcc_lo
	v_add_co_ci_u32_e32 v21, vcc_lo, 0, v21, vcc_lo
	s_delay_alu instid0(VALU_DEP_1) | instskip(SKIP_1) | instid1(VALU_DEP_2)
	v_add_nc_u64_e32 v[16:17], v[22:23], v[20:21]
	v_dual_mov_b32 v20, v10 :: v_dual_mov_b32 v21, v8
	v_add_co_u32 v16, vcc_lo, v14, v16
	s_delay_alu instid0(VALU_DEP_1) | instskip(SKIP_1) | instid1(VALU_DEP_2)
	v_add_co_ci_u32_e64 v14, null, v18, v17, vcc_lo
	v_dual_mov_b32 v18, v11 :: v_dual_mov_b32 v17, v8
	v_mul_u64_e32 v[20:21], v[20:21], v[14:15]
	s_delay_alu instid0(VALU_DEP_2) | instskip(NEXT) | instid1(VALU_DEP_3)
	v_mul_u64_e32 v[14:15], v[18:19], v[14:15]
	v_mul_u64_e32 v[22:23], v[18:19], v[16:17]
	v_mul_hi_u32 v16, v10, v16
	s_delay_alu instid0(VALU_DEP_1) | instskip(NEXT) | instid1(VALU_DEP_1)
	v_add_nc_u64_e32 v[16:17], v[16:17], v[20:21]
	v_add_co_u32 v1, vcc_lo, v16, v22
	s_delay_alu instid0(VALU_DEP_2) | instskip(SKIP_1) | instid1(VALU_DEP_1)
	v_add_co_ci_u32_e32 v18, vcc_lo, v17, v23, vcc_lo
	v_add_co_ci_u32_e32 v15, vcc_lo, 0, v15, vcc_lo
	v_add_nc_u64_e32 v[14:15], v[18:19], v[14:15]
	s_delay_alu instid0(VALU_DEP_1) | instskip(NEXT) | instid1(VALU_DEP_1)
	v_mul_u64_e32 v[14:15], v[12:13], v[14:15]
	v_sub_nc_u32_e32 v1, v11, v15
	s_delay_alu instid0(VALU_DEP_2) | instskip(NEXT) | instid1(VALU_DEP_1)
	v_sub_co_u32 v3, vcc_lo, v10, v14
	v_sub_co_ci_u32_e64 v9, null, v11, v15, vcc_lo
	s_delay_alu instid0(VALU_DEP_3) | instskip(NEXT) | instid1(VALU_DEP_3)
	v_sub_co_ci_u32_e64 v1, null, v1, v13, vcc_lo
	v_sub_co_u32 v10, vcc_lo, v3, v12
	v_cmp_ge_u32_e64 s0, v3, v12
	s_delay_alu instid0(VALU_DEP_3) | instskip(SKIP_1) | instid1(VALU_DEP_3)
	v_subrev_co_ci_u32_e64 v11, null, 0, v1, vcc_lo
	v_sub_co_ci_u32_e64 v1, null, v1, v13, vcc_lo
	v_cndmask_b32_e64 v14, 0, -1, s0
	v_cmp_ge_u32_e64 s0, v10, v12
	v_cmp_ge_u32_e32 vcc_lo, v9, v13
	s_delay_alu instid0(VALU_DEP_2) | instskip(SKIP_3) | instid1(VALU_DEP_3)
	v_cndmask_b32_e64 v15, 0, -1, s0
	v_cmp_ge_u32_e64 s0, v11, v13
	v_cndmask_b32_e64 v17, 0, -1, vcc_lo
	v_cmp_eq_u32_e32 vcc_lo, v11, v13
	v_cndmask_b32_e64 v16, 0, -1, s0
	v_cmp_eq_u32_e64 s0, v9, v13
	s_delay_alu instid0(VALU_DEP_1) | instskip(SKIP_1) | instid1(VALU_DEP_1)
	v_dual_cndmask_b32 v15, v16, v15, vcc_lo :: v_dual_cndmask_b32 v14, v17, v14, s0
	v_sub_co_u32 v16, vcc_lo, v10, v12
	v_subrev_co_ci_u32_e64 v1, null, 0, v1, vcc_lo
	s_delay_alu instid0(VALU_DEP_3) | instskip(NEXT) | instid1(VALU_DEP_2)
	v_cmp_ne_u32_e32 vcc_lo, 0, v15
	v_dual_cndmask_b32 v1, v11, v1 :: v_dual_cndmask_b32 v10, v10, v16
	v_cmp_ne_u32_e32 vcc_lo, 0, v14
	s_delay_alu instid0(VALU_DEP_2)
	v_dual_cndmask_b32 v15, v9, v1 :: v_dual_cndmask_b32 v14, v3, v10
                                        ; implicit-def: $vgpr10_vgpr11
.LBB71_37:                              ;   in Loop: Header=BB71_35 Depth=1
	s_and_not1_saveexec_b32 s0, s40
	s_cbranch_execz .LBB71_34
; %bb.38:                               ;   in Loop: Header=BB71_35 Depth=1
	v_cvt_f32_u32_e32 v1, v12
	v_dual_sub_nc_u32 v3, 0, v12 :: v_dual_mov_b32 v15, v8
	s_delay_alu instid0(VALU_DEP_2) | instskip(SKIP_1) | instid1(TRANS32_DEP_1)
	v_rcp_iflag_f32_e32 v1, v1
	v_nop
	v_mul_f32_e32 v1, 0x4f7ffffe, v1
	s_delay_alu instid0(VALU_DEP_1) | instskip(NEXT) | instid1(VALU_DEP_1)
	v_cvt_u32_f32_e32 v1, v1
	v_mul_lo_u32 v3, v3, v1
	s_delay_alu instid0(VALU_DEP_1) | instskip(NEXT) | instid1(VALU_DEP_1)
	v_mul_hi_u32 v3, v1, v3
	v_add_nc_u32_e32 v1, v1, v3
	s_delay_alu instid0(VALU_DEP_1) | instskip(NEXT) | instid1(VALU_DEP_1)
	v_mul_hi_u32 v1, v10, v1
	v_mul_lo_u32 v1, v1, v12
	s_delay_alu instid0(VALU_DEP_1) | instskip(NEXT) | instid1(VALU_DEP_1)
	v_sub_nc_u32_e32 v1, v10, v1
	v_sub_nc_u32_e32 v3, v1, v12
	v_cmp_ge_u32_e32 vcc_lo, v1, v12
	s_delay_alu instid0(VALU_DEP_2) | instskip(NEXT) | instid1(VALU_DEP_1)
	v_cndmask_b32_e32 v1, v1, v3, vcc_lo
	v_sub_nc_u32_e32 v3, v1, v12
	v_cmp_ge_u32_e32 vcc_lo, v1, v12
	s_delay_alu instid0(VALU_DEP_2)
	v_cndmask_b32_e32 v14, v1, v3, vcc_lo
	s_branch .LBB71_34
.LBB71_39:
	s_mov_b32 s39, -1
	s_mov_b32 s24, 0
	s_mov_b32 s38, 0
                                        ; implicit-def: $vgpr4_vgpr5
	s_branch .LBB71_76
.LBB71_40:
	s_mov_b32 s40, -1
	s_mov_b32 s25, 0
	s_mov_b32 s39, 0
                                        ; implicit-def: $vgpr6_vgpr7
	s_branch .LBB71_314
.LBB71_41:
	s_or_b32 exec_lo, exec_lo, s39
	v_mov_b64_e32 v[10:11], v[12:13]
.LBB71_42:
	s_or_b32 exec_lo, exec_lo, s38
	v_mov_b64_e32 v[8:9], 0
	s_mov_b32 s38, exec_lo
	s_delay_alu instid0(VALU_DEP_2)
	v_cmpx_ne_u64_e32 0, v[10:11]
	s_cbranch_execz .LBB71_48
; %bb.43:
	v_dual_mov_b32 v8, 0 :: v_dual_bitop2_b32 v9, v5, v11 bitop3:0x54
                                        ; implicit-def: $vgpr12_vgpr13
	s_mov_b32 s0, exec_lo
	s_delay_alu instid0(VALU_DEP_1)
	v_cmpx_ne_u64_e32 0, v[8:9]
	s_xor_b32 s39, exec_lo, s0
	s_cbranch_execz .LBB71_45
; %bb.44:
	v_dual_mov_b32 v15, v8 :: v_dual_ashrrev_i32 v12, 31, v11
	v_dual_mov_b32 v23, v8 :: v_dual_mov_b32 v25, v8
	s_delay_alu instid0(VALU_DEP_2) | instskip(NEXT) | instid1(VALU_DEP_1)
	v_dual_mov_b32 v9, v8 :: v_dual_mov_b32 v13, v12
	v_add_nc_u64_e32 v[10:11], v[10:11], v[12:13]
	s_delay_alu instid0(VALU_DEP_1) | instskip(NEXT) | instid1(VALU_DEP_2)
	v_xor_b32_e32 v10, v10, v12
	v_xor_b32_e32 v11, v11, v12
	s_delay_alu instid0(VALU_DEP_2) | instskip(NEXT) | instid1(VALU_DEP_2)
	v_cvt_f32_u32_e32 v1, v10
	v_cvt_f32_u32_e32 v3, v11
	s_delay_alu instid0(VALU_DEP_1) | instskip(NEXT) | instid1(VALU_DEP_1)
	v_fmamk_f32 v1, v3, 0x4f800000, v1
	v_rcp_f32_e32 v1, v1
	v_nop
	s_delay_alu instid0(TRANS32_DEP_1) | instskip(NEXT) | instid1(VALU_DEP_1)
	v_mul_f32_e32 v1, 0x5f7ffffc, v1
	v_mul_f32_e32 v3, 0x2f800000, v1
	s_delay_alu instid0(VALU_DEP_1) | instskip(NEXT) | instid1(VALU_DEP_1)
	v_trunc_f32_e32 v3, v3
	v_fmamk_f32 v1, v3, 0xcf800000, v1
	v_cvt_u32_f32_e32 v19, v3
	s_delay_alu instid0(VALU_DEP_2) | instskip(NEXT) | instid1(VALU_DEP_1)
	v_cvt_u32_f32_e32 v14, v1
	v_dual_mov_b32 v24, v19 :: v_dual_mov_b32 v18, v14
	v_sub_nc_u64_e32 v[16:17], 0, v[10:11]
	s_delay_alu instid0(VALU_DEP_1) | instskip(NEXT) | instid1(VALU_DEP_1)
	v_mul_u64_e32 v[20:21], v[16:17], v[18:19]
	v_dual_mov_b32 v22, v21 :: v_dual_mov_b32 v21, v8
	s_delay_alu instid0(VALU_DEP_1) | instskip(NEXT) | instid1(VALU_DEP_2)
	v_mul_u64_e32 v[26:27], v[14:15], v[22:23]
	v_mul_u64_e32 v[28:29], v[24:25], v[20:21]
	v_mul_u64_e32 v[22:23], v[24:25], v[22:23]
	v_mul_hi_u32 v20, v14, v20
	s_delay_alu instid0(VALU_DEP_1) | instskip(SKIP_1) | instid1(VALU_DEP_2)
	v_add_nc_u64_e32 v[20:21], v[20:21], v[26:27]
	v_ashrrev_i32_e32 v26, 31, v5
	v_add_co_u32 v1, vcc_lo, v20, v28
	s_delay_alu instid0(VALU_DEP_3) | instskip(SKIP_1) | instid1(VALU_DEP_1)
	v_add_co_ci_u32_e32 v24, vcc_lo, v21, v29, vcc_lo
	v_add_co_ci_u32_e32 v23, vcc_lo, 0, v23, vcc_lo
	v_add_nc_u64_e32 v[20:21], v[24:25], v[22:23]
	s_delay_alu instid0(VALU_DEP_1) | instskip(NEXT) | instid1(VALU_DEP_1)
	v_add_co_u32 v14, vcc_lo, v14, v20
	v_add_co_ci_u32_e64 v18, null, v19, v21, vcc_lo
	v_dual_mov_b32 v21, v8 :: v_dual_mov_b32 v19, v8
	s_delay_alu instid0(VALU_DEP_2) | instskip(NEXT) | instid1(VALU_DEP_1)
	v_mov_b32_e32 v15, v18
	v_mul_u64_e32 v[16:17], v[16:17], v[14:15]
	s_delay_alu instid0(VALU_DEP_1) | instskip(NEXT) | instid1(VALU_DEP_2)
	v_dual_mov_b32 v15, v8 :: v_dual_mov_b32 v20, v17
	v_dual_mov_b32 v24, v16 :: v_dual_mov_b32 v17, v8
	v_mul_hi_u32 v16, v14, v16
	s_delay_alu instid0(VALU_DEP_3) | instskip(NEXT) | instid1(VALU_DEP_3)
	v_mul_u64_e32 v[22:23], v[14:15], v[20:21]
	v_mul_u64_e32 v[24:25], v[18:19], v[24:25]
	v_mul_u64_e32 v[20:21], v[18:19], v[20:21]
	s_delay_alu instid0(VALU_DEP_3) | instskip(SKIP_1) | instid1(VALU_DEP_2)
	v_add_nc_u64_e32 v[16:17], v[16:17], v[22:23]
	v_dual_mov_b32 v23, v8 :: v_dual_mov_b32 v27, v26
	v_add_co_u32 v1, vcc_lo, v16, v24
	s_delay_alu instid0(VALU_DEP_3) | instskip(SKIP_1) | instid1(VALU_DEP_1)
	v_add_co_ci_u32_e32 v22, vcc_lo, v17, v25, vcc_lo
	v_add_co_ci_u32_e32 v21, vcc_lo, 0, v21, vcc_lo
	v_add_nc_u64_e32 v[16:17], v[22:23], v[20:21]
	v_mov_b32_e32 v21, v8
	v_add_nc_u64_e32 v[4:5], v[4:5], v[26:27]
	s_delay_alu instid0(VALU_DEP_3) | instskip(NEXT) | instid1(VALU_DEP_1)
	v_add_co_u32 v16, vcc_lo, v14, v16
	v_add_co_ci_u32_e64 v14, null, v18, v17, vcc_lo
	s_delay_alu instid0(VALU_DEP_3) | instskip(NEXT) | instid1(VALU_DEP_4)
	v_dual_mov_b32 v17, v8 :: v_dual_bitop2_b32 v18, v5, v26 bitop3:0x14
	v_xor_b32_e32 v20, v4, v26
	s_delay_alu instid0(VALU_DEP_2) | instskip(NEXT) | instid1(VALU_DEP_2)
	v_mul_u64_e32 v[4:5], v[18:19], v[16:17]
	v_mul_u64_e32 v[22:23], v[20:21], v[14:15]
	;; [unrolled: 1-line block ×3, first 2 shown]
	v_mul_hi_u32 v16, v20, v16
	s_delay_alu instid0(VALU_DEP_1) | instskip(NEXT) | instid1(VALU_DEP_1)
	v_add_nc_u64_e32 v[16:17], v[16:17], v[22:23]
	v_add_co_u32 v1, vcc_lo, v16, v4
	s_delay_alu instid0(VALU_DEP_2) | instskip(SKIP_1) | instid1(VALU_DEP_1)
	v_add_co_ci_u32_e32 v8, vcc_lo, v17, v5, vcc_lo
	v_add_co_ci_u32_e32 v15, vcc_lo, 0, v15, vcc_lo
	v_add_nc_u64_e32 v[4:5], v[8:9], v[14:15]
	s_delay_alu instid0(VALU_DEP_1) | instskip(SKIP_1) | instid1(VALU_DEP_2)
	v_mul_u64_e32 v[8:9], v[10:11], v[4:5]
	v_add_nc_u64_e32 v[14:15], 1, v[4:5]
	v_sub_nc_u32_e32 v1, v18, v9
	s_delay_alu instid0(VALU_DEP_3) | instskip(NEXT) | instid1(VALU_DEP_1)
	v_sub_co_u32 v3, vcc_lo, v20, v8
	v_sub_co_ci_u32_e64 v13, null, v18, v9, vcc_lo
	s_delay_alu instid0(VALU_DEP_3) | instskip(NEXT) | instid1(VALU_DEP_3)
	v_sub_co_ci_u32_e64 v1, null, v1, v11, vcc_lo
	v_sub_co_u32 v8, s0, v3, v10
	s_delay_alu instid0(VALU_DEP_1) | instskip(NEXT) | instid1(VALU_DEP_2)
	v_subrev_co_ci_u32_e64 v1, null, 0, v1, s0
	v_cmp_ge_u32_e32 vcc_lo, v8, v10
	v_cndmask_b32_e64 v8, 0, -1, vcc_lo
	s_delay_alu instid0(VALU_DEP_3)
	v_cmp_ge_u32_e32 vcc_lo, v1, v11
	v_cndmask_b32_e64 v9, 0, -1, vcc_lo
	v_cmp_ge_u32_e32 vcc_lo, v3, v10
	v_cndmask_b32_e64 v3, 0, -1, vcc_lo
	;; [unrolled: 2-line block ×3, first 2 shown]
	v_cmp_eq_u32_e32 vcc_lo, v1, v11
	v_cndmask_b32_e32 v1, v9, v8, vcc_lo
	v_cmp_eq_u32_e32 vcc_lo, v13, v11
	v_add_nc_u64_e32 v[8:9], 2, v[4:5]
	v_cndmask_b32_e32 v3, v10, v3, vcc_lo
	s_delay_alu instid0(VALU_DEP_4) | instskip(NEXT) | instid1(VALU_DEP_2)
	v_cmp_ne_u32_e32 vcc_lo, 0, v1
                                        ; implicit-def: $vgpr10_vgpr11
	v_cmp_ne_u32_e64 s0, 0, v3
	s_delay_alu instid0(VALU_DEP_4) | instskip(NEXT) | instid1(VALU_DEP_1)
	v_dual_cndmask_b32 v1, v15, v9, vcc_lo :: v_dual_cndmask_b32 v3, v14, v8, vcc_lo
	v_dual_cndmask_b32 v1, v5, v1, s0 :: v_dual_bitop2_b32 v8, v26, v12 bitop3:0x14
	s_delay_alu instid0(VALU_DEP_2) | instskip(NEXT) | instid1(VALU_DEP_2)
	v_cndmask_b32_e64 v3, v4, v3, s0
	v_dual_mov_b32 v9, v8 :: v_dual_bitop2_b32 v5, v1, v8 bitop3:0x14
	s_delay_alu instid0(VALU_DEP_2) | instskip(NEXT) | instid1(VALU_DEP_1)
	v_xor_b32_e32 v4, v3, v8
	v_sub_nc_u64_e32 v[12:13], v[4:5], v[8:9]
                                        ; implicit-def: $vgpr4_vgpr5
.LBB71_45:
	s_and_not1_saveexec_b32 s0, s39
	s_cbranch_execz .LBB71_47
; %bb.46:
	v_cvt_f32_u32_e32 v1, v10
	v_dual_sub_nc_u32 v3, 0, v10 :: v_dual_mov_b32 v13, 0
	s_delay_alu instid0(VALU_DEP_2) | instskip(SKIP_1) | instid1(TRANS32_DEP_1)
	v_rcp_iflag_f32_e32 v1, v1
	v_nop
	v_mul_f32_e32 v1, 0x4f7ffffe, v1
	s_delay_alu instid0(VALU_DEP_1) | instskip(NEXT) | instid1(VALU_DEP_1)
	v_cvt_u32_f32_e32 v1, v1
	v_mul_lo_u32 v3, v3, v1
	s_delay_alu instid0(VALU_DEP_1) | instskip(NEXT) | instid1(VALU_DEP_1)
	v_mul_hi_u32 v3, v1, v3
	v_add_nc_u32_e32 v1, v1, v3
	s_delay_alu instid0(VALU_DEP_1) | instskip(NEXT) | instid1(VALU_DEP_1)
	v_mul_hi_u32 v1, v4, v1
	v_mul_lo_u32 v3, v1, v10
	s_delay_alu instid0(VALU_DEP_1) | instskip(NEXT) | instid1(VALU_DEP_1)
	v_dual_sub_nc_u32 v3, v4, v3 :: v_dual_add_nc_u32 v4, 1, v1
	v_cmp_ge_u32_e32 vcc_lo, v3, v10
	s_delay_alu instid0(VALU_DEP_2) | instskip(NEXT) | instid1(VALU_DEP_1)
	v_dual_sub_nc_u32 v5, v3, v10 :: v_dual_cndmask_b32 v1, v1, v4, vcc_lo
	v_add_nc_u32_e32 v4, 1, v1
	s_delay_alu instid0(VALU_DEP_2) | instskip(NEXT) | instid1(VALU_DEP_1)
	v_cndmask_b32_e32 v3, v3, v5, vcc_lo
	v_cmp_ge_u32_e32 vcc_lo, v3, v10
	s_delay_alu instid0(VALU_DEP_3)
	v_cndmask_b32_e32 v12, v1, v4, vcc_lo
.LBB71_47:
	s_or_b32 exec_lo, exec_lo, s0
	s_delay_alu instid0(VALU_DEP_1) | instskip(NEXT) | instid1(VALU_DEP_1)
	v_mul_u64_e32 v[4:5], v[12:13], v[6:7]
	v_sub_nc_u64_e32 v[6:7], 0, v[4:5]
	s_delay_alu instid0(VALU_DEP_1)
	v_max_i64 v[8:9], v[4:5], v[6:7]
.LBB71_48:
	s_or_b32 exec_lo, exec_lo, s38
	v_mov_b32_e32 v3, 0
	s_and_b32 s38, s31, 0xff
	s_delay_alu instid0(SALU_CYCLE_1) | instskip(NEXT) | instid1(VALU_DEP_1)
	s_cmp_lt_i32 s38, 11
	v_add_nc_u64_e32 v[2:3], s[4:5], v[2:3]
	s_cbranch_scc1 .LBB71_55
; %bb.49:
	s_and_b32 s39, 0xffff, s38
	s_delay_alu instid0(SALU_CYCLE_1)
	s_cmp_gt_i32 s39, 25
	s_cbranch_scc0 .LBB71_58
; %bb.50:
	s_cmp_gt_i32 s39, 28
	s_cbranch_scc0 .LBB71_61
; %bb.51:
	;; [unrolled: 3-line block ×4, first 2 shown]
	s_mov_b32 s42, 0
	s_mov_b32 s0, -1
	s_cmp_eq_u32 s39, 46
	s_mov_b32 s40, 0
	s_cbranch_scc0 .LBB71_180
; %bb.54:
	s_delay_alu instid0(VALU_DEP_3) | instskip(SKIP_2) | instid1(VALU_DEP_1)
	v_clz_i32_u32_e32 v1, v9
	s_mov_b32 s40, -1
	s_mov_b32 s0, 0
	v_min_u32_e32 v1, 32, v1
	s_delay_alu instid0(VALU_DEP_1) | instskip(SKIP_1) | instid1(VALU_DEP_2)
	v_lshlrev_b64_e32 v[4:5], v1, v[8:9]
	v_sub_nc_u32_e32 v1, 32, v1
	v_min_u32_e32 v4, 1, v4
	s_delay_alu instid0(VALU_DEP_1) | instskip(NEXT) | instid1(VALU_DEP_1)
	v_or_b32_e32 v4, v5, v4
	v_cvt_f32_u32_e32 v4, v4
	s_delay_alu instid0(VALU_DEP_1) | instskip(NEXT) | instid1(VALU_DEP_1)
	v_ldexp_f32 v1, v4, v1
	v_bfe_u32 v4, v1, 16, 1
	s_delay_alu instid0(VALU_DEP_1) | instskip(NEXT) | instid1(VALU_DEP_1)
	v_add3_u32 v1, v1, v4, 0x7fff
	v_lshrrev_b32_e32 v1, 16, v1
	global_store_b32 v[2:3], v1, off
	s_branch .LBB71_180
.LBB71_55:
	s_mov_b32 s39, -1
	s_mov_b32 s0, 0
	s_mov_b32 s40, 0
	s_branch .LBB71_249
.LBB71_56:
	s_mov_b32 s39, -1
	s_mov_b32 s24, 0
	s_mov_b32 s38, 0
                                        ; implicit-def: $vgpr4_vgpr5
	s_branch .LBB71_71
.LBB71_57:
	s_mov_b32 s40, -1
	s_mov_b32 s25, 0
	s_mov_b32 s39, 0
                                        ; implicit-def: $vgpr6_vgpr7
	s_branch .LBB71_297
.LBB71_58:
	s_mov_b32 s42, -1
	s_mov_b32 s0, 0
	s_mov_b32 s40, 0
	s_branch .LBB71_207
.LBB71_59:
	s_mov_b32 s39, -1
	s_mov_b32 s24, 0
	s_branch .LBB71_63
.LBB71_60:
	s_mov_b32 s40, -1
	s_mov_b32 s25, 0
	s_mov_b32 s39, 0
                                        ; implicit-def: $vgpr6_vgpr7
	s_branch .LBB71_292
.LBB71_61:
	s_mov_b32 s42, -1
	s_mov_b32 s0, 0
	s_mov_b32 s40, 0
	s_branch .LBB71_190
.LBB71_62:
	s_mov_b32 s24, -1
.LBB71_63:
	s_mov_b32 s38, 0
                                        ; implicit-def: $vgpr4_vgpr5
.LBB71_64:
	s_and_b32 vcc_lo, exec_lo, s39
	s_cbranch_vccz .LBB71_70
; %bb.65:
	s_cmp_eq_u32 s25, 44
	s_cbranch_scc0 .LBB71_69
; %bb.66:
	global_load_u8 v1, v[8:9], off
	s_mov_b32 s24, 0
	s_mov_b32 s38, -1
	s_wait_loadcnt 0x0
	v_lshlrev_b32_e32 v3, 23, v1
	v_cmp_ne_u32_e32 vcc_lo, 0, v1
	s_delay_alu instid0(VALU_DEP_2) | instskip(NEXT) | instid1(VALU_DEP_1)
	v_trunc_f32_e32 v3, v3
	v_mul_f32_e64 v4, 0x2f800000, |v3|
	s_delay_alu instid0(VALU_DEP_1) | instskip(SKIP_1) | instid1(VALU_DEP_2)
	v_floor_f32_e32 v5, v4
	v_ashrrev_i32_e32 v4, 31, v3
	v_fma_f32 v7, 0xcf800000, v5, |v3|
	v_cvt_u32_f32_e32 v3, v5
	s_delay_alu instid0(VALU_DEP_3) | instskip(NEXT) | instid1(VALU_DEP_3)
	v_mov_b32_e32 v5, v4
	v_cvt_u32_f32_e32 v7, v7
	s_delay_alu instid0(VALU_DEP_3) | instskip(NEXT) | instid1(VALU_DEP_2)
	v_xor_b32_e32 v11, v3, v4
	v_xor_b32_e32 v10, v7, v4
	s_delay_alu instid0(VALU_DEP_1) | instskip(NEXT) | instid1(VALU_DEP_1)
	v_sub_nc_u64_e32 v[4:5], v[10:11], v[4:5]
	v_dual_cndmask_b32 v5, 0, v5 :: v_dual_cndmask_b32 v4, 0, v4
	s_branch .LBB71_70
.LBB71_67:
	s_mov_b32 s40, -1
	s_mov_b32 s25, 0
	s_branch .LBB71_175
.LBB71_68:
	s_mov_b32 s42, -1
	s_mov_b32 s0, 0
	s_mov_b32 s40, 0
	s_branch .LBB71_186
.LBB71_69:
	s_mov_b32 s24, -1
                                        ; implicit-def: $vgpr4_vgpr5
.LBB71_70:
	s_mov_b32 s39, 0
.LBB71_71:
	s_delay_alu instid0(SALU_CYCLE_1)
	s_and_b32 vcc_lo, exec_lo, s39
	s_cbranch_vccz .LBB71_75
; %bb.72:
	s_cmp_eq_u32 s25, 29
	s_cbranch_scc0 .LBB71_74
; %bb.73:
	global_load_b64 v[4:5], v[8:9], off
	s_mov_b32 s38, -1
	s_mov_b32 s24, 0
	s_branch .LBB71_75
.LBB71_74:
	s_mov_b32 s24, -1
                                        ; implicit-def: $vgpr4_vgpr5
.LBB71_75:
	s_mov_b32 s39, 0
.LBB71_76:
	s_delay_alu instid0(SALU_CYCLE_1)
	s_and_b32 vcc_lo, exec_lo, s39
	s_cbranch_vccz .LBB71_92
; %bb.77:
	s_cmp_lt_i32 s25, 27
	s_cbranch_scc1 .LBB71_80
; %bb.78:
	s_cmp_gt_i32 s25, 27
	s_cbranch_scc0 .LBB71_81
; %bb.79:
	s_wait_loadcnt 0x0
	global_load_b32 v4, v[8:9], off
	v_mov_b32_e32 v5, 0
	s_mov_b32 s38, 0
	s_branch .LBB71_82
.LBB71_80:
	s_mov_b32 s38, -1
                                        ; implicit-def: $vgpr4_vgpr5
	s_branch .LBB71_85
.LBB71_81:
	s_mov_b32 s38, -1
                                        ; implicit-def: $vgpr4_vgpr5
.LBB71_82:
	s_delay_alu instid0(SALU_CYCLE_1)
	s_and_not1_b32 vcc_lo, exec_lo, s38
	s_cbranch_vccnz .LBB71_84
; %bb.83:
	global_load_u16 v1, v[8:9], off
	s_mov_b32 s38, 0
	s_wait_loadcnt 0x1
	v_mov_b32_e32 v5, s38
	s_wait_loadcnt 0x0
	v_and_b32_e32 v4, 0xffff, v1
.LBB71_84:
	s_mov_b32 s38, 0
.LBB71_85:
	s_delay_alu instid0(SALU_CYCLE_1)
	s_and_not1_b32 vcc_lo, exec_lo, s38
	s_cbranch_vccnz .LBB71_91
; %bb.86:
	global_load_u8 v1, v[8:9], off
	s_mov_b32 s39, 0
	s_mov_b32 s38, exec_lo
	s_wait_loadcnt 0x0
	v_cmpx_lt_i16_e32 0x7f, v1
	s_xor_b32 s38, exec_lo, s38
	s_cbranch_execz .LBB71_102
; %bb.87:
	v_cmp_ne_u16_e32 vcc_lo, 0x80, v1
	s_and_b32 s39, vcc_lo, exec_lo
	s_and_not1_saveexec_b32 s38, s38
	s_cbranch_execnz .LBB71_103
.LBB71_88:
	s_or_b32 exec_lo, exec_lo, s38
	v_mov_b64_e32 v[4:5], 0
	s_and_saveexec_b32 s38, s39
	s_cbranch_execz .LBB71_90
.LBB71_89:
	v_and_b32_e32 v3, 0xffff, v1
	s_delay_alu instid0(VALU_DEP_1) | instskip(SKIP_1) | instid1(VALU_DEP_2)
	v_and_b32_e32 v4, 7, v3
	v_bfe_u32 v10, v3, 3, 4
	v_clz_i32_u32_e32 v5, v4
	s_delay_alu instid0(VALU_DEP_2) | instskip(NEXT) | instid1(VALU_DEP_2)
	v_cmp_eq_u32_e32 vcc_lo, 0, v10
	v_min_u32_e32 v5, 32, v5
	s_delay_alu instid0(VALU_DEP_1) | instskip(NEXT) | instid1(VALU_DEP_1)
	v_subrev_nc_u32_e32 v7, 28, v5
	v_dual_lshlrev_b32 v3, v7, v3 :: v_dual_sub_nc_u32 v5, 29, v5
	s_delay_alu instid0(VALU_DEP_1) | instskip(NEXT) | instid1(VALU_DEP_1)
	v_dual_lshlrev_b32 v1, 24, v1 :: v_dual_bitop2_b32 v3, 7, v3 bitop3:0x40
	v_dual_cndmask_b32 v3, v4, v3, vcc_lo :: v_dual_cndmask_b32 v5, v10, v5, vcc_lo
	s_delay_alu instid0(VALU_DEP_2) | instskip(NEXT) | instid1(VALU_DEP_2)
	v_and_b32_e32 v1, 0x80000000, v1
	v_lshlrev_b32_e32 v3, 20, v3
	s_delay_alu instid0(VALU_DEP_3) | instskip(NEXT) | instid1(VALU_DEP_1)
	v_lshl_add_u32 v4, v5, 23, 0x3b800000
	v_or3_b32 v1, v1, v4, v3
	s_delay_alu instid0(VALU_DEP_1) | instskip(NEXT) | instid1(VALU_DEP_1)
	v_trunc_f32_e32 v1, v1
	v_mul_f32_e64 v3, 0x2f800000, |v1|
	v_ashrrev_i32_e32 v4, 31, v1
	s_delay_alu instid0(VALU_DEP_2) | instskip(NEXT) | instid1(VALU_DEP_1)
	v_floor_f32_e32 v3, v3
	v_fma_f32 v5, 0xcf800000, v3, |v1|
	v_cvt_u32_f32_e32 v1, v3
	s_delay_alu instid0(VALU_DEP_2) | instskip(NEXT) | instid1(VALU_DEP_2)
	v_cvt_u32_f32_e32 v3, v5
	v_dual_mov_b32 v5, v4 :: v_dual_bitop2_b32 v11, v1, v4 bitop3:0x14
	s_delay_alu instid0(VALU_DEP_2) | instskip(NEXT) | instid1(VALU_DEP_1)
	v_xor_b32_e32 v10, v3, v4
	v_sub_nc_u64_e32 v[4:5], v[10:11], v[4:5]
.LBB71_90:
	s_or_b32 exec_lo, exec_lo, s38
.LBB71_91:
	s_mov_b32 s38, -1
.LBB71_92:
	s_branch .LBB71_125
.LBB71_93:
	s_cmp_gt_i32 s25, 22
	s_cbranch_scc0 .LBB71_101
; %bb.94:
	s_cmp_lt_i32 s25, 24
	s_cbranch_scc1 .LBB71_104
; %bb.95:
	s_cmp_gt_i32 s25, 24
	s_cbranch_scc0 .LBB71_105
; %bb.96:
	global_load_u8 v1, v[8:9], off
	s_mov_b32 s39, 0
	s_mov_b32 s38, exec_lo
	s_wait_loadcnt 0x0
	v_cmpx_lt_i16_e32 0x7f, v1
	s_xor_b32 s38, exec_lo, s38
	s_cbranch_execz .LBB71_117
; %bb.97:
	v_cmp_ne_u16_e32 vcc_lo, 0x80, v1
	s_and_b32 s39, vcc_lo, exec_lo
	s_and_not1_saveexec_b32 s38, s38
	s_cbranch_execnz .LBB71_118
.LBB71_98:
	s_or_b32 exec_lo, exec_lo, s38
	v_mov_b64_e32 v[4:5], 0
	s_and_saveexec_b32 s38, s39
	s_cbranch_execz .LBB71_100
.LBB71_99:
	v_and_b32_e32 v3, 0xffff, v1
	s_delay_alu instid0(VALU_DEP_1) | instskip(SKIP_1) | instid1(VALU_DEP_2)
	v_and_b32_e32 v4, 3, v3
	v_bfe_u32 v10, v3, 2, 5
	v_clz_i32_u32_e32 v5, v4
	s_delay_alu instid0(VALU_DEP_2) | instskip(NEXT) | instid1(VALU_DEP_2)
	v_cmp_eq_u32_e32 vcc_lo, 0, v10
	v_min_u32_e32 v5, 32, v5
	s_delay_alu instid0(VALU_DEP_1) | instskip(NEXT) | instid1(VALU_DEP_1)
	v_subrev_nc_u32_e32 v7, 29, v5
	v_dual_lshlrev_b32 v3, v7, v3 :: v_dual_sub_nc_u32 v5, 30, v5
	s_delay_alu instid0(VALU_DEP_1) | instskip(NEXT) | instid1(VALU_DEP_1)
	v_dual_lshlrev_b32 v1, 24, v1 :: v_dual_bitop2_b32 v3, 3, v3 bitop3:0x40
	v_dual_cndmask_b32 v3, v4, v3, vcc_lo :: v_dual_cndmask_b32 v5, v10, v5, vcc_lo
	s_delay_alu instid0(VALU_DEP_2) | instskip(NEXT) | instid1(VALU_DEP_2)
	v_and_b32_e32 v1, 0x80000000, v1
	v_lshlrev_b32_e32 v3, 21, v3
	s_delay_alu instid0(VALU_DEP_3) | instskip(NEXT) | instid1(VALU_DEP_1)
	v_lshl_add_u32 v4, v5, 23, 0x37800000
	v_or3_b32 v1, v1, v4, v3
	s_delay_alu instid0(VALU_DEP_1) | instskip(NEXT) | instid1(VALU_DEP_1)
	v_trunc_f32_e32 v1, v1
	v_mul_f32_e64 v3, 0x2f800000, |v1|
	v_ashrrev_i32_e32 v4, 31, v1
	s_delay_alu instid0(VALU_DEP_2) | instskip(NEXT) | instid1(VALU_DEP_1)
	v_floor_f32_e32 v3, v3
	v_fma_f32 v5, 0xcf800000, v3, |v1|
	v_cvt_u32_f32_e32 v1, v3
	s_delay_alu instid0(VALU_DEP_2) | instskip(NEXT) | instid1(VALU_DEP_2)
	v_cvt_u32_f32_e32 v3, v5
	v_dual_mov_b32 v5, v4 :: v_dual_bitop2_b32 v11, v1, v4 bitop3:0x14
	s_delay_alu instid0(VALU_DEP_2) | instskip(NEXT) | instid1(VALU_DEP_1)
	v_xor_b32_e32 v10, v3, v4
	v_sub_nc_u64_e32 v[4:5], v[10:11], v[4:5]
.LBB71_100:
	s_or_b32 exec_lo, exec_lo, s38
	s_mov_b32 s38, 0
	s_branch .LBB71_106
.LBB71_101:
	s_mov_b32 s39, -1
                                        ; implicit-def: $vgpr4_vgpr5
	s_branch .LBB71_112
.LBB71_102:
	s_and_not1_saveexec_b32 s38, s38
	s_cbranch_execz .LBB71_88
.LBB71_103:
	v_cmp_ne_u16_e32 vcc_lo, 0, v1
	s_and_not1_b32 s39, s39, exec_lo
	s_and_b32 s40, vcc_lo, exec_lo
	s_delay_alu instid0(SALU_CYCLE_1)
	s_or_b32 s39, s39, s40
	s_or_b32 exec_lo, exec_lo, s38
	v_mov_b64_e32 v[4:5], 0
	s_and_saveexec_b32 s38, s39
	s_cbranch_execnz .LBB71_89
	s_branch .LBB71_90
.LBB71_104:
	s_mov_b32 s38, -1
                                        ; implicit-def: $vgpr4_vgpr5
	s_branch .LBB71_109
.LBB71_105:
	s_mov_b32 s38, -1
                                        ; implicit-def: $vgpr4_vgpr5
.LBB71_106:
	s_delay_alu instid0(SALU_CYCLE_1)
	s_and_b32 vcc_lo, exec_lo, s38
	s_cbranch_vccz .LBB71_108
; %bb.107:
	global_load_u8 v1, v[8:9], off
	s_wait_loadcnt 0x0
	v_lshlrev_b32_e32 v1, 24, v1
	s_delay_alu instid0(VALU_DEP_1) | instskip(NEXT) | instid1(VALU_DEP_1)
	v_and_b32_e32 v3, 0x7f000000, v1
	v_clz_i32_u32_e32 v4, v3
	v_add_nc_u32_e32 v7, 0x1000000, v3
	v_cmp_ne_u32_e32 vcc_lo, 0, v3
	s_delay_alu instid0(VALU_DEP_3) | instskip(NEXT) | instid1(VALU_DEP_1)
	v_min_u32_e32 v4, 32, v4
	v_sub_nc_u32_e64 v4, v4, 4 clamp
	s_delay_alu instid0(VALU_DEP_1) | instskip(NEXT) | instid1(VALU_DEP_1)
	v_dual_lshlrev_b32 v5, v4, v3 :: v_dual_lshlrev_b32 v4, 23, v4
	v_lshrrev_b32_e32 v5, 4, v5
	s_delay_alu instid0(VALU_DEP_1) | instskip(NEXT) | instid1(VALU_DEP_1)
	v_dual_sub_nc_u32 v4, v5, v4 :: v_dual_ashrrev_i32 v5, 8, v7
	v_add_nc_u32_e32 v4, 0x3c000000, v4
	s_delay_alu instid0(VALU_DEP_1) | instskip(NEXT) | instid1(VALU_DEP_1)
	v_and_or_b32 v4, 0x7f800000, v5, v4
	v_cndmask_b32_e32 v3, 0, v4, vcc_lo
	s_delay_alu instid0(VALU_DEP_1) | instskip(NEXT) | instid1(VALU_DEP_1)
	v_and_or_b32 v1, 0x80000000, v1, v3
	v_trunc_f32_e32 v1, v1
	s_delay_alu instid0(VALU_DEP_1) | instskip(SKIP_1) | instid1(VALU_DEP_2)
	v_mul_f32_e64 v3, 0x2f800000, |v1|
	v_ashrrev_i32_e32 v4, 31, v1
	v_floor_f32_e32 v3, v3
	s_delay_alu instid0(VALU_DEP_1) | instskip(SKIP_1) | instid1(VALU_DEP_2)
	v_fma_f32 v5, 0xcf800000, v3, |v1|
	v_cvt_u32_f32_e32 v1, v3
	v_cvt_u32_f32_e32 v3, v5
	s_delay_alu instid0(VALU_DEP_2) | instskip(NEXT) | instid1(VALU_DEP_2)
	v_dual_mov_b32 v5, v4 :: v_dual_bitop2_b32 v11, v1, v4 bitop3:0x14
	v_xor_b32_e32 v10, v3, v4
	s_delay_alu instid0(VALU_DEP_1)
	v_sub_nc_u64_e32 v[4:5], v[10:11], v[4:5]
.LBB71_108:
	s_mov_b32 s38, 0
.LBB71_109:
	s_delay_alu instid0(SALU_CYCLE_1)
	s_and_not1_b32 vcc_lo, exec_lo, s38
	s_cbranch_vccnz .LBB71_111
; %bb.110:
	global_load_u8 v1, v[8:9], off
	s_wait_loadcnt 0x0
	v_lshlrev_b32_e32 v3, 25, v1
	v_lshlrev_b16 v1, 8, v1
	s_delay_alu instid0(VALU_DEP_1) | instskip(NEXT) | instid1(VALU_DEP_3)
	v_and_or_b32 v5, 0x7f00, v1, 0.5
	v_lshrrev_b32_e32 v4, 4, v3
	v_bfe_i32 v1, v1, 0, 16
	s_delay_alu instid0(VALU_DEP_3) | instskip(NEXT) | instid1(VALU_DEP_3)
	v_add_f32_e32 v5, -0.5, v5
	v_or_b32_e32 v4, 0x70000000, v4
	s_delay_alu instid0(VALU_DEP_1) | instskip(SKIP_1) | instid1(VALU_DEP_2)
	v_mul_f32_e32 v4, 0x7800000, v4
	v_cmp_gt_u32_e32 vcc_lo, 0x8000000, v3
	v_cndmask_b32_e32 v3, v4, v5, vcc_lo
	s_delay_alu instid0(VALU_DEP_1) | instskip(NEXT) | instid1(VALU_DEP_1)
	v_and_or_b32 v1, 0x80000000, v1, v3
	v_trunc_f32_e32 v1, v1
	s_delay_alu instid0(VALU_DEP_1) | instskip(SKIP_1) | instid1(VALU_DEP_2)
	v_mul_f32_e64 v3, 0x2f800000, |v1|
	v_ashrrev_i32_e32 v4, 31, v1
	v_floor_f32_e32 v3, v3
	s_delay_alu instid0(VALU_DEP_1) | instskip(SKIP_1) | instid1(VALU_DEP_2)
	v_fma_f32 v5, 0xcf800000, v3, |v1|
	v_cvt_u32_f32_e32 v1, v3
	v_cvt_u32_f32_e32 v3, v5
	s_delay_alu instid0(VALU_DEP_2) | instskip(NEXT) | instid1(VALU_DEP_2)
	v_dual_mov_b32 v5, v4 :: v_dual_bitop2_b32 v11, v1, v4 bitop3:0x14
	v_xor_b32_e32 v10, v3, v4
	s_delay_alu instid0(VALU_DEP_1)
	v_sub_nc_u64_e32 v[4:5], v[10:11], v[4:5]
.LBB71_111:
	s_mov_b32 s39, 0
	s_mov_b32 s38, -1
.LBB71_112:
	s_and_not1_b32 vcc_lo, exec_lo, s39
	s_cbranch_vccnz .LBB71_125
; %bb.113:
	s_cmp_gt_i32 s25, 14
	s_cbranch_scc0 .LBB71_116
; %bb.114:
	s_cmp_eq_u32 s25, 15
	s_cbranch_scc0 .LBB71_119
; %bb.115:
	global_load_u16 v1, v[8:9], off
	s_mov_b32 s38, -1
	s_mov_b32 s24, 0
	s_wait_loadcnt 0x0
	v_lshlrev_b32_e32 v1, 16, v1
	s_delay_alu instid0(VALU_DEP_1) | instskip(NEXT) | instid1(VALU_DEP_1)
	v_trunc_f32_e32 v1, v1
	v_mul_f32_e64 v3, 0x2f800000, |v1|
	v_ashrrev_i32_e32 v4, 31, v1
	s_delay_alu instid0(VALU_DEP_2) | instskip(NEXT) | instid1(VALU_DEP_1)
	v_floor_f32_e32 v3, v3
	v_fma_f32 v5, 0xcf800000, v3, |v1|
	v_cvt_u32_f32_e32 v1, v3
	s_delay_alu instid0(VALU_DEP_2) | instskip(NEXT) | instid1(VALU_DEP_2)
	v_cvt_u32_f32_e32 v3, v5
	v_dual_mov_b32 v5, v4 :: v_dual_bitop2_b32 v11, v1, v4 bitop3:0x14
	s_delay_alu instid0(VALU_DEP_2) | instskip(NEXT) | instid1(VALU_DEP_1)
	v_xor_b32_e32 v10, v3, v4
	v_sub_nc_u64_e32 v[4:5], v[10:11], v[4:5]
	s_branch .LBB71_120
.LBB71_116:
	s_mov_b32 s39, -1
                                        ; implicit-def: $vgpr4_vgpr5
	s_branch .LBB71_121
.LBB71_117:
	s_and_not1_saveexec_b32 s38, s38
	s_cbranch_execz .LBB71_98
.LBB71_118:
	v_cmp_ne_u16_e32 vcc_lo, 0, v1
	s_and_not1_b32 s39, s39, exec_lo
	s_and_b32 s40, vcc_lo, exec_lo
	s_delay_alu instid0(SALU_CYCLE_1)
	s_or_b32 s39, s39, s40
	s_or_b32 exec_lo, exec_lo, s38
	v_mov_b64_e32 v[4:5], 0
	s_and_saveexec_b32 s38, s39
	s_cbranch_execnz .LBB71_99
	s_branch .LBB71_100
.LBB71_119:
	s_mov_b32 s24, -1
                                        ; implicit-def: $vgpr4_vgpr5
.LBB71_120:
	s_mov_b32 s39, 0
.LBB71_121:
	s_delay_alu instid0(SALU_CYCLE_1)
	s_and_b32 vcc_lo, exec_lo, s39
	s_cbranch_vccz .LBB71_125
; %bb.122:
	s_cmp_eq_u32 s25, 11
	s_cbranch_scc0 .LBB71_124
; %bb.123:
	global_load_u8 v1, v[8:9], off
	s_mov_b32 s24, 0
	s_mov_b32 s38, -1
	s_wait_loadcnt 0x1
	v_mov_b32_e32 v5, s24
	s_wait_loadcnt 0x0
	v_cmp_ne_u16_e32 vcc_lo, 0, v1
	v_cndmask_b32_e64 v4, 0, 1, vcc_lo
	s_branch .LBB71_125
.LBB71_124:
	s_mov_b32 s24, -1
                                        ; implicit-def: $vgpr4_vgpr5
.LBB71_125:
	s_branch .LBB71_21
.LBB71_126:
	s_and_b32 s0, 0xffff, s0
	s_delay_alu instid0(SALU_CYCLE_1)
	s_cmp_lt_i32 s0, 5
	s_cbranch_scc1 .LBB71_131
; %bb.127:
	s_cmp_lt_i32 s0, 8
	s_cbranch_scc1 .LBB71_132
; %bb.128:
	;; [unrolled: 3-line block ×3, first 2 shown]
	s_cmp_gt_i32 s0, 9
	s_cbranch_scc0 .LBB71_134
; %bb.130:
	s_wait_loadcnt 0x0
	global_load_b64 v[4:5], v[8:9], off
	s_mov_b32 s25, 0
	s_wait_loadcnt 0x0
	v_trunc_f64_e32 v[4:5], v[4:5]
	s_delay_alu instid0(VALU_DEP_1) | instskip(NEXT) | instid1(VALU_DEP_1)
	v_ldexp_f64 v[10:11], v[4:5], 0xffffffe0
	v_floor_f64_e32 v[10:11], v[10:11]
	s_delay_alu instid0(VALU_DEP_1) | instskip(SKIP_1) | instid1(VALU_DEP_2)
	v_fmamk_f64 v[12:13], v[10:11], 0xc1f00000, v[4:5]
	v_cvt_i32_f64_e32 v5, v[10:11]
	v_cvt_u32_f64_e32 v4, v[12:13]
	s_branch .LBB71_135
.LBB71_131:
                                        ; implicit-def: $vgpr4_vgpr5
	s_branch .LBB71_153
.LBB71_132:
	s_mov_b32 s25, -1
                                        ; implicit-def: $vgpr4_vgpr5
	s_branch .LBB71_141
.LBB71_133:
	s_mov_b32 s25, -1
                                        ; implicit-def: $vgpr4_vgpr5
	s_branch .LBB71_138
.LBB71_134:
	s_mov_b32 s25, -1
                                        ; implicit-def: $vgpr4_vgpr5
.LBB71_135:
	s_delay_alu instid0(SALU_CYCLE_1)
	s_and_not1_b32 vcc_lo, exec_lo, s25
	s_cbranch_vccnz .LBB71_137
; %bb.136:
	global_load_b32 v1, v[8:9], off
	s_wait_loadcnt 0x0
	v_trunc_f32_e32 v1, v1
	s_delay_alu instid0(VALU_DEP_1) | instskip(SKIP_1) | instid1(VALU_DEP_2)
	v_mul_f32_e64 v3, 0x2f800000, |v1|
	v_ashrrev_i32_e32 v4, 31, v1
	v_floor_f32_e32 v3, v3
	s_delay_alu instid0(VALU_DEP_1) | instskip(SKIP_1) | instid1(VALU_DEP_2)
	v_fma_f32 v5, 0xcf800000, v3, |v1|
	v_cvt_u32_f32_e32 v1, v3
	v_cvt_u32_f32_e32 v3, v5
	s_delay_alu instid0(VALU_DEP_2) | instskip(NEXT) | instid1(VALU_DEP_2)
	v_dual_mov_b32 v5, v4 :: v_dual_bitop2_b32 v11, v1, v4 bitop3:0x14
	v_xor_b32_e32 v10, v3, v4
	s_delay_alu instid0(VALU_DEP_1)
	v_sub_nc_u64_e32 v[4:5], v[10:11], v[4:5]
.LBB71_137:
	s_mov_b32 s25, 0
.LBB71_138:
	s_delay_alu instid0(SALU_CYCLE_1)
	s_and_not1_b32 vcc_lo, exec_lo, s25
	s_cbranch_vccnz .LBB71_140
; %bb.139:
	global_load_b32 v1, v[8:9], off
	s_wait_loadcnt 0x0
	v_cvt_f32_f16_e32 v1, v1
	s_delay_alu instid0(VALU_DEP_1) | instskip(NEXT) | instid1(VALU_DEP_1)
	v_cvt_i32_f32_e32 v4, v1
	v_ashrrev_i32_e32 v5, 31, v4
.LBB71_140:
	s_mov_b32 s25, 0
.LBB71_141:
	s_delay_alu instid0(SALU_CYCLE_1)
	s_and_not1_b32 vcc_lo, exec_lo, s25
	s_cbranch_vccnz .LBB71_152
; %bb.142:
	s_cmp_lt_i32 s0, 6
	s_cbranch_scc1 .LBB71_145
; %bb.143:
	s_cmp_gt_i32 s0, 6
	s_cbranch_scc0 .LBB71_146
; %bb.144:
	s_wait_loadcnt 0x0
	global_load_b64 v[4:5], v[8:9], off
	s_mov_b32 s25, 0
	s_wait_loadcnt 0x0
	v_trunc_f64_e32 v[4:5], v[4:5]
	s_delay_alu instid0(VALU_DEP_1) | instskip(NEXT) | instid1(VALU_DEP_1)
	v_ldexp_f64 v[10:11], v[4:5], 0xffffffe0
	v_floor_f64_e32 v[10:11], v[10:11]
	s_delay_alu instid0(VALU_DEP_1) | instskip(SKIP_1) | instid1(VALU_DEP_2)
	v_fmamk_f64 v[12:13], v[10:11], 0xc1f00000, v[4:5]
	v_cvt_i32_f64_e32 v5, v[10:11]
	v_cvt_u32_f64_e32 v4, v[12:13]
	s_branch .LBB71_147
.LBB71_145:
	s_mov_b32 s25, -1
                                        ; implicit-def: $vgpr4_vgpr5
	s_branch .LBB71_150
.LBB71_146:
	s_mov_b32 s25, -1
                                        ; implicit-def: $vgpr4_vgpr5
.LBB71_147:
	s_delay_alu instid0(SALU_CYCLE_1)
	s_and_not1_b32 vcc_lo, exec_lo, s25
	s_cbranch_vccnz .LBB71_149
; %bb.148:
	global_load_b32 v1, v[8:9], off
	s_wait_loadcnt 0x0
	v_trunc_f32_e32 v1, v1
	s_delay_alu instid0(VALU_DEP_1) | instskip(SKIP_1) | instid1(VALU_DEP_2)
	v_mul_f32_e64 v3, 0x2f800000, |v1|
	v_ashrrev_i32_e32 v4, 31, v1
	v_floor_f32_e32 v3, v3
	s_delay_alu instid0(VALU_DEP_1) | instskip(SKIP_1) | instid1(VALU_DEP_2)
	v_fma_f32 v5, 0xcf800000, v3, |v1|
	v_cvt_u32_f32_e32 v1, v3
	v_cvt_u32_f32_e32 v3, v5
	s_delay_alu instid0(VALU_DEP_2) | instskip(NEXT) | instid1(VALU_DEP_2)
	v_dual_mov_b32 v5, v4 :: v_dual_bitop2_b32 v11, v1, v4 bitop3:0x14
	v_xor_b32_e32 v10, v3, v4
	s_delay_alu instid0(VALU_DEP_1)
	v_sub_nc_u64_e32 v[4:5], v[10:11], v[4:5]
.LBB71_149:
	s_mov_b32 s25, 0
.LBB71_150:
	s_delay_alu instid0(SALU_CYCLE_1)
	s_and_not1_b32 vcc_lo, exec_lo, s25
	s_cbranch_vccnz .LBB71_152
; %bb.151:
	global_load_u16 v1, v[8:9], off
	s_wait_loadcnt 0x0
	v_cvt_f32_f16_e32 v1, v1
	s_delay_alu instid0(VALU_DEP_1) | instskip(NEXT) | instid1(VALU_DEP_1)
	v_cvt_i32_f32_e32 v4, v1
	v_ashrrev_i32_e32 v5, 31, v4
.LBB71_152:
	s_cbranch_execnz .LBB71_172
.LBB71_153:
	s_cmp_lt_i32 s0, 2
	s_cbranch_scc1 .LBB71_157
; %bb.154:
	s_cmp_lt_i32 s0, 3
	s_cbranch_scc1 .LBB71_158
; %bb.155:
	s_cmp_gt_i32 s0, 3
	s_cbranch_scc0 .LBB71_159
; %bb.156:
	s_wait_loadcnt 0x0
	global_load_b64 v[4:5], v[8:9], off
	s_mov_b32 s25, 0
	s_branch .LBB71_160
.LBB71_157:
	s_mov_b32 s25, -1
                                        ; implicit-def: $vgpr4_vgpr5
	s_branch .LBB71_166
.LBB71_158:
	s_mov_b32 s25, -1
                                        ; implicit-def: $vgpr4_vgpr5
	s_branch .LBB71_163
.LBB71_159:
	s_mov_b32 s25, -1
                                        ; implicit-def: $vgpr4_vgpr5
.LBB71_160:
	s_delay_alu instid0(SALU_CYCLE_1)
	s_and_not1_b32 vcc_lo, exec_lo, s25
	s_cbranch_vccnz .LBB71_162
; %bb.161:
	s_wait_loadcnt 0x0
	global_load_b32 v4, v[8:9], off
	s_wait_loadcnt 0x0
	v_ashrrev_i32_e32 v5, 31, v4
.LBB71_162:
	s_mov_b32 s25, 0
.LBB71_163:
	s_delay_alu instid0(SALU_CYCLE_1)
	s_and_not1_b32 vcc_lo, exec_lo, s25
	s_cbranch_vccnz .LBB71_165
; %bb.164:
	global_load_u16 v1, v[8:9], off
	s_wait_loadcnt 0x0
	v_bfe_i32 v4, v1, 0, 16
	s_delay_alu instid0(VALU_DEP_1)
	v_ashrrev_i32_e32 v5, 31, v4
.LBB71_165:
	s_mov_b32 s25, 0
.LBB71_166:
	s_delay_alu instid0(SALU_CYCLE_1)
	s_and_not1_b32 vcc_lo, exec_lo, s25
	s_cbranch_vccnz .LBB71_172
; %bb.167:
	s_cmp_gt_i32 s0, 0
	s_mov_b32 s0, 0
	s_cbranch_scc0 .LBB71_169
; %bb.168:
	global_load_i8 v1, v[8:9], off
	s_wait_loadcnt 0x0
	v_bfe_i32 v4, v1, 0, 16
	s_delay_alu instid0(VALU_DEP_1)
	v_ashrrev_i32_e32 v5, 31, v4
	s_branch .LBB71_170
.LBB71_169:
	s_mov_b32 s0, -1
                                        ; implicit-def: $vgpr4_vgpr5
.LBB71_170:
	s_delay_alu instid0(SALU_CYCLE_1)
	s_and_not1_b32 vcc_lo, exec_lo, s0
	s_cbranch_vccnz .LBB71_172
; %bb.171:
	global_load_u8 v1, v[8:9], off
	s_mov_b32 s0, 0
	s_wait_loadcnt 0x1
	v_mov_b32_e32 v5, s0
	s_wait_loadcnt 0x0
	v_and_b32_e32 v4, 0xffff, v1
.LBB71_172:
	s_branch .LBB71_22
.LBB71_173:
	s_mov_b32 s0, 0
	s_mov_b32 s25, 0
	s_branch .LBB71_397
.LBB71_174:
	s_mov_b32 s25, -1
.LBB71_175:
	s_mov_b32 s39, 0
                                        ; implicit-def: $vgpr6_vgpr7
.LBB71_176:
	s_and_b32 vcc_lo, exec_lo, s40
	s_cbranch_vccz .LBB71_291
; %bb.177:
	s_cmp_eq_u32 s38, 44
	s_cbranch_scc0 .LBB71_290
; %bb.178:
	global_load_u8 v1, v[8:9], off
	s_mov_b32 s25, 0
	s_mov_b32 s39, -1
	s_wait_loadcnt 0x0
	v_lshlrev_b32_e32 v3, 23, v1
	v_cmp_ne_u32_e32 vcc_lo, 0, v1
	s_delay_alu instid0(VALU_DEP_2) | instskip(NEXT) | instid1(VALU_DEP_1)
	v_trunc_f32_e32 v3, v3
	v_mul_f32_e64 v6, 0x2f800000, |v3|
	s_delay_alu instid0(VALU_DEP_1) | instskip(SKIP_1) | instid1(VALU_DEP_2)
	v_floor_f32_e32 v7, v6
	v_ashrrev_i32_e32 v6, 31, v3
	v_fma_f32 v10, 0xcf800000, v7, |v3|
	v_cvt_u32_f32_e32 v3, v7
	s_delay_alu instid0(VALU_DEP_3) | instskip(NEXT) | instid1(VALU_DEP_3)
	v_mov_b32_e32 v7, v6
	v_cvt_u32_f32_e32 v10, v10
	s_delay_alu instid0(VALU_DEP_3) | instskip(NEXT) | instid1(VALU_DEP_2)
	v_xor_b32_e32 v11, v3, v6
	v_xor_b32_e32 v10, v10, v6
	s_delay_alu instid0(VALU_DEP_1) | instskip(NEXT) | instid1(VALU_DEP_1)
	v_sub_nc_u64_e32 v[6:7], v[10:11], v[6:7]
	v_dual_cndmask_b32 v7, 0, v7 :: v_dual_cndmask_b32 v6, 0, v6
	s_branch .LBB71_291
.LBB71_179:
	s_mov_b32 s42, -1
	s_mov_b32 s0, 0
	s_mov_b32 s40, 0
.LBB71_180:
	s_and_b32 vcc_lo, exec_lo, s42
	s_cbranch_vccz .LBB71_185
; %bb.181:
	s_cmp_eq_u32 s39, 44
	s_mov_b32 s0, -1
	s_cbranch_scc0 .LBB71_185
; %bb.182:
	s_wait_xcnt 0x0
	s_delay_alu instid0(VALU_DEP_3) | instskip(SKIP_1) | instid1(VALU_DEP_1)
	v_clz_i32_u32_e32 v1, v9
	s_mov_b32 s40, exec_lo
	v_min_u32_e32 v1, 32, v1
	s_delay_alu instid0(VALU_DEP_1) | instskip(SKIP_1) | instid1(VALU_DEP_2)
	v_lshlrev_b64_e32 v[4:5], v1, v[8:9]
	v_sub_nc_u32_e32 v1, 32, v1
	v_min_u32_e32 v4, 1, v4
	s_delay_alu instid0(VALU_DEP_1) | instskip(NEXT) | instid1(VALU_DEP_1)
	v_or_b32_e32 v4, v5, v4
	v_cvt_f32_u32_e32 v4, v4
	s_delay_alu instid0(VALU_DEP_1) | instskip(NEXT) | instid1(VALU_DEP_1)
	v_ldexp_f32 v5, v4, v1
	v_dual_mov_b32 v4, 0xff :: v_dual_lshrrev_b32 v1, 23, v5
	s_delay_alu instid0(VALU_DEP_1)
	v_cmpx_ne_u32_e32 0xff, v1
; %bb.183:
	v_and_b32_e32 v4, 0x400000, v5
	v_and_or_b32 v5, 0x3fffff, v5, v1
	s_delay_alu instid0(VALU_DEP_2) | instskip(NEXT) | instid1(VALU_DEP_2)
	v_cmp_ne_u32_e32 vcc_lo, 0, v4
	v_cmp_ne_u32_e64 s0, 0, v5
	s_and_b32 s0, vcc_lo, s0
	s_delay_alu instid0(SALU_CYCLE_1) | instskip(NEXT) | instid1(VALU_DEP_1)
	v_cndmask_b32_e64 v4, 0, 1, s0
	v_add_nc_u32_e32 v4, v1, v4
; %bb.184:
	s_or_b32 exec_lo, exec_lo, s40
	s_mov_b32 s40, -1
	s_mov_b32 s0, 0
	global_store_b8 v[2:3], v4, off
.LBB71_185:
	s_mov_b32 s42, 0
.LBB71_186:
	s_delay_alu instid0(SALU_CYCLE_1)
	s_and_b32 vcc_lo, exec_lo, s42
	s_cbranch_vccz .LBB71_189
; %bb.187:
	s_cmp_eq_u32 s39, 29
	s_mov_b32 s0, -1
	s_cbranch_scc0 .LBB71_189
; %bb.188:
	s_mov_b32 s40, -1
	s_mov_b32 s0, 0
	global_store_b64 v[2:3], v[8:9], off
.LBB71_189:
	s_mov_b32 s42, 0
.LBB71_190:
	s_delay_alu instid0(SALU_CYCLE_1)
	s_and_b32 vcc_lo, exec_lo, s42
	s_cbranch_vccz .LBB71_206
; %bb.191:
	s_cmp_lt_i32 s39, 27
	s_mov_b32 s40, -1
	s_cbranch_scc1 .LBB71_197
; %bb.192:
	s_cmp_gt_i32 s39, 27
	s_cbranch_scc0 .LBB71_194
; %bb.193:
	s_mov_b32 s40, 0
	global_store_b32 v[2:3], v8, off
.LBB71_194:
	s_and_not1_b32 vcc_lo, exec_lo, s40
	s_cbranch_vccnz .LBB71_196
; %bb.195:
	global_store_b16 v[2:3], v8, off
.LBB71_196:
	s_mov_b32 s40, 0
.LBB71_197:
	s_delay_alu instid0(SALU_CYCLE_1)
	s_and_not1_b32 vcc_lo, exec_lo, s40
	s_cbranch_vccnz .LBB71_205
; %bb.198:
	s_wait_xcnt 0x0
	s_delay_alu instid0(VALU_DEP_3) | instskip(SKIP_1) | instid1(VALU_DEP_1)
	v_clz_i32_u32_e32 v1, v9
	s_mov_b32 s40, exec_lo
	v_min_u32_e32 v1, 32, v1
	s_delay_alu instid0(VALU_DEP_1) | instskip(SKIP_1) | instid1(VALU_DEP_2)
	v_lshlrev_b64_e32 v[4:5], v1, v[8:9]
	v_sub_nc_u32_e32 v1, 32, v1
	v_min_u32_e32 v4, 1, v4
	s_delay_alu instid0(VALU_DEP_1) | instskip(SKIP_1) | instid1(VALU_DEP_2)
	v_or_b32_e32 v4, v5, v4
	v_mov_b32_e32 v5, 0x80
	v_cvt_f32_u32_e32 v4, v4
	s_delay_alu instid0(VALU_DEP_1) | instskip(NEXT) | instid1(VALU_DEP_1)
	v_ldexp_f32 v4, v4, v1
	v_cmpx_gt_u32_e32 0x43800000, v4
	s_cbranch_execz .LBB71_204
; %bb.199:
	s_mov_b32 s42, 0
	s_mov_b32 s43, exec_lo
                                        ; implicit-def: $vgpr1
	v_cmpx_lt_u32_e32 0x3bffffff, v4
	s_xor_b32 s43, exec_lo, s43
	s_cbranch_execz .LBB71_439
; %bb.200:
	v_bfe_u32 v1, v4, 20, 1
	s_mov_b32 s42, exec_lo
	s_delay_alu instid0(VALU_DEP_1) | instskip(NEXT) | instid1(VALU_DEP_1)
	v_add3_u32 v1, v4, v1, 0x487ffff
                                        ; implicit-def: $vgpr4
	v_lshrrev_b32_e32 v1, 20, v1
	s_and_not1_saveexec_b32 s43, s43
	s_cbranch_execnz .LBB71_440
.LBB71_201:
	s_or_b32 exec_lo, exec_lo, s43
	v_mov_b32_e32 v5, 0
	s_and_saveexec_b32 s43, s42
.LBB71_202:
	v_mov_b32_e32 v5, v1
.LBB71_203:
	s_or_b32 exec_lo, exec_lo, s43
.LBB71_204:
	s_delay_alu instid0(SALU_CYCLE_1)
	s_or_b32 exec_lo, exec_lo, s40
	global_store_b8 v[2:3], v5, off
.LBB71_205:
	s_mov_b32 s40, -1
.LBB71_206:
	s_mov_b32 s42, 0
.LBB71_207:
	s_delay_alu instid0(SALU_CYCLE_1)
	s_and_b32 vcc_lo, exec_lo, s42
	s_cbranch_vccz .LBB71_248
; %bb.208:
	s_cmp_gt_i32 s39, 22
	s_mov_b32 s42, -1
	s_cbranch_scc0 .LBB71_240
; %bb.209:
	s_cmp_lt_i32 s39, 24
	s_mov_b32 s40, -1
	s_cbranch_scc1 .LBB71_229
; %bb.210:
	s_cmp_gt_i32 s39, 24
	s_cbranch_scc0 .LBB71_218
; %bb.211:
	s_wait_xcnt 0x0
	s_delay_alu instid0(VALU_DEP_3) | instskip(SKIP_1) | instid1(VALU_DEP_1)
	v_clz_i32_u32_e32 v1, v9
	s_mov_b32 s40, exec_lo
	v_min_u32_e32 v1, 32, v1
	s_delay_alu instid0(VALU_DEP_1) | instskip(SKIP_1) | instid1(VALU_DEP_2)
	v_lshlrev_b64_e32 v[4:5], v1, v[8:9]
	v_sub_nc_u32_e32 v1, 32, v1
	v_min_u32_e32 v4, 1, v4
	s_delay_alu instid0(VALU_DEP_1) | instskip(SKIP_1) | instid1(VALU_DEP_2)
	v_or_b32_e32 v4, v5, v4
	v_mov_b32_e32 v5, 0x80
	v_cvt_f32_u32_e32 v4, v4
	s_delay_alu instid0(VALU_DEP_1) | instskip(NEXT) | instid1(VALU_DEP_1)
	v_ldexp_f32 v4, v4, v1
	v_cmpx_gt_u32_e32 0x47800000, v4
	s_cbranch_execz .LBB71_217
; %bb.212:
	s_mov_b32 s42, 0
	s_mov_b32 s43, exec_lo
                                        ; implicit-def: $vgpr1
	v_cmpx_lt_u32_e32 0x37ffffff, v4
	s_xor_b32 s43, exec_lo, s43
	s_cbranch_execz .LBB71_554
; %bb.213:
	v_bfe_u32 v1, v4, 21, 1
	s_mov_b32 s42, exec_lo
	s_delay_alu instid0(VALU_DEP_1) | instskip(NEXT) | instid1(VALU_DEP_1)
	v_add3_u32 v1, v4, v1, 0x88fffff
                                        ; implicit-def: $vgpr4
	v_lshrrev_b32_e32 v1, 21, v1
	s_and_not1_saveexec_b32 s43, s43
	s_cbranch_execnz .LBB71_555
.LBB71_214:
	s_or_b32 exec_lo, exec_lo, s43
	v_mov_b32_e32 v5, 0
	s_and_saveexec_b32 s43, s42
.LBB71_215:
	v_mov_b32_e32 v5, v1
.LBB71_216:
	s_or_b32 exec_lo, exec_lo, s43
.LBB71_217:
	s_delay_alu instid0(SALU_CYCLE_1)
	s_or_b32 exec_lo, exec_lo, s40
	s_mov_b32 s40, 0
	global_store_b8 v[2:3], v5, off
.LBB71_218:
	s_and_b32 vcc_lo, exec_lo, s40
	s_cbranch_vccz .LBB71_228
; %bb.219:
	s_wait_xcnt 0x0
	s_delay_alu instid0(VALU_DEP_3) | instskip(SKIP_1) | instid1(VALU_DEP_1)
	v_clz_i32_u32_e32 v1, v9
	s_mov_b32 s40, exec_lo
	v_min_u32_e32 v1, 32, v1
	s_delay_alu instid0(VALU_DEP_1) | instskip(SKIP_1) | instid1(VALU_DEP_2)
	v_lshlrev_b64_e32 v[4:5], v1, v[8:9]
	v_sub_nc_u32_e32 v1, 32, v1
	v_min_u32_e32 v4, 1, v4
	s_delay_alu instid0(VALU_DEP_1) | instskip(NEXT) | instid1(VALU_DEP_1)
	v_or_b32_e32 v4, v5, v4
	v_cvt_f32_u32_e32 v4, v4
	s_delay_alu instid0(VALU_DEP_1) | instskip(NEXT) | instid1(VALU_DEP_1)
	v_ldexp_f32 v4, v4, v1
                                        ; implicit-def: $vgpr1
	v_cmpx_gt_u32_e32 0x43f00000, v4
	s_xor_b32 s40, exec_lo, s40
	s_cbranch_execz .LBB71_225
; %bb.220:
	s_mov_b32 s42, exec_lo
                                        ; implicit-def: $vgpr1
	v_cmpx_lt_u32_e32 0x3c7fffff, v4
	s_xor_b32 s42, exec_lo, s42
; %bb.221:
	v_bfe_u32 v1, v4, 20, 1
	s_delay_alu instid0(VALU_DEP_1) | instskip(NEXT) | instid1(VALU_DEP_1)
	v_add3_u32 v1, v4, v1, 0x407ffff
	v_and_b32_e32 v4, 0xff00000, v1
	v_lshrrev_b32_e32 v1, 20, v1
	s_delay_alu instid0(VALU_DEP_2) | instskip(NEXT) | instid1(VALU_DEP_2)
	v_cmp_ne_u32_e32 vcc_lo, 0x7f00000, v4
                                        ; implicit-def: $vgpr4
	v_cndmask_b32_e32 v1, 0x7e, v1, vcc_lo
; %bb.222:
	s_and_not1_saveexec_b32 s42, s42
; %bb.223:
	v_add_f32_e32 v1, 0x46800000, v4
; %bb.224:
	s_or_b32 exec_lo, exec_lo, s42
                                        ; implicit-def: $vgpr4
.LBB71_225:
	s_and_not1_saveexec_b32 s40, s40
; %bb.226:
	v_mov_b32_e32 v1, 0x7f
	v_cmp_lt_u32_e32 vcc_lo, 0x7f800000, v4
	s_delay_alu instid0(VALU_DEP_2)
	v_cndmask_b32_e32 v1, 0x7e, v1, vcc_lo
; %bb.227:
	s_or_b32 exec_lo, exec_lo, s40
	global_store_b8 v[2:3], v1, off
.LBB71_228:
	s_mov_b32 s40, 0
.LBB71_229:
	s_delay_alu instid0(SALU_CYCLE_1)
	s_and_not1_b32 vcc_lo, exec_lo, s40
	s_cbranch_vccnz .LBB71_239
; %bb.230:
	s_wait_xcnt 0x0
	s_delay_alu instid0(VALU_DEP_3) | instskip(SKIP_1) | instid1(VALU_DEP_1)
	v_clz_i32_u32_e32 v1, v9
	s_mov_b32 s40, exec_lo
	v_min_u32_e32 v1, 32, v1
	s_delay_alu instid0(VALU_DEP_1) | instskip(SKIP_1) | instid1(VALU_DEP_2)
	v_lshlrev_b64_e32 v[4:5], v1, v[8:9]
	v_sub_nc_u32_e32 v1, 32, v1
	v_min_u32_e32 v4, 1, v4
	s_delay_alu instid0(VALU_DEP_1) | instskip(NEXT) | instid1(VALU_DEP_1)
	v_or_b32_e32 v4, v5, v4
	v_cvt_f32_u32_e32 v4, v4
	s_delay_alu instid0(VALU_DEP_1) | instskip(NEXT) | instid1(VALU_DEP_1)
	v_ldexp_f32 v4, v4, v1
                                        ; implicit-def: $vgpr1
	v_cmpx_gt_u32_e32 0x47800000, v4
	s_xor_b32 s40, exec_lo, s40
	s_cbranch_execz .LBB71_236
; %bb.231:
	s_mov_b32 s42, exec_lo
                                        ; implicit-def: $vgpr1
	v_cmpx_lt_u32_e32 0x387fffff, v4
	s_xor_b32 s42, exec_lo, s42
; %bb.232:
	v_bfe_u32 v1, v4, 21, 1
	s_delay_alu instid0(VALU_DEP_1) | instskip(NEXT) | instid1(VALU_DEP_1)
	v_add3_u32 v1, v4, v1, 0x80fffff
                                        ; implicit-def: $vgpr4
	v_lshrrev_b32_e32 v1, 21, v1
; %bb.233:
	s_and_not1_saveexec_b32 s42, s42
; %bb.234:
	v_add_f32_e32 v1, 0x43000000, v4
; %bb.235:
	s_or_b32 exec_lo, exec_lo, s42
                                        ; implicit-def: $vgpr4
.LBB71_236:
	s_and_not1_saveexec_b32 s40, s40
; %bb.237:
	v_mov_b32_e32 v1, 0x7f
	v_cmp_lt_u32_e32 vcc_lo, 0x7f800000, v4
	s_delay_alu instid0(VALU_DEP_2)
	v_cndmask_b32_e32 v1, 0x7c, v1, vcc_lo
; %bb.238:
	s_or_b32 exec_lo, exec_lo, s40
	global_store_b8 v[2:3], v1, off
.LBB71_239:
	s_mov_b32 s42, 0
	s_mov_b32 s40, -1
.LBB71_240:
	s_and_not1_b32 vcc_lo, exec_lo, s42
	s_cbranch_vccnz .LBB71_248
; %bb.241:
	s_cmp_gt_i32 s39, 14
	s_mov_b32 s42, -1
	s_cbranch_scc0 .LBB71_245
; %bb.242:
	s_cmp_eq_u32 s39, 15
	s_mov_b32 s0, -1
	s_cbranch_scc0 .LBB71_244
; %bb.243:
	s_wait_xcnt 0x0
	s_delay_alu instid0(VALU_DEP_3) | instskip(SKIP_2) | instid1(VALU_DEP_1)
	v_clz_i32_u32_e32 v1, v9
	s_mov_b32 s40, -1
	s_mov_b32 s0, 0
	v_min_u32_e32 v1, 32, v1
	s_delay_alu instid0(VALU_DEP_1) | instskip(SKIP_1) | instid1(VALU_DEP_2)
	v_lshlrev_b64_e32 v[4:5], v1, v[8:9]
	v_sub_nc_u32_e32 v1, 32, v1
	v_min_u32_e32 v4, 1, v4
	s_delay_alu instid0(VALU_DEP_1) | instskip(NEXT) | instid1(VALU_DEP_1)
	v_or_b32_e32 v4, v5, v4
	v_cvt_f32_u32_e32 v4, v4
	s_delay_alu instid0(VALU_DEP_1) | instskip(NEXT) | instid1(VALU_DEP_1)
	v_ldexp_f32 v1, v4, v1
	v_bfe_u32 v4, v1, 16, 1
	s_delay_alu instid0(VALU_DEP_1)
	v_add3_u32 v1, v1, v4, 0x7fff
	global_store_d16_hi_b16 v[2:3], v1, off
.LBB71_244:
	s_mov_b32 s42, 0
.LBB71_245:
	s_delay_alu instid0(SALU_CYCLE_1)
	s_and_b32 vcc_lo, exec_lo, s42
	s_cbranch_vccz .LBB71_248
; %bb.246:
	s_cmp_eq_u32 s39, 11
	s_mov_b32 s0, -1
	s_cbranch_scc0 .LBB71_248
; %bb.247:
	s_delay_alu instid0(VALU_DEP_3)
	v_cmp_ne_u64_e32 vcc_lo, 0, v[8:9]
	s_mov_b32 s40, -1
	s_mov_b32 s0, 0
	s_wait_xcnt 0x0
	v_cndmask_b32_e64 v1, 0, 1, vcc_lo
	global_store_b8 v[2:3], v1, off
.LBB71_248:
	s_mov_b32 s39, 0
.LBB71_249:
	s_delay_alu instid0(SALU_CYCLE_1)
	s_and_b32 vcc_lo, exec_lo, s39
	s_cbranch_vccz .LBB71_288
; %bb.250:
	s_and_b32 s38, 0xffff, s38
	s_mov_b32 s39, -1
	s_cmp_lt_i32 s38, 5
	s_cbranch_scc1 .LBB71_271
; %bb.251:
	s_cmp_lt_i32 s38, 8
	s_cbranch_scc1 .LBB71_261
; %bb.252:
	;; [unrolled: 3-line block ×3, first 2 shown]
	s_cmp_gt_i32 s38, 9
	s_cbranch_scc0 .LBB71_255
; %bb.254:
	s_wait_xcnt 0x0
	s_delay_alu instid0(VALU_DEP_3) | instskip(NEXT) | instid1(VALU_DEP_4)
	v_cvt_f64_u32_e32 v[4:5], v9
	v_cvt_f64_u32_e32 v[6:7], v8
	s_mov_b32 s39, 0
	s_delay_alu instid0(VALU_DEP_2) | instskip(NEXT) | instid1(VALU_DEP_1)
	v_ldexp_f64 v[4:5], v[4:5], 32
	v_dual_add_f64 v[4:5], v[4:5], v[6:7] :: v_dual_mov_b32 v6, 0
	s_delay_alu instid0(VALU_DEP_1)
	v_mov_b32_e32 v7, v6
	global_store_b128 v[2:3], v[4:7], off
.LBB71_255:
	s_and_not1_b32 vcc_lo, exec_lo, s39
	s_cbranch_vccnz .LBB71_257
; %bb.256:
	s_wait_xcnt 0x0
	s_delay_alu instid0(VALU_DEP_3) | instskip(NEXT) | instid1(VALU_DEP_1)
	v_clz_i32_u32_e32 v1, v9
	v_min_u32_e32 v1, 32, v1
	s_delay_alu instid0(VALU_DEP_1) | instskip(SKIP_1) | instid1(VALU_DEP_2)
	v_lshlrev_b64_e32 v[4:5], v1, v[8:9]
	v_sub_nc_u32_e32 v1, 32, v1
	v_min_u32_e32 v4, 1, v4
	s_delay_alu instid0(VALU_DEP_1) | instskip(NEXT) | instid1(VALU_DEP_1)
	v_dual_mov_b32 v5, 0 :: v_dual_bitop2_b32 v4, v5, v4 bitop3:0x54
	v_cvt_f32_u32_e32 v4, v4
	s_delay_alu instid0(VALU_DEP_1)
	v_ldexp_f32 v4, v4, v1
	global_store_b64 v[2:3], v[4:5], off
.LBB71_257:
	s_mov_b32 s39, 0
.LBB71_258:
	s_delay_alu instid0(SALU_CYCLE_1)
	s_and_not1_b32 vcc_lo, exec_lo, s39
	s_cbranch_vccnz .LBB71_260
; %bb.259:
	s_wait_xcnt 0x0
	s_delay_alu instid0(VALU_DEP_3) | instskip(NEXT) | instid1(VALU_DEP_1)
	v_clz_i32_u32_e32 v1, v9
	v_min_u32_e32 v1, 32, v1
	s_delay_alu instid0(VALU_DEP_1) | instskip(SKIP_1) | instid1(VALU_DEP_2)
	v_lshlrev_b64_e32 v[4:5], v1, v[8:9]
	v_sub_nc_u32_e32 v1, 32, v1
	v_min_u32_e32 v4, 1, v4
	s_delay_alu instid0(VALU_DEP_1) | instskip(NEXT) | instid1(VALU_DEP_1)
	v_or_b32_e32 v4, v5, v4
	v_cvt_f32_u32_e32 v4, v4
	s_delay_alu instid0(VALU_DEP_1) | instskip(NEXT) | instid1(VALU_DEP_1)
	v_ldexp_f32 v1, v4, v1
	v_cvt_f16_f32_e32 v1, v1
	s_delay_alu instid0(VALU_DEP_1)
	v_and_b32_e32 v1, 0xffff, v1
	global_store_b32 v[2:3], v1, off
.LBB71_260:
	s_mov_b32 s39, 0
.LBB71_261:
	s_delay_alu instid0(SALU_CYCLE_1)
	s_and_not1_b32 vcc_lo, exec_lo, s39
	s_cbranch_vccnz .LBB71_270
; %bb.262:
	s_cmp_lt_i32 s38, 6
	s_mov_b32 s39, -1
	s_cbranch_scc1 .LBB71_268
; %bb.263:
	s_cmp_gt_i32 s38, 6
	s_cbranch_scc0 .LBB71_265
; %bb.264:
	s_wait_xcnt 0x0
	s_delay_alu instid0(VALU_DEP_3) | instskip(NEXT) | instid1(VALU_DEP_4)
	v_cvt_f64_u32_e32 v[4:5], v9
	v_cvt_f64_u32_e32 v[6:7], v8
	s_mov_b32 s39, 0
	s_delay_alu instid0(VALU_DEP_2) | instskip(NEXT) | instid1(VALU_DEP_1)
	v_ldexp_f64 v[4:5], v[4:5], 32
	v_add_f64_e32 v[4:5], v[4:5], v[6:7]
	global_store_b64 v[2:3], v[4:5], off
.LBB71_265:
	s_and_not1_b32 vcc_lo, exec_lo, s39
	s_cbranch_vccnz .LBB71_267
; %bb.266:
	s_wait_xcnt 0x0
	s_delay_alu instid0(VALU_DEP_3) | instskip(NEXT) | instid1(VALU_DEP_1)
	v_clz_i32_u32_e32 v1, v9
	v_min_u32_e32 v1, 32, v1
	s_delay_alu instid0(VALU_DEP_1) | instskip(SKIP_1) | instid1(VALU_DEP_2)
	v_lshlrev_b64_e32 v[4:5], v1, v[8:9]
	v_sub_nc_u32_e32 v1, 32, v1
	v_min_u32_e32 v4, 1, v4
	s_delay_alu instid0(VALU_DEP_1) | instskip(NEXT) | instid1(VALU_DEP_1)
	v_or_b32_e32 v4, v5, v4
	v_cvt_f32_u32_e32 v4, v4
	s_delay_alu instid0(VALU_DEP_1)
	v_ldexp_f32 v1, v4, v1
	global_store_b32 v[2:3], v1, off
.LBB71_267:
	s_mov_b32 s39, 0
.LBB71_268:
	s_delay_alu instid0(SALU_CYCLE_1)
	s_and_not1_b32 vcc_lo, exec_lo, s39
	s_cbranch_vccnz .LBB71_270
; %bb.269:
	s_wait_xcnt 0x0
	s_delay_alu instid0(VALU_DEP_3) | instskip(NEXT) | instid1(VALU_DEP_1)
	v_clz_i32_u32_e32 v1, v9
	v_min_u32_e32 v1, 32, v1
	s_delay_alu instid0(VALU_DEP_1) | instskip(SKIP_1) | instid1(VALU_DEP_2)
	v_lshlrev_b64_e32 v[4:5], v1, v[8:9]
	v_sub_nc_u32_e32 v1, 32, v1
	v_min_u32_e32 v4, 1, v4
	s_delay_alu instid0(VALU_DEP_1) | instskip(NEXT) | instid1(VALU_DEP_1)
	v_or_b32_e32 v4, v5, v4
	v_cvt_f32_u32_e32 v4, v4
	s_delay_alu instid0(VALU_DEP_1) | instskip(NEXT) | instid1(VALU_DEP_1)
	v_ldexp_f32 v1, v4, v1
	v_cvt_f16_f32_e32 v1, v1
	global_store_b16 v[2:3], v1, off
.LBB71_270:
	s_mov_b32 s39, 0
.LBB71_271:
	s_delay_alu instid0(SALU_CYCLE_1)
	s_and_not1_b32 vcc_lo, exec_lo, s39
	s_cbranch_vccnz .LBB71_287
; %bb.272:
	s_cmp_lt_i32 s38, 2
	s_mov_b32 s39, -1
	s_cbranch_scc1 .LBB71_282
; %bb.273:
	s_cmp_lt_i32 s38, 3
	s_cbranch_scc1 .LBB71_279
; %bb.274:
	s_cmp_gt_i32 s38, 3
	s_cbranch_scc0 .LBB71_276
; %bb.275:
	s_mov_b32 s39, 0
	global_store_b64 v[2:3], v[8:9], off
.LBB71_276:
	s_and_not1_b32 vcc_lo, exec_lo, s39
	s_cbranch_vccnz .LBB71_278
; %bb.277:
	global_store_b32 v[2:3], v8, off
.LBB71_278:
	s_mov_b32 s39, 0
.LBB71_279:
	s_delay_alu instid0(SALU_CYCLE_1)
	s_and_not1_b32 vcc_lo, exec_lo, s39
	s_cbranch_vccnz .LBB71_281
; %bb.280:
	global_store_b16 v[2:3], v8, off
.LBB71_281:
	s_mov_b32 s39, 0
.LBB71_282:
	s_delay_alu instid0(SALU_CYCLE_1)
	s_and_not1_b32 vcc_lo, exec_lo, s39
	s_cbranch_vccnz .LBB71_287
; %bb.283:
	s_cmp_gt_i32 s38, 0
	s_mov_b32 s38, -1
	s_cbranch_scc0 .LBB71_285
; %bb.284:
	s_mov_b32 s38, 0
	global_store_b8 v[2:3], v8, off
.LBB71_285:
	s_and_not1_b32 vcc_lo, exec_lo, s38
	s_cbranch_vccnz .LBB71_287
; %bb.286:
	global_store_b8 v[2:3], v8, off
.LBB71_287:
	s_mov_b32 s40, -1
.LBB71_288:
	s_delay_alu instid0(SALU_CYCLE_1)
	s_and_not1_b32 vcc_lo, exec_lo, s40
	s_cbranch_vccnz .LBB71_397
; %bb.289:
	v_add_nc_u32_e32 v0, 0x80, v0
	s_mov_b32 s42, -1
	s_branch .LBB71_398
.LBB71_290:
	s_mov_b32 s25, -1
                                        ; implicit-def: $vgpr6_vgpr7
.LBB71_291:
	s_mov_b32 s40, 0
.LBB71_292:
	s_delay_alu instid0(SALU_CYCLE_1)
	s_and_b32 vcc_lo, exec_lo, s40
	s_cbranch_vccz .LBB71_296
; %bb.293:
	s_cmp_eq_u32 s38, 29
	s_cbranch_scc0 .LBB71_295
; %bb.294:
	global_load_b64 v[6:7], v[8:9], off
	s_mov_b32 s39, -1
	s_mov_b32 s25, 0
	s_branch .LBB71_296
.LBB71_295:
	s_mov_b32 s25, -1
                                        ; implicit-def: $vgpr6_vgpr7
.LBB71_296:
	s_mov_b32 s40, 0
.LBB71_297:
	s_delay_alu instid0(SALU_CYCLE_1)
	s_and_b32 vcc_lo, exec_lo, s40
	s_cbranch_vccz .LBB71_313
; %bb.298:
	s_cmp_lt_i32 s38, 27
	s_cbranch_scc1 .LBB71_301
; %bb.299:
	s_cmp_gt_i32 s38, 27
	s_cbranch_scc0 .LBB71_302
; %bb.300:
	s_wait_loadcnt 0x0
	global_load_b32 v6, v[8:9], off
	v_mov_b32_e32 v7, 0
	s_mov_b32 s39, 0
	s_branch .LBB71_303
.LBB71_301:
	s_mov_b32 s39, -1
                                        ; implicit-def: $vgpr6_vgpr7
	s_branch .LBB71_306
.LBB71_302:
	s_mov_b32 s39, -1
                                        ; implicit-def: $vgpr6_vgpr7
.LBB71_303:
	s_delay_alu instid0(SALU_CYCLE_1)
	s_and_not1_b32 vcc_lo, exec_lo, s39
	s_cbranch_vccnz .LBB71_305
; %bb.304:
	global_load_u16 v1, v[8:9], off
	s_mov_b32 s39, 0
	s_wait_loadcnt 0x1
	v_mov_b32_e32 v7, s39
	s_wait_loadcnt 0x0
	v_and_b32_e32 v6, 0xffff, v1
.LBB71_305:
	s_mov_b32 s39, 0
.LBB71_306:
	s_delay_alu instid0(SALU_CYCLE_1)
	s_and_not1_b32 vcc_lo, exec_lo, s39
	s_cbranch_vccnz .LBB71_312
; %bb.307:
	global_load_u8 v1, v[8:9], off
	s_mov_b32 s40, 0
	s_mov_b32 s39, exec_lo
	s_wait_loadcnt 0x0
	v_cmpx_lt_i16_e32 0x7f, v1
	s_xor_b32 s39, exec_lo, s39
	s_cbranch_execz .LBB71_324
; %bb.308:
	v_cmp_ne_u16_e32 vcc_lo, 0x80, v1
	s_and_b32 s40, vcc_lo, exec_lo
	s_and_not1_saveexec_b32 s39, s39
	s_cbranch_execnz .LBB71_325
.LBB71_309:
	s_or_b32 exec_lo, exec_lo, s39
	v_mov_b64_e32 v[6:7], 0
	s_and_saveexec_b32 s39, s40
	s_cbranch_execz .LBB71_311
.LBB71_310:
	v_and_b32_e32 v3, 0xffff, v1
	s_delay_alu instid0(VALU_DEP_1) | instskip(SKIP_1) | instid1(VALU_DEP_2)
	v_dual_lshlrev_b32 v1, 24, v1 :: v_dual_bitop2_b32 v6, 7, v3 bitop3:0x40
	v_bfe_u32 v11, v3, 3, 4
	v_and_b32_e32 v1, 0x80000000, v1
	s_delay_alu instid0(VALU_DEP_3) | instskip(NEXT) | instid1(VALU_DEP_3)
	v_clz_i32_u32_e32 v7, v6
	v_cmp_eq_u32_e32 vcc_lo, 0, v11
	s_delay_alu instid0(VALU_DEP_2) | instskip(NEXT) | instid1(VALU_DEP_1)
	v_min_u32_e32 v7, 32, v7
	v_subrev_nc_u32_e32 v10, 28, v7
	v_sub_nc_u32_e32 v7, 29, v7
	s_delay_alu instid0(VALU_DEP_2) | instskip(NEXT) | instid1(VALU_DEP_2)
	v_lshlrev_b32_e32 v3, v10, v3
	v_cndmask_b32_e32 v7, v11, v7, vcc_lo
	s_delay_alu instid0(VALU_DEP_2) | instskip(NEXT) | instid1(VALU_DEP_1)
	v_and_b32_e32 v3, 7, v3
	v_cndmask_b32_e32 v3, v6, v3, vcc_lo
	s_delay_alu instid0(VALU_DEP_3) | instskip(NEXT) | instid1(VALU_DEP_2)
	v_lshl_add_u32 v6, v7, 23, 0x3b800000
	v_lshlrev_b32_e32 v3, 20, v3
	s_delay_alu instid0(VALU_DEP_1) | instskip(NEXT) | instid1(VALU_DEP_1)
	v_or3_b32 v1, v1, v6, v3
	v_trunc_f32_e32 v1, v1
	s_delay_alu instid0(VALU_DEP_1) | instskip(SKIP_1) | instid1(VALU_DEP_2)
	v_mul_f32_e64 v3, 0x2f800000, |v1|
	v_ashrrev_i32_e32 v6, 31, v1
	v_floor_f32_e32 v3, v3
	s_delay_alu instid0(VALU_DEP_1) | instskip(SKIP_1) | instid1(VALU_DEP_2)
	v_fma_f32 v7, 0xcf800000, v3, |v1|
	v_cvt_u32_f32_e32 v1, v3
	v_cvt_u32_f32_e32 v3, v7
	s_delay_alu instid0(VALU_DEP_2) | instskip(NEXT) | instid1(VALU_DEP_2)
	v_dual_mov_b32 v7, v6 :: v_dual_bitop2_b32 v11, v1, v6 bitop3:0x14
	v_xor_b32_e32 v10, v3, v6
	s_delay_alu instid0(VALU_DEP_1)
	v_sub_nc_u64_e32 v[6:7], v[10:11], v[6:7]
.LBB71_311:
	s_or_b32 exec_lo, exec_lo, s39
.LBB71_312:
	s_mov_b32 s39, -1
.LBB71_313:
	s_mov_b32 s40, 0
.LBB71_314:
	s_delay_alu instid0(SALU_CYCLE_1)
	s_and_b32 vcc_lo, exec_lo, s40
	s_cbranch_vccz .LBB71_347
; %bb.315:
	s_cmp_gt_i32 s38, 22
	s_cbranch_scc0 .LBB71_323
; %bb.316:
	s_cmp_lt_i32 s38, 24
	s_cbranch_scc1 .LBB71_326
; %bb.317:
	s_cmp_gt_i32 s38, 24
	s_cbranch_scc0 .LBB71_327
; %bb.318:
	global_load_u8 v1, v[8:9], off
	s_mov_b32 s40, 0
	s_mov_b32 s39, exec_lo
	s_wait_loadcnt 0x0
	v_cmpx_lt_i16_e32 0x7f, v1
	s_xor_b32 s39, exec_lo, s39
	s_cbranch_execz .LBB71_339
; %bb.319:
	v_cmp_ne_u16_e32 vcc_lo, 0x80, v1
	s_and_b32 s40, vcc_lo, exec_lo
	s_and_not1_saveexec_b32 s39, s39
	s_cbranch_execnz .LBB71_340
.LBB71_320:
	s_or_b32 exec_lo, exec_lo, s39
	v_mov_b64_e32 v[6:7], 0
	s_and_saveexec_b32 s39, s40
	s_cbranch_execz .LBB71_322
.LBB71_321:
	v_and_b32_e32 v3, 0xffff, v1
	s_delay_alu instid0(VALU_DEP_1) | instskip(SKIP_1) | instid1(VALU_DEP_2)
	v_dual_lshlrev_b32 v1, 24, v1 :: v_dual_bitop2_b32 v6, 3, v3 bitop3:0x40
	v_bfe_u32 v11, v3, 2, 5
	v_and_b32_e32 v1, 0x80000000, v1
	s_delay_alu instid0(VALU_DEP_3) | instskip(NEXT) | instid1(VALU_DEP_3)
	v_clz_i32_u32_e32 v7, v6
	v_cmp_eq_u32_e32 vcc_lo, 0, v11
	s_delay_alu instid0(VALU_DEP_2) | instskip(NEXT) | instid1(VALU_DEP_1)
	v_min_u32_e32 v7, 32, v7
	v_subrev_nc_u32_e32 v10, 29, v7
	v_sub_nc_u32_e32 v7, 30, v7
	s_delay_alu instid0(VALU_DEP_2) | instskip(NEXT) | instid1(VALU_DEP_2)
	v_lshlrev_b32_e32 v3, v10, v3
	v_cndmask_b32_e32 v7, v11, v7, vcc_lo
	s_delay_alu instid0(VALU_DEP_2) | instskip(NEXT) | instid1(VALU_DEP_1)
	v_and_b32_e32 v3, 3, v3
	v_cndmask_b32_e32 v3, v6, v3, vcc_lo
	s_delay_alu instid0(VALU_DEP_3) | instskip(NEXT) | instid1(VALU_DEP_2)
	v_lshl_add_u32 v6, v7, 23, 0x37800000
	v_lshlrev_b32_e32 v3, 21, v3
	s_delay_alu instid0(VALU_DEP_1) | instskip(NEXT) | instid1(VALU_DEP_1)
	v_or3_b32 v1, v1, v6, v3
	v_trunc_f32_e32 v1, v1
	s_delay_alu instid0(VALU_DEP_1) | instskip(SKIP_1) | instid1(VALU_DEP_2)
	v_mul_f32_e64 v3, 0x2f800000, |v1|
	v_ashrrev_i32_e32 v6, 31, v1
	v_floor_f32_e32 v3, v3
	s_delay_alu instid0(VALU_DEP_1) | instskip(SKIP_1) | instid1(VALU_DEP_2)
	v_fma_f32 v7, 0xcf800000, v3, |v1|
	v_cvt_u32_f32_e32 v1, v3
	v_cvt_u32_f32_e32 v3, v7
	s_delay_alu instid0(VALU_DEP_2) | instskip(NEXT) | instid1(VALU_DEP_2)
	v_dual_mov_b32 v7, v6 :: v_dual_bitop2_b32 v11, v1, v6 bitop3:0x14
	v_xor_b32_e32 v10, v3, v6
	s_delay_alu instid0(VALU_DEP_1)
	v_sub_nc_u64_e32 v[6:7], v[10:11], v[6:7]
.LBB71_322:
	s_or_b32 exec_lo, exec_lo, s39
	s_mov_b32 s39, 0
	s_branch .LBB71_328
.LBB71_323:
	s_mov_b32 s40, -1
                                        ; implicit-def: $vgpr6_vgpr7
	s_branch .LBB71_334
.LBB71_324:
	s_and_not1_saveexec_b32 s39, s39
	s_cbranch_execz .LBB71_309
.LBB71_325:
	v_cmp_ne_u16_e32 vcc_lo, 0, v1
	s_and_not1_b32 s40, s40, exec_lo
	s_and_b32 s42, vcc_lo, exec_lo
	s_delay_alu instid0(SALU_CYCLE_1)
	s_or_b32 s40, s40, s42
	s_or_b32 exec_lo, exec_lo, s39
	v_mov_b64_e32 v[6:7], 0
	s_and_saveexec_b32 s39, s40
	s_cbranch_execnz .LBB71_310
	s_branch .LBB71_311
.LBB71_326:
	s_mov_b32 s39, -1
                                        ; implicit-def: $vgpr6_vgpr7
	s_branch .LBB71_331
.LBB71_327:
	s_mov_b32 s39, -1
                                        ; implicit-def: $vgpr6_vgpr7
.LBB71_328:
	s_delay_alu instid0(SALU_CYCLE_1)
	s_and_b32 vcc_lo, exec_lo, s39
	s_cbranch_vccz .LBB71_330
; %bb.329:
	global_load_u8 v1, v[8:9], off
	s_wait_loadcnt 0x0
	v_lshlrev_b32_e32 v1, 24, v1
	s_delay_alu instid0(VALU_DEP_1) | instskip(NEXT) | instid1(VALU_DEP_1)
	v_and_b32_e32 v3, 0x7f000000, v1
	v_clz_i32_u32_e32 v6, v3
	v_cmp_ne_u32_e32 vcc_lo, 0, v3
	v_add_nc_u32_e32 v10, 0x1000000, v3
	s_delay_alu instid0(VALU_DEP_3) | instskip(NEXT) | instid1(VALU_DEP_1)
	v_min_u32_e32 v6, 32, v6
	v_sub_nc_u32_e64 v6, v6, 4 clamp
	s_delay_alu instid0(VALU_DEP_1) | instskip(NEXT) | instid1(VALU_DEP_1)
	v_dual_lshlrev_b32 v7, v6, v3 :: v_dual_lshlrev_b32 v6, 23, v6
	v_lshrrev_b32_e32 v7, 4, v7
	s_delay_alu instid0(VALU_DEP_1) | instskip(SKIP_1) | instid1(VALU_DEP_2)
	v_sub_nc_u32_e32 v6, v7, v6
	v_ashrrev_i32_e32 v7, 8, v10
	v_add_nc_u32_e32 v6, 0x3c000000, v6
	s_delay_alu instid0(VALU_DEP_1) | instskip(NEXT) | instid1(VALU_DEP_1)
	v_and_or_b32 v6, 0x7f800000, v7, v6
	v_cndmask_b32_e32 v3, 0, v6, vcc_lo
	s_delay_alu instid0(VALU_DEP_1) | instskip(NEXT) | instid1(VALU_DEP_1)
	v_and_or_b32 v1, 0x80000000, v1, v3
	v_trunc_f32_e32 v1, v1
	s_delay_alu instid0(VALU_DEP_1) | instskip(SKIP_1) | instid1(VALU_DEP_2)
	v_mul_f32_e64 v3, 0x2f800000, |v1|
	v_ashrrev_i32_e32 v6, 31, v1
	v_floor_f32_e32 v3, v3
	s_delay_alu instid0(VALU_DEP_1) | instskip(SKIP_1) | instid1(VALU_DEP_2)
	v_fma_f32 v7, 0xcf800000, v3, |v1|
	v_cvt_u32_f32_e32 v1, v3
	v_cvt_u32_f32_e32 v3, v7
	s_delay_alu instid0(VALU_DEP_2) | instskip(NEXT) | instid1(VALU_DEP_2)
	v_dual_mov_b32 v7, v6 :: v_dual_bitop2_b32 v11, v1, v6 bitop3:0x14
	v_xor_b32_e32 v10, v3, v6
	s_delay_alu instid0(VALU_DEP_1)
	v_sub_nc_u64_e32 v[6:7], v[10:11], v[6:7]
.LBB71_330:
	s_mov_b32 s39, 0
.LBB71_331:
	s_delay_alu instid0(SALU_CYCLE_1)
	s_and_not1_b32 vcc_lo, exec_lo, s39
	s_cbranch_vccnz .LBB71_333
; %bb.332:
	global_load_u8 v1, v[8:9], off
	s_wait_loadcnt 0x0
	v_lshlrev_b32_e32 v3, 25, v1
	v_lshlrev_b16 v1, 8, v1
	s_delay_alu instid0(VALU_DEP_1) | instskip(SKIP_1) | instid1(VALU_DEP_2)
	v_and_or_b32 v7, 0x7f00, v1, 0.5
	v_bfe_i32 v1, v1, 0, 16
	v_add_f32_e32 v7, -0.5, v7
	v_lshrrev_b32_e32 v6, 4, v3
	v_cmp_gt_u32_e32 vcc_lo, 0x8000000, v3
	s_delay_alu instid0(VALU_DEP_2) | instskip(NEXT) | instid1(VALU_DEP_1)
	v_or_b32_e32 v6, 0x70000000, v6
	v_mul_f32_e32 v6, 0x7800000, v6
	s_delay_alu instid0(VALU_DEP_1) | instskip(NEXT) | instid1(VALU_DEP_1)
	v_cndmask_b32_e32 v3, v6, v7, vcc_lo
	v_and_or_b32 v1, 0x80000000, v1, v3
	s_delay_alu instid0(VALU_DEP_1) | instskip(NEXT) | instid1(VALU_DEP_1)
	v_trunc_f32_e32 v1, v1
	v_mul_f32_e64 v3, 0x2f800000, |v1|
	v_ashrrev_i32_e32 v6, 31, v1
	s_delay_alu instid0(VALU_DEP_2) | instskip(NEXT) | instid1(VALU_DEP_1)
	v_floor_f32_e32 v3, v3
	v_fma_f32 v7, 0xcf800000, v3, |v1|
	v_cvt_u32_f32_e32 v1, v3
	s_delay_alu instid0(VALU_DEP_2) | instskip(NEXT) | instid1(VALU_DEP_2)
	v_cvt_u32_f32_e32 v3, v7
	v_dual_mov_b32 v7, v6 :: v_dual_bitop2_b32 v11, v1, v6 bitop3:0x14
	s_delay_alu instid0(VALU_DEP_2) | instskip(NEXT) | instid1(VALU_DEP_1)
	v_xor_b32_e32 v10, v3, v6
	v_sub_nc_u64_e32 v[6:7], v[10:11], v[6:7]
.LBB71_333:
	s_mov_b32 s40, 0
	s_mov_b32 s39, -1
.LBB71_334:
	s_and_not1_b32 vcc_lo, exec_lo, s40
	s_cbranch_vccnz .LBB71_347
; %bb.335:
	s_cmp_gt_i32 s38, 14
	s_cbranch_scc0 .LBB71_338
; %bb.336:
	s_cmp_eq_u32 s38, 15
	s_cbranch_scc0 .LBB71_341
; %bb.337:
	global_load_u16 v1, v[8:9], off
	s_mov_b32 s39, -1
	s_mov_b32 s25, 0
	s_wait_loadcnt 0x0
	v_lshlrev_b32_e32 v1, 16, v1
	s_delay_alu instid0(VALU_DEP_1) | instskip(NEXT) | instid1(VALU_DEP_1)
	v_trunc_f32_e32 v1, v1
	v_mul_f32_e64 v3, 0x2f800000, |v1|
	v_ashrrev_i32_e32 v6, 31, v1
	s_delay_alu instid0(VALU_DEP_2) | instskip(NEXT) | instid1(VALU_DEP_1)
	v_floor_f32_e32 v3, v3
	v_fma_f32 v7, 0xcf800000, v3, |v1|
	v_cvt_u32_f32_e32 v1, v3
	s_delay_alu instid0(VALU_DEP_2) | instskip(NEXT) | instid1(VALU_DEP_2)
	v_cvt_u32_f32_e32 v3, v7
	v_dual_mov_b32 v7, v6 :: v_dual_bitop2_b32 v11, v1, v6 bitop3:0x14
	s_delay_alu instid0(VALU_DEP_2) | instskip(NEXT) | instid1(VALU_DEP_1)
	v_xor_b32_e32 v10, v3, v6
	v_sub_nc_u64_e32 v[6:7], v[10:11], v[6:7]
	s_branch .LBB71_342
.LBB71_338:
	s_mov_b32 s40, -1
                                        ; implicit-def: $vgpr6_vgpr7
	s_branch .LBB71_343
.LBB71_339:
	s_and_not1_saveexec_b32 s39, s39
	s_cbranch_execz .LBB71_320
.LBB71_340:
	v_cmp_ne_u16_e32 vcc_lo, 0, v1
	s_and_not1_b32 s40, s40, exec_lo
	s_and_b32 s42, vcc_lo, exec_lo
	s_delay_alu instid0(SALU_CYCLE_1)
	s_or_b32 s40, s40, s42
	s_or_b32 exec_lo, exec_lo, s39
	v_mov_b64_e32 v[6:7], 0
	s_and_saveexec_b32 s39, s40
	s_cbranch_execnz .LBB71_321
	s_branch .LBB71_322
.LBB71_341:
	s_mov_b32 s25, -1
                                        ; implicit-def: $vgpr6_vgpr7
.LBB71_342:
	s_mov_b32 s40, 0
.LBB71_343:
	s_delay_alu instid0(SALU_CYCLE_1)
	s_and_b32 vcc_lo, exec_lo, s40
	s_cbranch_vccz .LBB71_347
; %bb.344:
	s_cmp_eq_u32 s38, 11
	s_cbranch_scc0 .LBB71_346
; %bb.345:
	global_load_u8 v1, v[8:9], off
	s_mov_b32 s25, 0
	s_mov_b32 s39, -1
	s_wait_loadcnt 0x1
	v_mov_b32_e32 v7, s25
	s_wait_loadcnt 0x0
	v_cmp_ne_u16_e32 vcc_lo, 0, v1
	v_cndmask_b32_e64 v6, 0, 1, vcc_lo
	s_branch .LBB71_347
.LBB71_346:
	s_mov_b32 s25, -1
                                        ; implicit-def: $vgpr6_vgpr7
.LBB71_347:
	s_branch .LBB71_31
.LBB71_348:
	s_and_b32 s0, 0xffff, s0
	s_delay_alu instid0(SALU_CYCLE_1)
	s_cmp_lt_i32 s0, 5
	s_cbranch_scc1 .LBB71_353
; %bb.349:
	s_cmp_lt_i32 s0, 8
	s_cbranch_scc1 .LBB71_354
; %bb.350:
	;; [unrolled: 3-line block ×3, first 2 shown]
	s_cmp_gt_i32 s0, 9
	s_cbranch_scc0 .LBB71_356
; %bb.352:
	s_wait_loadcnt 0x0
	global_load_b64 v[6:7], v[8:9], off
	s_mov_b32 s38, 0
	s_wait_loadcnt 0x0
	v_trunc_f64_e32 v[6:7], v[6:7]
	s_delay_alu instid0(VALU_DEP_1) | instskip(NEXT) | instid1(VALU_DEP_1)
	v_ldexp_f64 v[10:11], v[6:7], 0xffffffe0
	v_floor_f64_e32 v[10:11], v[10:11]
	s_delay_alu instid0(VALU_DEP_1) | instskip(SKIP_1) | instid1(VALU_DEP_2)
	v_fmamk_f64 v[12:13], v[10:11], 0xc1f00000, v[6:7]
	v_cvt_i32_f64_e32 v7, v[10:11]
	v_cvt_u32_f64_e32 v6, v[12:13]
	s_branch .LBB71_357
.LBB71_353:
	s_mov_b32 s38, -1
                                        ; implicit-def: $vgpr6_vgpr7
	s_branch .LBB71_375
.LBB71_354:
	s_mov_b32 s38, -1
                                        ; implicit-def: $vgpr6_vgpr7
	s_branch .LBB71_363
.LBB71_355:
	s_mov_b32 s38, -1
                                        ; implicit-def: $vgpr6_vgpr7
	s_branch .LBB71_360
.LBB71_356:
	s_mov_b32 s38, -1
                                        ; implicit-def: $vgpr6_vgpr7
.LBB71_357:
	s_delay_alu instid0(SALU_CYCLE_1)
	s_and_not1_b32 vcc_lo, exec_lo, s38
	s_cbranch_vccnz .LBB71_359
; %bb.358:
	global_load_b32 v1, v[8:9], off
	s_wait_loadcnt 0x0
	v_trunc_f32_e32 v1, v1
	s_delay_alu instid0(VALU_DEP_1) | instskip(SKIP_1) | instid1(VALU_DEP_2)
	v_mul_f32_e64 v3, 0x2f800000, |v1|
	v_ashrrev_i32_e32 v6, 31, v1
	v_floor_f32_e32 v3, v3
	s_delay_alu instid0(VALU_DEP_1) | instskip(SKIP_1) | instid1(VALU_DEP_2)
	v_fma_f32 v7, 0xcf800000, v3, |v1|
	v_cvt_u32_f32_e32 v1, v3
	v_cvt_u32_f32_e32 v3, v7
	s_delay_alu instid0(VALU_DEP_2) | instskip(NEXT) | instid1(VALU_DEP_2)
	v_dual_mov_b32 v7, v6 :: v_dual_bitop2_b32 v11, v1, v6 bitop3:0x14
	v_xor_b32_e32 v10, v3, v6
	s_delay_alu instid0(VALU_DEP_1)
	v_sub_nc_u64_e32 v[6:7], v[10:11], v[6:7]
.LBB71_359:
	s_mov_b32 s38, 0
.LBB71_360:
	s_delay_alu instid0(SALU_CYCLE_1)
	s_and_not1_b32 vcc_lo, exec_lo, s38
	s_cbranch_vccnz .LBB71_362
; %bb.361:
	global_load_b32 v1, v[8:9], off
	s_wait_loadcnt 0x0
	v_cvt_f32_f16_e32 v1, v1
	s_delay_alu instid0(VALU_DEP_1) | instskip(NEXT) | instid1(VALU_DEP_1)
	v_cvt_i32_f32_e32 v6, v1
	v_ashrrev_i32_e32 v7, 31, v6
.LBB71_362:
	s_mov_b32 s38, 0
.LBB71_363:
	s_delay_alu instid0(SALU_CYCLE_1)
	s_and_not1_b32 vcc_lo, exec_lo, s38
	s_cbranch_vccnz .LBB71_374
; %bb.364:
	s_cmp_lt_i32 s0, 6
	s_cbranch_scc1 .LBB71_367
; %bb.365:
	s_cmp_gt_i32 s0, 6
	s_cbranch_scc0 .LBB71_368
; %bb.366:
	s_wait_loadcnt 0x0
	global_load_b64 v[6:7], v[8:9], off
	s_mov_b32 s38, 0
	s_wait_loadcnt 0x0
	v_trunc_f64_e32 v[6:7], v[6:7]
	s_delay_alu instid0(VALU_DEP_1) | instskip(NEXT) | instid1(VALU_DEP_1)
	v_ldexp_f64 v[10:11], v[6:7], 0xffffffe0
	v_floor_f64_e32 v[10:11], v[10:11]
	s_delay_alu instid0(VALU_DEP_1) | instskip(SKIP_1) | instid1(VALU_DEP_2)
	v_fmamk_f64 v[12:13], v[10:11], 0xc1f00000, v[6:7]
	v_cvt_i32_f64_e32 v7, v[10:11]
	v_cvt_u32_f64_e32 v6, v[12:13]
	s_branch .LBB71_369
.LBB71_367:
	s_mov_b32 s38, -1
                                        ; implicit-def: $vgpr6_vgpr7
	s_branch .LBB71_372
.LBB71_368:
	s_mov_b32 s38, -1
                                        ; implicit-def: $vgpr6_vgpr7
.LBB71_369:
	s_delay_alu instid0(SALU_CYCLE_1)
	s_and_not1_b32 vcc_lo, exec_lo, s38
	s_cbranch_vccnz .LBB71_371
; %bb.370:
	global_load_b32 v1, v[8:9], off
	s_wait_loadcnt 0x0
	v_trunc_f32_e32 v1, v1
	s_delay_alu instid0(VALU_DEP_1) | instskip(SKIP_1) | instid1(VALU_DEP_2)
	v_mul_f32_e64 v3, 0x2f800000, |v1|
	v_ashrrev_i32_e32 v6, 31, v1
	v_floor_f32_e32 v3, v3
	s_delay_alu instid0(VALU_DEP_1) | instskip(SKIP_1) | instid1(VALU_DEP_2)
	v_fma_f32 v7, 0xcf800000, v3, |v1|
	v_cvt_u32_f32_e32 v1, v3
	v_cvt_u32_f32_e32 v3, v7
	s_delay_alu instid0(VALU_DEP_2) | instskip(NEXT) | instid1(VALU_DEP_2)
	v_dual_mov_b32 v7, v6 :: v_dual_bitop2_b32 v11, v1, v6 bitop3:0x14
	v_xor_b32_e32 v10, v3, v6
	s_delay_alu instid0(VALU_DEP_1)
	v_sub_nc_u64_e32 v[6:7], v[10:11], v[6:7]
.LBB71_371:
	s_mov_b32 s38, 0
.LBB71_372:
	s_delay_alu instid0(SALU_CYCLE_1)
	s_and_not1_b32 vcc_lo, exec_lo, s38
	s_cbranch_vccnz .LBB71_374
; %bb.373:
	global_load_u16 v1, v[8:9], off
	s_wait_loadcnt 0x0
	v_cvt_f32_f16_e32 v1, v1
	s_delay_alu instid0(VALU_DEP_1) | instskip(NEXT) | instid1(VALU_DEP_1)
	v_cvt_i32_f32_e32 v6, v1
	v_ashrrev_i32_e32 v7, 31, v6
.LBB71_374:
	s_mov_b32 s38, 0
.LBB71_375:
	s_delay_alu instid0(SALU_CYCLE_1)
	s_and_not1_b32 vcc_lo, exec_lo, s38
	s_cbranch_vccnz .LBB71_395
; %bb.376:
	s_cmp_lt_i32 s0, 2
	s_cbranch_scc1 .LBB71_380
; %bb.377:
	s_cmp_lt_i32 s0, 3
	s_cbranch_scc1 .LBB71_381
; %bb.378:
	s_cmp_gt_i32 s0, 3
	s_cbranch_scc0 .LBB71_382
; %bb.379:
	s_wait_loadcnt 0x0
	global_load_b64 v[6:7], v[8:9], off
	s_mov_b32 s38, 0
	s_branch .LBB71_383
.LBB71_380:
	s_mov_b32 s38, -1
                                        ; implicit-def: $vgpr6_vgpr7
	s_branch .LBB71_389
.LBB71_381:
	s_mov_b32 s38, -1
                                        ; implicit-def: $vgpr6_vgpr7
	s_branch .LBB71_386
.LBB71_382:
	s_mov_b32 s38, -1
                                        ; implicit-def: $vgpr6_vgpr7
.LBB71_383:
	s_delay_alu instid0(SALU_CYCLE_1)
	s_and_not1_b32 vcc_lo, exec_lo, s38
	s_cbranch_vccnz .LBB71_385
; %bb.384:
	s_wait_loadcnt 0x0
	global_load_b32 v6, v[8:9], off
	s_wait_loadcnt 0x0
	v_ashrrev_i32_e32 v7, 31, v6
.LBB71_385:
	s_mov_b32 s38, 0
.LBB71_386:
	s_delay_alu instid0(SALU_CYCLE_1)
	s_and_not1_b32 vcc_lo, exec_lo, s38
	s_cbranch_vccnz .LBB71_388
; %bb.387:
	global_load_u16 v1, v[8:9], off
	s_wait_loadcnt 0x0
	v_bfe_i32 v6, v1, 0, 16
	s_delay_alu instid0(VALU_DEP_1)
	v_ashrrev_i32_e32 v7, 31, v6
.LBB71_388:
	s_mov_b32 s38, 0
.LBB71_389:
	s_delay_alu instid0(SALU_CYCLE_1)
	s_and_not1_b32 vcc_lo, exec_lo, s38
	s_cbranch_vccnz .LBB71_395
; %bb.390:
	s_cmp_gt_i32 s0, 0
	s_mov_b32 s0, 0
	s_cbranch_scc0 .LBB71_392
; %bb.391:
	global_load_i8 v1, v[8:9], off
	s_wait_loadcnt 0x0
	v_bfe_i32 v6, v1, 0, 16
	s_delay_alu instid0(VALU_DEP_1)
	v_ashrrev_i32_e32 v7, 31, v6
	s_branch .LBB71_393
.LBB71_392:
	s_mov_b32 s0, -1
                                        ; implicit-def: $vgpr6_vgpr7
.LBB71_393:
	s_delay_alu instid0(SALU_CYCLE_1)
	s_and_not1_b32 vcc_lo, exec_lo, s0
	s_cbranch_vccnz .LBB71_395
; %bb.394:
	global_load_u8 v1, v[8:9], off
	s_mov_b32 s0, 0
	s_wait_loadcnt 0x1
	v_mov_b32_e32 v7, s0
	s_wait_loadcnt 0x0
	v_and_b32_e32 v6, 0xffff, v1
.LBB71_395:
	s_branch .LBB71_32
.LBB71_396:
	s_mov_b32 s0, 0
.LBB71_397:
	s_mov_b32 s42, 0
                                        ; implicit-def: $vgpr0
.LBB71_398:
	s_and_b32 s38, s0, exec_lo
	s_and_b32 s39, s25, exec_lo
	;; [unrolled: 1-line block ×3, first 2 shown]
	s_or_not1_b32 s25, s42, exec_lo
.LBB71_399:
	s_wait_xcnt 0x0
	s_or_b32 exec_lo, exec_lo, s41
	s_mov_b32 s43, 0
	s_mov_b32 s24, 0
                                        ; implicit-def: $sgpr0
                                        ; implicit-def: $vgpr8_vgpr9
                                        ; implicit-def: $vgpr6
                                        ; implicit-def: $vgpr2
                                        ; implicit-def: $vgpr4_vgpr5
	s_and_saveexec_b32 s41, s25
	s_cbranch_execz .LBB71_407
; %bb.400:
	s_mov_b32 s47, -1
	s_mov_b32 s42, s40
	s_mov_b32 s44, s39
	;; [unrolled: 1-line block ×3, first 2 shown]
	s_mov_b32 s45, exec_lo
	v_cmpx_gt_i32_e64 s36, v0
	s_cbranch_execz .LBB71_809
; %bb.401:
	s_and_not1_b32 vcc_lo, exec_lo, s29
	s_cbranch_vccnz .LBB71_410
; %bb.402:
	s_and_not1_b32 vcc_lo, exec_lo, s37
	s_cbranch_vccnz .LBB71_411
; %bb.403:
	v_dual_mov_b32 v2, 0 :: v_dual_mov_b32 v1, v0
	s_wait_loadcnt 0x0
	v_dual_mov_b32 v4, 0 :: v_dual_mov_b32 v6, 0
	s_add_co_i32 s0, s35, 1
	s_mov_b64 s[24:25], 0xffffffffffffffe8
	s_and_b32 s0, s0, 30
	s_add_nc_u64 s[24:25], s[2:3], s[24:25]
.LBB71_404:                             ; =>This Inner Loop Header: Depth=1
	s_clause 0x3
	s_load_b128 s[48:51], s[24:25], 0x1c
	s_load_b64 s[42:43], s[24:25], 0x2c
	s_load_b128 s[52:55], s[24:25], 0xdc
	s_load_b64 s[46:47], s[24:25], 0xec
	s_add_co_i32 s0, s0, -2
	s_wait_xcnt 0x0
	s_add_nc_u64 s[24:25], s[24:25], 24
	s_cmp_eq_u32 s0, 0
	s_wait_kmcnt 0x0
	v_mul_hi_u32 v3, s49, v1
	s_delay_alu instid0(VALU_DEP_1) | instskip(NEXT) | instid1(VALU_DEP_1)
	v_add_nc_u32_e32 v3, v1, v3
	v_lshrrev_b32_e32 v3, s50, v3
	s_delay_alu instid0(VALU_DEP_1) | instskip(SKIP_1) | instid1(VALU_DEP_1)
	v_mul_hi_u32 v5, s42, v3
	v_mul_lo_u32 v7, v3, s48
	v_dual_add_nc_u32 v5, v3, v5 :: v_dual_sub_nc_u32 v7, v1, v7
	s_delay_alu instid0(VALU_DEP_1) | instskip(NEXT) | instid1(VALU_DEP_2)
	v_lshrrev_b32_e32 v1, s43, v5
	v_mad_u32 v2, v7, s52, v2
	v_mad_u32 v6, v7, s54, v6
	;; [unrolled: 1-line block ×3, first 2 shown]
	s_delay_alu instid0(VALU_DEP_4) | instskip(NEXT) | instid1(VALU_DEP_1)
	v_mul_lo_u32 v5, v1, s51
	v_sub_nc_u32_e32 v3, v3, v5
	s_delay_alu instid0(VALU_DEP_1)
	v_mad_u32 v2, v3, s55, v2
	v_mad_u32 v6, v3, s47, v6
	;; [unrolled: 1-line block ×3, first 2 shown]
	s_cbranch_scc0 .LBB71_404
; %bb.405:
	s_bitcmp1_b32 s35, 0
	s_cselect_b32 s0, -1, 0
	s_delay_alu instid0(SALU_CYCLE_1)
	s_and_b32 vcc_lo, exec_lo, s0
	s_cbranch_vccnz .LBB71_412
; %bb.406:
	s_clause 0x1
	s_load_b96 s[48:50], s[24:25], 0x1c
	s_load_b96 s[52:54], s[24:25], 0xdc
	s_wait_kmcnt 0x0
	v_mul_hi_u32 v3, s49, v1
	s_delay_alu instid0(VALU_DEP_1) | instskip(NEXT) | instid1(VALU_DEP_1)
	v_add_nc_u32_e32 v3, v1, v3
	v_lshrrev_b32_e32 v3, s50, v3
	s_delay_alu instid0(VALU_DEP_1) | instskip(NEXT) | instid1(VALU_DEP_1)
	v_mul_lo_u32 v3, v3, s48
	v_sub_nc_u32_e32 v1, v1, v3
	s_delay_alu instid0(VALU_DEP_1)
	v_mad_u32 v2, v1, s52, v2
	v_mad_u32 v4, v1, s53, v4
	;; [unrolled: 1-line block ×3, first 2 shown]
	s_branch .LBB71_412
.LBB71_407:
	s_or_b32 exec_lo, exec_lo, s41
	s_mov_b32 s1, 0
	s_and_saveexec_b32 s6, s40
	s_cbranch_execnz .LBB71_1311
.LBB71_408:
	s_or_b32 exec_lo, exec_lo, s6
	s_and_saveexec_b32 s6, s19
	s_delay_alu instid0(SALU_CYCLE_1)
	s_xor_b32 s6, exec_lo, s6
	s_cbranch_execz .LBB71_1312
.LBB71_409:
	global_load_u8 v0, v[8:9], off
	s_mov_b32 s7, 0
	s_or_b32 s24, s24, exec_lo
	s_wait_loadcnt 0x1
	v_mov_b32_e32 v5, s7
	s_wait_loadcnt 0x0
	v_cmp_ne_u16_e32 vcc_lo, 0, v0
	v_cndmask_b32_e64 v4, 0, 1, vcc_lo
	s_wait_xcnt 0x0
	s_or_b32 exec_lo, exec_lo, s6
	s_and_saveexec_b32 s6, s43
	s_cbranch_execz .LBB71_1358
	s_branch .LBB71_1313
.LBB71_410:
                                        ; implicit-def: $vgpr6
                                        ; implicit-def: $vgpr4
                                        ; implicit-def: $vgpr2
	s_branch .LBB71_413
.LBB71_411:
	s_wait_loadcnt 0x0
	v_dual_mov_b32 v6, 0 :: v_dual_mov_b32 v4, 0
	v_mov_b32_e32 v2, 0
.LBB71_412:
	s_cbranch_execnz .LBB71_415
.LBB71_413:
	v_mov_b32_e32 v1, 0
	s_and_not1_b32 vcc_lo, exec_lo, s34
	s_delay_alu instid0(VALU_DEP_1) | instskip(NEXT) | instid1(VALU_DEP_1)
	v_mul_u64_e32 v[2:3], s[18:19], v[0:1]
	v_add_nc_u32_e32 v2, v0, v3
	s_delay_alu instid0(VALU_DEP_1) | instskip(NEXT) | instid1(VALU_DEP_1)
	v_lshrrev_b32_e32 v8, s10, v2
	v_mul_lo_u32 v2, v8, s8
	s_delay_alu instid0(VALU_DEP_1) | instskip(NEXT) | instid1(VALU_DEP_1)
	v_sub_nc_u32_e32 v3, v0, v2
	v_mul_lo_u32 v2, v3, s12
	s_wait_loadcnt 0x0
	v_mul_lo_u32 v6, v3, s14
	v_mul_lo_u32 v4, v3, s13
	s_cbranch_vccnz .LBB71_415
; %bb.414:
	v_mov_b32_e32 v9, v1
	s_delay_alu instid0(VALU_DEP_1) | instskip(NEXT) | instid1(VALU_DEP_1)
	v_mul_u64_e32 v[10:11], s[22:23], v[8:9]
	v_add_nc_u32_e32 v1, v8, v11
	s_delay_alu instid0(VALU_DEP_1) | instskip(NEXT) | instid1(VALU_DEP_1)
	v_lshrrev_b32_e32 v1, s1, v1
	v_mul_lo_u32 v1, v1, s11
	s_delay_alu instid0(VALU_DEP_1) | instskip(NEXT) | instid1(VALU_DEP_1)
	v_sub_nc_u32_e32 v1, v8, v1
	v_mad_u32 v2, v1, s15, v2
	v_mad_u32 v4, v1, s20, v4
	;; [unrolled: 1-line block ×3, first 2 shown]
.LBB71_415:
	s_wait_loadcnt 0x0
	v_mov_b32_e32 v5, 0
	s_and_b32 s0, s33, 0xff
	s_delay_alu instid0(SALU_CYCLE_1) | instskip(NEXT) | instid1(VALU_DEP_1)
	s_cmp_lt_i32 s0, 11
	v_add_nc_u64_e32 v[8:9], s[6:7], v[4:5]
	s_cbranch_scc1 .LBB71_422
; %bb.416:
	s_and_b32 s25, 0xffff, s0
	s_delay_alu instid0(SALU_CYCLE_1)
	s_cmp_gt_i32 s25, 25
	s_cbranch_scc0 .LBB71_431
; %bb.417:
	s_cmp_gt_i32 s25, 28
	s_cbranch_scc0 .LBB71_433
; %bb.418:
	s_cmp_gt_i32 s25, 43
	s_cbranch_scc0 .LBB71_435
; %bb.419:
	s_cmp_gt_i32 s25, 45
	s_cbranch_scc0 .LBB71_437
; %bb.420:
	s_cmp_eq_u32 s25, 46
	s_mov_b32 s43, 0
	s_cbranch_scc0 .LBB71_441
; %bb.421:
	global_load_b32 v1, v[8:9], off
	s_mov_b32 s42, -1
	s_mov_b32 s24, 0
	s_wait_loadcnt 0x0
	v_lshlrev_b32_e32 v1, 16, v1
	s_delay_alu instid0(VALU_DEP_1) | instskip(NEXT) | instid1(VALU_DEP_1)
	v_trunc_f32_e32 v1, v1
	v_mul_f32_e64 v3, 0x2f800000, |v1|
	v_ashrrev_i32_e32 v4, 31, v1
	s_delay_alu instid0(VALU_DEP_2) | instskip(NEXT) | instid1(VALU_DEP_1)
	v_floor_f32_e32 v3, v3
	v_fma_f32 v5, 0xcf800000, v3, |v1|
	v_cvt_u32_f32_e32 v1, v3
	s_delay_alu instid0(VALU_DEP_2) | instskip(NEXT) | instid1(VALU_DEP_2)
	v_cvt_u32_f32_e32 v3, v5
	v_dual_mov_b32 v5, v4 :: v_dual_bitop2_b32 v11, v1, v4 bitop3:0x14
	s_delay_alu instid0(VALU_DEP_2) | instskip(NEXT) | instid1(VALU_DEP_1)
	v_xor_b32_e32 v10, v3, v4
	v_sub_nc_u64_e32 v[4:5], v[10:11], v[4:5]
	s_branch .LBB71_443
.LBB71_422:
	s_mov_b32 s42, 0
	s_mov_b32 s24, s40
                                        ; implicit-def: $vgpr4_vgpr5
	s_cbranch_execnz .LBB71_505
.LBB71_423:
	s_and_not1_b32 vcc_lo, exec_lo, s42
	s_cbranch_vccnz .LBB71_553
.LBB71_424:
	v_mov_b32_e32 v7, 0
	s_and_b32 s0, s9, 0xff
	s_delay_alu instid0(SALU_CYCLE_1) | instskip(SKIP_1) | instid1(VALU_DEP_1)
	s_cmp_lt_i32 s0, 11
	s_wait_xcnt 0x0
	v_add_nc_u64_e32 v[8:9], s[16:17], v[6:7]
	s_cbranch_scc1 .LBB71_432
; %bb.425:
	s_and_b32 s42, 0xffff, s0
	s_delay_alu instid0(SALU_CYCLE_1)
	s_cmp_gt_i32 s42, 25
	s_cbranch_scc0 .LBB71_434
; %bb.426:
	s_cmp_gt_i32 s42, 28
	s_cbranch_scc0 .LBB71_436
; %bb.427:
	s_cmp_gt_i32 s42, 43
	s_cbranch_scc0 .LBB71_438
; %bb.428:
	s_cmp_gt_i32 s42, 45
	s_cbranch_scc0 .LBB71_446
; %bb.429:
	s_cmp_eq_u32 s42, 46
	s_mov_b32 s44, 0
	s_cbranch_scc0 .LBB71_556
; %bb.430:
	global_load_b32 v1, v[8:9], off
	s_mov_b32 s43, -1
	s_mov_b32 s25, 0
	s_wait_loadcnt 0x0
	v_lshlrev_b32_e32 v1, 16, v1
	s_delay_alu instid0(VALU_DEP_1) | instskip(NEXT) | instid1(VALU_DEP_1)
	v_trunc_f32_e32 v1, v1
	v_mul_f32_e64 v3, 0x2f800000, |v1|
	v_ashrrev_i32_e32 v6, 31, v1
	s_delay_alu instid0(VALU_DEP_2) | instskip(NEXT) | instid1(VALU_DEP_1)
	v_floor_f32_e32 v3, v3
	v_fma_f32 v7, 0xcf800000, v3, |v1|
	v_cvt_u32_f32_e32 v1, v3
	s_delay_alu instid0(VALU_DEP_2) | instskip(NEXT) | instid1(VALU_DEP_2)
	v_cvt_u32_f32_e32 v3, v7
	v_dual_mov_b32 v7, v6 :: v_dual_bitop2_b32 v11, v1, v6 bitop3:0x14
	s_delay_alu instid0(VALU_DEP_2) | instskip(NEXT) | instid1(VALU_DEP_1)
	v_xor_b32_e32 v10, v3, v6
	v_sub_nc_u64_e32 v[6:7], v[10:11], v[6:7]
	s_branch .LBB71_558
.LBB71_431:
	s_mov_b32 s43, -1
	s_mov_b32 s42, 0
	s_mov_b32 s24, s40
                                        ; implicit-def: $vgpr4_vgpr5
	s_branch .LBB71_471
.LBB71_432:
	s_mov_b32 s42, -1
	s_mov_b32 s43, 0
	s_mov_b32 s25, s39
                                        ; implicit-def: $vgpr6_vgpr7
	s_branch .LBB71_619
.LBB71_433:
	s_mov_b32 s43, -1
	s_mov_b32 s42, 0
	s_mov_b32 s24, s40
                                        ; implicit-def: $vgpr4_vgpr5
	s_branch .LBB71_454
.LBB71_434:
	s_mov_b32 s44, -1
	s_mov_b32 s43, 0
	s_mov_b32 s25, s39
                                        ; implicit-def: $vgpr6_vgpr7
	s_branch .LBB71_585
.LBB71_435:
	s_mov_b32 s43, -1
	s_mov_b32 s42, 0
	s_mov_b32 s24, s40
                                        ; implicit-def: $vgpr4_vgpr5
	s_branch .LBB71_449
.LBB71_436:
	s_mov_b32 s44, -1
	s_mov_b32 s43, 0
	s_mov_b32 s25, s39
                                        ; implicit-def: $vgpr6_vgpr7
	s_branch .LBB71_568
.LBB71_437:
	s_mov_b32 s43, -1
	s_mov_b32 s42, 0
	s_mov_b32 s24, s40
	s_branch .LBB71_442
.LBB71_438:
	s_mov_b32 s44, -1
	s_mov_b32 s43, 0
	s_mov_b32 s25, s39
                                        ; implicit-def: $vgpr6_vgpr7
	s_branch .LBB71_563
.LBB71_439:
	s_and_not1_saveexec_b32 s43, s43
	s_cbranch_execz .LBB71_201
.LBB71_440:
	v_add_f32_e32 v1, 0x46000000, v4
	s_and_not1_b32 s42, s42, exec_lo
	s_delay_alu instid0(VALU_DEP_1) | instskip(NEXT) | instid1(VALU_DEP_1)
	v_and_b32_e32 v1, 0xff, v1
	v_cmp_ne_u32_e32 vcc_lo, 0, v1
	s_and_b32 s44, vcc_lo, exec_lo
	s_delay_alu instid0(SALU_CYCLE_1)
	s_or_b32 s42, s42, s44
	s_or_b32 exec_lo, exec_lo, s43
	v_mov_b32_e32 v5, 0
	s_and_saveexec_b32 s43, s42
	s_cbranch_execnz .LBB71_202
	s_branch .LBB71_203
.LBB71_441:
	s_mov_b32 s24, -1
	s_mov_b32 s42, 0
.LBB71_442:
                                        ; implicit-def: $vgpr4_vgpr5
.LBB71_443:
	s_and_b32 vcc_lo, exec_lo, s43
	s_cbranch_vccz .LBB71_448
; %bb.444:
	s_cmp_eq_u32 s25, 44
	s_cbranch_scc0 .LBB71_447
; %bb.445:
	global_load_u8 v1, v[8:9], off
	s_mov_b32 s24, 0
	s_mov_b32 s42, -1
	s_wait_loadcnt 0x0
	v_lshlrev_b32_e32 v3, 23, v1
	v_cmp_ne_u32_e32 vcc_lo, 0, v1
	s_delay_alu instid0(VALU_DEP_2) | instskip(NEXT) | instid1(VALU_DEP_1)
	v_trunc_f32_e32 v3, v3
	v_mul_f32_e64 v4, 0x2f800000, |v3|
	s_delay_alu instid0(VALU_DEP_1) | instskip(SKIP_1) | instid1(VALU_DEP_2)
	v_floor_f32_e32 v5, v4
	v_ashrrev_i32_e32 v4, 31, v3
	v_fma_f32 v7, 0xcf800000, v5, |v3|
	v_cvt_u32_f32_e32 v3, v5
	s_delay_alu instid0(VALU_DEP_3) | instskip(NEXT) | instid1(VALU_DEP_3)
	v_mov_b32_e32 v5, v4
	v_cvt_u32_f32_e32 v7, v7
	s_delay_alu instid0(VALU_DEP_3) | instskip(NEXT) | instid1(VALU_DEP_2)
	v_xor_b32_e32 v11, v3, v4
	v_xor_b32_e32 v10, v7, v4
	s_delay_alu instid0(VALU_DEP_1) | instskip(NEXT) | instid1(VALU_DEP_1)
	v_sub_nc_u64_e32 v[4:5], v[10:11], v[4:5]
	v_dual_cndmask_b32 v5, 0, v5 :: v_dual_cndmask_b32 v4, 0, v4
	s_branch .LBB71_448
.LBB71_446:
	s_mov_b32 s44, -1
	s_mov_b32 s43, 0
	s_mov_b32 s25, s39
	s_branch .LBB71_557
.LBB71_447:
	s_mov_b32 s24, -1
                                        ; implicit-def: $vgpr4_vgpr5
.LBB71_448:
	s_mov_b32 s43, 0
.LBB71_449:
	s_delay_alu instid0(SALU_CYCLE_1)
	s_and_b32 vcc_lo, exec_lo, s43
	s_cbranch_vccz .LBB71_453
; %bb.450:
	s_cmp_eq_u32 s25, 29
	s_cbranch_scc0 .LBB71_452
; %bb.451:
	global_load_b64 v[4:5], v[8:9], off
	s_mov_b32 s42, -1
	s_mov_b32 s24, 0
	s_branch .LBB71_453
.LBB71_452:
	s_mov_b32 s24, -1
                                        ; implicit-def: $vgpr4_vgpr5
.LBB71_453:
	s_mov_b32 s43, 0
.LBB71_454:
	s_delay_alu instid0(SALU_CYCLE_1)
	s_and_b32 vcc_lo, exec_lo, s43
	s_cbranch_vccz .LBB71_470
; %bb.455:
	s_cmp_lt_i32 s25, 27
	s_cbranch_scc1 .LBB71_458
; %bb.456:
	s_cmp_gt_i32 s25, 27
	s_cbranch_scc0 .LBB71_459
; %bb.457:
	s_wait_loadcnt 0x0
	global_load_b32 v4, v[8:9], off
	v_mov_b32_e32 v5, 0
	s_mov_b32 s42, 0
	s_branch .LBB71_460
.LBB71_458:
	s_mov_b32 s42, -1
                                        ; implicit-def: $vgpr4_vgpr5
	s_branch .LBB71_463
.LBB71_459:
	s_mov_b32 s42, -1
                                        ; implicit-def: $vgpr4_vgpr5
.LBB71_460:
	s_delay_alu instid0(SALU_CYCLE_1)
	s_and_not1_b32 vcc_lo, exec_lo, s42
	s_cbranch_vccnz .LBB71_462
; %bb.461:
	global_load_u16 v1, v[8:9], off
	s_mov_b32 s42, 0
	s_wait_loadcnt 0x1
	v_mov_b32_e32 v5, s42
	s_wait_loadcnt 0x0
	v_and_b32_e32 v4, 0xffff, v1
.LBB71_462:
	s_mov_b32 s42, 0
.LBB71_463:
	s_delay_alu instid0(SALU_CYCLE_1)
	s_and_not1_b32 vcc_lo, exec_lo, s42
	s_cbranch_vccnz .LBB71_469
; %bb.464:
	global_load_u8 v1, v[8:9], off
	s_mov_b32 s43, 0
	s_mov_b32 s42, exec_lo
	s_wait_loadcnt 0x0
	v_cmpx_lt_i16_e32 0x7f, v1
	s_xor_b32 s42, exec_lo, s42
	s_cbranch_execz .LBB71_481
; %bb.465:
	v_cmp_ne_u16_e32 vcc_lo, 0x80, v1
	s_and_b32 s43, vcc_lo, exec_lo
	s_and_not1_saveexec_b32 s42, s42
	s_cbranch_execnz .LBB71_482
.LBB71_466:
	s_or_b32 exec_lo, exec_lo, s42
	v_mov_b64_e32 v[4:5], 0
	s_and_saveexec_b32 s42, s43
	s_cbranch_execz .LBB71_468
.LBB71_467:
	v_and_b32_e32 v3, 0xffff, v1
	s_delay_alu instid0(VALU_DEP_1) | instskip(SKIP_1) | instid1(VALU_DEP_2)
	v_and_b32_e32 v4, 7, v3
	v_bfe_u32 v10, v3, 3, 4
	v_clz_i32_u32_e32 v5, v4
	s_delay_alu instid0(VALU_DEP_2) | instskip(NEXT) | instid1(VALU_DEP_2)
	v_cmp_eq_u32_e32 vcc_lo, 0, v10
	v_min_u32_e32 v5, 32, v5
	s_delay_alu instid0(VALU_DEP_1) | instskip(NEXT) | instid1(VALU_DEP_1)
	v_subrev_nc_u32_e32 v7, 28, v5
	v_dual_lshlrev_b32 v3, v7, v3 :: v_dual_sub_nc_u32 v5, 29, v5
	s_delay_alu instid0(VALU_DEP_1) | instskip(NEXT) | instid1(VALU_DEP_1)
	v_dual_lshlrev_b32 v1, 24, v1 :: v_dual_bitop2_b32 v3, 7, v3 bitop3:0x40
	v_dual_cndmask_b32 v3, v4, v3, vcc_lo :: v_dual_cndmask_b32 v5, v10, v5, vcc_lo
	s_delay_alu instid0(VALU_DEP_2) | instskip(NEXT) | instid1(VALU_DEP_2)
	v_and_b32_e32 v1, 0x80000000, v1
	v_lshlrev_b32_e32 v3, 20, v3
	s_delay_alu instid0(VALU_DEP_3) | instskip(NEXT) | instid1(VALU_DEP_1)
	v_lshl_add_u32 v4, v5, 23, 0x3b800000
	v_or3_b32 v1, v1, v4, v3
	s_delay_alu instid0(VALU_DEP_1) | instskip(NEXT) | instid1(VALU_DEP_1)
	v_trunc_f32_e32 v1, v1
	v_mul_f32_e64 v3, 0x2f800000, |v1|
	v_ashrrev_i32_e32 v4, 31, v1
	s_delay_alu instid0(VALU_DEP_2) | instskip(NEXT) | instid1(VALU_DEP_1)
	v_floor_f32_e32 v3, v3
	v_fma_f32 v5, 0xcf800000, v3, |v1|
	v_cvt_u32_f32_e32 v1, v3
	s_delay_alu instid0(VALU_DEP_2) | instskip(NEXT) | instid1(VALU_DEP_2)
	v_cvt_u32_f32_e32 v3, v5
	v_dual_mov_b32 v5, v4 :: v_dual_bitop2_b32 v11, v1, v4 bitop3:0x14
	s_delay_alu instid0(VALU_DEP_2) | instskip(NEXT) | instid1(VALU_DEP_1)
	v_xor_b32_e32 v10, v3, v4
	v_sub_nc_u64_e32 v[4:5], v[10:11], v[4:5]
.LBB71_468:
	s_or_b32 exec_lo, exec_lo, s42
.LBB71_469:
	s_mov_b32 s42, -1
.LBB71_470:
	s_mov_b32 s43, 0
.LBB71_471:
	s_delay_alu instid0(SALU_CYCLE_1)
	s_and_b32 vcc_lo, exec_lo, s43
	s_cbranch_vccz .LBB71_504
; %bb.472:
	s_cmp_gt_i32 s25, 22
	s_cbranch_scc0 .LBB71_480
; %bb.473:
	s_cmp_lt_i32 s25, 24
	s_cbranch_scc1 .LBB71_483
; %bb.474:
	s_cmp_gt_i32 s25, 24
	s_cbranch_scc0 .LBB71_484
; %bb.475:
	global_load_u8 v1, v[8:9], off
	s_mov_b32 s43, 0
	s_mov_b32 s42, exec_lo
	s_wait_loadcnt 0x0
	v_cmpx_lt_i16_e32 0x7f, v1
	s_xor_b32 s42, exec_lo, s42
	s_cbranch_execz .LBB71_496
; %bb.476:
	v_cmp_ne_u16_e32 vcc_lo, 0x80, v1
	s_and_b32 s43, vcc_lo, exec_lo
	s_and_not1_saveexec_b32 s42, s42
	s_cbranch_execnz .LBB71_497
.LBB71_477:
	s_or_b32 exec_lo, exec_lo, s42
	v_mov_b64_e32 v[4:5], 0
	s_and_saveexec_b32 s42, s43
	s_cbranch_execz .LBB71_479
.LBB71_478:
	v_and_b32_e32 v3, 0xffff, v1
	s_delay_alu instid0(VALU_DEP_1) | instskip(SKIP_1) | instid1(VALU_DEP_2)
	v_and_b32_e32 v4, 3, v3
	v_bfe_u32 v10, v3, 2, 5
	v_clz_i32_u32_e32 v5, v4
	s_delay_alu instid0(VALU_DEP_2) | instskip(NEXT) | instid1(VALU_DEP_2)
	v_cmp_eq_u32_e32 vcc_lo, 0, v10
	v_min_u32_e32 v5, 32, v5
	s_delay_alu instid0(VALU_DEP_1) | instskip(NEXT) | instid1(VALU_DEP_1)
	v_subrev_nc_u32_e32 v7, 29, v5
	v_dual_lshlrev_b32 v3, v7, v3 :: v_dual_sub_nc_u32 v5, 30, v5
	s_delay_alu instid0(VALU_DEP_1) | instskip(NEXT) | instid1(VALU_DEP_1)
	v_dual_lshlrev_b32 v1, 24, v1 :: v_dual_bitop2_b32 v3, 3, v3 bitop3:0x40
	v_dual_cndmask_b32 v3, v4, v3, vcc_lo :: v_dual_cndmask_b32 v5, v10, v5, vcc_lo
	s_delay_alu instid0(VALU_DEP_2) | instskip(NEXT) | instid1(VALU_DEP_2)
	v_and_b32_e32 v1, 0x80000000, v1
	v_lshlrev_b32_e32 v3, 21, v3
	s_delay_alu instid0(VALU_DEP_3) | instskip(NEXT) | instid1(VALU_DEP_1)
	v_lshl_add_u32 v4, v5, 23, 0x37800000
	v_or3_b32 v1, v1, v4, v3
	s_delay_alu instid0(VALU_DEP_1) | instskip(NEXT) | instid1(VALU_DEP_1)
	v_trunc_f32_e32 v1, v1
	v_mul_f32_e64 v3, 0x2f800000, |v1|
	v_ashrrev_i32_e32 v4, 31, v1
	s_delay_alu instid0(VALU_DEP_2) | instskip(NEXT) | instid1(VALU_DEP_1)
	v_floor_f32_e32 v3, v3
	v_fma_f32 v5, 0xcf800000, v3, |v1|
	v_cvt_u32_f32_e32 v1, v3
	s_delay_alu instid0(VALU_DEP_2) | instskip(NEXT) | instid1(VALU_DEP_2)
	v_cvt_u32_f32_e32 v3, v5
	v_dual_mov_b32 v5, v4 :: v_dual_bitop2_b32 v11, v1, v4 bitop3:0x14
	s_delay_alu instid0(VALU_DEP_2) | instskip(NEXT) | instid1(VALU_DEP_1)
	v_xor_b32_e32 v10, v3, v4
	v_sub_nc_u64_e32 v[4:5], v[10:11], v[4:5]
.LBB71_479:
	s_or_b32 exec_lo, exec_lo, s42
	s_mov_b32 s42, 0
	s_branch .LBB71_485
.LBB71_480:
	s_mov_b32 s43, -1
                                        ; implicit-def: $vgpr4_vgpr5
	s_branch .LBB71_491
.LBB71_481:
	s_and_not1_saveexec_b32 s42, s42
	s_cbranch_execz .LBB71_466
.LBB71_482:
	v_cmp_ne_u16_e32 vcc_lo, 0, v1
	s_and_not1_b32 s43, s43, exec_lo
	s_and_b32 s44, vcc_lo, exec_lo
	s_delay_alu instid0(SALU_CYCLE_1)
	s_or_b32 s43, s43, s44
	s_or_b32 exec_lo, exec_lo, s42
	v_mov_b64_e32 v[4:5], 0
	s_and_saveexec_b32 s42, s43
	s_cbranch_execnz .LBB71_467
	s_branch .LBB71_468
.LBB71_483:
	s_mov_b32 s42, -1
                                        ; implicit-def: $vgpr4_vgpr5
	s_branch .LBB71_488
.LBB71_484:
	s_mov_b32 s42, -1
                                        ; implicit-def: $vgpr4_vgpr5
.LBB71_485:
	s_delay_alu instid0(SALU_CYCLE_1)
	s_and_b32 vcc_lo, exec_lo, s42
	s_cbranch_vccz .LBB71_487
; %bb.486:
	global_load_u8 v1, v[8:9], off
	s_wait_loadcnt 0x0
	v_lshlrev_b32_e32 v1, 24, v1
	s_delay_alu instid0(VALU_DEP_1) | instskip(NEXT) | instid1(VALU_DEP_1)
	v_and_b32_e32 v3, 0x7f000000, v1
	v_clz_i32_u32_e32 v4, v3
	v_add_nc_u32_e32 v7, 0x1000000, v3
	v_cmp_ne_u32_e32 vcc_lo, 0, v3
	s_delay_alu instid0(VALU_DEP_3) | instskip(NEXT) | instid1(VALU_DEP_1)
	v_min_u32_e32 v4, 32, v4
	v_sub_nc_u32_e64 v4, v4, 4 clamp
	s_delay_alu instid0(VALU_DEP_1) | instskip(NEXT) | instid1(VALU_DEP_1)
	v_dual_lshlrev_b32 v5, v4, v3 :: v_dual_lshlrev_b32 v4, 23, v4
	v_lshrrev_b32_e32 v5, 4, v5
	s_delay_alu instid0(VALU_DEP_1) | instskip(NEXT) | instid1(VALU_DEP_1)
	v_dual_sub_nc_u32 v4, v5, v4 :: v_dual_ashrrev_i32 v5, 8, v7
	v_add_nc_u32_e32 v4, 0x3c000000, v4
	s_delay_alu instid0(VALU_DEP_1) | instskip(NEXT) | instid1(VALU_DEP_1)
	v_and_or_b32 v4, 0x7f800000, v5, v4
	v_cndmask_b32_e32 v3, 0, v4, vcc_lo
	s_delay_alu instid0(VALU_DEP_1) | instskip(NEXT) | instid1(VALU_DEP_1)
	v_and_or_b32 v1, 0x80000000, v1, v3
	v_trunc_f32_e32 v1, v1
	s_delay_alu instid0(VALU_DEP_1) | instskip(SKIP_1) | instid1(VALU_DEP_2)
	v_mul_f32_e64 v3, 0x2f800000, |v1|
	v_ashrrev_i32_e32 v4, 31, v1
	v_floor_f32_e32 v3, v3
	s_delay_alu instid0(VALU_DEP_1) | instskip(SKIP_1) | instid1(VALU_DEP_2)
	v_fma_f32 v5, 0xcf800000, v3, |v1|
	v_cvt_u32_f32_e32 v1, v3
	v_cvt_u32_f32_e32 v3, v5
	s_delay_alu instid0(VALU_DEP_2) | instskip(NEXT) | instid1(VALU_DEP_2)
	v_dual_mov_b32 v5, v4 :: v_dual_bitop2_b32 v11, v1, v4 bitop3:0x14
	v_xor_b32_e32 v10, v3, v4
	s_delay_alu instid0(VALU_DEP_1)
	v_sub_nc_u64_e32 v[4:5], v[10:11], v[4:5]
.LBB71_487:
	s_mov_b32 s42, 0
.LBB71_488:
	s_delay_alu instid0(SALU_CYCLE_1)
	s_and_not1_b32 vcc_lo, exec_lo, s42
	s_cbranch_vccnz .LBB71_490
; %bb.489:
	global_load_u8 v1, v[8:9], off
	s_wait_loadcnt 0x0
	v_lshlrev_b32_e32 v3, 25, v1
	v_lshlrev_b16 v1, 8, v1
	s_delay_alu instid0(VALU_DEP_1) | instskip(NEXT) | instid1(VALU_DEP_3)
	v_and_or_b32 v5, 0x7f00, v1, 0.5
	v_lshrrev_b32_e32 v4, 4, v3
	v_bfe_i32 v1, v1, 0, 16
	s_delay_alu instid0(VALU_DEP_3) | instskip(NEXT) | instid1(VALU_DEP_3)
	v_add_f32_e32 v5, -0.5, v5
	v_or_b32_e32 v4, 0x70000000, v4
	s_delay_alu instid0(VALU_DEP_1) | instskip(SKIP_1) | instid1(VALU_DEP_2)
	v_mul_f32_e32 v4, 0x7800000, v4
	v_cmp_gt_u32_e32 vcc_lo, 0x8000000, v3
	v_cndmask_b32_e32 v3, v4, v5, vcc_lo
	s_delay_alu instid0(VALU_DEP_1) | instskip(NEXT) | instid1(VALU_DEP_1)
	v_and_or_b32 v1, 0x80000000, v1, v3
	v_trunc_f32_e32 v1, v1
	s_delay_alu instid0(VALU_DEP_1) | instskip(SKIP_1) | instid1(VALU_DEP_2)
	v_mul_f32_e64 v3, 0x2f800000, |v1|
	v_ashrrev_i32_e32 v4, 31, v1
	v_floor_f32_e32 v3, v3
	s_delay_alu instid0(VALU_DEP_1) | instskip(SKIP_1) | instid1(VALU_DEP_2)
	v_fma_f32 v5, 0xcf800000, v3, |v1|
	v_cvt_u32_f32_e32 v1, v3
	v_cvt_u32_f32_e32 v3, v5
	s_delay_alu instid0(VALU_DEP_2) | instskip(NEXT) | instid1(VALU_DEP_2)
	v_dual_mov_b32 v5, v4 :: v_dual_bitop2_b32 v11, v1, v4 bitop3:0x14
	v_xor_b32_e32 v10, v3, v4
	s_delay_alu instid0(VALU_DEP_1)
	v_sub_nc_u64_e32 v[4:5], v[10:11], v[4:5]
.LBB71_490:
	s_mov_b32 s43, 0
	s_mov_b32 s42, -1
.LBB71_491:
	s_and_not1_b32 vcc_lo, exec_lo, s43
	s_cbranch_vccnz .LBB71_504
; %bb.492:
	s_cmp_gt_i32 s25, 14
	s_cbranch_scc0 .LBB71_495
; %bb.493:
	s_cmp_eq_u32 s25, 15
	s_cbranch_scc0 .LBB71_498
; %bb.494:
	global_load_u16 v1, v[8:9], off
	s_mov_b32 s42, -1
	s_mov_b32 s24, 0
	s_wait_loadcnt 0x0
	v_lshlrev_b32_e32 v1, 16, v1
	s_delay_alu instid0(VALU_DEP_1) | instskip(NEXT) | instid1(VALU_DEP_1)
	v_trunc_f32_e32 v1, v1
	v_mul_f32_e64 v3, 0x2f800000, |v1|
	v_ashrrev_i32_e32 v4, 31, v1
	s_delay_alu instid0(VALU_DEP_2) | instskip(NEXT) | instid1(VALU_DEP_1)
	v_floor_f32_e32 v3, v3
	v_fma_f32 v5, 0xcf800000, v3, |v1|
	v_cvt_u32_f32_e32 v1, v3
	s_delay_alu instid0(VALU_DEP_2) | instskip(NEXT) | instid1(VALU_DEP_2)
	v_cvt_u32_f32_e32 v3, v5
	v_dual_mov_b32 v5, v4 :: v_dual_bitop2_b32 v11, v1, v4 bitop3:0x14
	s_delay_alu instid0(VALU_DEP_2) | instskip(NEXT) | instid1(VALU_DEP_1)
	v_xor_b32_e32 v10, v3, v4
	v_sub_nc_u64_e32 v[4:5], v[10:11], v[4:5]
	s_branch .LBB71_499
.LBB71_495:
	s_mov_b32 s43, -1
                                        ; implicit-def: $vgpr4_vgpr5
	s_branch .LBB71_500
.LBB71_496:
	s_and_not1_saveexec_b32 s42, s42
	s_cbranch_execz .LBB71_477
.LBB71_497:
	v_cmp_ne_u16_e32 vcc_lo, 0, v1
	s_and_not1_b32 s43, s43, exec_lo
	s_and_b32 s44, vcc_lo, exec_lo
	s_delay_alu instid0(SALU_CYCLE_1)
	s_or_b32 s43, s43, s44
	s_or_b32 exec_lo, exec_lo, s42
	v_mov_b64_e32 v[4:5], 0
	s_and_saveexec_b32 s42, s43
	s_cbranch_execnz .LBB71_478
	s_branch .LBB71_479
.LBB71_498:
	s_mov_b32 s24, -1
                                        ; implicit-def: $vgpr4_vgpr5
.LBB71_499:
	s_mov_b32 s43, 0
.LBB71_500:
	s_delay_alu instid0(SALU_CYCLE_1)
	s_and_b32 vcc_lo, exec_lo, s43
	s_cbranch_vccz .LBB71_504
; %bb.501:
	s_cmp_eq_u32 s25, 11
	s_cbranch_scc0 .LBB71_503
; %bb.502:
	global_load_u8 v1, v[8:9], off
	s_mov_b32 s24, 0
	s_mov_b32 s42, -1
	s_wait_loadcnt 0x1
	v_mov_b32_e32 v5, s24
	s_wait_loadcnt 0x0
	v_cmp_ne_u16_e32 vcc_lo, 0, v1
	v_cndmask_b32_e64 v4, 0, 1, vcc_lo
	s_branch .LBB71_504
.LBB71_503:
	s_mov_b32 s24, -1
                                        ; implicit-def: $vgpr4_vgpr5
.LBB71_504:
	s_branch .LBB71_423
.LBB71_505:
	s_and_b32 s0, 0xffff, s0
	s_delay_alu instid0(SALU_CYCLE_1)
	s_cmp_lt_i32 s0, 5
	s_cbranch_scc1 .LBB71_510
; %bb.506:
	s_cmp_lt_i32 s0, 8
	s_cbranch_scc1 .LBB71_511
; %bb.507:
	;; [unrolled: 3-line block ×3, first 2 shown]
	s_cmp_gt_i32 s0, 9
	s_cbranch_scc0 .LBB71_513
; %bb.509:
	s_wait_loadcnt 0x0
	global_load_b64 v[4:5], v[8:9], off
	s_mov_b32 s25, 0
	s_wait_loadcnt 0x0
	v_trunc_f64_e32 v[4:5], v[4:5]
	s_delay_alu instid0(VALU_DEP_1) | instskip(NEXT) | instid1(VALU_DEP_1)
	v_ldexp_f64 v[10:11], v[4:5], 0xffffffe0
	v_floor_f64_e32 v[10:11], v[10:11]
	s_delay_alu instid0(VALU_DEP_1) | instskip(SKIP_1) | instid1(VALU_DEP_2)
	v_fmamk_f64 v[12:13], v[10:11], 0xc1f00000, v[4:5]
	v_cvt_i32_f64_e32 v5, v[10:11]
	v_cvt_u32_f64_e32 v4, v[12:13]
	s_branch .LBB71_514
.LBB71_510:
	s_mov_b32 s25, -1
                                        ; implicit-def: $vgpr4_vgpr5
	s_branch .LBB71_532
.LBB71_511:
	s_mov_b32 s25, -1
                                        ; implicit-def: $vgpr4_vgpr5
	s_branch .LBB71_520
.LBB71_512:
	s_mov_b32 s25, -1
                                        ; implicit-def: $vgpr4_vgpr5
	s_branch .LBB71_517
.LBB71_513:
	s_mov_b32 s25, -1
                                        ; implicit-def: $vgpr4_vgpr5
.LBB71_514:
	s_delay_alu instid0(SALU_CYCLE_1)
	s_and_not1_b32 vcc_lo, exec_lo, s25
	s_cbranch_vccnz .LBB71_516
; %bb.515:
	global_load_b32 v1, v[8:9], off
	s_wait_loadcnt 0x0
	v_trunc_f32_e32 v1, v1
	s_delay_alu instid0(VALU_DEP_1) | instskip(SKIP_1) | instid1(VALU_DEP_2)
	v_mul_f32_e64 v3, 0x2f800000, |v1|
	v_ashrrev_i32_e32 v4, 31, v1
	v_floor_f32_e32 v3, v3
	s_delay_alu instid0(VALU_DEP_1) | instskip(SKIP_1) | instid1(VALU_DEP_2)
	v_fma_f32 v5, 0xcf800000, v3, |v1|
	v_cvt_u32_f32_e32 v1, v3
	v_cvt_u32_f32_e32 v3, v5
	s_delay_alu instid0(VALU_DEP_2) | instskip(NEXT) | instid1(VALU_DEP_2)
	v_dual_mov_b32 v5, v4 :: v_dual_bitop2_b32 v11, v1, v4 bitop3:0x14
	v_xor_b32_e32 v10, v3, v4
	s_delay_alu instid0(VALU_DEP_1)
	v_sub_nc_u64_e32 v[4:5], v[10:11], v[4:5]
.LBB71_516:
	s_mov_b32 s25, 0
.LBB71_517:
	s_delay_alu instid0(SALU_CYCLE_1)
	s_and_not1_b32 vcc_lo, exec_lo, s25
	s_cbranch_vccnz .LBB71_519
; %bb.518:
	global_load_b32 v1, v[8:9], off
	s_wait_loadcnt 0x0
	v_cvt_f32_f16_e32 v1, v1
	s_delay_alu instid0(VALU_DEP_1) | instskip(NEXT) | instid1(VALU_DEP_1)
	v_cvt_i32_f32_e32 v4, v1
	v_ashrrev_i32_e32 v5, 31, v4
.LBB71_519:
	s_mov_b32 s25, 0
.LBB71_520:
	s_delay_alu instid0(SALU_CYCLE_1)
	s_and_not1_b32 vcc_lo, exec_lo, s25
	s_cbranch_vccnz .LBB71_531
; %bb.521:
	s_cmp_lt_i32 s0, 6
	s_cbranch_scc1 .LBB71_524
; %bb.522:
	s_cmp_gt_i32 s0, 6
	s_cbranch_scc0 .LBB71_525
; %bb.523:
	s_wait_loadcnt 0x0
	global_load_b64 v[4:5], v[8:9], off
	s_mov_b32 s25, 0
	s_wait_loadcnt 0x0
	v_trunc_f64_e32 v[4:5], v[4:5]
	s_delay_alu instid0(VALU_DEP_1) | instskip(NEXT) | instid1(VALU_DEP_1)
	v_ldexp_f64 v[10:11], v[4:5], 0xffffffe0
	v_floor_f64_e32 v[10:11], v[10:11]
	s_delay_alu instid0(VALU_DEP_1) | instskip(SKIP_1) | instid1(VALU_DEP_2)
	v_fmamk_f64 v[12:13], v[10:11], 0xc1f00000, v[4:5]
	v_cvt_i32_f64_e32 v5, v[10:11]
	v_cvt_u32_f64_e32 v4, v[12:13]
	s_branch .LBB71_526
.LBB71_524:
	s_mov_b32 s25, -1
                                        ; implicit-def: $vgpr4_vgpr5
	s_branch .LBB71_529
.LBB71_525:
	s_mov_b32 s25, -1
                                        ; implicit-def: $vgpr4_vgpr5
.LBB71_526:
	s_delay_alu instid0(SALU_CYCLE_1)
	s_and_not1_b32 vcc_lo, exec_lo, s25
	s_cbranch_vccnz .LBB71_528
; %bb.527:
	global_load_b32 v1, v[8:9], off
	s_wait_loadcnt 0x0
	v_trunc_f32_e32 v1, v1
	s_delay_alu instid0(VALU_DEP_1) | instskip(SKIP_1) | instid1(VALU_DEP_2)
	v_mul_f32_e64 v3, 0x2f800000, |v1|
	v_ashrrev_i32_e32 v4, 31, v1
	v_floor_f32_e32 v3, v3
	s_delay_alu instid0(VALU_DEP_1) | instskip(SKIP_1) | instid1(VALU_DEP_2)
	v_fma_f32 v5, 0xcf800000, v3, |v1|
	v_cvt_u32_f32_e32 v1, v3
	v_cvt_u32_f32_e32 v3, v5
	s_delay_alu instid0(VALU_DEP_2) | instskip(NEXT) | instid1(VALU_DEP_2)
	v_dual_mov_b32 v5, v4 :: v_dual_bitop2_b32 v11, v1, v4 bitop3:0x14
	v_xor_b32_e32 v10, v3, v4
	s_delay_alu instid0(VALU_DEP_1)
	v_sub_nc_u64_e32 v[4:5], v[10:11], v[4:5]
.LBB71_528:
	s_mov_b32 s25, 0
.LBB71_529:
	s_delay_alu instid0(SALU_CYCLE_1)
	s_and_not1_b32 vcc_lo, exec_lo, s25
	s_cbranch_vccnz .LBB71_531
; %bb.530:
	global_load_u16 v1, v[8:9], off
	s_wait_loadcnt 0x0
	v_cvt_f32_f16_e32 v1, v1
	s_delay_alu instid0(VALU_DEP_1) | instskip(NEXT) | instid1(VALU_DEP_1)
	v_cvt_i32_f32_e32 v4, v1
	v_ashrrev_i32_e32 v5, 31, v4
.LBB71_531:
	s_mov_b32 s25, 0
.LBB71_532:
	s_delay_alu instid0(SALU_CYCLE_1)
	s_and_not1_b32 vcc_lo, exec_lo, s25
	s_cbranch_vccnz .LBB71_552
; %bb.533:
	s_cmp_lt_i32 s0, 2
	s_cbranch_scc1 .LBB71_537
; %bb.534:
	s_cmp_lt_i32 s0, 3
	s_cbranch_scc1 .LBB71_538
; %bb.535:
	s_cmp_gt_i32 s0, 3
	s_cbranch_scc0 .LBB71_539
; %bb.536:
	s_wait_loadcnt 0x0
	global_load_b64 v[4:5], v[8:9], off
	s_mov_b32 s25, 0
	s_branch .LBB71_540
.LBB71_537:
	s_mov_b32 s25, -1
                                        ; implicit-def: $vgpr4_vgpr5
	s_branch .LBB71_546
.LBB71_538:
	s_mov_b32 s25, -1
                                        ; implicit-def: $vgpr4_vgpr5
	s_branch .LBB71_543
.LBB71_539:
	s_mov_b32 s25, -1
                                        ; implicit-def: $vgpr4_vgpr5
.LBB71_540:
	s_delay_alu instid0(SALU_CYCLE_1)
	s_and_not1_b32 vcc_lo, exec_lo, s25
	s_cbranch_vccnz .LBB71_542
; %bb.541:
	s_wait_loadcnt 0x0
	global_load_b32 v4, v[8:9], off
	s_wait_loadcnt 0x0
	v_ashrrev_i32_e32 v5, 31, v4
.LBB71_542:
	s_mov_b32 s25, 0
.LBB71_543:
	s_delay_alu instid0(SALU_CYCLE_1)
	s_and_not1_b32 vcc_lo, exec_lo, s25
	s_cbranch_vccnz .LBB71_545
; %bb.544:
	global_load_u16 v1, v[8:9], off
	s_wait_loadcnt 0x0
	v_bfe_i32 v4, v1, 0, 16
	s_delay_alu instid0(VALU_DEP_1)
	v_ashrrev_i32_e32 v5, 31, v4
.LBB71_545:
	s_mov_b32 s25, 0
.LBB71_546:
	s_delay_alu instid0(SALU_CYCLE_1)
	s_and_not1_b32 vcc_lo, exec_lo, s25
	s_cbranch_vccnz .LBB71_552
; %bb.547:
	s_cmp_gt_i32 s0, 0
	s_mov_b32 s0, 0
	s_cbranch_scc0 .LBB71_549
; %bb.548:
	global_load_i8 v1, v[8:9], off
	s_wait_loadcnt 0x0
	v_bfe_i32 v4, v1, 0, 16
	s_delay_alu instid0(VALU_DEP_1)
	v_ashrrev_i32_e32 v5, 31, v4
	s_branch .LBB71_550
.LBB71_549:
	s_mov_b32 s0, -1
                                        ; implicit-def: $vgpr4_vgpr5
.LBB71_550:
	s_delay_alu instid0(SALU_CYCLE_1)
	s_and_not1_b32 vcc_lo, exec_lo, s0
	s_cbranch_vccnz .LBB71_552
; %bb.551:
	global_load_u8 v1, v[8:9], off
	s_mov_b32 s0, 0
	s_wait_loadcnt 0x1
	v_mov_b32_e32 v5, s0
	s_wait_loadcnt 0x0
	v_and_b32_e32 v4, 0xffff, v1
.LBB71_552:
	s_branch .LBB71_424
.LBB71_553:
	s_mov_b32 s46, 0
	s_mov_b32 s0, s38
	;; [unrolled: 1-line block ×3, first 2 shown]
	s_branch .LBB71_807
.LBB71_554:
	s_and_not1_saveexec_b32 s43, s43
	s_cbranch_execz .LBB71_214
.LBB71_555:
	v_add_f32_e32 v1, 0x42800000, v4
	s_and_not1_b32 s42, s42, exec_lo
	s_delay_alu instid0(VALU_DEP_1) | instskip(NEXT) | instid1(VALU_DEP_1)
	v_and_b32_e32 v1, 0xff, v1
	v_cmp_ne_u32_e32 vcc_lo, 0, v1
	s_and_b32 s44, vcc_lo, exec_lo
	s_delay_alu instid0(SALU_CYCLE_1)
	s_or_b32 s42, s42, s44
	s_or_b32 exec_lo, exec_lo, s43
	v_mov_b32_e32 v5, 0
	s_and_saveexec_b32 s43, s42
	s_cbranch_execnz .LBB71_215
	s_branch .LBB71_216
.LBB71_556:
	s_mov_b32 s25, -1
	s_mov_b32 s43, 0
.LBB71_557:
                                        ; implicit-def: $vgpr6_vgpr7
.LBB71_558:
	s_and_b32 vcc_lo, exec_lo, s44
	s_cbranch_vccz .LBB71_562
; %bb.559:
	s_cmp_eq_u32 s42, 44
	s_cbranch_scc0 .LBB71_561
; %bb.560:
	global_load_u8 v1, v[8:9], off
	s_mov_b32 s25, 0
	s_mov_b32 s43, -1
	s_wait_loadcnt 0x0
	v_lshlrev_b32_e32 v3, 23, v1
	v_cmp_ne_u32_e32 vcc_lo, 0, v1
	s_delay_alu instid0(VALU_DEP_2) | instskip(NEXT) | instid1(VALU_DEP_1)
	v_trunc_f32_e32 v3, v3
	v_mul_f32_e64 v6, 0x2f800000, |v3|
	s_delay_alu instid0(VALU_DEP_1) | instskip(SKIP_1) | instid1(VALU_DEP_2)
	v_floor_f32_e32 v7, v6
	v_ashrrev_i32_e32 v6, 31, v3
	v_fma_f32 v10, 0xcf800000, v7, |v3|
	v_cvt_u32_f32_e32 v3, v7
	s_delay_alu instid0(VALU_DEP_3) | instskip(NEXT) | instid1(VALU_DEP_3)
	v_mov_b32_e32 v7, v6
	v_cvt_u32_f32_e32 v10, v10
	s_delay_alu instid0(VALU_DEP_3) | instskip(NEXT) | instid1(VALU_DEP_2)
	v_xor_b32_e32 v11, v3, v6
	v_xor_b32_e32 v10, v10, v6
	s_delay_alu instid0(VALU_DEP_1) | instskip(NEXT) | instid1(VALU_DEP_1)
	v_sub_nc_u64_e32 v[6:7], v[10:11], v[6:7]
	v_dual_cndmask_b32 v7, 0, v7 :: v_dual_cndmask_b32 v6, 0, v6
	s_branch .LBB71_562
.LBB71_561:
	s_mov_b32 s25, -1
                                        ; implicit-def: $vgpr6_vgpr7
.LBB71_562:
	s_mov_b32 s44, 0
.LBB71_563:
	s_delay_alu instid0(SALU_CYCLE_1)
	s_and_b32 vcc_lo, exec_lo, s44
	s_cbranch_vccz .LBB71_567
; %bb.564:
	s_cmp_eq_u32 s42, 29
	s_cbranch_scc0 .LBB71_566
; %bb.565:
	global_load_b64 v[6:7], v[8:9], off
	s_mov_b32 s43, -1
	s_mov_b32 s25, 0
	s_branch .LBB71_567
.LBB71_566:
	s_mov_b32 s25, -1
                                        ; implicit-def: $vgpr6_vgpr7
.LBB71_567:
	s_mov_b32 s44, 0
.LBB71_568:
	s_delay_alu instid0(SALU_CYCLE_1)
	s_and_b32 vcc_lo, exec_lo, s44
	s_cbranch_vccz .LBB71_584
; %bb.569:
	s_cmp_lt_i32 s42, 27
	s_cbranch_scc1 .LBB71_572
; %bb.570:
	s_cmp_gt_i32 s42, 27
	s_cbranch_scc0 .LBB71_573
; %bb.571:
	s_wait_loadcnt 0x0
	global_load_b32 v6, v[8:9], off
	v_mov_b32_e32 v7, 0
	s_mov_b32 s43, 0
	s_branch .LBB71_574
.LBB71_572:
	s_mov_b32 s43, -1
                                        ; implicit-def: $vgpr6_vgpr7
	s_branch .LBB71_577
.LBB71_573:
	s_mov_b32 s43, -1
                                        ; implicit-def: $vgpr6_vgpr7
.LBB71_574:
	s_delay_alu instid0(SALU_CYCLE_1)
	s_and_not1_b32 vcc_lo, exec_lo, s43
	s_cbranch_vccnz .LBB71_576
; %bb.575:
	global_load_u16 v1, v[8:9], off
	s_mov_b32 s43, 0
	s_wait_loadcnt 0x1
	v_mov_b32_e32 v7, s43
	s_wait_loadcnt 0x0
	v_and_b32_e32 v6, 0xffff, v1
.LBB71_576:
	s_mov_b32 s43, 0
.LBB71_577:
	s_delay_alu instid0(SALU_CYCLE_1)
	s_and_not1_b32 vcc_lo, exec_lo, s43
	s_cbranch_vccnz .LBB71_583
; %bb.578:
	global_load_u8 v1, v[8:9], off
	s_mov_b32 s44, 0
	s_mov_b32 s43, exec_lo
	s_wait_loadcnt 0x0
	v_cmpx_lt_i16_e32 0x7f, v1
	s_xor_b32 s43, exec_lo, s43
	s_cbranch_execz .LBB71_595
; %bb.579:
	v_cmp_ne_u16_e32 vcc_lo, 0x80, v1
	s_and_b32 s44, vcc_lo, exec_lo
	s_and_not1_saveexec_b32 s43, s43
	s_cbranch_execnz .LBB71_596
.LBB71_580:
	s_or_b32 exec_lo, exec_lo, s43
	v_mov_b64_e32 v[6:7], 0
	s_and_saveexec_b32 s43, s44
	s_cbranch_execz .LBB71_582
.LBB71_581:
	v_and_b32_e32 v3, 0xffff, v1
	s_delay_alu instid0(VALU_DEP_1) | instskip(SKIP_1) | instid1(VALU_DEP_2)
	v_dual_lshlrev_b32 v1, 24, v1 :: v_dual_bitop2_b32 v6, 7, v3 bitop3:0x40
	v_bfe_u32 v11, v3, 3, 4
	v_and_b32_e32 v1, 0x80000000, v1
	s_delay_alu instid0(VALU_DEP_3) | instskip(NEXT) | instid1(VALU_DEP_3)
	v_clz_i32_u32_e32 v7, v6
	v_cmp_eq_u32_e32 vcc_lo, 0, v11
	s_delay_alu instid0(VALU_DEP_2) | instskip(NEXT) | instid1(VALU_DEP_1)
	v_min_u32_e32 v7, 32, v7
	v_subrev_nc_u32_e32 v10, 28, v7
	v_sub_nc_u32_e32 v7, 29, v7
	s_delay_alu instid0(VALU_DEP_2) | instskip(NEXT) | instid1(VALU_DEP_2)
	v_lshlrev_b32_e32 v3, v10, v3
	v_cndmask_b32_e32 v7, v11, v7, vcc_lo
	s_delay_alu instid0(VALU_DEP_2) | instskip(NEXT) | instid1(VALU_DEP_1)
	v_and_b32_e32 v3, 7, v3
	v_cndmask_b32_e32 v3, v6, v3, vcc_lo
	s_delay_alu instid0(VALU_DEP_3) | instskip(NEXT) | instid1(VALU_DEP_2)
	v_lshl_add_u32 v6, v7, 23, 0x3b800000
	v_lshlrev_b32_e32 v3, 20, v3
	s_delay_alu instid0(VALU_DEP_1) | instskip(NEXT) | instid1(VALU_DEP_1)
	v_or3_b32 v1, v1, v6, v3
	v_trunc_f32_e32 v1, v1
	s_delay_alu instid0(VALU_DEP_1) | instskip(SKIP_1) | instid1(VALU_DEP_2)
	v_mul_f32_e64 v3, 0x2f800000, |v1|
	v_ashrrev_i32_e32 v6, 31, v1
	v_floor_f32_e32 v3, v3
	s_delay_alu instid0(VALU_DEP_1) | instskip(SKIP_1) | instid1(VALU_DEP_2)
	v_fma_f32 v7, 0xcf800000, v3, |v1|
	v_cvt_u32_f32_e32 v1, v3
	v_cvt_u32_f32_e32 v3, v7
	s_delay_alu instid0(VALU_DEP_2) | instskip(NEXT) | instid1(VALU_DEP_2)
	v_dual_mov_b32 v7, v6 :: v_dual_bitop2_b32 v11, v1, v6 bitop3:0x14
	v_xor_b32_e32 v10, v3, v6
	s_delay_alu instid0(VALU_DEP_1)
	v_sub_nc_u64_e32 v[6:7], v[10:11], v[6:7]
.LBB71_582:
	s_or_b32 exec_lo, exec_lo, s43
.LBB71_583:
	s_mov_b32 s43, -1
.LBB71_584:
	s_mov_b32 s44, 0
.LBB71_585:
	s_delay_alu instid0(SALU_CYCLE_1)
	s_and_b32 vcc_lo, exec_lo, s44
	s_cbranch_vccz .LBB71_618
; %bb.586:
	s_cmp_gt_i32 s42, 22
	s_cbranch_scc0 .LBB71_594
; %bb.587:
	s_cmp_lt_i32 s42, 24
	s_cbranch_scc1 .LBB71_597
; %bb.588:
	s_cmp_gt_i32 s42, 24
	s_cbranch_scc0 .LBB71_598
; %bb.589:
	global_load_u8 v1, v[8:9], off
	s_mov_b32 s44, 0
	s_mov_b32 s43, exec_lo
	s_wait_loadcnt 0x0
	v_cmpx_lt_i16_e32 0x7f, v1
	s_xor_b32 s43, exec_lo, s43
	s_cbranch_execz .LBB71_610
; %bb.590:
	v_cmp_ne_u16_e32 vcc_lo, 0x80, v1
	s_and_b32 s44, vcc_lo, exec_lo
	s_and_not1_saveexec_b32 s43, s43
	s_cbranch_execnz .LBB71_611
.LBB71_591:
	s_or_b32 exec_lo, exec_lo, s43
	v_mov_b64_e32 v[6:7], 0
	s_and_saveexec_b32 s43, s44
	s_cbranch_execz .LBB71_593
.LBB71_592:
	v_and_b32_e32 v3, 0xffff, v1
	s_delay_alu instid0(VALU_DEP_1) | instskip(SKIP_1) | instid1(VALU_DEP_2)
	v_dual_lshlrev_b32 v1, 24, v1 :: v_dual_bitop2_b32 v6, 3, v3 bitop3:0x40
	v_bfe_u32 v11, v3, 2, 5
	v_and_b32_e32 v1, 0x80000000, v1
	s_delay_alu instid0(VALU_DEP_3) | instskip(NEXT) | instid1(VALU_DEP_3)
	v_clz_i32_u32_e32 v7, v6
	v_cmp_eq_u32_e32 vcc_lo, 0, v11
	s_delay_alu instid0(VALU_DEP_2) | instskip(NEXT) | instid1(VALU_DEP_1)
	v_min_u32_e32 v7, 32, v7
	v_subrev_nc_u32_e32 v10, 29, v7
	v_sub_nc_u32_e32 v7, 30, v7
	s_delay_alu instid0(VALU_DEP_2) | instskip(NEXT) | instid1(VALU_DEP_2)
	v_lshlrev_b32_e32 v3, v10, v3
	v_cndmask_b32_e32 v7, v11, v7, vcc_lo
	s_delay_alu instid0(VALU_DEP_2) | instskip(NEXT) | instid1(VALU_DEP_1)
	v_and_b32_e32 v3, 3, v3
	v_cndmask_b32_e32 v3, v6, v3, vcc_lo
	s_delay_alu instid0(VALU_DEP_3) | instskip(NEXT) | instid1(VALU_DEP_2)
	v_lshl_add_u32 v6, v7, 23, 0x37800000
	v_lshlrev_b32_e32 v3, 21, v3
	s_delay_alu instid0(VALU_DEP_1) | instskip(NEXT) | instid1(VALU_DEP_1)
	v_or3_b32 v1, v1, v6, v3
	v_trunc_f32_e32 v1, v1
	s_delay_alu instid0(VALU_DEP_1) | instskip(SKIP_1) | instid1(VALU_DEP_2)
	v_mul_f32_e64 v3, 0x2f800000, |v1|
	v_ashrrev_i32_e32 v6, 31, v1
	v_floor_f32_e32 v3, v3
	s_delay_alu instid0(VALU_DEP_1) | instskip(SKIP_1) | instid1(VALU_DEP_2)
	v_fma_f32 v7, 0xcf800000, v3, |v1|
	v_cvt_u32_f32_e32 v1, v3
	v_cvt_u32_f32_e32 v3, v7
	s_delay_alu instid0(VALU_DEP_2) | instskip(NEXT) | instid1(VALU_DEP_2)
	v_dual_mov_b32 v7, v6 :: v_dual_bitop2_b32 v11, v1, v6 bitop3:0x14
	v_xor_b32_e32 v10, v3, v6
	s_delay_alu instid0(VALU_DEP_1)
	v_sub_nc_u64_e32 v[6:7], v[10:11], v[6:7]
.LBB71_593:
	s_or_b32 exec_lo, exec_lo, s43
	s_mov_b32 s43, 0
	s_branch .LBB71_599
.LBB71_594:
	s_mov_b32 s44, -1
                                        ; implicit-def: $vgpr6_vgpr7
	s_branch .LBB71_605
.LBB71_595:
	s_and_not1_saveexec_b32 s43, s43
	s_cbranch_execz .LBB71_580
.LBB71_596:
	v_cmp_ne_u16_e32 vcc_lo, 0, v1
	s_and_not1_b32 s44, s44, exec_lo
	s_and_b32 s46, vcc_lo, exec_lo
	s_delay_alu instid0(SALU_CYCLE_1)
	s_or_b32 s44, s44, s46
	s_or_b32 exec_lo, exec_lo, s43
	v_mov_b64_e32 v[6:7], 0
	s_and_saveexec_b32 s43, s44
	s_cbranch_execnz .LBB71_581
	s_branch .LBB71_582
.LBB71_597:
	s_mov_b32 s43, -1
                                        ; implicit-def: $vgpr6_vgpr7
	s_branch .LBB71_602
.LBB71_598:
	s_mov_b32 s43, -1
                                        ; implicit-def: $vgpr6_vgpr7
.LBB71_599:
	s_delay_alu instid0(SALU_CYCLE_1)
	s_and_b32 vcc_lo, exec_lo, s43
	s_cbranch_vccz .LBB71_601
; %bb.600:
	global_load_u8 v1, v[8:9], off
	s_wait_loadcnt 0x0
	v_lshlrev_b32_e32 v1, 24, v1
	s_delay_alu instid0(VALU_DEP_1) | instskip(NEXT) | instid1(VALU_DEP_1)
	v_and_b32_e32 v3, 0x7f000000, v1
	v_clz_i32_u32_e32 v6, v3
	v_cmp_ne_u32_e32 vcc_lo, 0, v3
	v_add_nc_u32_e32 v10, 0x1000000, v3
	s_delay_alu instid0(VALU_DEP_3) | instskip(NEXT) | instid1(VALU_DEP_1)
	v_min_u32_e32 v6, 32, v6
	v_sub_nc_u32_e64 v6, v6, 4 clamp
	s_delay_alu instid0(VALU_DEP_1) | instskip(NEXT) | instid1(VALU_DEP_1)
	v_dual_lshlrev_b32 v7, v6, v3 :: v_dual_lshlrev_b32 v6, 23, v6
	v_lshrrev_b32_e32 v7, 4, v7
	s_delay_alu instid0(VALU_DEP_1) | instskip(SKIP_1) | instid1(VALU_DEP_2)
	v_sub_nc_u32_e32 v6, v7, v6
	v_ashrrev_i32_e32 v7, 8, v10
	v_add_nc_u32_e32 v6, 0x3c000000, v6
	s_delay_alu instid0(VALU_DEP_1) | instskip(NEXT) | instid1(VALU_DEP_1)
	v_and_or_b32 v6, 0x7f800000, v7, v6
	v_cndmask_b32_e32 v3, 0, v6, vcc_lo
	s_delay_alu instid0(VALU_DEP_1) | instskip(NEXT) | instid1(VALU_DEP_1)
	v_and_or_b32 v1, 0x80000000, v1, v3
	v_trunc_f32_e32 v1, v1
	s_delay_alu instid0(VALU_DEP_1) | instskip(SKIP_1) | instid1(VALU_DEP_2)
	v_mul_f32_e64 v3, 0x2f800000, |v1|
	v_ashrrev_i32_e32 v6, 31, v1
	v_floor_f32_e32 v3, v3
	s_delay_alu instid0(VALU_DEP_1) | instskip(SKIP_1) | instid1(VALU_DEP_2)
	v_fma_f32 v7, 0xcf800000, v3, |v1|
	v_cvt_u32_f32_e32 v1, v3
	v_cvt_u32_f32_e32 v3, v7
	s_delay_alu instid0(VALU_DEP_2) | instskip(NEXT) | instid1(VALU_DEP_2)
	v_dual_mov_b32 v7, v6 :: v_dual_bitop2_b32 v11, v1, v6 bitop3:0x14
	v_xor_b32_e32 v10, v3, v6
	s_delay_alu instid0(VALU_DEP_1)
	v_sub_nc_u64_e32 v[6:7], v[10:11], v[6:7]
.LBB71_601:
	s_mov_b32 s43, 0
.LBB71_602:
	s_delay_alu instid0(SALU_CYCLE_1)
	s_and_not1_b32 vcc_lo, exec_lo, s43
	s_cbranch_vccnz .LBB71_604
; %bb.603:
	global_load_u8 v1, v[8:9], off
	s_wait_loadcnt 0x0
	v_lshlrev_b32_e32 v3, 25, v1
	v_lshlrev_b16 v1, 8, v1
	s_delay_alu instid0(VALU_DEP_1) | instskip(SKIP_1) | instid1(VALU_DEP_2)
	v_and_or_b32 v7, 0x7f00, v1, 0.5
	v_bfe_i32 v1, v1, 0, 16
	v_add_f32_e32 v7, -0.5, v7
	v_lshrrev_b32_e32 v6, 4, v3
	v_cmp_gt_u32_e32 vcc_lo, 0x8000000, v3
	s_delay_alu instid0(VALU_DEP_2) | instskip(NEXT) | instid1(VALU_DEP_1)
	v_or_b32_e32 v6, 0x70000000, v6
	v_mul_f32_e32 v6, 0x7800000, v6
	s_delay_alu instid0(VALU_DEP_1) | instskip(NEXT) | instid1(VALU_DEP_1)
	v_cndmask_b32_e32 v3, v6, v7, vcc_lo
	v_and_or_b32 v1, 0x80000000, v1, v3
	s_delay_alu instid0(VALU_DEP_1) | instskip(NEXT) | instid1(VALU_DEP_1)
	v_trunc_f32_e32 v1, v1
	v_mul_f32_e64 v3, 0x2f800000, |v1|
	v_ashrrev_i32_e32 v6, 31, v1
	s_delay_alu instid0(VALU_DEP_2) | instskip(NEXT) | instid1(VALU_DEP_1)
	v_floor_f32_e32 v3, v3
	v_fma_f32 v7, 0xcf800000, v3, |v1|
	v_cvt_u32_f32_e32 v1, v3
	s_delay_alu instid0(VALU_DEP_2) | instskip(NEXT) | instid1(VALU_DEP_2)
	v_cvt_u32_f32_e32 v3, v7
	v_dual_mov_b32 v7, v6 :: v_dual_bitop2_b32 v11, v1, v6 bitop3:0x14
	s_delay_alu instid0(VALU_DEP_2) | instskip(NEXT) | instid1(VALU_DEP_1)
	v_xor_b32_e32 v10, v3, v6
	v_sub_nc_u64_e32 v[6:7], v[10:11], v[6:7]
.LBB71_604:
	s_mov_b32 s44, 0
	s_mov_b32 s43, -1
.LBB71_605:
	s_and_not1_b32 vcc_lo, exec_lo, s44
	s_cbranch_vccnz .LBB71_618
; %bb.606:
	s_cmp_gt_i32 s42, 14
	s_cbranch_scc0 .LBB71_609
; %bb.607:
	s_cmp_eq_u32 s42, 15
	s_cbranch_scc0 .LBB71_612
; %bb.608:
	global_load_u16 v1, v[8:9], off
	s_mov_b32 s43, -1
	s_mov_b32 s25, 0
	s_wait_loadcnt 0x0
	v_lshlrev_b32_e32 v1, 16, v1
	s_delay_alu instid0(VALU_DEP_1) | instskip(NEXT) | instid1(VALU_DEP_1)
	v_trunc_f32_e32 v1, v1
	v_mul_f32_e64 v3, 0x2f800000, |v1|
	v_ashrrev_i32_e32 v6, 31, v1
	s_delay_alu instid0(VALU_DEP_2) | instskip(NEXT) | instid1(VALU_DEP_1)
	v_floor_f32_e32 v3, v3
	v_fma_f32 v7, 0xcf800000, v3, |v1|
	v_cvt_u32_f32_e32 v1, v3
	s_delay_alu instid0(VALU_DEP_2) | instskip(NEXT) | instid1(VALU_DEP_2)
	v_cvt_u32_f32_e32 v3, v7
	v_dual_mov_b32 v7, v6 :: v_dual_bitop2_b32 v11, v1, v6 bitop3:0x14
	s_delay_alu instid0(VALU_DEP_2) | instskip(NEXT) | instid1(VALU_DEP_1)
	v_xor_b32_e32 v10, v3, v6
	v_sub_nc_u64_e32 v[6:7], v[10:11], v[6:7]
	s_branch .LBB71_613
.LBB71_609:
	s_mov_b32 s44, -1
                                        ; implicit-def: $vgpr6_vgpr7
	s_branch .LBB71_614
.LBB71_610:
	s_and_not1_saveexec_b32 s43, s43
	s_cbranch_execz .LBB71_591
.LBB71_611:
	v_cmp_ne_u16_e32 vcc_lo, 0, v1
	s_and_not1_b32 s44, s44, exec_lo
	s_and_b32 s46, vcc_lo, exec_lo
	s_delay_alu instid0(SALU_CYCLE_1)
	s_or_b32 s44, s44, s46
	s_or_b32 exec_lo, exec_lo, s43
	v_mov_b64_e32 v[6:7], 0
	s_and_saveexec_b32 s43, s44
	s_cbranch_execnz .LBB71_592
	s_branch .LBB71_593
.LBB71_612:
	s_mov_b32 s25, -1
                                        ; implicit-def: $vgpr6_vgpr7
.LBB71_613:
	s_mov_b32 s44, 0
.LBB71_614:
	s_delay_alu instid0(SALU_CYCLE_1)
	s_and_b32 vcc_lo, exec_lo, s44
	s_cbranch_vccz .LBB71_618
; %bb.615:
	s_cmp_eq_u32 s42, 11
	s_cbranch_scc0 .LBB71_617
; %bb.616:
	global_load_u8 v1, v[8:9], off
	s_mov_b32 s25, 0
	s_mov_b32 s43, -1
	s_wait_loadcnt 0x1
	v_mov_b32_e32 v7, s25
	s_wait_loadcnt 0x0
	v_cmp_ne_u16_e32 vcc_lo, 0, v1
	v_cndmask_b32_e64 v6, 0, 1, vcc_lo
	s_branch .LBB71_618
.LBB71_617:
	s_mov_b32 s25, -1
                                        ; implicit-def: $vgpr6_vgpr7
.LBB71_618:
	s_mov_b32 s42, 0
.LBB71_619:
	s_delay_alu instid0(SALU_CYCLE_1)
	s_and_b32 vcc_lo, exec_lo, s42
	s_cbranch_vccz .LBB71_668
; %bb.620:
	s_and_b32 s0, 0xffff, s0
	s_delay_alu instid0(SALU_CYCLE_1)
	s_cmp_lt_i32 s0, 5
	s_cbranch_scc1 .LBB71_625
; %bb.621:
	s_cmp_lt_i32 s0, 8
	s_cbranch_scc1 .LBB71_626
; %bb.622:
	;; [unrolled: 3-line block ×3, first 2 shown]
	s_cmp_gt_i32 s0, 9
	s_cbranch_scc0 .LBB71_628
; %bb.624:
	s_wait_loadcnt 0x0
	global_load_b64 v[6:7], v[8:9], off
	s_mov_b32 s42, 0
	s_wait_loadcnt 0x0
	v_trunc_f64_e32 v[6:7], v[6:7]
	s_delay_alu instid0(VALU_DEP_1) | instskip(NEXT) | instid1(VALU_DEP_1)
	v_ldexp_f64 v[10:11], v[6:7], 0xffffffe0
	v_floor_f64_e32 v[10:11], v[10:11]
	s_delay_alu instid0(VALU_DEP_1) | instskip(SKIP_1) | instid1(VALU_DEP_2)
	v_fmamk_f64 v[12:13], v[10:11], 0xc1f00000, v[6:7]
	v_cvt_i32_f64_e32 v7, v[10:11]
	v_cvt_u32_f64_e32 v6, v[12:13]
	s_branch .LBB71_629
.LBB71_625:
	s_mov_b32 s42, -1
                                        ; implicit-def: $vgpr6_vgpr7
	s_branch .LBB71_647
.LBB71_626:
	s_mov_b32 s42, -1
                                        ; implicit-def: $vgpr6_vgpr7
	s_branch .LBB71_635
.LBB71_627:
	s_mov_b32 s42, -1
                                        ; implicit-def: $vgpr6_vgpr7
	s_branch .LBB71_632
.LBB71_628:
	s_mov_b32 s42, -1
                                        ; implicit-def: $vgpr6_vgpr7
.LBB71_629:
	s_delay_alu instid0(SALU_CYCLE_1)
	s_and_not1_b32 vcc_lo, exec_lo, s42
	s_cbranch_vccnz .LBB71_631
; %bb.630:
	global_load_b32 v1, v[8:9], off
	s_wait_loadcnt 0x0
	v_trunc_f32_e32 v1, v1
	s_delay_alu instid0(VALU_DEP_1) | instskip(SKIP_1) | instid1(VALU_DEP_2)
	v_mul_f32_e64 v3, 0x2f800000, |v1|
	v_ashrrev_i32_e32 v6, 31, v1
	v_floor_f32_e32 v3, v3
	s_delay_alu instid0(VALU_DEP_1) | instskip(SKIP_1) | instid1(VALU_DEP_2)
	v_fma_f32 v7, 0xcf800000, v3, |v1|
	v_cvt_u32_f32_e32 v1, v3
	v_cvt_u32_f32_e32 v3, v7
	s_delay_alu instid0(VALU_DEP_2) | instskip(NEXT) | instid1(VALU_DEP_2)
	v_dual_mov_b32 v7, v6 :: v_dual_bitop2_b32 v11, v1, v6 bitop3:0x14
	v_xor_b32_e32 v10, v3, v6
	s_delay_alu instid0(VALU_DEP_1)
	v_sub_nc_u64_e32 v[6:7], v[10:11], v[6:7]
.LBB71_631:
	s_mov_b32 s42, 0
.LBB71_632:
	s_delay_alu instid0(SALU_CYCLE_1)
	s_and_not1_b32 vcc_lo, exec_lo, s42
	s_cbranch_vccnz .LBB71_634
; %bb.633:
	global_load_b32 v1, v[8:9], off
	s_wait_loadcnt 0x0
	v_cvt_f32_f16_e32 v1, v1
	s_delay_alu instid0(VALU_DEP_1) | instskip(NEXT) | instid1(VALU_DEP_1)
	v_cvt_i32_f32_e32 v6, v1
	v_ashrrev_i32_e32 v7, 31, v6
.LBB71_634:
	s_mov_b32 s42, 0
.LBB71_635:
	s_delay_alu instid0(SALU_CYCLE_1)
	s_and_not1_b32 vcc_lo, exec_lo, s42
	s_cbranch_vccnz .LBB71_646
; %bb.636:
	s_cmp_lt_i32 s0, 6
	s_cbranch_scc1 .LBB71_639
; %bb.637:
	s_cmp_gt_i32 s0, 6
	s_cbranch_scc0 .LBB71_640
; %bb.638:
	s_wait_loadcnt 0x0
	global_load_b64 v[6:7], v[8:9], off
	s_mov_b32 s42, 0
	s_wait_loadcnt 0x0
	v_trunc_f64_e32 v[6:7], v[6:7]
	s_delay_alu instid0(VALU_DEP_1) | instskip(NEXT) | instid1(VALU_DEP_1)
	v_ldexp_f64 v[10:11], v[6:7], 0xffffffe0
	v_floor_f64_e32 v[10:11], v[10:11]
	s_delay_alu instid0(VALU_DEP_1) | instskip(SKIP_1) | instid1(VALU_DEP_2)
	v_fmamk_f64 v[12:13], v[10:11], 0xc1f00000, v[6:7]
	v_cvt_i32_f64_e32 v7, v[10:11]
	v_cvt_u32_f64_e32 v6, v[12:13]
	s_branch .LBB71_641
.LBB71_639:
	s_mov_b32 s42, -1
                                        ; implicit-def: $vgpr6_vgpr7
	s_branch .LBB71_644
.LBB71_640:
	s_mov_b32 s42, -1
                                        ; implicit-def: $vgpr6_vgpr7
.LBB71_641:
	s_delay_alu instid0(SALU_CYCLE_1)
	s_and_not1_b32 vcc_lo, exec_lo, s42
	s_cbranch_vccnz .LBB71_643
; %bb.642:
	global_load_b32 v1, v[8:9], off
	s_wait_loadcnt 0x0
	v_trunc_f32_e32 v1, v1
	s_delay_alu instid0(VALU_DEP_1) | instskip(SKIP_1) | instid1(VALU_DEP_2)
	v_mul_f32_e64 v3, 0x2f800000, |v1|
	v_ashrrev_i32_e32 v6, 31, v1
	v_floor_f32_e32 v3, v3
	s_delay_alu instid0(VALU_DEP_1) | instskip(SKIP_1) | instid1(VALU_DEP_2)
	v_fma_f32 v7, 0xcf800000, v3, |v1|
	v_cvt_u32_f32_e32 v1, v3
	v_cvt_u32_f32_e32 v3, v7
	s_delay_alu instid0(VALU_DEP_2) | instskip(NEXT) | instid1(VALU_DEP_2)
	v_dual_mov_b32 v7, v6 :: v_dual_bitop2_b32 v11, v1, v6 bitop3:0x14
	v_xor_b32_e32 v10, v3, v6
	s_delay_alu instid0(VALU_DEP_1)
	v_sub_nc_u64_e32 v[6:7], v[10:11], v[6:7]
.LBB71_643:
	s_mov_b32 s42, 0
.LBB71_644:
	s_delay_alu instid0(SALU_CYCLE_1)
	s_and_not1_b32 vcc_lo, exec_lo, s42
	s_cbranch_vccnz .LBB71_646
; %bb.645:
	global_load_u16 v1, v[8:9], off
	s_wait_loadcnt 0x0
	v_cvt_f32_f16_e32 v1, v1
	s_delay_alu instid0(VALU_DEP_1) | instskip(NEXT) | instid1(VALU_DEP_1)
	v_cvt_i32_f32_e32 v6, v1
	v_ashrrev_i32_e32 v7, 31, v6
.LBB71_646:
	s_mov_b32 s42, 0
.LBB71_647:
	s_delay_alu instid0(SALU_CYCLE_1)
	s_and_not1_b32 vcc_lo, exec_lo, s42
	s_cbranch_vccnz .LBB71_667
; %bb.648:
	s_cmp_lt_i32 s0, 2
	s_cbranch_scc1 .LBB71_652
; %bb.649:
	s_cmp_lt_i32 s0, 3
	s_cbranch_scc1 .LBB71_653
; %bb.650:
	s_cmp_gt_i32 s0, 3
	s_cbranch_scc0 .LBB71_654
; %bb.651:
	s_wait_loadcnt 0x0
	global_load_b64 v[6:7], v[8:9], off
	s_mov_b32 s42, 0
	s_branch .LBB71_655
.LBB71_652:
	s_mov_b32 s42, -1
                                        ; implicit-def: $vgpr6_vgpr7
	s_branch .LBB71_661
.LBB71_653:
	s_mov_b32 s42, -1
                                        ; implicit-def: $vgpr6_vgpr7
	s_branch .LBB71_658
.LBB71_654:
	s_mov_b32 s42, -1
                                        ; implicit-def: $vgpr6_vgpr7
.LBB71_655:
	s_delay_alu instid0(SALU_CYCLE_1)
	s_and_not1_b32 vcc_lo, exec_lo, s42
	s_cbranch_vccnz .LBB71_657
; %bb.656:
	s_wait_loadcnt 0x0
	global_load_b32 v6, v[8:9], off
	s_wait_loadcnt 0x0
	v_ashrrev_i32_e32 v7, 31, v6
.LBB71_657:
	s_mov_b32 s42, 0
.LBB71_658:
	s_delay_alu instid0(SALU_CYCLE_1)
	s_and_not1_b32 vcc_lo, exec_lo, s42
	s_cbranch_vccnz .LBB71_660
; %bb.659:
	global_load_u16 v1, v[8:9], off
	s_wait_loadcnt 0x0
	v_bfe_i32 v6, v1, 0, 16
	s_delay_alu instid0(VALU_DEP_1)
	v_ashrrev_i32_e32 v7, 31, v6
.LBB71_660:
	s_mov_b32 s42, 0
.LBB71_661:
	s_delay_alu instid0(SALU_CYCLE_1)
	s_and_not1_b32 vcc_lo, exec_lo, s42
	s_cbranch_vccnz .LBB71_667
; %bb.662:
	s_cmp_gt_i32 s0, 0
	s_mov_b32 s0, 0
	s_cbranch_scc0 .LBB71_664
; %bb.663:
	global_load_i8 v1, v[8:9], off
	s_wait_loadcnt 0x0
	v_bfe_i32 v6, v1, 0, 16
	s_delay_alu instid0(VALU_DEP_1)
	v_ashrrev_i32_e32 v7, 31, v6
	s_branch .LBB71_665
.LBB71_664:
	s_mov_b32 s0, -1
                                        ; implicit-def: $vgpr6_vgpr7
.LBB71_665:
	s_delay_alu instid0(SALU_CYCLE_1)
	s_and_not1_b32 vcc_lo, exec_lo, s0
	s_cbranch_vccnz .LBB71_667
; %bb.666:
	global_load_u8 v1, v[8:9], off
	s_mov_b32 s0, 0
	s_wait_loadcnt 0x1
	v_mov_b32_e32 v7, s0
	s_wait_loadcnt 0x0
	v_and_b32_e32 v6, 0xffff, v1
.LBB71_667:
	s_mov_b32 s43, -1
.LBB71_668:
	s_delay_alu instid0(SALU_CYCLE_1)
	s_and_not1_b32 vcc_lo, exec_lo, s43
	s_cbranch_vccnz .LBB71_676
; %bb.669:
	s_wait_loadcnt 0x0
	s_delay_alu instid0(VALU_DEP_1) | instskip(SKIP_1) | instid1(VALU_DEP_1)
	v_sub_nc_u64_e32 v[8:9], 0, v[6:7]
	s_mov_b32 s42, exec_lo
	v_max_i64 v[10:11], v[6:7], v[8:9]
	v_cmpx_ne_u64_e32 0, v[4:5]
	s_cbranch_execz .LBB71_678
; %bb.670:
	v_sub_nc_u64_e32 v[8:9], 0, v[4:5]
	s_mov_b32 s43, 0
	s_delay_alu instid0(VALU_DEP_1)
	v_max_i64 v[14:15], v[4:5], v[8:9]
	v_mov_b32_e32 v8, 0
	s_branch .LBB71_672
.LBB71_671:                             ;   in Loop: Header=BB71_672 Depth=1
	s_or_b32 exec_lo, exec_lo, s0
	s_delay_alu instid0(VALU_DEP_1) | instskip(SKIP_2) | instid1(SALU_CYCLE_1)
	v_cmp_eq_u64_e32 vcc_lo, 0, v[14:15]
	v_mov_b64_e32 v[10:11], v[12:13]
	s_or_b32 s43, vcc_lo, s43
	s_and_not1_b32 exec_lo, exec_lo, s43
	s_cbranch_execz .LBB71_677
.LBB71_672:                             ; =>This Inner Loop Header: Depth=1
	s_delay_alu instid0(VALU_DEP_2) | instskip(SKIP_1) | instid1(VALU_DEP_1)
	v_mov_b64_e32 v[12:13], v[14:15]
                                        ; implicit-def: $vgpr14_vgpr15
	s_mov_b32 s0, exec_lo
	v_or_b32_e32 v9, v11, v13
	s_delay_alu instid0(VALU_DEP_1)
	v_cmpx_ne_u64_e32 0, v[8:9]
	s_xor_b32 s44, exec_lo, s0
	s_cbranch_execz .LBB71_674
; %bb.673:                              ;   in Loop: Header=BB71_672 Depth=1
	s_delay_alu instid0(VALU_DEP_3) | instskip(SKIP_4) | instid1(VALU_DEP_4)
	v_cvt_f32_u32_e32 v1, v12
	v_cvt_f32_u32_e32 v3, v13
	v_sub_nc_u64_e32 v[16:17], 0, v[12:13]
	v_dual_mov_b32 v15, v8 :: v_dual_mov_b32 v23, v8
	v_mov_b32_e32 v25, v8
	v_fmac_f32_e32 v1, 0x4f800000, v3
	s_delay_alu instid0(VALU_DEP_1) | instskip(SKIP_1) | instid1(TRANS32_DEP_1)
	v_rcp_f32_e32 v1, v1
	v_nop
	v_mul_f32_e32 v1, 0x5f7ffffc, v1
	s_delay_alu instid0(VALU_DEP_1) | instskip(NEXT) | instid1(VALU_DEP_1)
	v_mul_f32_e32 v3, 0x2f800000, v1
	v_trunc_f32_e32 v3, v3
	s_delay_alu instid0(VALU_DEP_1) | instskip(SKIP_1) | instid1(VALU_DEP_2)
	v_fmac_f32_e32 v1, 0xcf800000, v3
	v_cvt_u32_f32_e32 v19, v3
	v_cvt_u32_f32_e32 v14, v1
	s_delay_alu instid0(VALU_DEP_1) | instskip(NEXT) | instid1(VALU_DEP_1)
	v_dual_mov_b32 v24, v19 :: v_dual_mov_b32 v18, v14
	v_mul_u64_e32 v[20:21], v[16:17], v[18:19]
	s_delay_alu instid0(VALU_DEP_1) | instskip(NEXT) | instid1(VALU_DEP_1)
	v_dual_mov_b32 v22, v21 :: v_dual_mov_b32 v21, v8
	v_mul_u64_e32 v[26:27], v[14:15], v[22:23]
	s_delay_alu instid0(VALU_DEP_2) | instskip(SKIP_2) | instid1(VALU_DEP_1)
	v_mul_u64_e32 v[28:29], v[24:25], v[20:21]
	v_mul_u64_e32 v[22:23], v[24:25], v[22:23]
	v_mul_hi_u32 v20, v14, v20
	v_add_nc_u64_e32 v[20:21], v[20:21], v[26:27]
	s_delay_alu instid0(VALU_DEP_1) | instskip(NEXT) | instid1(VALU_DEP_2)
	v_add_co_u32 v1, vcc_lo, v20, v28
	v_add_co_ci_u32_e32 v24, vcc_lo, v21, v29, vcc_lo
	v_add_co_ci_u32_e32 v23, vcc_lo, 0, v23, vcc_lo
	s_delay_alu instid0(VALU_DEP_1) | instskip(NEXT) | instid1(VALU_DEP_1)
	v_add_nc_u64_e32 v[20:21], v[24:25], v[22:23]
	v_add_co_u32 v14, vcc_lo, v14, v20
	s_delay_alu instid0(VALU_DEP_1) | instskip(SKIP_1) | instid1(VALU_DEP_2)
	v_add_co_ci_u32_e64 v18, null, v19, v21, vcc_lo
	v_dual_mov_b32 v21, v8 :: v_dual_mov_b32 v19, v8
	v_mov_b32_e32 v15, v18
	s_delay_alu instid0(VALU_DEP_1) | instskip(NEXT) | instid1(VALU_DEP_1)
	v_mul_u64_e32 v[16:17], v[16:17], v[14:15]
	v_dual_mov_b32 v15, v8 :: v_dual_mov_b32 v20, v17
	s_delay_alu instid0(VALU_DEP_2) | instskip(SKIP_1) | instid1(VALU_DEP_3)
	v_dual_mov_b32 v24, v16 :: v_dual_mov_b32 v17, v8
	v_mul_hi_u32 v16, v14, v16
	v_mul_u64_e32 v[22:23], v[14:15], v[20:21]
	s_delay_alu instid0(VALU_DEP_3) | instskip(SKIP_1) | instid1(VALU_DEP_3)
	v_mul_u64_e32 v[24:25], v[18:19], v[24:25]
	v_mul_u64_e32 v[20:21], v[18:19], v[20:21]
	v_add_nc_u64_e32 v[16:17], v[16:17], v[22:23]
	v_mov_b32_e32 v23, v8
	s_delay_alu instid0(VALU_DEP_2) | instskip(NEXT) | instid1(VALU_DEP_3)
	v_add_co_u32 v1, vcc_lo, v16, v24
	v_add_co_ci_u32_e32 v22, vcc_lo, v17, v25, vcc_lo
	v_add_co_ci_u32_e32 v21, vcc_lo, 0, v21, vcc_lo
	s_delay_alu instid0(VALU_DEP_1) | instskip(SKIP_1) | instid1(VALU_DEP_2)
	v_add_nc_u64_e32 v[16:17], v[22:23], v[20:21]
	v_dual_mov_b32 v20, v10 :: v_dual_mov_b32 v21, v8
	v_add_co_u32 v16, vcc_lo, v14, v16
	s_delay_alu instid0(VALU_DEP_1) | instskip(SKIP_1) | instid1(VALU_DEP_2)
	v_add_co_ci_u32_e64 v14, null, v18, v17, vcc_lo
	v_dual_mov_b32 v18, v11 :: v_dual_mov_b32 v17, v8
	v_mul_u64_e32 v[20:21], v[20:21], v[14:15]
	s_delay_alu instid0(VALU_DEP_2) | instskip(NEXT) | instid1(VALU_DEP_3)
	v_mul_u64_e32 v[14:15], v[18:19], v[14:15]
	v_mul_u64_e32 v[22:23], v[18:19], v[16:17]
	v_mul_hi_u32 v16, v10, v16
	s_delay_alu instid0(VALU_DEP_1) | instskip(NEXT) | instid1(VALU_DEP_1)
	v_add_nc_u64_e32 v[16:17], v[16:17], v[20:21]
	v_add_co_u32 v1, vcc_lo, v16, v22
	s_delay_alu instid0(VALU_DEP_2) | instskip(SKIP_1) | instid1(VALU_DEP_1)
	v_add_co_ci_u32_e32 v18, vcc_lo, v17, v23, vcc_lo
	v_add_co_ci_u32_e32 v15, vcc_lo, 0, v15, vcc_lo
	v_add_nc_u64_e32 v[14:15], v[18:19], v[14:15]
	s_delay_alu instid0(VALU_DEP_1) | instskip(NEXT) | instid1(VALU_DEP_1)
	v_mul_u64_e32 v[14:15], v[12:13], v[14:15]
	v_sub_nc_u32_e32 v1, v11, v15
	s_delay_alu instid0(VALU_DEP_2) | instskip(NEXT) | instid1(VALU_DEP_1)
	v_sub_co_u32 v3, vcc_lo, v10, v14
	v_sub_co_ci_u32_e64 v9, null, v11, v15, vcc_lo
	s_delay_alu instid0(VALU_DEP_3) | instskip(NEXT) | instid1(VALU_DEP_3)
	v_sub_co_ci_u32_e64 v1, null, v1, v13, vcc_lo
	v_sub_co_u32 v10, vcc_lo, v3, v12
	v_cmp_ge_u32_e64 s0, v3, v12
	s_delay_alu instid0(VALU_DEP_3) | instskip(SKIP_1) | instid1(VALU_DEP_3)
	v_subrev_co_ci_u32_e64 v11, null, 0, v1, vcc_lo
	v_sub_co_ci_u32_e64 v1, null, v1, v13, vcc_lo
	v_cndmask_b32_e64 v14, 0, -1, s0
	v_cmp_ge_u32_e64 s0, v10, v12
	v_cmp_ge_u32_e32 vcc_lo, v9, v13
	s_delay_alu instid0(VALU_DEP_2) | instskip(SKIP_3) | instid1(VALU_DEP_3)
	v_cndmask_b32_e64 v15, 0, -1, s0
	v_cmp_ge_u32_e64 s0, v11, v13
	v_cndmask_b32_e64 v17, 0, -1, vcc_lo
	v_cmp_eq_u32_e32 vcc_lo, v11, v13
	v_cndmask_b32_e64 v16, 0, -1, s0
	v_cmp_eq_u32_e64 s0, v9, v13
	s_delay_alu instid0(VALU_DEP_1) | instskip(SKIP_1) | instid1(VALU_DEP_1)
	v_dual_cndmask_b32 v15, v16, v15, vcc_lo :: v_dual_cndmask_b32 v14, v17, v14, s0
	v_sub_co_u32 v16, vcc_lo, v10, v12
	v_subrev_co_ci_u32_e64 v1, null, 0, v1, vcc_lo
	s_delay_alu instid0(VALU_DEP_3) | instskip(NEXT) | instid1(VALU_DEP_2)
	v_cmp_ne_u32_e32 vcc_lo, 0, v15
	v_dual_cndmask_b32 v1, v11, v1 :: v_dual_cndmask_b32 v10, v10, v16
	v_cmp_ne_u32_e32 vcc_lo, 0, v14
	s_delay_alu instid0(VALU_DEP_2)
	v_dual_cndmask_b32 v15, v9, v1 :: v_dual_cndmask_b32 v14, v3, v10
                                        ; implicit-def: $vgpr10_vgpr11
.LBB71_674:                             ;   in Loop: Header=BB71_672 Depth=1
	s_and_not1_saveexec_b32 s0, s44
	s_cbranch_execz .LBB71_671
; %bb.675:                              ;   in Loop: Header=BB71_672 Depth=1
	v_cvt_f32_u32_e32 v1, v12
	v_dual_sub_nc_u32 v3, 0, v12 :: v_dual_mov_b32 v15, v8
	s_delay_alu instid0(VALU_DEP_2) | instskip(SKIP_1) | instid1(TRANS32_DEP_1)
	v_rcp_iflag_f32_e32 v1, v1
	v_nop
	v_mul_f32_e32 v1, 0x4f7ffffe, v1
	s_delay_alu instid0(VALU_DEP_1) | instskip(NEXT) | instid1(VALU_DEP_1)
	v_cvt_u32_f32_e32 v1, v1
	v_mul_lo_u32 v3, v3, v1
	s_delay_alu instid0(VALU_DEP_1) | instskip(NEXT) | instid1(VALU_DEP_1)
	v_mul_hi_u32 v3, v1, v3
	v_add_nc_u32_e32 v1, v1, v3
	s_delay_alu instid0(VALU_DEP_1) | instskip(NEXT) | instid1(VALU_DEP_1)
	v_mul_hi_u32 v1, v10, v1
	v_mul_lo_u32 v1, v1, v12
	s_delay_alu instid0(VALU_DEP_1) | instskip(NEXT) | instid1(VALU_DEP_1)
	v_sub_nc_u32_e32 v1, v10, v1
	v_sub_nc_u32_e32 v3, v1, v12
	v_cmp_ge_u32_e32 vcc_lo, v1, v12
	s_delay_alu instid0(VALU_DEP_2) | instskip(NEXT) | instid1(VALU_DEP_1)
	v_cndmask_b32_e32 v1, v1, v3, vcc_lo
	v_sub_nc_u32_e32 v3, v1, v12
	v_cmp_ge_u32_e32 vcc_lo, v1, v12
	s_delay_alu instid0(VALU_DEP_2)
	v_cndmask_b32_e32 v14, v1, v3, vcc_lo
	s_branch .LBB71_671
.LBB71_676:
	s_mov_b32 s46, 0
	s_mov_b32 s0, s38
	s_branch .LBB71_807
.LBB71_677:
	s_or_b32 exec_lo, exec_lo, s43
	v_mov_b64_e32 v[10:11], v[12:13]
.LBB71_678:
	s_or_b32 exec_lo, exec_lo, s42
	v_mov_b64_e32 v[8:9], 0
	s_mov_b32 s42, exec_lo
	s_delay_alu instid0(VALU_DEP_2)
	v_cmpx_ne_u64_e32 0, v[10:11]
	s_cbranch_execz .LBB71_684
; %bb.679:
	v_dual_mov_b32 v8, 0 :: v_dual_bitop2_b32 v9, v5, v11 bitop3:0x54
                                        ; implicit-def: $vgpr12_vgpr13
	s_mov_b32 s0, exec_lo
	s_delay_alu instid0(VALU_DEP_1)
	v_cmpx_ne_u64_e32 0, v[8:9]
	s_xor_b32 s43, exec_lo, s0
	s_cbranch_execz .LBB71_681
; %bb.680:
	v_dual_mov_b32 v15, v8 :: v_dual_ashrrev_i32 v12, 31, v11
	v_dual_mov_b32 v23, v8 :: v_dual_mov_b32 v25, v8
	s_delay_alu instid0(VALU_DEP_2) | instskip(NEXT) | instid1(VALU_DEP_1)
	v_dual_mov_b32 v9, v8 :: v_dual_mov_b32 v13, v12
	v_add_nc_u64_e32 v[10:11], v[10:11], v[12:13]
	s_delay_alu instid0(VALU_DEP_1) | instskip(NEXT) | instid1(VALU_DEP_2)
	v_xor_b32_e32 v10, v10, v12
	v_xor_b32_e32 v11, v11, v12
	s_delay_alu instid0(VALU_DEP_2) | instskip(NEXT) | instid1(VALU_DEP_2)
	v_cvt_f32_u32_e32 v1, v10
	v_cvt_f32_u32_e32 v3, v11
	s_delay_alu instid0(VALU_DEP_1) | instskip(NEXT) | instid1(VALU_DEP_1)
	v_fmamk_f32 v1, v3, 0x4f800000, v1
	v_rcp_f32_e32 v1, v1
	v_nop
	s_delay_alu instid0(TRANS32_DEP_1) | instskip(NEXT) | instid1(VALU_DEP_1)
	v_mul_f32_e32 v1, 0x5f7ffffc, v1
	v_mul_f32_e32 v3, 0x2f800000, v1
	s_delay_alu instid0(VALU_DEP_1) | instskip(NEXT) | instid1(VALU_DEP_1)
	v_trunc_f32_e32 v3, v3
	v_fmamk_f32 v1, v3, 0xcf800000, v1
	v_cvt_u32_f32_e32 v19, v3
	s_delay_alu instid0(VALU_DEP_2) | instskip(NEXT) | instid1(VALU_DEP_1)
	v_cvt_u32_f32_e32 v14, v1
	v_dual_mov_b32 v24, v19 :: v_dual_mov_b32 v18, v14
	v_sub_nc_u64_e32 v[16:17], 0, v[10:11]
	s_delay_alu instid0(VALU_DEP_1) | instskip(NEXT) | instid1(VALU_DEP_1)
	v_mul_u64_e32 v[20:21], v[16:17], v[18:19]
	v_dual_mov_b32 v22, v21 :: v_dual_mov_b32 v21, v8
	s_delay_alu instid0(VALU_DEP_1) | instskip(NEXT) | instid1(VALU_DEP_2)
	v_mul_u64_e32 v[26:27], v[14:15], v[22:23]
	v_mul_u64_e32 v[28:29], v[24:25], v[20:21]
	;; [unrolled: 1-line block ×3, first 2 shown]
	v_mul_hi_u32 v20, v14, v20
	s_delay_alu instid0(VALU_DEP_1) | instskip(SKIP_1) | instid1(VALU_DEP_2)
	v_add_nc_u64_e32 v[20:21], v[20:21], v[26:27]
	v_ashrrev_i32_e32 v26, 31, v5
	v_add_co_u32 v1, vcc_lo, v20, v28
	s_delay_alu instid0(VALU_DEP_3) | instskip(SKIP_1) | instid1(VALU_DEP_1)
	v_add_co_ci_u32_e32 v24, vcc_lo, v21, v29, vcc_lo
	v_add_co_ci_u32_e32 v23, vcc_lo, 0, v23, vcc_lo
	v_add_nc_u64_e32 v[20:21], v[24:25], v[22:23]
	s_delay_alu instid0(VALU_DEP_1) | instskip(NEXT) | instid1(VALU_DEP_1)
	v_add_co_u32 v14, vcc_lo, v14, v20
	v_add_co_ci_u32_e64 v18, null, v19, v21, vcc_lo
	v_dual_mov_b32 v21, v8 :: v_dual_mov_b32 v19, v8
	s_delay_alu instid0(VALU_DEP_2) | instskip(NEXT) | instid1(VALU_DEP_1)
	v_mov_b32_e32 v15, v18
	v_mul_u64_e32 v[16:17], v[16:17], v[14:15]
	s_delay_alu instid0(VALU_DEP_1) | instskip(NEXT) | instid1(VALU_DEP_2)
	v_dual_mov_b32 v15, v8 :: v_dual_mov_b32 v20, v17
	v_dual_mov_b32 v24, v16 :: v_dual_mov_b32 v17, v8
	v_mul_hi_u32 v16, v14, v16
	s_delay_alu instid0(VALU_DEP_3) | instskip(NEXT) | instid1(VALU_DEP_3)
	v_mul_u64_e32 v[22:23], v[14:15], v[20:21]
	v_mul_u64_e32 v[24:25], v[18:19], v[24:25]
	;; [unrolled: 1-line block ×3, first 2 shown]
	s_delay_alu instid0(VALU_DEP_3) | instskip(SKIP_1) | instid1(VALU_DEP_2)
	v_add_nc_u64_e32 v[16:17], v[16:17], v[22:23]
	v_dual_mov_b32 v23, v8 :: v_dual_mov_b32 v27, v26
	v_add_co_u32 v1, vcc_lo, v16, v24
	s_delay_alu instid0(VALU_DEP_3) | instskip(SKIP_1) | instid1(VALU_DEP_1)
	v_add_co_ci_u32_e32 v22, vcc_lo, v17, v25, vcc_lo
	v_add_co_ci_u32_e32 v21, vcc_lo, 0, v21, vcc_lo
	v_add_nc_u64_e32 v[16:17], v[22:23], v[20:21]
	v_mov_b32_e32 v21, v8
	v_add_nc_u64_e32 v[4:5], v[4:5], v[26:27]
	s_delay_alu instid0(VALU_DEP_3) | instskip(NEXT) | instid1(VALU_DEP_1)
	v_add_co_u32 v16, vcc_lo, v14, v16
	v_add_co_ci_u32_e64 v14, null, v18, v17, vcc_lo
	s_delay_alu instid0(VALU_DEP_3) | instskip(NEXT) | instid1(VALU_DEP_4)
	v_dual_mov_b32 v17, v8 :: v_dual_bitop2_b32 v18, v5, v26 bitop3:0x14
	v_xor_b32_e32 v20, v4, v26
	s_delay_alu instid0(VALU_DEP_2) | instskip(NEXT) | instid1(VALU_DEP_2)
	v_mul_u64_e32 v[4:5], v[18:19], v[16:17]
	v_mul_u64_e32 v[22:23], v[20:21], v[14:15]
	;; [unrolled: 1-line block ×3, first 2 shown]
	v_mul_hi_u32 v16, v20, v16
	s_delay_alu instid0(VALU_DEP_1) | instskip(NEXT) | instid1(VALU_DEP_1)
	v_add_nc_u64_e32 v[16:17], v[16:17], v[22:23]
	v_add_co_u32 v1, vcc_lo, v16, v4
	s_delay_alu instid0(VALU_DEP_2) | instskip(SKIP_1) | instid1(VALU_DEP_1)
	v_add_co_ci_u32_e32 v8, vcc_lo, v17, v5, vcc_lo
	v_add_co_ci_u32_e32 v15, vcc_lo, 0, v15, vcc_lo
	v_add_nc_u64_e32 v[4:5], v[8:9], v[14:15]
	s_delay_alu instid0(VALU_DEP_1) | instskip(SKIP_1) | instid1(VALU_DEP_2)
	v_mul_u64_e32 v[8:9], v[10:11], v[4:5]
	v_add_nc_u64_e32 v[14:15], 1, v[4:5]
	v_sub_nc_u32_e32 v1, v18, v9
	s_delay_alu instid0(VALU_DEP_3) | instskip(NEXT) | instid1(VALU_DEP_1)
	v_sub_co_u32 v3, vcc_lo, v20, v8
	v_sub_co_ci_u32_e64 v13, null, v18, v9, vcc_lo
	s_delay_alu instid0(VALU_DEP_3) | instskip(NEXT) | instid1(VALU_DEP_3)
	v_sub_co_ci_u32_e64 v1, null, v1, v11, vcc_lo
	v_sub_co_u32 v8, s0, v3, v10
	s_delay_alu instid0(VALU_DEP_1) | instskip(NEXT) | instid1(VALU_DEP_2)
	v_subrev_co_ci_u32_e64 v1, null, 0, v1, s0
	v_cmp_ge_u32_e32 vcc_lo, v8, v10
	v_cndmask_b32_e64 v8, 0, -1, vcc_lo
	s_delay_alu instid0(VALU_DEP_3)
	v_cmp_ge_u32_e32 vcc_lo, v1, v11
	v_cndmask_b32_e64 v9, 0, -1, vcc_lo
	v_cmp_ge_u32_e32 vcc_lo, v3, v10
	v_cndmask_b32_e64 v3, 0, -1, vcc_lo
	;; [unrolled: 2-line block ×3, first 2 shown]
	v_cmp_eq_u32_e32 vcc_lo, v1, v11
	v_cndmask_b32_e32 v1, v9, v8, vcc_lo
	v_cmp_eq_u32_e32 vcc_lo, v13, v11
	v_add_nc_u64_e32 v[8:9], 2, v[4:5]
	v_cndmask_b32_e32 v3, v10, v3, vcc_lo
	s_delay_alu instid0(VALU_DEP_4) | instskip(NEXT) | instid1(VALU_DEP_2)
	v_cmp_ne_u32_e32 vcc_lo, 0, v1
                                        ; implicit-def: $vgpr10_vgpr11
	v_cmp_ne_u32_e64 s0, 0, v3
	s_delay_alu instid0(VALU_DEP_4) | instskip(NEXT) | instid1(VALU_DEP_1)
	v_dual_cndmask_b32 v1, v15, v9, vcc_lo :: v_dual_cndmask_b32 v3, v14, v8, vcc_lo
	v_dual_cndmask_b32 v1, v5, v1, s0 :: v_dual_bitop2_b32 v8, v26, v12 bitop3:0x14
	s_delay_alu instid0(VALU_DEP_2) | instskip(NEXT) | instid1(VALU_DEP_2)
	v_cndmask_b32_e64 v3, v4, v3, s0
	v_dual_mov_b32 v9, v8 :: v_dual_bitop2_b32 v5, v1, v8 bitop3:0x14
	s_delay_alu instid0(VALU_DEP_2) | instskip(NEXT) | instid1(VALU_DEP_1)
	v_xor_b32_e32 v4, v3, v8
	v_sub_nc_u64_e32 v[12:13], v[4:5], v[8:9]
                                        ; implicit-def: $vgpr4_vgpr5
.LBB71_681:
	s_and_not1_saveexec_b32 s0, s43
	s_cbranch_execz .LBB71_683
; %bb.682:
	v_cvt_f32_u32_e32 v1, v10
	v_dual_sub_nc_u32 v3, 0, v10 :: v_dual_mov_b32 v13, 0
	s_delay_alu instid0(VALU_DEP_2) | instskip(SKIP_1) | instid1(TRANS32_DEP_1)
	v_rcp_iflag_f32_e32 v1, v1
	v_nop
	v_mul_f32_e32 v1, 0x4f7ffffe, v1
	s_delay_alu instid0(VALU_DEP_1) | instskip(NEXT) | instid1(VALU_DEP_1)
	v_cvt_u32_f32_e32 v1, v1
	v_mul_lo_u32 v3, v3, v1
	s_delay_alu instid0(VALU_DEP_1) | instskip(NEXT) | instid1(VALU_DEP_1)
	v_mul_hi_u32 v3, v1, v3
	v_add_nc_u32_e32 v1, v1, v3
	s_delay_alu instid0(VALU_DEP_1) | instskip(NEXT) | instid1(VALU_DEP_1)
	v_mul_hi_u32 v1, v4, v1
	v_mul_lo_u32 v3, v1, v10
	s_delay_alu instid0(VALU_DEP_1) | instskip(NEXT) | instid1(VALU_DEP_1)
	v_dual_sub_nc_u32 v3, v4, v3 :: v_dual_add_nc_u32 v4, 1, v1
	v_cmp_ge_u32_e32 vcc_lo, v3, v10
	s_delay_alu instid0(VALU_DEP_2) | instskip(NEXT) | instid1(VALU_DEP_1)
	v_dual_sub_nc_u32 v5, v3, v10 :: v_dual_cndmask_b32 v1, v1, v4, vcc_lo
	v_add_nc_u32_e32 v4, 1, v1
	s_delay_alu instid0(VALU_DEP_2) | instskip(NEXT) | instid1(VALU_DEP_1)
	v_cndmask_b32_e32 v3, v3, v5, vcc_lo
	v_cmp_ge_u32_e32 vcc_lo, v3, v10
	s_delay_alu instid0(VALU_DEP_3)
	v_cndmask_b32_e32 v12, v1, v4, vcc_lo
.LBB71_683:
	s_or_b32 exec_lo, exec_lo, s0
	s_delay_alu instid0(VALU_DEP_1) | instskip(NEXT) | instid1(VALU_DEP_1)
	v_mul_u64_e32 v[4:5], v[12:13], v[6:7]
	v_sub_nc_u64_e32 v[6:7], 0, v[4:5]
	s_delay_alu instid0(VALU_DEP_1)
	v_max_i64 v[8:9], v[4:5], v[6:7]
.LBB71_684:
	s_or_b32 exec_lo, exec_lo, s42
	v_mov_b32_e32 v3, 0
	s_and_b32 s42, s31, 0xff
	s_delay_alu instid0(SALU_CYCLE_1) | instskip(NEXT) | instid1(VALU_DEP_1)
	s_cmp_lt_i32 s42, 11
	v_add_nc_u64_e32 v[2:3], s[4:5], v[2:3]
	s_cbranch_scc1 .LBB71_691
; %bb.685:
	s_and_b32 s43, 0xffff, s42
	s_delay_alu instid0(SALU_CYCLE_1)
	s_cmp_gt_i32 s43, 25
	s_cbranch_scc0 .LBB71_692
; %bb.686:
	s_cmp_gt_i32 s43, 28
	s_cbranch_scc0 .LBB71_693
; %bb.687:
	;; [unrolled: 3-line block ×4, first 2 shown]
	s_mov_b32 s46, 0
	s_mov_b32 s0, -1
	s_cmp_eq_u32 s43, 46
	s_mov_b32 s44, 0
	s_cbranch_scc0 .LBB71_696
; %bb.690:
	s_delay_alu instid0(VALU_DEP_3) | instskip(SKIP_2) | instid1(VALU_DEP_1)
	v_clz_i32_u32_e32 v1, v9
	s_mov_b32 s44, -1
	s_mov_b32 s0, 0
	v_min_u32_e32 v1, 32, v1
	s_delay_alu instid0(VALU_DEP_1) | instskip(SKIP_1) | instid1(VALU_DEP_2)
	v_lshlrev_b64_e32 v[4:5], v1, v[8:9]
	v_sub_nc_u32_e32 v1, 32, v1
	v_min_u32_e32 v4, 1, v4
	s_delay_alu instid0(VALU_DEP_1) | instskip(NEXT) | instid1(VALU_DEP_1)
	v_or_b32_e32 v4, v5, v4
	v_cvt_f32_u32_e32 v4, v4
	s_delay_alu instid0(VALU_DEP_1) | instskip(NEXT) | instid1(VALU_DEP_1)
	v_ldexp_f32 v1, v4, v1
	v_bfe_u32 v4, v1, 16, 1
	s_delay_alu instid0(VALU_DEP_1) | instskip(NEXT) | instid1(VALU_DEP_1)
	v_add3_u32 v1, v1, v4, 0x7fff
	v_lshrrev_b32_e32 v1, 16, v1
	global_store_b32 v[2:3], v1, off
	s_branch .LBB71_696
.LBB71_691:
	s_mov_b32 s43, -1
	s_mov_b32 s44, 0
	s_mov_b32 s0, s38
	s_branch .LBB71_765
.LBB71_692:
	s_mov_b32 s46, -1
	s_mov_b32 s44, 0
	s_mov_b32 s0, s38
	s_branch .LBB71_723
.LBB71_693:
	s_mov_b32 s46, -1
	s_mov_b32 s44, 0
	s_mov_b32 s0, s38
	s_branch .LBB71_706
.LBB71_694:
	s_mov_b32 s46, -1
	s_mov_b32 s44, 0
	s_mov_b32 s0, s38
	s_branch .LBB71_702
.LBB71_695:
	s_mov_b32 s46, -1
	s_mov_b32 s44, 0
	s_mov_b32 s0, s38
.LBB71_696:
	s_and_b32 vcc_lo, exec_lo, s46
	s_cbranch_vccz .LBB71_701
; %bb.697:
	s_cmp_eq_u32 s43, 44
	s_mov_b32 s0, -1
	s_cbranch_scc0 .LBB71_701
; %bb.698:
	s_wait_xcnt 0x0
	s_delay_alu instid0(VALU_DEP_3) | instskip(SKIP_1) | instid1(VALU_DEP_1)
	v_clz_i32_u32_e32 v1, v9
	s_mov_b32 s44, exec_lo
	v_min_u32_e32 v1, 32, v1
	s_delay_alu instid0(VALU_DEP_1) | instskip(SKIP_1) | instid1(VALU_DEP_2)
	v_lshlrev_b64_e32 v[4:5], v1, v[8:9]
	v_sub_nc_u32_e32 v1, 32, v1
	v_min_u32_e32 v4, 1, v4
	s_delay_alu instid0(VALU_DEP_1) | instskip(NEXT) | instid1(VALU_DEP_1)
	v_or_b32_e32 v4, v5, v4
	v_cvt_f32_u32_e32 v4, v4
	s_delay_alu instid0(VALU_DEP_1) | instskip(NEXT) | instid1(VALU_DEP_1)
	v_ldexp_f32 v5, v4, v1
	v_dual_mov_b32 v4, 0xff :: v_dual_lshrrev_b32 v1, 23, v5
	s_delay_alu instid0(VALU_DEP_1)
	v_cmpx_ne_u32_e32 0xff, v1
; %bb.699:
	v_and_b32_e32 v4, 0x400000, v5
	v_and_or_b32 v5, 0x3fffff, v5, v1
	s_delay_alu instid0(VALU_DEP_2) | instskip(NEXT) | instid1(VALU_DEP_2)
	v_cmp_ne_u32_e32 vcc_lo, 0, v4
	v_cmp_ne_u32_e64 s0, 0, v5
	s_and_b32 s0, vcc_lo, s0
	s_delay_alu instid0(SALU_CYCLE_1) | instskip(NEXT) | instid1(VALU_DEP_1)
	v_cndmask_b32_e64 v4, 0, 1, s0
	v_add_nc_u32_e32 v4, v1, v4
; %bb.700:
	s_or_b32 exec_lo, exec_lo, s44
	s_mov_b32 s44, -1
	s_mov_b32 s0, 0
	global_store_b8 v[2:3], v4, off
.LBB71_701:
	s_mov_b32 s46, 0
.LBB71_702:
	s_delay_alu instid0(SALU_CYCLE_1)
	s_and_b32 vcc_lo, exec_lo, s46
	s_cbranch_vccz .LBB71_705
; %bb.703:
	s_cmp_eq_u32 s43, 29
	s_mov_b32 s0, -1
	s_cbranch_scc0 .LBB71_705
; %bb.704:
	s_mov_b32 s44, -1
	s_mov_b32 s0, 0
	global_store_b64 v[2:3], v[8:9], off
.LBB71_705:
	s_mov_b32 s46, 0
.LBB71_706:
	s_delay_alu instid0(SALU_CYCLE_1)
	s_and_b32 vcc_lo, exec_lo, s46
	s_cbranch_vccz .LBB71_722
; %bb.707:
	s_cmp_lt_i32 s43, 27
	s_mov_b32 s44, -1
	s_cbranch_scc1 .LBB71_713
; %bb.708:
	s_cmp_gt_i32 s43, 27
	s_cbranch_scc0 .LBB71_710
; %bb.709:
	s_mov_b32 s44, 0
	global_store_b32 v[2:3], v8, off
.LBB71_710:
	s_and_not1_b32 vcc_lo, exec_lo, s44
	s_cbranch_vccnz .LBB71_712
; %bb.711:
	global_store_b16 v[2:3], v8, off
.LBB71_712:
	s_mov_b32 s44, 0
.LBB71_713:
	s_delay_alu instid0(SALU_CYCLE_1)
	s_and_not1_b32 vcc_lo, exec_lo, s44
	s_cbranch_vccnz .LBB71_721
; %bb.714:
	s_wait_xcnt 0x0
	s_delay_alu instid0(VALU_DEP_3) | instskip(SKIP_1) | instid1(VALU_DEP_1)
	v_clz_i32_u32_e32 v1, v9
	s_mov_b32 s44, exec_lo
	v_min_u32_e32 v1, 32, v1
	s_delay_alu instid0(VALU_DEP_1) | instskip(SKIP_1) | instid1(VALU_DEP_2)
	v_lshlrev_b64_e32 v[4:5], v1, v[8:9]
	v_sub_nc_u32_e32 v1, 32, v1
	v_min_u32_e32 v4, 1, v4
	s_delay_alu instid0(VALU_DEP_1) | instskip(SKIP_1) | instid1(VALU_DEP_2)
	v_or_b32_e32 v4, v5, v4
	v_mov_b32_e32 v5, 0x80
	v_cvt_f32_u32_e32 v4, v4
	s_delay_alu instid0(VALU_DEP_1) | instskip(NEXT) | instid1(VALU_DEP_1)
	v_ldexp_f32 v4, v4, v1
	v_cmpx_gt_u32_e32 0x43800000, v4
	s_cbranch_execz .LBB71_720
; %bb.715:
	s_mov_b32 s46, 0
	s_mov_b32 s47, exec_lo
                                        ; implicit-def: $vgpr1
	v_cmpx_lt_u32_e32 0x3bffffff, v4
	s_xor_b32 s47, exec_lo, s47
	s_cbranch_execz .LBB71_835
; %bb.716:
	v_bfe_u32 v1, v4, 20, 1
	s_mov_b32 s46, exec_lo
	s_delay_alu instid0(VALU_DEP_1) | instskip(NEXT) | instid1(VALU_DEP_1)
	v_add3_u32 v1, v4, v1, 0x487ffff
                                        ; implicit-def: $vgpr4
	v_lshrrev_b32_e32 v1, 20, v1
	s_and_not1_saveexec_b32 s47, s47
	s_cbranch_execnz .LBB71_836
.LBB71_717:
	s_or_b32 exec_lo, exec_lo, s47
	v_mov_b32_e32 v5, 0
	s_and_saveexec_b32 s47, s46
.LBB71_718:
	v_mov_b32_e32 v5, v1
.LBB71_719:
	s_or_b32 exec_lo, exec_lo, s47
.LBB71_720:
	s_delay_alu instid0(SALU_CYCLE_1)
	s_or_b32 exec_lo, exec_lo, s44
	global_store_b8 v[2:3], v5, off
.LBB71_721:
	s_mov_b32 s44, -1
.LBB71_722:
	s_mov_b32 s46, 0
.LBB71_723:
	s_delay_alu instid0(SALU_CYCLE_1)
	s_and_b32 vcc_lo, exec_lo, s46
	s_cbranch_vccz .LBB71_764
; %bb.724:
	s_cmp_gt_i32 s43, 22
	s_mov_b32 s46, -1
	s_cbranch_scc0 .LBB71_756
; %bb.725:
	s_cmp_lt_i32 s43, 24
	s_mov_b32 s44, -1
	s_cbranch_scc1 .LBB71_745
; %bb.726:
	s_cmp_gt_i32 s43, 24
	s_cbranch_scc0 .LBB71_734
; %bb.727:
	s_wait_xcnt 0x0
	s_delay_alu instid0(VALU_DEP_3) | instskip(SKIP_1) | instid1(VALU_DEP_1)
	v_clz_i32_u32_e32 v1, v9
	s_mov_b32 s44, exec_lo
	v_min_u32_e32 v1, 32, v1
	s_delay_alu instid0(VALU_DEP_1) | instskip(SKIP_1) | instid1(VALU_DEP_2)
	v_lshlrev_b64_e32 v[4:5], v1, v[8:9]
	v_sub_nc_u32_e32 v1, 32, v1
	v_min_u32_e32 v4, 1, v4
	s_delay_alu instid0(VALU_DEP_1) | instskip(SKIP_1) | instid1(VALU_DEP_2)
	v_or_b32_e32 v4, v5, v4
	v_mov_b32_e32 v5, 0x80
	v_cvt_f32_u32_e32 v4, v4
	s_delay_alu instid0(VALU_DEP_1) | instskip(NEXT) | instid1(VALU_DEP_1)
	v_ldexp_f32 v4, v4, v1
	v_cmpx_gt_u32_e32 0x47800000, v4
	s_cbranch_execz .LBB71_733
; %bb.728:
	s_mov_b32 s46, 0
	s_mov_b32 s47, exec_lo
                                        ; implicit-def: $vgpr1
	v_cmpx_lt_u32_e32 0x37ffffff, v4
	s_xor_b32 s47, exec_lo, s47
	s_cbranch_execz .LBB71_963
; %bb.729:
	v_bfe_u32 v1, v4, 21, 1
	s_mov_b32 s46, exec_lo
	s_delay_alu instid0(VALU_DEP_1) | instskip(NEXT) | instid1(VALU_DEP_1)
	v_add3_u32 v1, v4, v1, 0x88fffff
                                        ; implicit-def: $vgpr4
	v_lshrrev_b32_e32 v1, 21, v1
	s_and_not1_saveexec_b32 s47, s47
	s_cbranch_execnz .LBB71_964
.LBB71_730:
	s_or_b32 exec_lo, exec_lo, s47
	v_mov_b32_e32 v5, 0
	s_and_saveexec_b32 s47, s46
.LBB71_731:
	v_mov_b32_e32 v5, v1
.LBB71_732:
	s_or_b32 exec_lo, exec_lo, s47
.LBB71_733:
	s_delay_alu instid0(SALU_CYCLE_1)
	s_or_b32 exec_lo, exec_lo, s44
	s_mov_b32 s44, 0
	global_store_b8 v[2:3], v5, off
.LBB71_734:
	s_and_b32 vcc_lo, exec_lo, s44
	s_cbranch_vccz .LBB71_744
; %bb.735:
	s_wait_xcnt 0x0
	s_delay_alu instid0(VALU_DEP_3) | instskip(SKIP_1) | instid1(VALU_DEP_1)
	v_clz_i32_u32_e32 v1, v9
	s_mov_b32 s44, exec_lo
	v_min_u32_e32 v1, 32, v1
	s_delay_alu instid0(VALU_DEP_1) | instskip(SKIP_1) | instid1(VALU_DEP_2)
	v_lshlrev_b64_e32 v[4:5], v1, v[8:9]
	v_sub_nc_u32_e32 v1, 32, v1
	v_min_u32_e32 v4, 1, v4
	s_delay_alu instid0(VALU_DEP_1) | instskip(NEXT) | instid1(VALU_DEP_1)
	v_or_b32_e32 v4, v5, v4
	v_cvt_f32_u32_e32 v4, v4
	s_delay_alu instid0(VALU_DEP_1) | instskip(NEXT) | instid1(VALU_DEP_1)
	v_ldexp_f32 v4, v4, v1
                                        ; implicit-def: $vgpr1
	v_cmpx_gt_u32_e32 0x43f00000, v4
	s_xor_b32 s44, exec_lo, s44
	s_cbranch_execz .LBB71_741
; %bb.736:
	s_mov_b32 s46, exec_lo
                                        ; implicit-def: $vgpr1
	v_cmpx_lt_u32_e32 0x3c7fffff, v4
	s_xor_b32 s46, exec_lo, s46
; %bb.737:
	v_bfe_u32 v1, v4, 20, 1
	s_delay_alu instid0(VALU_DEP_1) | instskip(NEXT) | instid1(VALU_DEP_1)
	v_add3_u32 v1, v4, v1, 0x407ffff
	v_and_b32_e32 v4, 0xff00000, v1
	v_lshrrev_b32_e32 v1, 20, v1
	s_delay_alu instid0(VALU_DEP_2) | instskip(NEXT) | instid1(VALU_DEP_2)
	v_cmp_ne_u32_e32 vcc_lo, 0x7f00000, v4
                                        ; implicit-def: $vgpr4
	v_cndmask_b32_e32 v1, 0x7e, v1, vcc_lo
; %bb.738:
	s_and_not1_saveexec_b32 s46, s46
; %bb.739:
	v_add_f32_e32 v1, 0x46800000, v4
; %bb.740:
	s_or_b32 exec_lo, exec_lo, s46
                                        ; implicit-def: $vgpr4
.LBB71_741:
	s_and_not1_saveexec_b32 s44, s44
; %bb.742:
	v_mov_b32_e32 v1, 0x7f
	v_cmp_lt_u32_e32 vcc_lo, 0x7f800000, v4
	s_delay_alu instid0(VALU_DEP_2)
	v_cndmask_b32_e32 v1, 0x7e, v1, vcc_lo
; %bb.743:
	s_or_b32 exec_lo, exec_lo, s44
	global_store_b8 v[2:3], v1, off
.LBB71_744:
	s_mov_b32 s44, 0
.LBB71_745:
	s_delay_alu instid0(SALU_CYCLE_1)
	s_and_not1_b32 vcc_lo, exec_lo, s44
	s_cbranch_vccnz .LBB71_755
; %bb.746:
	s_wait_xcnt 0x0
	s_delay_alu instid0(VALU_DEP_3) | instskip(SKIP_1) | instid1(VALU_DEP_1)
	v_clz_i32_u32_e32 v1, v9
	s_mov_b32 s44, exec_lo
	v_min_u32_e32 v1, 32, v1
	s_delay_alu instid0(VALU_DEP_1) | instskip(SKIP_1) | instid1(VALU_DEP_2)
	v_lshlrev_b64_e32 v[4:5], v1, v[8:9]
	v_sub_nc_u32_e32 v1, 32, v1
	v_min_u32_e32 v4, 1, v4
	s_delay_alu instid0(VALU_DEP_1) | instskip(NEXT) | instid1(VALU_DEP_1)
	v_or_b32_e32 v4, v5, v4
	v_cvt_f32_u32_e32 v4, v4
	s_delay_alu instid0(VALU_DEP_1) | instskip(NEXT) | instid1(VALU_DEP_1)
	v_ldexp_f32 v4, v4, v1
                                        ; implicit-def: $vgpr1
	v_cmpx_gt_u32_e32 0x47800000, v4
	s_xor_b32 s44, exec_lo, s44
	s_cbranch_execz .LBB71_752
; %bb.747:
	s_mov_b32 s46, exec_lo
                                        ; implicit-def: $vgpr1
	v_cmpx_lt_u32_e32 0x387fffff, v4
	s_xor_b32 s46, exec_lo, s46
; %bb.748:
	v_bfe_u32 v1, v4, 21, 1
	s_delay_alu instid0(VALU_DEP_1) | instskip(NEXT) | instid1(VALU_DEP_1)
	v_add3_u32 v1, v4, v1, 0x80fffff
                                        ; implicit-def: $vgpr4
	v_lshrrev_b32_e32 v1, 21, v1
; %bb.749:
	s_and_not1_saveexec_b32 s46, s46
; %bb.750:
	v_add_f32_e32 v1, 0x43000000, v4
; %bb.751:
	s_or_b32 exec_lo, exec_lo, s46
                                        ; implicit-def: $vgpr4
.LBB71_752:
	s_and_not1_saveexec_b32 s44, s44
; %bb.753:
	v_mov_b32_e32 v1, 0x7f
	v_cmp_lt_u32_e32 vcc_lo, 0x7f800000, v4
	s_delay_alu instid0(VALU_DEP_2)
	v_cndmask_b32_e32 v1, 0x7c, v1, vcc_lo
; %bb.754:
	s_or_b32 exec_lo, exec_lo, s44
	global_store_b8 v[2:3], v1, off
.LBB71_755:
	s_mov_b32 s46, 0
	s_mov_b32 s44, -1
.LBB71_756:
	s_and_not1_b32 vcc_lo, exec_lo, s46
	s_cbranch_vccnz .LBB71_764
; %bb.757:
	s_cmp_gt_i32 s43, 14
	s_mov_b32 s46, -1
	s_cbranch_scc0 .LBB71_761
; %bb.758:
	s_cmp_eq_u32 s43, 15
	s_mov_b32 s0, -1
	s_cbranch_scc0 .LBB71_760
; %bb.759:
	s_wait_xcnt 0x0
	s_delay_alu instid0(VALU_DEP_3) | instskip(SKIP_2) | instid1(VALU_DEP_1)
	v_clz_i32_u32_e32 v1, v9
	s_mov_b32 s44, -1
	s_mov_b32 s0, 0
	v_min_u32_e32 v1, 32, v1
	s_delay_alu instid0(VALU_DEP_1) | instskip(SKIP_1) | instid1(VALU_DEP_2)
	v_lshlrev_b64_e32 v[4:5], v1, v[8:9]
	v_sub_nc_u32_e32 v1, 32, v1
	v_min_u32_e32 v4, 1, v4
	s_delay_alu instid0(VALU_DEP_1) | instskip(NEXT) | instid1(VALU_DEP_1)
	v_or_b32_e32 v4, v5, v4
	v_cvt_f32_u32_e32 v4, v4
	s_delay_alu instid0(VALU_DEP_1) | instskip(NEXT) | instid1(VALU_DEP_1)
	v_ldexp_f32 v1, v4, v1
	v_bfe_u32 v4, v1, 16, 1
	s_delay_alu instid0(VALU_DEP_1)
	v_add3_u32 v1, v1, v4, 0x7fff
	global_store_d16_hi_b16 v[2:3], v1, off
.LBB71_760:
	s_mov_b32 s46, 0
.LBB71_761:
	s_delay_alu instid0(SALU_CYCLE_1)
	s_and_b32 vcc_lo, exec_lo, s46
	s_cbranch_vccz .LBB71_764
; %bb.762:
	s_cmp_eq_u32 s43, 11
	s_mov_b32 s0, -1
	s_cbranch_scc0 .LBB71_764
; %bb.763:
	s_delay_alu instid0(VALU_DEP_3)
	v_cmp_ne_u64_e32 vcc_lo, 0, v[8:9]
	s_mov_b32 s44, -1
	s_mov_b32 s0, 0
	s_wait_xcnt 0x0
	v_cndmask_b32_e64 v1, 0, 1, vcc_lo
	global_store_b8 v[2:3], v1, off
.LBB71_764:
	s_mov_b32 s43, 0
.LBB71_765:
	s_delay_alu instid0(SALU_CYCLE_1)
	s_and_b32 vcc_lo, exec_lo, s43
	s_cbranch_vccz .LBB71_804
; %bb.766:
	s_and_b32 s42, 0xffff, s42
	s_mov_b32 s43, -1
	s_cmp_lt_i32 s42, 5
	s_cbranch_scc1 .LBB71_787
; %bb.767:
	s_cmp_lt_i32 s42, 8
	s_cbranch_scc1 .LBB71_777
; %bb.768:
	;; [unrolled: 3-line block ×3, first 2 shown]
	s_cmp_gt_i32 s42, 9
	s_cbranch_scc0 .LBB71_771
; %bb.770:
	s_wait_xcnt 0x0
	s_delay_alu instid0(VALU_DEP_3) | instskip(NEXT) | instid1(VALU_DEP_4)
	v_cvt_f64_u32_e32 v[4:5], v9
	v_cvt_f64_u32_e32 v[6:7], v8
	s_mov_b32 s43, 0
	s_delay_alu instid0(VALU_DEP_2) | instskip(NEXT) | instid1(VALU_DEP_1)
	v_ldexp_f64 v[4:5], v[4:5], 32
	v_dual_add_f64 v[4:5], v[4:5], v[6:7] :: v_dual_mov_b32 v6, 0
	s_delay_alu instid0(VALU_DEP_1)
	v_mov_b32_e32 v7, v6
	global_store_b128 v[2:3], v[4:7], off
.LBB71_771:
	s_and_not1_b32 vcc_lo, exec_lo, s43
	s_cbranch_vccnz .LBB71_773
; %bb.772:
	s_wait_xcnt 0x0
	s_delay_alu instid0(VALU_DEP_3) | instskip(NEXT) | instid1(VALU_DEP_1)
	v_clz_i32_u32_e32 v1, v9
	v_min_u32_e32 v1, 32, v1
	s_delay_alu instid0(VALU_DEP_1) | instskip(SKIP_1) | instid1(VALU_DEP_2)
	v_lshlrev_b64_e32 v[4:5], v1, v[8:9]
	v_sub_nc_u32_e32 v1, 32, v1
	v_min_u32_e32 v4, 1, v4
	s_delay_alu instid0(VALU_DEP_1) | instskip(NEXT) | instid1(VALU_DEP_1)
	v_dual_mov_b32 v5, 0 :: v_dual_bitop2_b32 v4, v5, v4 bitop3:0x54
	v_cvt_f32_u32_e32 v4, v4
	s_delay_alu instid0(VALU_DEP_1)
	v_ldexp_f32 v4, v4, v1
	global_store_b64 v[2:3], v[4:5], off
.LBB71_773:
	s_mov_b32 s43, 0
.LBB71_774:
	s_delay_alu instid0(SALU_CYCLE_1)
	s_and_not1_b32 vcc_lo, exec_lo, s43
	s_cbranch_vccnz .LBB71_776
; %bb.775:
	s_wait_xcnt 0x0
	s_delay_alu instid0(VALU_DEP_3) | instskip(NEXT) | instid1(VALU_DEP_1)
	v_clz_i32_u32_e32 v1, v9
	v_min_u32_e32 v1, 32, v1
	s_delay_alu instid0(VALU_DEP_1) | instskip(SKIP_1) | instid1(VALU_DEP_2)
	v_lshlrev_b64_e32 v[4:5], v1, v[8:9]
	v_sub_nc_u32_e32 v1, 32, v1
	v_min_u32_e32 v4, 1, v4
	s_delay_alu instid0(VALU_DEP_1) | instskip(NEXT) | instid1(VALU_DEP_1)
	v_or_b32_e32 v4, v5, v4
	v_cvt_f32_u32_e32 v4, v4
	s_delay_alu instid0(VALU_DEP_1) | instskip(NEXT) | instid1(VALU_DEP_1)
	v_ldexp_f32 v1, v4, v1
	v_cvt_f16_f32_e32 v1, v1
	s_delay_alu instid0(VALU_DEP_1)
	v_and_b32_e32 v1, 0xffff, v1
	global_store_b32 v[2:3], v1, off
.LBB71_776:
	s_mov_b32 s43, 0
.LBB71_777:
	s_delay_alu instid0(SALU_CYCLE_1)
	s_and_not1_b32 vcc_lo, exec_lo, s43
	s_cbranch_vccnz .LBB71_786
; %bb.778:
	s_cmp_lt_i32 s42, 6
	s_mov_b32 s43, -1
	s_cbranch_scc1 .LBB71_784
; %bb.779:
	s_cmp_gt_i32 s42, 6
	s_cbranch_scc0 .LBB71_781
; %bb.780:
	s_wait_xcnt 0x0
	s_delay_alu instid0(VALU_DEP_3) | instskip(NEXT) | instid1(VALU_DEP_4)
	v_cvt_f64_u32_e32 v[4:5], v9
	v_cvt_f64_u32_e32 v[6:7], v8
	s_mov_b32 s43, 0
	s_delay_alu instid0(VALU_DEP_2) | instskip(NEXT) | instid1(VALU_DEP_1)
	v_ldexp_f64 v[4:5], v[4:5], 32
	v_add_f64_e32 v[4:5], v[4:5], v[6:7]
	global_store_b64 v[2:3], v[4:5], off
.LBB71_781:
	s_and_not1_b32 vcc_lo, exec_lo, s43
	s_cbranch_vccnz .LBB71_783
; %bb.782:
	s_wait_xcnt 0x0
	s_delay_alu instid0(VALU_DEP_3) | instskip(NEXT) | instid1(VALU_DEP_1)
	v_clz_i32_u32_e32 v1, v9
	v_min_u32_e32 v1, 32, v1
	s_delay_alu instid0(VALU_DEP_1) | instskip(SKIP_1) | instid1(VALU_DEP_2)
	v_lshlrev_b64_e32 v[4:5], v1, v[8:9]
	v_sub_nc_u32_e32 v1, 32, v1
	v_min_u32_e32 v4, 1, v4
	s_delay_alu instid0(VALU_DEP_1) | instskip(NEXT) | instid1(VALU_DEP_1)
	v_or_b32_e32 v4, v5, v4
	v_cvt_f32_u32_e32 v4, v4
	s_delay_alu instid0(VALU_DEP_1)
	v_ldexp_f32 v1, v4, v1
	global_store_b32 v[2:3], v1, off
.LBB71_783:
	s_mov_b32 s43, 0
.LBB71_784:
	s_delay_alu instid0(SALU_CYCLE_1)
	s_and_not1_b32 vcc_lo, exec_lo, s43
	s_cbranch_vccnz .LBB71_786
; %bb.785:
	s_wait_xcnt 0x0
	s_delay_alu instid0(VALU_DEP_3) | instskip(NEXT) | instid1(VALU_DEP_1)
	v_clz_i32_u32_e32 v1, v9
	v_min_u32_e32 v1, 32, v1
	s_delay_alu instid0(VALU_DEP_1) | instskip(SKIP_1) | instid1(VALU_DEP_2)
	v_lshlrev_b64_e32 v[4:5], v1, v[8:9]
	v_sub_nc_u32_e32 v1, 32, v1
	v_min_u32_e32 v4, 1, v4
	s_delay_alu instid0(VALU_DEP_1) | instskip(NEXT) | instid1(VALU_DEP_1)
	v_or_b32_e32 v4, v5, v4
	v_cvt_f32_u32_e32 v4, v4
	s_delay_alu instid0(VALU_DEP_1) | instskip(NEXT) | instid1(VALU_DEP_1)
	v_ldexp_f32 v1, v4, v1
	v_cvt_f16_f32_e32 v1, v1
	global_store_b16 v[2:3], v1, off
.LBB71_786:
	s_mov_b32 s43, 0
.LBB71_787:
	s_delay_alu instid0(SALU_CYCLE_1)
	s_and_not1_b32 vcc_lo, exec_lo, s43
	s_cbranch_vccnz .LBB71_803
; %bb.788:
	s_cmp_lt_i32 s42, 2
	s_mov_b32 s43, -1
	s_cbranch_scc1 .LBB71_798
; %bb.789:
	s_cmp_lt_i32 s42, 3
	s_cbranch_scc1 .LBB71_795
; %bb.790:
	s_cmp_gt_i32 s42, 3
	s_cbranch_scc0 .LBB71_792
; %bb.791:
	s_mov_b32 s43, 0
	global_store_b64 v[2:3], v[8:9], off
.LBB71_792:
	s_and_not1_b32 vcc_lo, exec_lo, s43
	s_cbranch_vccnz .LBB71_794
; %bb.793:
	global_store_b32 v[2:3], v8, off
.LBB71_794:
	s_mov_b32 s43, 0
.LBB71_795:
	s_delay_alu instid0(SALU_CYCLE_1)
	s_and_not1_b32 vcc_lo, exec_lo, s43
	s_cbranch_vccnz .LBB71_797
; %bb.796:
	global_store_b16 v[2:3], v8, off
.LBB71_797:
	s_mov_b32 s43, 0
.LBB71_798:
	s_delay_alu instid0(SALU_CYCLE_1)
	s_and_not1_b32 vcc_lo, exec_lo, s43
	s_cbranch_vccnz .LBB71_803
; %bb.799:
	s_cmp_gt_i32 s42, 0
	s_mov_b32 s42, -1
	s_cbranch_scc0 .LBB71_801
; %bb.800:
	s_mov_b32 s42, 0
	global_store_b8 v[2:3], v8, off
.LBB71_801:
	s_and_not1_b32 vcc_lo, exec_lo, s42
	s_cbranch_vccnz .LBB71_803
; %bb.802:
	global_store_b8 v[2:3], v8, off
.LBB71_803:
	s_mov_b32 s44, -1
.LBB71_804:
	s_delay_alu instid0(SALU_CYCLE_1)
	s_and_not1_b32 vcc_lo, exec_lo, s44
	s_cbranch_vccnz .LBB71_806
; %bb.805:
	v_add_nc_u32_e32 v0, 0x80, v0
	s_mov_b32 s46, -1
	s_branch .LBB71_808
.LBB71_806:
	s_mov_b32 s46, 0
.LBB71_807:
                                        ; implicit-def: $vgpr0
.LBB71_808:
	s_and_not1_b32 s42, s38, exec_lo
	s_and_b32 s0, s0, exec_lo
	s_and_b32 s25, s25, exec_lo
	s_or_b32 s43, s42, s0
	s_and_not1_b32 s0, s39, exec_lo
	s_and_not1_b32 s42, s40, exec_lo
	s_and_b32 s24, s24, exec_lo
	s_or_b32 s44, s0, s25
	s_or_b32 s42, s42, s24
	s_or_not1_b32 s47, s46, exec_lo
.LBB71_809:
	s_wait_xcnt 0x0
	s_or_b32 exec_lo, exec_lo, s45
	s_mov_b32 s25, 0
	s_mov_b32 s46, 0
	;; [unrolled: 1-line block ×3, first 2 shown]
                                        ; implicit-def: $sgpr0
                                        ; implicit-def: $vgpr8_vgpr9
                                        ; implicit-def: $vgpr6
                                        ; implicit-def: $vgpr2
                                        ; implicit-def: $vgpr4_vgpr5
	s_and_saveexec_b32 s45, s47
	s_cbranch_execz .LBB71_1310
; %bb.810:
	s_mov_b32 s51, -1
	s_mov_b32 s47, s42
	s_mov_b32 s49, s44
	;; [unrolled: 1-line block ×3, first 2 shown]
	s_mov_b32 s46, exec_lo
	v_cmpx_gt_i32_e64 s36, v0
	s_cbranch_execz .LBB71_1218
; %bb.811:
	s_and_not1_b32 vcc_lo, exec_lo, s29
	s_cbranch_vccnz .LBB71_817
; %bb.812:
	s_and_not1_b32 vcc_lo, exec_lo, s37
	s_cbranch_vccnz .LBB71_818
; %bb.813:
	v_dual_mov_b32 v2, 0 :: v_dual_mov_b32 v1, v0
	s_wait_loadcnt 0x0
	v_dual_mov_b32 v4, 0 :: v_dual_mov_b32 v6, 0
	s_add_co_i32 s0, s35, 1
	s_mov_b64 s[24:25], 0xffffffffffffffe8
	s_and_b32 s0, s0, 30
	s_add_nc_u64 s[24:25], s[2:3], s[24:25]
.LBB71_814:                             ; =>This Inner Loop Header: Depth=1
	s_clause 0x1
	s_load_b128 s[48:51], s[24:25], 0x1c
	s_load_b64 s[56:57], s[24:25], 0x2c
	s_add_co_i32 s0, s0, -2
	s_delay_alu instid0(SALU_CYCLE_1) | instskip(SKIP_2) | instid1(VALU_DEP_1)
	s_cmp_eq_u32 s0, 0
	s_wait_kmcnt 0x0
	v_mul_hi_u32 v3, s49, v1
	v_add_nc_u32_e32 v3, v1, v3
	s_delay_alu instid0(VALU_DEP_1) | instskip(NEXT) | instid1(VALU_DEP_1)
	v_lshrrev_b32_e32 v3, s50, v3
	v_mul_hi_u32 v5, s56, v3
	v_mul_lo_u32 v7, v3, s48
	s_clause 0x1
	s_load_b128 s[52:55], s[24:25], 0xdc
	s_load_b64 s[48:49], s[24:25], 0xec
	s_wait_xcnt 0x0
	s_add_nc_u64 s[24:25], s[24:25], 24
	s_delay_alu instid0(VALU_DEP_1) | instskip(NEXT) | instid1(VALU_DEP_1)
	v_dual_add_nc_u32 v5, v3, v5 :: v_dual_sub_nc_u32 v7, v1, v7
	v_lshrrev_b32_e32 v1, s57, v5
	s_wait_kmcnt 0x0
	s_delay_alu instid0(VALU_DEP_2) | instskip(NEXT) | instid1(VALU_DEP_2)
	v_mad_u32 v2, v7, s52, v2
	v_mul_lo_u32 v5, v1, s51
	v_mad_u32 v6, v7, s54, v6
	v_mad_u32 v4, v7, s53, v4
	s_delay_alu instid0(VALU_DEP_3) | instskip(NEXT) | instid1(VALU_DEP_1)
	v_sub_nc_u32_e32 v3, v3, v5
	v_mad_u32 v2, v3, s55, v2
	s_delay_alu instid0(VALU_DEP_4) | instskip(NEXT) | instid1(VALU_DEP_4)
	v_mad_u32 v6, v3, s49, v6
	v_mad_u32 v4, v3, s48, v4
	s_cbranch_scc0 .LBB71_814
; %bb.815:
	s_bitcmp1_b32 s35, 0
	s_cselect_b32 s0, -1, 0
	s_delay_alu instid0(SALU_CYCLE_1)
	s_and_b32 vcc_lo, exec_lo, s0
	s_cbranch_vccnz .LBB71_819
; %bb.816:
	s_clause 0x1
	s_load_b96 s[48:50], s[24:25], 0x1c
	s_load_b96 s[52:54], s[24:25], 0xdc
	s_wait_kmcnt 0x0
	v_mul_hi_u32 v3, s49, v1
	s_delay_alu instid0(VALU_DEP_1) | instskip(NEXT) | instid1(VALU_DEP_1)
	v_add_nc_u32_e32 v3, v1, v3
	v_lshrrev_b32_e32 v3, s50, v3
	s_delay_alu instid0(VALU_DEP_1) | instskip(NEXT) | instid1(VALU_DEP_1)
	v_mul_lo_u32 v3, v3, s48
	v_sub_nc_u32_e32 v1, v1, v3
	s_delay_alu instid0(VALU_DEP_1)
	v_mad_u32 v2, v1, s52, v2
	v_mad_u32 v4, v1, s53, v4
	;; [unrolled: 1-line block ×3, first 2 shown]
	s_branch .LBB71_819
.LBB71_817:
	s_mov_b32 s0, -1
                                        ; implicit-def: $vgpr6
                                        ; implicit-def: $vgpr4
                                        ; implicit-def: $vgpr2
	s_branch .LBB71_820
.LBB71_818:
	s_wait_loadcnt 0x0
	v_dual_mov_b32 v6, 0 :: v_dual_mov_b32 v4, 0
	v_mov_b32_e32 v2, 0
.LBB71_819:
	s_mov_b32 s0, 0
.LBB71_820:
	s_delay_alu instid0(SALU_CYCLE_1)
	s_and_not1_b32 vcc_lo, exec_lo, s0
	s_cbranch_vccnz .LBB71_823
; %bb.821:
	v_mov_b32_e32 v1, 0
	s_and_not1_b32 vcc_lo, exec_lo, s34
	s_delay_alu instid0(VALU_DEP_1) | instskip(NEXT) | instid1(VALU_DEP_1)
	v_mul_u64_e32 v[2:3], s[18:19], v[0:1]
	v_add_nc_u32_e32 v2, v0, v3
	s_delay_alu instid0(VALU_DEP_1) | instskip(NEXT) | instid1(VALU_DEP_1)
	v_lshrrev_b32_e32 v8, s10, v2
	v_mul_lo_u32 v2, v8, s8
	s_delay_alu instid0(VALU_DEP_1) | instskip(NEXT) | instid1(VALU_DEP_1)
	v_sub_nc_u32_e32 v3, v0, v2
	v_mul_lo_u32 v2, v3, s12
	s_wait_loadcnt 0x0
	v_mul_lo_u32 v6, v3, s14
	v_mul_lo_u32 v4, v3, s13
	s_cbranch_vccnz .LBB71_823
; %bb.822:
	v_mov_b32_e32 v9, v1
	s_delay_alu instid0(VALU_DEP_1) | instskip(NEXT) | instid1(VALU_DEP_1)
	v_mul_u64_e32 v[10:11], s[22:23], v[8:9]
	v_add_nc_u32_e32 v1, v8, v11
	s_delay_alu instid0(VALU_DEP_1) | instskip(NEXT) | instid1(VALU_DEP_1)
	v_lshrrev_b32_e32 v1, s1, v1
	v_mul_lo_u32 v1, v1, s11
	s_delay_alu instid0(VALU_DEP_1) | instskip(NEXT) | instid1(VALU_DEP_1)
	v_sub_nc_u32_e32 v1, v8, v1
	v_mad_u32 v2, v1, s15, v2
	v_mad_u32 v4, v1, s20, v4
	;; [unrolled: 1-line block ×3, first 2 shown]
.LBB71_823:
	s_wait_loadcnt 0x0
	v_mov_b32_e32 v5, 0
	s_and_b32 s0, s33, 0xff
	s_delay_alu instid0(SALU_CYCLE_1) | instskip(NEXT) | instid1(VALU_DEP_1)
	s_cmp_lt_i32 s0, 11
	v_add_nc_u64_e32 v[8:9], s[6:7], v[4:5]
	s_cbranch_scc1 .LBB71_830
; %bb.824:
	s_and_b32 s25, 0xffff, s0
	s_delay_alu instid0(SALU_CYCLE_1)
	s_cmp_gt_i32 s25, 25
	s_cbranch_scc0 .LBB71_831
; %bb.825:
	s_cmp_gt_i32 s25, 28
	s_cbranch_scc0 .LBB71_832
; %bb.826:
	;; [unrolled: 3-line block ×4, first 2 shown]
	s_cmp_eq_u32 s25, 46
	s_mov_b32 s48, 0
	s_cbranch_scc0 .LBB71_837
; %bb.829:
	global_load_b32 v1, v[8:9], off
	s_mov_b32 s47, -1
	s_mov_b32 s24, 0
	s_wait_loadcnt 0x0
	v_lshlrev_b32_e32 v1, 16, v1
	s_delay_alu instid0(VALU_DEP_1) | instskip(NEXT) | instid1(VALU_DEP_1)
	v_trunc_f32_e32 v1, v1
	v_mul_f32_e64 v3, 0x2f800000, |v1|
	v_ashrrev_i32_e32 v4, 31, v1
	s_delay_alu instid0(VALU_DEP_2) | instskip(NEXT) | instid1(VALU_DEP_1)
	v_floor_f32_e32 v3, v3
	v_fma_f32 v5, 0xcf800000, v3, |v1|
	v_cvt_u32_f32_e32 v1, v3
	s_delay_alu instid0(VALU_DEP_2) | instskip(NEXT) | instid1(VALU_DEP_2)
	v_cvt_u32_f32_e32 v3, v5
	v_dual_mov_b32 v5, v4 :: v_dual_bitop2_b32 v11, v1, v4 bitop3:0x14
	s_delay_alu instid0(VALU_DEP_2) | instskip(NEXT) | instid1(VALU_DEP_1)
	v_xor_b32_e32 v10, v3, v4
	v_sub_nc_u64_e32 v[4:5], v[10:11], v[4:5]
	s_branch .LBB71_839
.LBB71_830:
	s_mov_b32 s25, -1
	s_mov_b32 s47, 0
	s_mov_b32 s24, s42
                                        ; implicit-def: $vgpr4_vgpr5
	s_branch .LBB71_900
.LBB71_831:
	s_mov_b32 s48, -1
	s_mov_b32 s47, 0
	s_mov_b32 s24, s42
                                        ; implicit-def: $vgpr4_vgpr5
	s_branch .LBB71_866
.LBB71_832:
	s_mov_b32 s48, -1
	s_mov_b32 s47, 0
	s_mov_b32 s24, s42
                                        ; implicit-def: $vgpr4_vgpr5
	s_branch .LBB71_849
.LBB71_833:
	s_mov_b32 s48, -1
	s_mov_b32 s47, 0
	s_mov_b32 s24, s42
                                        ; implicit-def: $vgpr4_vgpr5
	s_branch .LBB71_844
.LBB71_834:
	s_mov_b32 s48, -1
	s_mov_b32 s47, 0
	s_mov_b32 s24, s42
	s_branch .LBB71_838
.LBB71_835:
	s_and_not1_saveexec_b32 s47, s47
	s_cbranch_execz .LBB71_717
.LBB71_836:
	v_add_f32_e32 v1, 0x46000000, v4
	s_and_not1_b32 s46, s46, exec_lo
	s_delay_alu instid0(VALU_DEP_1) | instskip(NEXT) | instid1(VALU_DEP_1)
	v_and_b32_e32 v1, 0xff, v1
	v_cmp_ne_u32_e32 vcc_lo, 0, v1
	s_and_b32 s48, vcc_lo, exec_lo
	s_delay_alu instid0(SALU_CYCLE_1)
	s_or_b32 s46, s46, s48
	s_or_b32 exec_lo, exec_lo, s47
	v_mov_b32_e32 v5, 0
	s_and_saveexec_b32 s47, s46
	s_cbranch_execnz .LBB71_718
	s_branch .LBB71_719
.LBB71_837:
	s_mov_b32 s24, -1
	s_mov_b32 s47, 0
.LBB71_838:
                                        ; implicit-def: $vgpr4_vgpr5
.LBB71_839:
	s_and_b32 vcc_lo, exec_lo, s48
	s_cbranch_vccz .LBB71_843
; %bb.840:
	s_cmp_eq_u32 s25, 44
	s_cbranch_scc0 .LBB71_842
; %bb.841:
	global_load_u8 v1, v[8:9], off
	s_mov_b32 s24, 0
	s_mov_b32 s47, -1
	s_wait_loadcnt 0x0
	v_lshlrev_b32_e32 v3, 23, v1
	v_cmp_ne_u32_e32 vcc_lo, 0, v1
	s_delay_alu instid0(VALU_DEP_2) | instskip(NEXT) | instid1(VALU_DEP_1)
	v_trunc_f32_e32 v3, v3
	v_mul_f32_e64 v4, 0x2f800000, |v3|
	s_delay_alu instid0(VALU_DEP_1) | instskip(SKIP_1) | instid1(VALU_DEP_2)
	v_floor_f32_e32 v5, v4
	v_ashrrev_i32_e32 v4, 31, v3
	v_fma_f32 v7, 0xcf800000, v5, |v3|
	v_cvt_u32_f32_e32 v3, v5
	s_delay_alu instid0(VALU_DEP_3) | instskip(NEXT) | instid1(VALU_DEP_3)
	v_mov_b32_e32 v5, v4
	v_cvt_u32_f32_e32 v7, v7
	s_delay_alu instid0(VALU_DEP_3) | instskip(NEXT) | instid1(VALU_DEP_2)
	v_xor_b32_e32 v11, v3, v4
	v_xor_b32_e32 v10, v7, v4
	s_delay_alu instid0(VALU_DEP_1) | instskip(NEXT) | instid1(VALU_DEP_1)
	v_sub_nc_u64_e32 v[4:5], v[10:11], v[4:5]
	v_dual_cndmask_b32 v5, 0, v5 :: v_dual_cndmask_b32 v4, 0, v4
	s_branch .LBB71_843
.LBB71_842:
	s_mov_b32 s24, -1
                                        ; implicit-def: $vgpr4_vgpr5
.LBB71_843:
	s_mov_b32 s48, 0
.LBB71_844:
	s_delay_alu instid0(SALU_CYCLE_1)
	s_and_b32 vcc_lo, exec_lo, s48
	s_cbranch_vccz .LBB71_848
; %bb.845:
	s_cmp_eq_u32 s25, 29
	s_cbranch_scc0 .LBB71_847
; %bb.846:
	global_load_b64 v[4:5], v[8:9], off
	s_mov_b32 s47, -1
	s_mov_b32 s24, 0
	s_branch .LBB71_848
.LBB71_847:
	s_mov_b32 s24, -1
                                        ; implicit-def: $vgpr4_vgpr5
.LBB71_848:
	s_mov_b32 s48, 0
.LBB71_849:
	s_delay_alu instid0(SALU_CYCLE_1)
	s_and_b32 vcc_lo, exec_lo, s48
	s_cbranch_vccz .LBB71_865
; %bb.850:
	s_cmp_lt_i32 s25, 27
	s_cbranch_scc1 .LBB71_853
; %bb.851:
	s_cmp_gt_i32 s25, 27
	s_cbranch_scc0 .LBB71_854
; %bb.852:
	s_wait_loadcnt 0x0
	global_load_b32 v4, v[8:9], off
	v_mov_b32_e32 v5, 0
	s_mov_b32 s47, 0
	s_branch .LBB71_855
.LBB71_853:
	s_mov_b32 s47, -1
                                        ; implicit-def: $vgpr4_vgpr5
	s_branch .LBB71_858
.LBB71_854:
	s_mov_b32 s47, -1
                                        ; implicit-def: $vgpr4_vgpr5
.LBB71_855:
	s_delay_alu instid0(SALU_CYCLE_1)
	s_and_not1_b32 vcc_lo, exec_lo, s47
	s_cbranch_vccnz .LBB71_857
; %bb.856:
	global_load_u16 v1, v[8:9], off
	s_mov_b32 s47, 0
	s_wait_loadcnt 0x1
	v_mov_b32_e32 v5, s47
	s_wait_loadcnt 0x0
	v_and_b32_e32 v4, 0xffff, v1
.LBB71_857:
	s_mov_b32 s47, 0
.LBB71_858:
	s_delay_alu instid0(SALU_CYCLE_1)
	s_and_not1_b32 vcc_lo, exec_lo, s47
	s_cbranch_vccnz .LBB71_864
; %bb.859:
	global_load_u8 v1, v[8:9], off
	s_mov_b32 s48, 0
	s_mov_b32 s47, exec_lo
	s_wait_loadcnt 0x0
	v_cmpx_lt_i16_e32 0x7f, v1
	s_xor_b32 s47, exec_lo, s47
	s_cbranch_execz .LBB71_876
; %bb.860:
	v_cmp_ne_u16_e32 vcc_lo, 0x80, v1
	s_and_b32 s48, vcc_lo, exec_lo
	s_and_not1_saveexec_b32 s47, s47
	s_cbranch_execnz .LBB71_877
.LBB71_861:
	s_or_b32 exec_lo, exec_lo, s47
	v_mov_b64_e32 v[4:5], 0
	s_and_saveexec_b32 s47, s48
	s_cbranch_execz .LBB71_863
.LBB71_862:
	v_and_b32_e32 v3, 0xffff, v1
	s_delay_alu instid0(VALU_DEP_1) | instskip(SKIP_1) | instid1(VALU_DEP_2)
	v_and_b32_e32 v4, 7, v3
	v_bfe_u32 v10, v3, 3, 4
	v_clz_i32_u32_e32 v5, v4
	s_delay_alu instid0(VALU_DEP_2) | instskip(NEXT) | instid1(VALU_DEP_2)
	v_cmp_eq_u32_e32 vcc_lo, 0, v10
	v_min_u32_e32 v5, 32, v5
	s_delay_alu instid0(VALU_DEP_1) | instskip(NEXT) | instid1(VALU_DEP_1)
	v_subrev_nc_u32_e32 v7, 28, v5
	v_dual_lshlrev_b32 v3, v7, v3 :: v_dual_sub_nc_u32 v5, 29, v5
	s_delay_alu instid0(VALU_DEP_1) | instskip(NEXT) | instid1(VALU_DEP_1)
	v_dual_lshlrev_b32 v1, 24, v1 :: v_dual_bitop2_b32 v3, 7, v3 bitop3:0x40
	v_dual_cndmask_b32 v3, v4, v3, vcc_lo :: v_dual_cndmask_b32 v5, v10, v5, vcc_lo
	s_delay_alu instid0(VALU_DEP_2) | instskip(NEXT) | instid1(VALU_DEP_2)
	v_and_b32_e32 v1, 0x80000000, v1
	v_lshlrev_b32_e32 v3, 20, v3
	s_delay_alu instid0(VALU_DEP_3) | instskip(NEXT) | instid1(VALU_DEP_1)
	v_lshl_add_u32 v4, v5, 23, 0x3b800000
	v_or3_b32 v1, v1, v4, v3
	s_delay_alu instid0(VALU_DEP_1) | instskip(NEXT) | instid1(VALU_DEP_1)
	v_trunc_f32_e32 v1, v1
	v_mul_f32_e64 v3, 0x2f800000, |v1|
	v_ashrrev_i32_e32 v4, 31, v1
	s_delay_alu instid0(VALU_DEP_2) | instskip(NEXT) | instid1(VALU_DEP_1)
	v_floor_f32_e32 v3, v3
	v_fma_f32 v5, 0xcf800000, v3, |v1|
	v_cvt_u32_f32_e32 v1, v3
	s_delay_alu instid0(VALU_DEP_2) | instskip(NEXT) | instid1(VALU_DEP_2)
	v_cvt_u32_f32_e32 v3, v5
	v_dual_mov_b32 v5, v4 :: v_dual_bitop2_b32 v11, v1, v4 bitop3:0x14
	s_delay_alu instid0(VALU_DEP_2) | instskip(NEXT) | instid1(VALU_DEP_1)
	v_xor_b32_e32 v10, v3, v4
	v_sub_nc_u64_e32 v[4:5], v[10:11], v[4:5]
.LBB71_863:
	s_or_b32 exec_lo, exec_lo, s47
.LBB71_864:
	s_mov_b32 s47, -1
.LBB71_865:
	s_mov_b32 s48, 0
.LBB71_866:
	s_delay_alu instid0(SALU_CYCLE_1)
	s_and_b32 vcc_lo, exec_lo, s48
	s_cbranch_vccz .LBB71_899
; %bb.867:
	s_cmp_gt_i32 s25, 22
	s_cbranch_scc0 .LBB71_875
; %bb.868:
	s_cmp_lt_i32 s25, 24
	s_cbranch_scc1 .LBB71_878
; %bb.869:
	s_cmp_gt_i32 s25, 24
	s_cbranch_scc0 .LBB71_879
; %bb.870:
	global_load_u8 v1, v[8:9], off
	s_mov_b32 s48, 0
	s_mov_b32 s47, exec_lo
	s_wait_loadcnt 0x0
	v_cmpx_lt_i16_e32 0x7f, v1
	s_xor_b32 s47, exec_lo, s47
	s_cbranch_execz .LBB71_891
; %bb.871:
	v_cmp_ne_u16_e32 vcc_lo, 0x80, v1
	s_and_b32 s48, vcc_lo, exec_lo
	s_and_not1_saveexec_b32 s47, s47
	s_cbranch_execnz .LBB71_892
.LBB71_872:
	s_or_b32 exec_lo, exec_lo, s47
	v_mov_b64_e32 v[4:5], 0
	s_and_saveexec_b32 s47, s48
	s_cbranch_execz .LBB71_874
.LBB71_873:
	v_and_b32_e32 v3, 0xffff, v1
	s_delay_alu instid0(VALU_DEP_1) | instskip(SKIP_1) | instid1(VALU_DEP_2)
	v_and_b32_e32 v4, 3, v3
	v_bfe_u32 v10, v3, 2, 5
	v_clz_i32_u32_e32 v5, v4
	s_delay_alu instid0(VALU_DEP_2) | instskip(NEXT) | instid1(VALU_DEP_2)
	v_cmp_eq_u32_e32 vcc_lo, 0, v10
	v_min_u32_e32 v5, 32, v5
	s_delay_alu instid0(VALU_DEP_1) | instskip(NEXT) | instid1(VALU_DEP_1)
	v_subrev_nc_u32_e32 v7, 29, v5
	v_dual_lshlrev_b32 v3, v7, v3 :: v_dual_sub_nc_u32 v5, 30, v5
	s_delay_alu instid0(VALU_DEP_1) | instskip(NEXT) | instid1(VALU_DEP_1)
	v_dual_lshlrev_b32 v1, 24, v1 :: v_dual_bitop2_b32 v3, 3, v3 bitop3:0x40
	v_dual_cndmask_b32 v3, v4, v3, vcc_lo :: v_dual_cndmask_b32 v5, v10, v5, vcc_lo
	s_delay_alu instid0(VALU_DEP_2) | instskip(NEXT) | instid1(VALU_DEP_2)
	v_and_b32_e32 v1, 0x80000000, v1
	v_lshlrev_b32_e32 v3, 21, v3
	s_delay_alu instid0(VALU_DEP_3) | instskip(NEXT) | instid1(VALU_DEP_1)
	v_lshl_add_u32 v4, v5, 23, 0x37800000
	v_or3_b32 v1, v1, v4, v3
	s_delay_alu instid0(VALU_DEP_1) | instskip(NEXT) | instid1(VALU_DEP_1)
	v_trunc_f32_e32 v1, v1
	v_mul_f32_e64 v3, 0x2f800000, |v1|
	v_ashrrev_i32_e32 v4, 31, v1
	s_delay_alu instid0(VALU_DEP_2) | instskip(NEXT) | instid1(VALU_DEP_1)
	v_floor_f32_e32 v3, v3
	v_fma_f32 v5, 0xcf800000, v3, |v1|
	v_cvt_u32_f32_e32 v1, v3
	s_delay_alu instid0(VALU_DEP_2) | instskip(NEXT) | instid1(VALU_DEP_2)
	v_cvt_u32_f32_e32 v3, v5
	v_dual_mov_b32 v5, v4 :: v_dual_bitop2_b32 v11, v1, v4 bitop3:0x14
	s_delay_alu instid0(VALU_DEP_2) | instskip(NEXT) | instid1(VALU_DEP_1)
	v_xor_b32_e32 v10, v3, v4
	v_sub_nc_u64_e32 v[4:5], v[10:11], v[4:5]
.LBB71_874:
	s_or_b32 exec_lo, exec_lo, s47
	s_mov_b32 s47, 0
	s_branch .LBB71_880
.LBB71_875:
	s_mov_b32 s48, -1
                                        ; implicit-def: $vgpr4_vgpr5
	s_branch .LBB71_886
.LBB71_876:
	s_and_not1_saveexec_b32 s47, s47
	s_cbranch_execz .LBB71_861
.LBB71_877:
	v_cmp_ne_u16_e32 vcc_lo, 0, v1
	s_and_not1_b32 s48, s48, exec_lo
	s_and_b32 s49, vcc_lo, exec_lo
	s_delay_alu instid0(SALU_CYCLE_1)
	s_or_b32 s48, s48, s49
	s_or_b32 exec_lo, exec_lo, s47
	v_mov_b64_e32 v[4:5], 0
	s_and_saveexec_b32 s47, s48
	s_cbranch_execnz .LBB71_862
	s_branch .LBB71_863
.LBB71_878:
	s_mov_b32 s47, -1
                                        ; implicit-def: $vgpr4_vgpr5
	s_branch .LBB71_883
.LBB71_879:
	s_mov_b32 s47, -1
                                        ; implicit-def: $vgpr4_vgpr5
.LBB71_880:
	s_delay_alu instid0(SALU_CYCLE_1)
	s_and_b32 vcc_lo, exec_lo, s47
	s_cbranch_vccz .LBB71_882
; %bb.881:
	global_load_u8 v1, v[8:9], off
	s_wait_loadcnt 0x0
	v_lshlrev_b32_e32 v1, 24, v1
	s_delay_alu instid0(VALU_DEP_1) | instskip(NEXT) | instid1(VALU_DEP_1)
	v_and_b32_e32 v3, 0x7f000000, v1
	v_clz_i32_u32_e32 v4, v3
	v_add_nc_u32_e32 v7, 0x1000000, v3
	v_cmp_ne_u32_e32 vcc_lo, 0, v3
	s_delay_alu instid0(VALU_DEP_3) | instskip(NEXT) | instid1(VALU_DEP_1)
	v_min_u32_e32 v4, 32, v4
	v_sub_nc_u32_e64 v4, v4, 4 clamp
	s_delay_alu instid0(VALU_DEP_1) | instskip(NEXT) | instid1(VALU_DEP_1)
	v_dual_lshlrev_b32 v5, v4, v3 :: v_dual_lshlrev_b32 v4, 23, v4
	v_lshrrev_b32_e32 v5, 4, v5
	s_delay_alu instid0(VALU_DEP_1) | instskip(NEXT) | instid1(VALU_DEP_1)
	v_dual_sub_nc_u32 v4, v5, v4 :: v_dual_ashrrev_i32 v5, 8, v7
	v_add_nc_u32_e32 v4, 0x3c000000, v4
	s_delay_alu instid0(VALU_DEP_1) | instskip(NEXT) | instid1(VALU_DEP_1)
	v_and_or_b32 v4, 0x7f800000, v5, v4
	v_cndmask_b32_e32 v3, 0, v4, vcc_lo
	s_delay_alu instid0(VALU_DEP_1) | instskip(NEXT) | instid1(VALU_DEP_1)
	v_and_or_b32 v1, 0x80000000, v1, v3
	v_trunc_f32_e32 v1, v1
	s_delay_alu instid0(VALU_DEP_1) | instskip(SKIP_1) | instid1(VALU_DEP_2)
	v_mul_f32_e64 v3, 0x2f800000, |v1|
	v_ashrrev_i32_e32 v4, 31, v1
	v_floor_f32_e32 v3, v3
	s_delay_alu instid0(VALU_DEP_1) | instskip(SKIP_1) | instid1(VALU_DEP_2)
	v_fma_f32 v5, 0xcf800000, v3, |v1|
	v_cvt_u32_f32_e32 v1, v3
	v_cvt_u32_f32_e32 v3, v5
	s_delay_alu instid0(VALU_DEP_2) | instskip(NEXT) | instid1(VALU_DEP_2)
	v_dual_mov_b32 v5, v4 :: v_dual_bitop2_b32 v11, v1, v4 bitop3:0x14
	v_xor_b32_e32 v10, v3, v4
	s_delay_alu instid0(VALU_DEP_1)
	v_sub_nc_u64_e32 v[4:5], v[10:11], v[4:5]
.LBB71_882:
	s_mov_b32 s47, 0
.LBB71_883:
	s_delay_alu instid0(SALU_CYCLE_1)
	s_and_not1_b32 vcc_lo, exec_lo, s47
	s_cbranch_vccnz .LBB71_885
; %bb.884:
	global_load_u8 v1, v[8:9], off
	s_wait_loadcnt 0x0
	v_lshlrev_b32_e32 v3, 25, v1
	v_lshlrev_b16 v1, 8, v1
	s_delay_alu instid0(VALU_DEP_1) | instskip(NEXT) | instid1(VALU_DEP_3)
	v_and_or_b32 v5, 0x7f00, v1, 0.5
	v_lshrrev_b32_e32 v4, 4, v3
	v_bfe_i32 v1, v1, 0, 16
	s_delay_alu instid0(VALU_DEP_3) | instskip(NEXT) | instid1(VALU_DEP_3)
	v_add_f32_e32 v5, -0.5, v5
	v_or_b32_e32 v4, 0x70000000, v4
	s_delay_alu instid0(VALU_DEP_1) | instskip(SKIP_1) | instid1(VALU_DEP_2)
	v_mul_f32_e32 v4, 0x7800000, v4
	v_cmp_gt_u32_e32 vcc_lo, 0x8000000, v3
	v_cndmask_b32_e32 v3, v4, v5, vcc_lo
	s_delay_alu instid0(VALU_DEP_1) | instskip(NEXT) | instid1(VALU_DEP_1)
	v_and_or_b32 v1, 0x80000000, v1, v3
	v_trunc_f32_e32 v1, v1
	s_delay_alu instid0(VALU_DEP_1) | instskip(SKIP_1) | instid1(VALU_DEP_2)
	v_mul_f32_e64 v3, 0x2f800000, |v1|
	v_ashrrev_i32_e32 v4, 31, v1
	v_floor_f32_e32 v3, v3
	s_delay_alu instid0(VALU_DEP_1) | instskip(SKIP_1) | instid1(VALU_DEP_2)
	v_fma_f32 v5, 0xcf800000, v3, |v1|
	v_cvt_u32_f32_e32 v1, v3
	v_cvt_u32_f32_e32 v3, v5
	s_delay_alu instid0(VALU_DEP_2) | instskip(NEXT) | instid1(VALU_DEP_2)
	v_dual_mov_b32 v5, v4 :: v_dual_bitop2_b32 v11, v1, v4 bitop3:0x14
	v_xor_b32_e32 v10, v3, v4
	s_delay_alu instid0(VALU_DEP_1)
	v_sub_nc_u64_e32 v[4:5], v[10:11], v[4:5]
.LBB71_885:
	s_mov_b32 s48, 0
	s_mov_b32 s47, -1
.LBB71_886:
	s_and_not1_b32 vcc_lo, exec_lo, s48
	s_cbranch_vccnz .LBB71_899
; %bb.887:
	s_cmp_gt_i32 s25, 14
	s_cbranch_scc0 .LBB71_890
; %bb.888:
	s_cmp_eq_u32 s25, 15
	s_cbranch_scc0 .LBB71_893
; %bb.889:
	global_load_u16 v1, v[8:9], off
	s_mov_b32 s47, -1
	s_mov_b32 s24, 0
	s_wait_loadcnt 0x0
	v_lshlrev_b32_e32 v1, 16, v1
	s_delay_alu instid0(VALU_DEP_1) | instskip(NEXT) | instid1(VALU_DEP_1)
	v_trunc_f32_e32 v1, v1
	v_mul_f32_e64 v3, 0x2f800000, |v1|
	v_ashrrev_i32_e32 v4, 31, v1
	s_delay_alu instid0(VALU_DEP_2) | instskip(NEXT) | instid1(VALU_DEP_1)
	v_floor_f32_e32 v3, v3
	v_fma_f32 v5, 0xcf800000, v3, |v1|
	v_cvt_u32_f32_e32 v1, v3
	s_delay_alu instid0(VALU_DEP_2) | instskip(NEXT) | instid1(VALU_DEP_2)
	v_cvt_u32_f32_e32 v3, v5
	v_dual_mov_b32 v5, v4 :: v_dual_bitop2_b32 v11, v1, v4 bitop3:0x14
	s_delay_alu instid0(VALU_DEP_2) | instskip(NEXT) | instid1(VALU_DEP_1)
	v_xor_b32_e32 v10, v3, v4
	v_sub_nc_u64_e32 v[4:5], v[10:11], v[4:5]
	s_branch .LBB71_894
.LBB71_890:
	s_mov_b32 s48, -1
                                        ; implicit-def: $vgpr4_vgpr5
	s_branch .LBB71_895
.LBB71_891:
	s_and_not1_saveexec_b32 s47, s47
	s_cbranch_execz .LBB71_872
.LBB71_892:
	v_cmp_ne_u16_e32 vcc_lo, 0, v1
	s_and_not1_b32 s48, s48, exec_lo
	s_and_b32 s49, vcc_lo, exec_lo
	s_delay_alu instid0(SALU_CYCLE_1)
	s_or_b32 s48, s48, s49
	s_or_b32 exec_lo, exec_lo, s47
	v_mov_b64_e32 v[4:5], 0
	s_and_saveexec_b32 s47, s48
	s_cbranch_execnz .LBB71_873
	s_branch .LBB71_874
.LBB71_893:
	s_mov_b32 s24, -1
                                        ; implicit-def: $vgpr4_vgpr5
.LBB71_894:
	s_mov_b32 s48, 0
.LBB71_895:
	s_delay_alu instid0(SALU_CYCLE_1)
	s_and_b32 vcc_lo, exec_lo, s48
	s_cbranch_vccz .LBB71_899
; %bb.896:
	s_cmp_eq_u32 s25, 11
	s_cbranch_scc0 .LBB71_898
; %bb.897:
	global_load_u8 v1, v[8:9], off
	s_mov_b32 s24, 0
	s_mov_b32 s47, -1
	s_wait_loadcnt 0x1
	v_mov_b32_e32 v5, s24
	s_wait_loadcnt 0x0
	v_cmp_ne_u16_e32 vcc_lo, 0, v1
	v_cndmask_b32_e64 v4, 0, 1, vcc_lo
	s_branch .LBB71_899
.LBB71_898:
	s_mov_b32 s24, -1
                                        ; implicit-def: $vgpr4_vgpr5
.LBB71_899:
	s_mov_b32 s25, 0
.LBB71_900:
	s_delay_alu instid0(SALU_CYCLE_1)
	s_and_b32 vcc_lo, exec_lo, s25
	s_cbranch_vccz .LBB71_949
; %bb.901:
	s_and_b32 s0, 0xffff, s0
	s_delay_alu instid0(SALU_CYCLE_1)
	s_cmp_lt_i32 s0, 5
	s_cbranch_scc1 .LBB71_906
; %bb.902:
	s_cmp_lt_i32 s0, 8
	s_cbranch_scc1 .LBB71_907
; %bb.903:
	;; [unrolled: 3-line block ×3, first 2 shown]
	s_cmp_gt_i32 s0, 9
	s_cbranch_scc0 .LBB71_909
; %bb.905:
	s_wait_loadcnt 0x0
	global_load_b64 v[4:5], v[8:9], off
	s_mov_b32 s25, 0
	s_wait_loadcnt 0x0
	v_trunc_f64_e32 v[4:5], v[4:5]
	s_delay_alu instid0(VALU_DEP_1) | instskip(NEXT) | instid1(VALU_DEP_1)
	v_ldexp_f64 v[10:11], v[4:5], 0xffffffe0
	v_floor_f64_e32 v[10:11], v[10:11]
	s_delay_alu instid0(VALU_DEP_1) | instskip(SKIP_1) | instid1(VALU_DEP_2)
	v_fmamk_f64 v[12:13], v[10:11], 0xc1f00000, v[4:5]
	v_cvt_i32_f64_e32 v5, v[10:11]
	v_cvt_u32_f64_e32 v4, v[12:13]
	s_branch .LBB71_910
.LBB71_906:
	s_mov_b32 s25, -1
                                        ; implicit-def: $vgpr4_vgpr5
	s_branch .LBB71_928
.LBB71_907:
	s_mov_b32 s25, -1
                                        ; implicit-def: $vgpr4_vgpr5
	s_branch .LBB71_916
.LBB71_908:
	s_mov_b32 s25, -1
                                        ; implicit-def: $vgpr4_vgpr5
	s_branch .LBB71_913
.LBB71_909:
	s_mov_b32 s25, -1
                                        ; implicit-def: $vgpr4_vgpr5
.LBB71_910:
	s_delay_alu instid0(SALU_CYCLE_1)
	s_and_not1_b32 vcc_lo, exec_lo, s25
	s_cbranch_vccnz .LBB71_912
; %bb.911:
	global_load_b32 v1, v[8:9], off
	s_wait_loadcnt 0x0
	v_trunc_f32_e32 v1, v1
	s_delay_alu instid0(VALU_DEP_1) | instskip(SKIP_1) | instid1(VALU_DEP_2)
	v_mul_f32_e64 v3, 0x2f800000, |v1|
	v_ashrrev_i32_e32 v4, 31, v1
	v_floor_f32_e32 v3, v3
	s_delay_alu instid0(VALU_DEP_1) | instskip(SKIP_1) | instid1(VALU_DEP_2)
	v_fma_f32 v5, 0xcf800000, v3, |v1|
	v_cvt_u32_f32_e32 v1, v3
	v_cvt_u32_f32_e32 v3, v5
	s_delay_alu instid0(VALU_DEP_2) | instskip(NEXT) | instid1(VALU_DEP_2)
	v_dual_mov_b32 v5, v4 :: v_dual_bitop2_b32 v11, v1, v4 bitop3:0x14
	v_xor_b32_e32 v10, v3, v4
	s_delay_alu instid0(VALU_DEP_1)
	v_sub_nc_u64_e32 v[4:5], v[10:11], v[4:5]
.LBB71_912:
	s_mov_b32 s25, 0
.LBB71_913:
	s_delay_alu instid0(SALU_CYCLE_1)
	s_and_not1_b32 vcc_lo, exec_lo, s25
	s_cbranch_vccnz .LBB71_915
; %bb.914:
	global_load_b32 v1, v[8:9], off
	s_wait_loadcnt 0x0
	v_cvt_f32_f16_e32 v1, v1
	s_delay_alu instid0(VALU_DEP_1) | instskip(NEXT) | instid1(VALU_DEP_1)
	v_cvt_i32_f32_e32 v4, v1
	v_ashrrev_i32_e32 v5, 31, v4
.LBB71_915:
	s_mov_b32 s25, 0
.LBB71_916:
	s_delay_alu instid0(SALU_CYCLE_1)
	s_and_not1_b32 vcc_lo, exec_lo, s25
	s_cbranch_vccnz .LBB71_927
; %bb.917:
	s_cmp_lt_i32 s0, 6
	s_cbranch_scc1 .LBB71_920
; %bb.918:
	s_cmp_gt_i32 s0, 6
	s_cbranch_scc0 .LBB71_921
; %bb.919:
	s_wait_loadcnt 0x0
	global_load_b64 v[4:5], v[8:9], off
	s_mov_b32 s25, 0
	s_wait_loadcnt 0x0
	v_trunc_f64_e32 v[4:5], v[4:5]
	s_delay_alu instid0(VALU_DEP_1) | instskip(NEXT) | instid1(VALU_DEP_1)
	v_ldexp_f64 v[10:11], v[4:5], 0xffffffe0
	v_floor_f64_e32 v[10:11], v[10:11]
	s_delay_alu instid0(VALU_DEP_1) | instskip(SKIP_1) | instid1(VALU_DEP_2)
	v_fmamk_f64 v[12:13], v[10:11], 0xc1f00000, v[4:5]
	v_cvt_i32_f64_e32 v5, v[10:11]
	v_cvt_u32_f64_e32 v4, v[12:13]
	s_branch .LBB71_922
.LBB71_920:
	s_mov_b32 s25, -1
                                        ; implicit-def: $vgpr4_vgpr5
	s_branch .LBB71_925
.LBB71_921:
	s_mov_b32 s25, -1
                                        ; implicit-def: $vgpr4_vgpr5
.LBB71_922:
	s_delay_alu instid0(SALU_CYCLE_1)
	s_and_not1_b32 vcc_lo, exec_lo, s25
	s_cbranch_vccnz .LBB71_924
; %bb.923:
	global_load_b32 v1, v[8:9], off
	s_wait_loadcnt 0x0
	v_trunc_f32_e32 v1, v1
	s_delay_alu instid0(VALU_DEP_1) | instskip(SKIP_1) | instid1(VALU_DEP_2)
	v_mul_f32_e64 v3, 0x2f800000, |v1|
	v_ashrrev_i32_e32 v4, 31, v1
	v_floor_f32_e32 v3, v3
	s_delay_alu instid0(VALU_DEP_1) | instskip(SKIP_1) | instid1(VALU_DEP_2)
	v_fma_f32 v5, 0xcf800000, v3, |v1|
	v_cvt_u32_f32_e32 v1, v3
	v_cvt_u32_f32_e32 v3, v5
	s_delay_alu instid0(VALU_DEP_2) | instskip(NEXT) | instid1(VALU_DEP_2)
	v_dual_mov_b32 v5, v4 :: v_dual_bitop2_b32 v11, v1, v4 bitop3:0x14
	v_xor_b32_e32 v10, v3, v4
	s_delay_alu instid0(VALU_DEP_1)
	v_sub_nc_u64_e32 v[4:5], v[10:11], v[4:5]
.LBB71_924:
	s_mov_b32 s25, 0
.LBB71_925:
	s_delay_alu instid0(SALU_CYCLE_1)
	s_and_not1_b32 vcc_lo, exec_lo, s25
	s_cbranch_vccnz .LBB71_927
; %bb.926:
	global_load_u16 v1, v[8:9], off
	s_wait_loadcnt 0x0
	v_cvt_f32_f16_e32 v1, v1
	s_delay_alu instid0(VALU_DEP_1) | instskip(NEXT) | instid1(VALU_DEP_1)
	v_cvt_i32_f32_e32 v4, v1
	v_ashrrev_i32_e32 v5, 31, v4
.LBB71_927:
	s_mov_b32 s25, 0
.LBB71_928:
	s_delay_alu instid0(SALU_CYCLE_1)
	s_and_not1_b32 vcc_lo, exec_lo, s25
	s_cbranch_vccnz .LBB71_948
; %bb.929:
	s_cmp_lt_i32 s0, 2
	s_cbranch_scc1 .LBB71_933
; %bb.930:
	s_cmp_lt_i32 s0, 3
	s_cbranch_scc1 .LBB71_934
; %bb.931:
	s_cmp_gt_i32 s0, 3
	s_cbranch_scc0 .LBB71_935
; %bb.932:
	s_wait_loadcnt 0x0
	global_load_b64 v[4:5], v[8:9], off
	s_mov_b32 s25, 0
	s_branch .LBB71_936
.LBB71_933:
	s_mov_b32 s25, -1
                                        ; implicit-def: $vgpr4_vgpr5
	s_branch .LBB71_942
.LBB71_934:
	s_mov_b32 s25, -1
                                        ; implicit-def: $vgpr4_vgpr5
	s_branch .LBB71_939
.LBB71_935:
	s_mov_b32 s25, -1
                                        ; implicit-def: $vgpr4_vgpr5
.LBB71_936:
	s_delay_alu instid0(SALU_CYCLE_1)
	s_and_not1_b32 vcc_lo, exec_lo, s25
	s_cbranch_vccnz .LBB71_938
; %bb.937:
	s_wait_loadcnt 0x0
	global_load_b32 v4, v[8:9], off
	s_wait_loadcnt 0x0
	v_ashrrev_i32_e32 v5, 31, v4
.LBB71_938:
	s_mov_b32 s25, 0
.LBB71_939:
	s_delay_alu instid0(SALU_CYCLE_1)
	s_and_not1_b32 vcc_lo, exec_lo, s25
	s_cbranch_vccnz .LBB71_941
; %bb.940:
	global_load_u16 v1, v[8:9], off
	s_wait_loadcnt 0x0
	v_bfe_i32 v4, v1, 0, 16
	s_delay_alu instid0(VALU_DEP_1)
	v_ashrrev_i32_e32 v5, 31, v4
.LBB71_941:
	s_mov_b32 s25, 0
.LBB71_942:
	s_delay_alu instid0(SALU_CYCLE_1)
	s_and_not1_b32 vcc_lo, exec_lo, s25
	s_cbranch_vccnz .LBB71_948
; %bb.943:
	s_cmp_gt_i32 s0, 0
	s_mov_b32 s0, 0
	s_cbranch_scc0 .LBB71_945
; %bb.944:
	global_load_i8 v1, v[8:9], off
	s_wait_loadcnt 0x0
	v_bfe_i32 v4, v1, 0, 16
	s_delay_alu instid0(VALU_DEP_1)
	v_ashrrev_i32_e32 v5, 31, v4
	s_branch .LBB71_946
.LBB71_945:
	s_mov_b32 s0, -1
                                        ; implicit-def: $vgpr4_vgpr5
.LBB71_946:
	s_delay_alu instid0(SALU_CYCLE_1)
	s_and_not1_b32 vcc_lo, exec_lo, s0
	s_cbranch_vccnz .LBB71_948
; %bb.947:
	global_load_u8 v1, v[8:9], off
	s_mov_b32 s0, 0
	s_wait_loadcnt 0x1
	v_mov_b32_e32 v5, s0
	s_wait_loadcnt 0x0
	v_and_b32_e32 v4, 0xffff, v1
.LBB71_948:
	s_mov_b32 s47, -1
.LBB71_949:
	s_delay_alu instid0(SALU_CYCLE_1)
	s_and_not1_b32 vcc_lo, exec_lo, s47
	s_cbranch_vccnz .LBB71_957
; %bb.950:
	v_mov_b32_e32 v7, 0
	s_and_b32 s0, s9, 0xff
	s_delay_alu instid0(SALU_CYCLE_1) | instskip(SKIP_1) | instid1(VALU_DEP_1)
	s_cmp_lt_i32 s0, 11
	s_wait_xcnt 0x0
	v_add_nc_u64_e32 v[8:9], s[16:17], v[6:7]
	s_cbranch_scc1 .LBB71_958
; %bb.951:
	s_and_b32 s47, 0xffff, s0
	s_delay_alu instid0(SALU_CYCLE_1)
	s_cmp_gt_i32 s47, 25
	s_cbranch_scc0 .LBB71_959
; %bb.952:
	s_cmp_gt_i32 s47, 28
	s_cbranch_scc0 .LBB71_960
; %bb.953:
	;; [unrolled: 3-line block ×4, first 2 shown]
	s_cmp_eq_u32 s47, 46
	s_mov_b32 s49, 0
	s_cbranch_scc0 .LBB71_965
; %bb.956:
	global_load_b32 v1, v[8:9], off
	s_mov_b32 s48, -1
	s_mov_b32 s25, 0
	s_wait_loadcnt 0x0
	v_lshlrev_b32_e32 v1, 16, v1
	s_delay_alu instid0(VALU_DEP_1) | instskip(NEXT) | instid1(VALU_DEP_1)
	v_trunc_f32_e32 v1, v1
	v_mul_f32_e64 v3, 0x2f800000, |v1|
	v_ashrrev_i32_e32 v6, 31, v1
	s_delay_alu instid0(VALU_DEP_2) | instskip(NEXT) | instid1(VALU_DEP_1)
	v_floor_f32_e32 v3, v3
	v_fma_f32 v7, 0xcf800000, v3, |v1|
	v_cvt_u32_f32_e32 v1, v3
	s_delay_alu instid0(VALU_DEP_2) | instskip(NEXT) | instid1(VALU_DEP_2)
	v_cvt_u32_f32_e32 v3, v7
	v_dual_mov_b32 v7, v6 :: v_dual_bitop2_b32 v11, v1, v6 bitop3:0x14
	s_delay_alu instid0(VALU_DEP_2) | instskip(NEXT) | instid1(VALU_DEP_1)
	v_xor_b32_e32 v10, v3, v6
	v_sub_nc_u64_e32 v[6:7], v[10:11], v[6:7]
	s_branch .LBB71_967
.LBB71_957:
	s_mov_b32 s50, 0
	s_mov_b32 s0, s43
	;; [unrolled: 1-line block ×3, first 2 shown]
	s_branch .LBB71_1216
.LBB71_958:
	s_mov_b32 s47, -1
	s_mov_b32 s48, 0
	s_mov_b32 s25, s44
                                        ; implicit-def: $vgpr6_vgpr7
	s_branch .LBB71_1028
.LBB71_959:
	s_mov_b32 s49, -1
	s_mov_b32 s48, 0
	s_mov_b32 s25, s44
                                        ; implicit-def: $vgpr6_vgpr7
	s_branch .LBB71_994
.LBB71_960:
	s_mov_b32 s49, -1
	s_mov_b32 s48, 0
	s_mov_b32 s25, s44
                                        ; implicit-def: $vgpr6_vgpr7
	s_branch .LBB71_977
.LBB71_961:
	s_mov_b32 s49, -1
	s_mov_b32 s48, 0
	s_mov_b32 s25, s44
                                        ; implicit-def: $vgpr6_vgpr7
	s_branch .LBB71_972
.LBB71_962:
	s_mov_b32 s49, -1
	s_mov_b32 s48, 0
	s_mov_b32 s25, s44
	s_branch .LBB71_966
.LBB71_963:
	s_and_not1_saveexec_b32 s47, s47
	s_cbranch_execz .LBB71_730
.LBB71_964:
	v_add_f32_e32 v1, 0x42800000, v4
	s_and_not1_b32 s46, s46, exec_lo
	s_delay_alu instid0(VALU_DEP_1) | instskip(NEXT) | instid1(VALU_DEP_1)
	v_and_b32_e32 v1, 0xff, v1
	v_cmp_ne_u32_e32 vcc_lo, 0, v1
	s_and_b32 s48, vcc_lo, exec_lo
	s_delay_alu instid0(SALU_CYCLE_1)
	s_or_b32 s46, s46, s48
	s_or_b32 exec_lo, exec_lo, s47
	v_mov_b32_e32 v5, 0
	s_and_saveexec_b32 s47, s46
	s_cbranch_execnz .LBB71_731
	s_branch .LBB71_732
.LBB71_965:
	s_mov_b32 s25, -1
	s_mov_b32 s48, 0
.LBB71_966:
                                        ; implicit-def: $vgpr6_vgpr7
.LBB71_967:
	s_and_b32 vcc_lo, exec_lo, s49
	s_cbranch_vccz .LBB71_971
; %bb.968:
	s_cmp_eq_u32 s47, 44
	s_cbranch_scc0 .LBB71_970
; %bb.969:
	global_load_u8 v1, v[8:9], off
	s_mov_b32 s25, 0
	s_mov_b32 s48, -1
	s_wait_loadcnt 0x0
	v_lshlrev_b32_e32 v3, 23, v1
	v_cmp_ne_u32_e32 vcc_lo, 0, v1
	s_delay_alu instid0(VALU_DEP_2) | instskip(NEXT) | instid1(VALU_DEP_1)
	v_trunc_f32_e32 v3, v3
	v_mul_f32_e64 v6, 0x2f800000, |v3|
	s_delay_alu instid0(VALU_DEP_1) | instskip(SKIP_1) | instid1(VALU_DEP_2)
	v_floor_f32_e32 v7, v6
	v_ashrrev_i32_e32 v6, 31, v3
	v_fma_f32 v10, 0xcf800000, v7, |v3|
	v_cvt_u32_f32_e32 v3, v7
	s_delay_alu instid0(VALU_DEP_3) | instskip(NEXT) | instid1(VALU_DEP_3)
	v_mov_b32_e32 v7, v6
	v_cvt_u32_f32_e32 v10, v10
	s_delay_alu instid0(VALU_DEP_3) | instskip(NEXT) | instid1(VALU_DEP_2)
	v_xor_b32_e32 v11, v3, v6
	v_xor_b32_e32 v10, v10, v6
	s_delay_alu instid0(VALU_DEP_1) | instskip(NEXT) | instid1(VALU_DEP_1)
	v_sub_nc_u64_e32 v[6:7], v[10:11], v[6:7]
	v_dual_cndmask_b32 v7, 0, v7 :: v_dual_cndmask_b32 v6, 0, v6
	s_branch .LBB71_971
.LBB71_970:
	s_mov_b32 s25, -1
                                        ; implicit-def: $vgpr6_vgpr7
.LBB71_971:
	s_mov_b32 s49, 0
.LBB71_972:
	s_delay_alu instid0(SALU_CYCLE_1)
	s_and_b32 vcc_lo, exec_lo, s49
	s_cbranch_vccz .LBB71_976
; %bb.973:
	s_cmp_eq_u32 s47, 29
	s_cbranch_scc0 .LBB71_975
; %bb.974:
	global_load_b64 v[6:7], v[8:9], off
	s_mov_b32 s48, -1
	s_mov_b32 s25, 0
	s_branch .LBB71_976
.LBB71_975:
	s_mov_b32 s25, -1
                                        ; implicit-def: $vgpr6_vgpr7
.LBB71_976:
	s_mov_b32 s49, 0
.LBB71_977:
	s_delay_alu instid0(SALU_CYCLE_1)
	s_and_b32 vcc_lo, exec_lo, s49
	s_cbranch_vccz .LBB71_993
; %bb.978:
	s_cmp_lt_i32 s47, 27
	s_cbranch_scc1 .LBB71_981
; %bb.979:
	s_cmp_gt_i32 s47, 27
	s_cbranch_scc0 .LBB71_982
; %bb.980:
	s_wait_loadcnt 0x0
	global_load_b32 v6, v[8:9], off
	v_mov_b32_e32 v7, 0
	s_mov_b32 s48, 0
	s_branch .LBB71_983
.LBB71_981:
	s_mov_b32 s48, -1
                                        ; implicit-def: $vgpr6_vgpr7
	s_branch .LBB71_986
.LBB71_982:
	s_mov_b32 s48, -1
                                        ; implicit-def: $vgpr6_vgpr7
.LBB71_983:
	s_delay_alu instid0(SALU_CYCLE_1)
	s_and_not1_b32 vcc_lo, exec_lo, s48
	s_cbranch_vccnz .LBB71_985
; %bb.984:
	global_load_u16 v1, v[8:9], off
	s_mov_b32 s48, 0
	s_wait_loadcnt 0x1
	v_mov_b32_e32 v7, s48
	s_wait_loadcnt 0x0
	v_and_b32_e32 v6, 0xffff, v1
.LBB71_985:
	s_mov_b32 s48, 0
.LBB71_986:
	s_delay_alu instid0(SALU_CYCLE_1)
	s_and_not1_b32 vcc_lo, exec_lo, s48
	s_cbranch_vccnz .LBB71_992
; %bb.987:
	global_load_u8 v1, v[8:9], off
	s_mov_b32 s49, 0
	s_mov_b32 s48, exec_lo
	s_wait_loadcnt 0x0
	v_cmpx_lt_i16_e32 0x7f, v1
	s_xor_b32 s48, exec_lo, s48
	s_cbranch_execz .LBB71_1004
; %bb.988:
	v_cmp_ne_u16_e32 vcc_lo, 0x80, v1
	s_and_b32 s49, vcc_lo, exec_lo
	s_and_not1_saveexec_b32 s48, s48
	s_cbranch_execnz .LBB71_1005
.LBB71_989:
	s_or_b32 exec_lo, exec_lo, s48
	v_mov_b64_e32 v[6:7], 0
	s_and_saveexec_b32 s48, s49
	s_cbranch_execz .LBB71_991
.LBB71_990:
	v_and_b32_e32 v3, 0xffff, v1
	s_delay_alu instid0(VALU_DEP_1) | instskip(SKIP_1) | instid1(VALU_DEP_2)
	v_dual_lshlrev_b32 v1, 24, v1 :: v_dual_bitop2_b32 v6, 7, v3 bitop3:0x40
	v_bfe_u32 v11, v3, 3, 4
	v_and_b32_e32 v1, 0x80000000, v1
	s_delay_alu instid0(VALU_DEP_3) | instskip(NEXT) | instid1(VALU_DEP_3)
	v_clz_i32_u32_e32 v7, v6
	v_cmp_eq_u32_e32 vcc_lo, 0, v11
	s_delay_alu instid0(VALU_DEP_2) | instskip(NEXT) | instid1(VALU_DEP_1)
	v_min_u32_e32 v7, 32, v7
	v_subrev_nc_u32_e32 v10, 28, v7
	v_sub_nc_u32_e32 v7, 29, v7
	s_delay_alu instid0(VALU_DEP_2) | instskip(NEXT) | instid1(VALU_DEP_2)
	v_lshlrev_b32_e32 v3, v10, v3
	v_cndmask_b32_e32 v7, v11, v7, vcc_lo
	s_delay_alu instid0(VALU_DEP_2) | instskip(NEXT) | instid1(VALU_DEP_1)
	v_and_b32_e32 v3, 7, v3
	v_cndmask_b32_e32 v3, v6, v3, vcc_lo
	s_delay_alu instid0(VALU_DEP_3) | instskip(NEXT) | instid1(VALU_DEP_2)
	v_lshl_add_u32 v6, v7, 23, 0x3b800000
	v_lshlrev_b32_e32 v3, 20, v3
	s_delay_alu instid0(VALU_DEP_1) | instskip(NEXT) | instid1(VALU_DEP_1)
	v_or3_b32 v1, v1, v6, v3
	v_trunc_f32_e32 v1, v1
	s_delay_alu instid0(VALU_DEP_1) | instskip(SKIP_1) | instid1(VALU_DEP_2)
	v_mul_f32_e64 v3, 0x2f800000, |v1|
	v_ashrrev_i32_e32 v6, 31, v1
	v_floor_f32_e32 v3, v3
	s_delay_alu instid0(VALU_DEP_1) | instskip(SKIP_1) | instid1(VALU_DEP_2)
	v_fma_f32 v7, 0xcf800000, v3, |v1|
	v_cvt_u32_f32_e32 v1, v3
	v_cvt_u32_f32_e32 v3, v7
	s_delay_alu instid0(VALU_DEP_2) | instskip(NEXT) | instid1(VALU_DEP_2)
	v_dual_mov_b32 v7, v6 :: v_dual_bitop2_b32 v11, v1, v6 bitop3:0x14
	v_xor_b32_e32 v10, v3, v6
	s_delay_alu instid0(VALU_DEP_1)
	v_sub_nc_u64_e32 v[6:7], v[10:11], v[6:7]
.LBB71_991:
	s_or_b32 exec_lo, exec_lo, s48
.LBB71_992:
	s_mov_b32 s48, -1
.LBB71_993:
	s_mov_b32 s49, 0
.LBB71_994:
	s_delay_alu instid0(SALU_CYCLE_1)
	s_and_b32 vcc_lo, exec_lo, s49
	s_cbranch_vccz .LBB71_1027
; %bb.995:
	s_cmp_gt_i32 s47, 22
	s_cbranch_scc0 .LBB71_1003
; %bb.996:
	s_cmp_lt_i32 s47, 24
	s_cbranch_scc1 .LBB71_1006
; %bb.997:
	s_cmp_gt_i32 s47, 24
	s_cbranch_scc0 .LBB71_1007
; %bb.998:
	global_load_u8 v1, v[8:9], off
	s_mov_b32 s49, 0
	s_mov_b32 s48, exec_lo
	s_wait_loadcnt 0x0
	v_cmpx_lt_i16_e32 0x7f, v1
	s_xor_b32 s48, exec_lo, s48
	s_cbranch_execz .LBB71_1019
; %bb.999:
	v_cmp_ne_u16_e32 vcc_lo, 0x80, v1
	s_and_b32 s49, vcc_lo, exec_lo
	s_and_not1_saveexec_b32 s48, s48
	s_cbranch_execnz .LBB71_1020
.LBB71_1000:
	s_or_b32 exec_lo, exec_lo, s48
	v_mov_b64_e32 v[6:7], 0
	s_and_saveexec_b32 s48, s49
	s_cbranch_execz .LBB71_1002
.LBB71_1001:
	v_and_b32_e32 v3, 0xffff, v1
	s_delay_alu instid0(VALU_DEP_1) | instskip(SKIP_1) | instid1(VALU_DEP_2)
	v_dual_lshlrev_b32 v1, 24, v1 :: v_dual_bitop2_b32 v6, 3, v3 bitop3:0x40
	v_bfe_u32 v11, v3, 2, 5
	v_and_b32_e32 v1, 0x80000000, v1
	s_delay_alu instid0(VALU_DEP_3) | instskip(NEXT) | instid1(VALU_DEP_3)
	v_clz_i32_u32_e32 v7, v6
	v_cmp_eq_u32_e32 vcc_lo, 0, v11
	s_delay_alu instid0(VALU_DEP_2) | instskip(NEXT) | instid1(VALU_DEP_1)
	v_min_u32_e32 v7, 32, v7
	v_subrev_nc_u32_e32 v10, 29, v7
	v_sub_nc_u32_e32 v7, 30, v7
	s_delay_alu instid0(VALU_DEP_2) | instskip(NEXT) | instid1(VALU_DEP_2)
	v_lshlrev_b32_e32 v3, v10, v3
	v_cndmask_b32_e32 v7, v11, v7, vcc_lo
	s_delay_alu instid0(VALU_DEP_2) | instskip(NEXT) | instid1(VALU_DEP_1)
	v_and_b32_e32 v3, 3, v3
	v_cndmask_b32_e32 v3, v6, v3, vcc_lo
	s_delay_alu instid0(VALU_DEP_3) | instskip(NEXT) | instid1(VALU_DEP_2)
	v_lshl_add_u32 v6, v7, 23, 0x37800000
	v_lshlrev_b32_e32 v3, 21, v3
	s_delay_alu instid0(VALU_DEP_1) | instskip(NEXT) | instid1(VALU_DEP_1)
	v_or3_b32 v1, v1, v6, v3
	v_trunc_f32_e32 v1, v1
	s_delay_alu instid0(VALU_DEP_1) | instskip(SKIP_1) | instid1(VALU_DEP_2)
	v_mul_f32_e64 v3, 0x2f800000, |v1|
	v_ashrrev_i32_e32 v6, 31, v1
	v_floor_f32_e32 v3, v3
	s_delay_alu instid0(VALU_DEP_1) | instskip(SKIP_1) | instid1(VALU_DEP_2)
	v_fma_f32 v7, 0xcf800000, v3, |v1|
	v_cvt_u32_f32_e32 v1, v3
	v_cvt_u32_f32_e32 v3, v7
	s_delay_alu instid0(VALU_DEP_2) | instskip(NEXT) | instid1(VALU_DEP_2)
	v_dual_mov_b32 v7, v6 :: v_dual_bitop2_b32 v11, v1, v6 bitop3:0x14
	v_xor_b32_e32 v10, v3, v6
	s_delay_alu instid0(VALU_DEP_1)
	v_sub_nc_u64_e32 v[6:7], v[10:11], v[6:7]
.LBB71_1002:
	s_or_b32 exec_lo, exec_lo, s48
	s_mov_b32 s48, 0
	s_branch .LBB71_1008
.LBB71_1003:
	s_mov_b32 s49, -1
                                        ; implicit-def: $vgpr6_vgpr7
	s_branch .LBB71_1014
.LBB71_1004:
	s_and_not1_saveexec_b32 s48, s48
	s_cbranch_execz .LBB71_989
.LBB71_1005:
	v_cmp_ne_u16_e32 vcc_lo, 0, v1
	s_and_not1_b32 s49, s49, exec_lo
	s_and_b32 s50, vcc_lo, exec_lo
	s_delay_alu instid0(SALU_CYCLE_1)
	s_or_b32 s49, s49, s50
	s_or_b32 exec_lo, exec_lo, s48
	v_mov_b64_e32 v[6:7], 0
	s_and_saveexec_b32 s48, s49
	s_cbranch_execnz .LBB71_990
	s_branch .LBB71_991
.LBB71_1006:
	s_mov_b32 s48, -1
                                        ; implicit-def: $vgpr6_vgpr7
	s_branch .LBB71_1011
.LBB71_1007:
	s_mov_b32 s48, -1
                                        ; implicit-def: $vgpr6_vgpr7
.LBB71_1008:
	s_delay_alu instid0(SALU_CYCLE_1)
	s_and_b32 vcc_lo, exec_lo, s48
	s_cbranch_vccz .LBB71_1010
; %bb.1009:
	global_load_u8 v1, v[8:9], off
	s_wait_loadcnt 0x0
	v_lshlrev_b32_e32 v1, 24, v1
	s_delay_alu instid0(VALU_DEP_1) | instskip(NEXT) | instid1(VALU_DEP_1)
	v_and_b32_e32 v3, 0x7f000000, v1
	v_clz_i32_u32_e32 v6, v3
	v_cmp_ne_u32_e32 vcc_lo, 0, v3
	v_add_nc_u32_e32 v10, 0x1000000, v3
	s_delay_alu instid0(VALU_DEP_3) | instskip(NEXT) | instid1(VALU_DEP_1)
	v_min_u32_e32 v6, 32, v6
	v_sub_nc_u32_e64 v6, v6, 4 clamp
	s_delay_alu instid0(VALU_DEP_1) | instskip(NEXT) | instid1(VALU_DEP_1)
	v_dual_lshlrev_b32 v7, v6, v3 :: v_dual_lshlrev_b32 v6, 23, v6
	v_lshrrev_b32_e32 v7, 4, v7
	s_delay_alu instid0(VALU_DEP_1) | instskip(SKIP_1) | instid1(VALU_DEP_2)
	v_sub_nc_u32_e32 v6, v7, v6
	v_ashrrev_i32_e32 v7, 8, v10
	v_add_nc_u32_e32 v6, 0x3c000000, v6
	s_delay_alu instid0(VALU_DEP_1) | instskip(NEXT) | instid1(VALU_DEP_1)
	v_and_or_b32 v6, 0x7f800000, v7, v6
	v_cndmask_b32_e32 v3, 0, v6, vcc_lo
	s_delay_alu instid0(VALU_DEP_1) | instskip(NEXT) | instid1(VALU_DEP_1)
	v_and_or_b32 v1, 0x80000000, v1, v3
	v_trunc_f32_e32 v1, v1
	s_delay_alu instid0(VALU_DEP_1) | instskip(SKIP_1) | instid1(VALU_DEP_2)
	v_mul_f32_e64 v3, 0x2f800000, |v1|
	v_ashrrev_i32_e32 v6, 31, v1
	v_floor_f32_e32 v3, v3
	s_delay_alu instid0(VALU_DEP_1) | instskip(SKIP_1) | instid1(VALU_DEP_2)
	v_fma_f32 v7, 0xcf800000, v3, |v1|
	v_cvt_u32_f32_e32 v1, v3
	v_cvt_u32_f32_e32 v3, v7
	s_delay_alu instid0(VALU_DEP_2) | instskip(NEXT) | instid1(VALU_DEP_2)
	v_dual_mov_b32 v7, v6 :: v_dual_bitop2_b32 v11, v1, v6 bitop3:0x14
	v_xor_b32_e32 v10, v3, v6
	s_delay_alu instid0(VALU_DEP_1)
	v_sub_nc_u64_e32 v[6:7], v[10:11], v[6:7]
.LBB71_1010:
	s_mov_b32 s48, 0
.LBB71_1011:
	s_delay_alu instid0(SALU_CYCLE_1)
	s_and_not1_b32 vcc_lo, exec_lo, s48
	s_cbranch_vccnz .LBB71_1013
; %bb.1012:
	global_load_u8 v1, v[8:9], off
	s_wait_loadcnt 0x0
	v_lshlrev_b32_e32 v3, 25, v1
	v_lshlrev_b16 v1, 8, v1
	s_delay_alu instid0(VALU_DEP_1) | instskip(SKIP_1) | instid1(VALU_DEP_2)
	v_and_or_b32 v7, 0x7f00, v1, 0.5
	v_bfe_i32 v1, v1, 0, 16
	v_add_f32_e32 v7, -0.5, v7
	v_lshrrev_b32_e32 v6, 4, v3
	v_cmp_gt_u32_e32 vcc_lo, 0x8000000, v3
	s_delay_alu instid0(VALU_DEP_2) | instskip(NEXT) | instid1(VALU_DEP_1)
	v_or_b32_e32 v6, 0x70000000, v6
	v_mul_f32_e32 v6, 0x7800000, v6
	s_delay_alu instid0(VALU_DEP_1) | instskip(NEXT) | instid1(VALU_DEP_1)
	v_cndmask_b32_e32 v3, v6, v7, vcc_lo
	v_and_or_b32 v1, 0x80000000, v1, v3
	s_delay_alu instid0(VALU_DEP_1) | instskip(NEXT) | instid1(VALU_DEP_1)
	v_trunc_f32_e32 v1, v1
	v_mul_f32_e64 v3, 0x2f800000, |v1|
	v_ashrrev_i32_e32 v6, 31, v1
	s_delay_alu instid0(VALU_DEP_2) | instskip(NEXT) | instid1(VALU_DEP_1)
	v_floor_f32_e32 v3, v3
	v_fma_f32 v7, 0xcf800000, v3, |v1|
	v_cvt_u32_f32_e32 v1, v3
	s_delay_alu instid0(VALU_DEP_2) | instskip(NEXT) | instid1(VALU_DEP_2)
	v_cvt_u32_f32_e32 v3, v7
	v_dual_mov_b32 v7, v6 :: v_dual_bitop2_b32 v11, v1, v6 bitop3:0x14
	s_delay_alu instid0(VALU_DEP_2) | instskip(NEXT) | instid1(VALU_DEP_1)
	v_xor_b32_e32 v10, v3, v6
	v_sub_nc_u64_e32 v[6:7], v[10:11], v[6:7]
.LBB71_1013:
	s_mov_b32 s49, 0
	s_mov_b32 s48, -1
.LBB71_1014:
	s_and_not1_b32 vcc_lo, exec_lo, s49
	s_cbranch_vccnz .LBB71_1027
; %bb.1015:
	s_cmp_gt_i32 s47, 14
	s_cbranch_scc0 .LBB71_1018
; %bb.1016:
	s_cmp_eq_u32 s47, 15
	s_cbranch_scc0 .LBB71_1021
; %bb.1017:
	global_load_u16 v1, v[8:9], off
	s_mov_b32 s48, -1
	s_mov_b32 s25, 0
	s_wait_loadcnt 0x0
	v_lshlrev_b32_e32 v1, 16, v1
	s_delay_alu instid0(VALU_DEP_1) | instskip(NEXT) | instid1(VALU_DEP_1)
	v_trunc_f32_e32 v1, v1
	v_mul_f32_e64 v3, 0x2f800000, |v1|
	v_ashrrev_i32_e32 v6, 31, v1
	s_delay_alu instid0(VALU_DEP_2) | instskip(NEXT) | instid1(VALU_DEP_1)
	v_floor_f32_e32 v3, v3
	v_fma_f32 v7, 0xcf800000, v3, |v1|
	v_cvt_u32_f32_e32 v1, v3
	s_delay_alu instid0(VALU_DEP_2) | instskip(NEXT) | instid1(VALU_DEP_2)
	v_cvt_u32_f32_e32 v3, v7
	v_dual_mov_b32 v7, v6 :: v_dual_bitop2_b32 v11, v1, v6 bitop3:0x14
	s_delay_alu instid0(VALU_DEP_2) | instskip(NEXT) | instid1(VALU_DEP_1)
	v_xor_b32_e32 v10, v3, v6
	v_sub_nc_u64_e32 v[6:7], v[10:11], v[6:7]
	s_branch .LBB71_1022
.LBB71_1018:
	s_mov_b32 s49, -1
                                        ; implicit-def: $vgpr6_vgpr7
	s_branch .LBB71_1023
.LBB71_1019:
	s_and_not1_saveexec_b32 s48, s48
	s_cbranch_execz .LBB71_1000
.LBB71_1020:
	v_cmp_ne_u16_e32 vcc_lo, 0, v1
	s_and_not1_b32 s49, s49, exec_lo
	s_and_b32 s50, vcc_lo, exec_lo
	s_delay_alu instid0(SALU_CYCLE_1)
	s_or_b32 s49, s49, s50
	s_or_b32 exec_lo, exec_lo, s48
	v_mov_b64_e32 v[6:7], 0
	s_and_saveexec_b32 s48, s49
	s_cbranch_execnz .LBB71_1001
	s_branch .LBB71_1002
.LBB71_1021:
	s_mov_b32 s25, -1
                                        ; implicit-def: $vgpr6_vgpr7
.LBB71_1022:
	s_mov_b32 s49, 0
.LBB71_1023:
	s_delay_alu instid0(SALU_CYCLE_1)
	s_and_b32 vcc_lo, exec_lo, s49
	s_cbranch_vccz .LBB71_1027
; %bb.1024:
	s_cmp_eq_u32 s47, 11
	s_cbranch_scc0 .LBB71_1026
; %bb.1025:
	global_load_u8 v1, v[8:9], off
	s_mov_b32 s25, 0
	s_mov_b32 s48, -1
	s_wait_loadcnt 0x1
	v_mov_b32_e32 v7, s25
	s_wait_loadcnt 0x0
	v_cmp_ne_u16_e32 vcc_lo, 0, v1
	v_cndmask_b32_e64 v6, 0, 1, vcc_lo
	s_branch .LBB71_1027
.LBB71_1026:
	s_mov_b32 s25, -1
                                        ; implicit-def: $vgpr6_vgpr7
.LBB71_1027:
	s_mov_b32 s47, 0
.LBB71_1028:
	s_delay_alu instid0(SALU_CYCLE_1)
	s_and_b32 vcc_lo, exec_lo, s47
	s_cbranch_vccz .LBB71_1077
; %bb.1029:
	s_and_b32 s0, 0xffff, s0
	s_delay_alu instid0(SALU_CYCLE_1)
	s_cmp_lt_i32 s0, 5
	s_cbranch_scc1 .LBB71_1034
; %bb.1030:
	s_cmp_lt_i32 s0, 8
	s_cbranch_scc1 .LBB71_1035
; %bb.1031:
	;; [unrolled: 3-line block ×3, first 2 shown]
	s_cmp_gt_i32 s0, 9
	s_cbranch_scc0 .LBB71_1037
; %bb.1033:
	s_wait_loadcnt 0x0
	global_load_b64 v[6:7], v[8:9], off
	s_mov_b32 s47, 0
	s_wait_loadcnt 0x0
	v_trunc_f64_e32 v[6:7], v[6:7]
	s_delay_alu instid0(VALU_DEP_1) | instskip(NEXT) | instid1(VALU_DEP_1)
	v_ldexp_f64 v[10:11], v[6:7], 0xffffffe0
	v_floor_f64_e32 v[10:11], v[10:11]
	s_delay_alu instid0(VALU_DEP_1) | instskip(SKIP_1) | instid1(VALU_DEP_2)
	v_fmamk_f64 v[12:13], v[10:11], 0xc1f00000, v[6:7]
	v_cvt_i32_f64_e32 v7, v[10:11]
	v_cvt_u32_f64_e32 v6, v[12:13]
	s_branch .LBB71_1038
.LBB71_1034:
	s_mov_b32 s47, -1
                                        ; implicit-def: $vgpr6_vgpr7
	s_branch .LBB71_1056
.LBB71_1035:
	s_mov_b32 s47, -1
                                        ; implicit-def: $vgpr6_vgpr7
	s_branch .LBB71_1044
.LBB71_1036:
	s_mov_b32 s47, -1
                                        ; implicit-def: $vgpr6_vgpr7
	s_branch .LBB71_1041
.LBB71_1037:
	s_mov_b32 s47, -1
                                        ; implicit-def: $vgpr6_vgpr7
.LBB71_1038:
	s_delay_alu instid0(SALU_CYCLE_1)
	s_and_not1_b32 vcc_lo, exec_lo, s47
	s_cbranch_vccnz .LBB71_1040
; %bb.1039:
	global_load_b32 v1, v[8:9], off
	s_wait_loadcnt 0x0
	v_trunc_f32_e32 v1, v1
	s_delay_alu instid0(VALU_DEP_1) | instskip(SKIP_1) | instid1(VALU_DEP_2)
	v_mul_f32_e64 v3, 0x2f800000, |v1|
	v_ashrrev_i32_e32 v6, 31, v1
	v_floor_f32_e32 v3, v3
	s_delay_alu instid0(VALU_DEP_1) | instskip(SKIP_1) | instid1(VALU_DEP_2)
	v_fma_f32 v7, 0xcf800000, v3, |v1|
	v_cvt_u32_f32_e32 v1, v3
	v_cvt_u32_f32_e32 v3, v7
	s_delay_alu instid0(VALU_DEP_2) | instskip(NEXT) | instid1(VALU_DEP_2)
	v_dual_mov_b32 v7, v6 :: v_dual_bitop2_b32 v11, v1, v6 bitop3:0x14
	v_xor_b32_e32 v10, v3, v6
	s_delay_alu instid0(VALU_DEP_1)
	v_sub_nc_u64_e32 v[6:7], v[10:11], v[6:7]
.LBB71_1040:
	s_mov_b32 s47, 0
.LBB71_1041:
	s_delay_alu instid0(SALU_CYCLE_1)
	s_and_not1_b32 vcc_lo, exec_lo, s47
	s_cbranch_vccnz .LBB71_1043
; %bb.1042:
	global_load_b32 v1, v[8:9], off
	s_wait_loadcnt 0x0
	v_cvt_f32_f16_e32 v1, v1
	s_delay_alu instid0(VALU_DEP_1) | instskip(NEXT) | instid1(VALU_DEP_1)
	v_cvt_i32_f32_e32 v6, v1
	v_ashrrev_i32_e32 v7, 31, v6
.LBB71_1043:
	s_mov_b32 s47, 0
.LBB71_1044:
	s_delay_alu instid0(SALU_CYCLE_1)
	s_and_not1_b32 vcc_lo, exec_lo, s47
	s_cbranch_vccnz .LBB71_1055
; %bb.1045:
	s_cmp_lt_i32 s0, 6
	s_cbranch_scc1 .LBB71_1048
; %bb.1046:
	s_cmp_gt_i32 s0, 6
	s_cbranch_scc0 .LBB71_1049
; %bb.1047:
	s_wait_loadcnt 0x0
	global_load_b64 v[6:7], v[8:9], off
	s_mov_b32 s47, 0
	s_wait_loadcnt 0x0
	v_trunc_f64_e32 v[6:7], v[6:7]
	s_delay_alu instid0(VALU_DEP_1) | instskip(NEXT) | instid1(VALU_DEP_1)
	v_ldexp_f64 v[10:11], v[6:7], 0xffffffe0
	v_floor_f64_e32 v[10:11], v[10:11]
	s_delay_alu instid0(VALU_DEP_1) | instskip(SKIP_1) | instid1(VALU_DEP_2)
	v_fmamk_f64 v[12:13], v[10:11], 0xc1f00000, v[6:7]
	v_cvt_i32_f64_e32 v7, v[10:11]
	v_cvt_u32_f64_e32 v6, v[12:13]
	s_branch .LBB71_1050
.LBB71_1048:
	s_mov_b32 s47, -1
                                        ; implicit-def: $vgpr6_vgpr7
	s_branch .LBB71_1053
.LBB71_1049:
	s_mov_b32 s47, -1
                                        ; implicit-def: $vgpr6_vgpr7
.LBB71_1050:
	s_delay_alu instid0(SALU_CYCLE_1)
	s_and_not1_b32 vcc_lo, exec_lo, s47
	s_cbranch_vccnz .LBB71_1052
; %bb.1051:
	global_load_b32 v1, v[8:9], off
	s_wait_loadcnt 0x0
	v_trunc_f32_e32 v1, v1
	s_delay_alu instid0(VALU_DEP_1) | instskip(SKIP_1) | instid1(VALU_DEP_2)
	v_mul_f32_e64 v3, 0x2f800000, |v1|
	v_ashrrev_i32_e32 v6, 31, v1
	v_floor_f32_e32 v3, v3
	s_delay_alu instid0(VALU_DEP_1) | instskip(SKIP_1) | instid1(VALU_DEP_2)
	v_fma_f32 v7, 0xcf800000, v3, |v1|
	v_cvt_u32_f32_e32 v1, v3
	v_cvt_u32_f32_e32 v3, v7
	s_delay_alu instid0(VALU_DEP_2) | instskip(NEXT) | instid1(VALU_DEP_2)
	v_dual_mov_b32 v7, v6 :: v_dual_bitop2_b32 v11, v1, v6 bitop3:0x14
	v_xor_b32_e32 v10, v3, v6
	s_delay_alu instid0(VALU_DEP_1)
	v_sub_nc_u64_e32 v[6:7], v[10:11], v[6:7]
.LBB71_1052:
	s_mov_b32 s47, 0
.LBB71_1053:
	s_delay_alu instid0(SALU_CYCLE_1)
	s_and_not1_b32 vcc_lo, exec_lo, s47
	s_cbranch_vccnz .LBB71_1055
; %bb.1054:
	global_load_u16 v1, v[8:9], off
	s_wait_loadcnt 0x0
	v_cvt_f32_f16_e32 v1, v1
	s_delay_alu instid0(VALU_DEP_1) | instskip(NEXT) | instid1(VALU_DEP_1)
	v_cvt_i32_f32_e32 v6, v1
	v_ashrrev_i32_e32 v7, 31, v6
.LBB71_1055:
	s_mov_b32 s47, 0
.LBB71_1056:
	s_delay_alu instid0(SALU_CYCLE_1)
	s_and_not1_b32 vcc_lo, exec_lo, s47
	s_cbranch_vccnz .LBB71_1076
; %bb.1057:
	s_cmp_lt_i32 s0, 2
	s_cbranch_scc1 .LBB71_1061
; %bb.1058:
	s_cmp_lt_i32 s0, 3
	s_cbranch_scc1 .LBB71_1062
; %bb.1059:
	s_cmp_gt_i32 s0, 3
	s_cbranch_scc0 .LBB71_1063
; %bb.1060:
	s_wait_loadcnt 0x0
	global_load_b64 v[6:7], v[8:9], off
	s_mov_b32 s47, 0
	s_branch .LBB71_1064
.LBB71_1061:
	s_mov_b32 s47, -1
                                        ; implicit-def: $vgpr6_vgpr7
	s_branch .LBB71_1070
.LBB71_1062:
	s_mov_b32 s47, -1
                                        ; implicit-def: $vgpr6_vgpr7
	s_branch .LBB71_1067
.LBB71_1063:
	s_mov_b32 s47, -1
                                        ; implicit-def: $vgpr6_vgpr7
.LBB71_1064:
	s_delay_alu instid0(SALU_CYCLE_1)
	s_and_not1_b32 vcc_lo, exec_lo, s47
	s_cbranch_vccnz .LBB71_1066
; %bb.1065:
	s_wait_loadcnt 0x0
	global_load_b32 v6, v[8:9], off
	s_wait_loadcnt 0x0
	v_ashrrev_i32_e32 v7, 31, v6
.LBB71_1066:
	s_mov_b32 s47, 0
.LBB71_1067:
	s_delay_alu instid0(SALU_CYCLE_1)
	s_and_not1_b32 vcc_lo, exec_lo, s47
	s_cbranch_vccnz .LBB71_1069
; %bb.1068:
	global_load_u16 v1, v[8:9], off
	s_wait_loadcnt 0x0
	v_bfe_i32 v6, v1, 0, 16
	s_delay_alu instid0(VALU_DEP_1)
	v_ashrrev_i32_e32 v7, 31, v6
.LBB71_1069:
	s_mov_b32 s47, 0
.LBB71_1070:
	s_delay_alu instid0(SALU_CYCLE_1)
	s_and_not1_b32 vcc_lo, exec_lo, s47
	s_cbranch_vccnz .LBB71_1076
; %bb.1071:
	s_cmp_gt_i32 s0, 0
	s_mov_b32 s0, 0
	s_cbranch_scc0 .LBB71_1073
; %bb.1072:
	global_load_i8 v1, v[8:9], off
	s_wait_loadcnt 0x0
	v_bfe_i32 v6, v1, 0, 16
	s_delay_alu instid0(VALU_DEP_1)
	v_ashrrev_i32_e32 v7, 31, v6
	s_branch .LBB71_1074
.LBB71_1073:
	s_mov_b32 s0, -1
                                        ; implicit-def: $vgpr6_vgpr7
.LBB71_1074:
	s_delay_alu instid0(SALU_CYCLE_1)
	s_and_not1_b32 vcc_lo, exec_lo, s0
	s_cbranch_vccnz .LBB71_1076
; %bb.1075:
	global_load_u8 v1, v[8:9], off
	s_mov_b32 s0, 0
	s_wait_loadcnt 0x1
	v_mov_b32_e32 v7, s0
	s_wait_loadcnt 0x0
	v_and_b32_e32 v6, 0xffff, v1
.LBB71_1076:
	s_mov_b32 s48, -1
.LBB71_1077:
	s_delay_alu instid0(SALU_CYCLE_1)
	s_and_not1_b32 vcc_lo, exec_lo, s48
	s_cbranch_vccnz .LBB71_1085
; %bb.1078:
	s_wait_loadcnt 0x0
	s_delay_alu instid0(VALU_DEP_1) | instskip(SKIP_1) | instid1(VALU_DEP_1)
	v_sub_nc_u64_e32 v[8:9], 0, v[6:7]
	s_mov_b32 s47, exec_lo
	v_max_i64 v[10:11], v[6:7], v[8:9]
	v_cmpx_ne_u64_e32 0, v[4:5]
	s_cbranch_execz .LBB71_1087
; %bb.1079:
	v_sub_nc_u64_e32 v[8:9], 0, v[4:5]
	s_mov_b32 s48, 0
	s_delay_alu instid0(VALU_DEP_1)
	v_max_i64 v[14:15], v[4:5], v[8:9]
	v_mov_b32_e32 v8, 0
	s_branch .LBB71_1081
.LBB71_1080:                            ;   in Loop: Header=BB71_1081 Depth=1
	s_or_b32 exec_lo, exec_lo, s0
	s_delay_alu instid0(VALU_DEP_1) | instskip(SKIP_2) | instid1(SALU_CYCLE_1)
	v_cmp_eq_u64_e32 vcc_lo, 0, v[14:15]
	v_mov_b64_e32 v[10:11], v[12:13]
	s_or_b32 s48, vcc_lo, s48
	s_and_not1_b32 exec_lo, exec_lo, s48
	s_cbranch_execz .LBB71_1086
.LBB71_1081:                            ; =>This Inner Loop Header: Depth=1
	s_delay_alu instid0(VALU_DEP_2) | instskip(SKIP_1) | instid1(VALU_DEP_1)
	v_mov_b64_e32 v[12:13], v[14:15]
                                        ; implicit-def: $vgpr14_vgpr15
	s_mov_b32 s0, exec_lo
	v_or_b32_e32 v9, v11, v13
	s_delay_alu instid0(VALU_DEP_1)
	v_cmpx_ne_u64_e32 0, v[8:9]
	s_xor_b32 s49, exec_lo, s0
	s_cbranch_execz .LBB71_1083
; %bb.1082:                             ;   in Loop: Header=BB71_1081 Depth=1
	s_delay_alu instid0(VALU_DEP_3) | instskip(SKIP_4) | instid1(VALU_DEP_4)
	v_cvt_f32_u32_e32 v1, v12
	v_cvt_f32_u32_e32 v3, v13
	v_sub_nc_u64_e32 v[16:17], 0, v[12:13]
	v_dual_mov_b32 v15, v8 :: v_dual_mov_b32 v23, v8
	v_mov_b32_e32 v25, v8
	v_fmac_f32_e32 v1, 0x4f800000, v3
	s_delay_alu instid0(VALU_DEP_1) | instskip(SKIP_1) | instid1(TRANS32_DEP_1)
	v_rcp_f32_e32 v1, v1
	v_nop
	v_mul_f32_e32 v1, 0x5f7ffffc, v1
	s_delay_alu instid0(VALU_DEP_1) | instskip(NEXT) | instid1(VALU_DEP_1)
	v_mul_f32_e32 v3, 0x2f800000, v1
	v_trunc_f32_e32 v3, v3
	s_delay_alu instid0(VALU_DEP_1) | instskip(SKIP_1) | instid1(VALU_DEP_2)
	v_fmac_f32_e32 v1, 0xcf800000, v3
	v_cvt_u32_f32_e32 v19, v3
	v_cvt_u32_f32_e32 v14, v1
	s_delay_alu instid0(VALU_DEP_1) | instskip(NEXT) | instid1(VALU_DEP_1)
	v_dual_mov_b32 v24, v19 :: v_dual_mov_b32 v18, v14
	v_mul_u64_e32 v[20:21], v[16:17], v[18:19]
	s_delay_alu instid0(VALU_DEP_1) | instskip(NEXT) | instid1(VALU_DEP_1)
	v_dual_mov_b32 v22, v21 :: v_dual_mov_b32 v21, v8
	v_mul_u64_e32 v[26:27], v[14:15], v[22:23]
	s_delay_alu instid0(VALU_DEP_2) | instskip(SKIP_2) | instid1(VALU_DEP_1)
	v_mul_u64_e32 v[28:29], v[24:25], v[20:21]
	v_mul_u64_e32 v[22:23], v[24:25], v[22:23]
	v_mul_hi_u32 v20, v14, v20
	v_add_nc_u64_e32 v[20:21], v[20:21], v[26:27]
	s_delay_alu instid0(VALU_DEP_1) | instskip(NEXT) | instid1(VALU_DEP_2)
	v_add_co_u32 v1, vcc_lo, v20, v28
	v_add_co_ci_u32_e32 v24, vcc_lo, v21, v29, vcc_lo
	v_add_co_ci_u32_e32 v23, vcc_lo, 0, v23, vcc_lo
	s_delay_alu instid0(VALU_DEP_1) | instskip(NEXT) | instid1(VALU_DEP_1)
	v_add_nc_u64_e32 v[20:21], v[24:25], v[22:23]
	v_add_co_u32 v14, vcc_lo, v14, v20
	s_delay_alu instid0(VALU_DEP_1) | instskip(SKIP_1) | instid1(VALU_DEP_2)
	v_add_co_ci_u32_e64 v18, null, v19, v21, vcc_lo
	v_dual_mov_b32 v21, v8 :: v_dual_mov_b32 v19, v8
	v_mov_b32_e32 v15, v18
	s_delay_alu instid0(VALU_DEP_1) | instskip(NEXT) | instid1(VALU_DEP_1)
	v_mul_u64_e32 v[16:17], v[16:17], v[14:15]
	v_dual_mov_b32 v15, v8 :: v_dual_mov_b32 v20, v17
	s_delay_alu instid0(VALU_DEP_2) | instskip(SKIP_1) | instid1(VALU_DEP_3)
	v_dual_mov_b32 v24, v16 :: v_dual_mov_b32 v17, v8
	v_mul_hi_u32 v16, v14, v16
	v_mul_u64_e32 v[22:23], v[14:15], v[20:21]
	s_delay_alu instid0(VALU_DEP_3) | instskip(SKIP_1) | instid1(VALU_DEP_3)
	v_mul_u64_e32 v[24:25], v[18:19], v[24:25]
	v_mul_u64_e32 v[20:21], v[18:19], v[20:21]
	v_add_nc_u64_e32 v[16:17], v[16:17], v[22:23]
	v_mov_b32_e32 v23, v8
	s_delay_alu instid0(VALU_DEP_2) | instskip(NEXT) | instid1(VALU_DEP_3)
	v_add_co_u32 v1, vcc_lo, v16, v24
	v_add_co_ci_u32_e32 v22, vcc_lo, v17, v25, vcc_lo
	v_add_co_ci_u32_e32 v21, vcc_lo, 0, v21, vcc_lo
	s_delay_alu instid0(VALU_DEP_1) | instskip(SKIP_1) | instid1(VALU_DEP_2)
	v_add_nc_u64_e32 v[16:17], v[22:23], v[20:21]
	v_dual_mov_b32 v20, v10 :: v_dual_mov_b32 v21, v8
	v_add_co_u32 v16, vcc_lo, v14, v16
	s_delay_alu instid0(VALU_DEP_1) | instskip(SKIP_1) | instid1(VALU_DEP_2)
	v_add_co_ci_u32_e64 v14, null, v18, v17, vcc_lo
	v_dual_mov_b32 v18, v11 :: v_dual_mov_b32 v17, v8
	v_mul_u64_e32 v[20:21], v[20:21], v[14:15]
	s_delay_alu instid0(VALU_DEP_2) | instskip(NEXT) | instid1(VALU_DEP_3)
	v_mul_u64_e32 v[14:15], v[18:19], v[14:15]
	v_mul_u64_e32 v[22:23], v[18:19], v[16:17]
	v_mul_hi_u32 v16, v10, v16
	s_delay_alu instid0(VALU_DEP_1) | instskip(NEXT) | instid1(VALU_DEP_1)
	v_add_nc_u64_e32 v[16:17], v[16:17], v[20:21]
	v_add_co_u32 v1, vcc_lo, v16, v22
	s_delay_alu instid0(VALU_DEP_2) | instskip(SKIP_1) | instid1(VALU_DEP_1)
	v_add_co_ci_u32_e32 v18, vcc_lo, v17, v23, vcc_lo
	v_add_co_ci_u32_e32 v15, vcc_lo, 0, v15, vcc_lo
	v_add_nc_u64_e32 v[14:15], v[18:19], v[14:15]
	s_delay_alu instid0(VALU_DEP_1) | instskip(NEXT) | instid1(VALU_DEP_1)
	v_mul_u64_e32 v[14:15], v[12:13], v[14:15]
	v_sub_nc_u32_e32 v1, v11, v15
	s_delay_alu instid0(VALU_DEP_2) | instskip(NEXT) | instid1(VALU_DEP_1)
	v_sub_co_u32 v3, vcc_lo, v10, v14
	v_sub_co_ci_u32_e64 v9, null, v11, v15, vcc_lo
	s_delay_alu instid0(VALU_DEP_3) | instskip(NEXT) | instid1(VALU_DEP_3)
	v_sub_co_ci_u32_e64 v1, null, v1, v13, vcc_lo
	v_sub_co_u32 v10, vcc_lo, v3, v12
	v_cmp_ge_u32_e64 s0, v3, v12
	s_delay_alu instid0(VALU_DEP_3) | instskip(SKIP_1) | instid1(VALU_DEP_3)
	v_subrev_co_ci_u32_e64 v11, null, 0, v1, vcc_lo
	v_sub_co_ci_u32_e64 v1, null, v1, v13, vcc_lo
	v_cndmask_b32_e64 v14, 0, -1, s0
	v_cmp_ge_u32_e64 s0, v10, v12
	v_cmp_ge_u32_e32 vcc_lo, v9, v13
	s_delay_alu instid0(VALU_DEP_2) | instskip(SKIP_3) | instid1(VALU_DEP_3)
	v_cndmask_b32_e64 v15, 0, -1, s0
	v_cmp_ge_u32_e64 s0, v11, v13
	v_cndmask_b32_e64 v17, 0, -1, vcc_lo
	v_cmp_eq_u32_e32 vcc_lo, v11, v13
	v_cndmask_b32_e64 v16, 0, -1, s0
	v_cmp_eq_u32_e64 s0, v9, v13
	s_delay_alu instid0(VALU_DEP_1) | instskip(SKIP_1) | instid1(VALU_DEP_1)
	v_dual_cndmask_b32 v15, v16, v15, vcc_lo :: v_dual_cndmask_b32 v14, v17, v14, s0
	v_sub_co_u32 v16, vcc_lo, v10, v12
	v_subrev_co_ci_u32_e64 v1, null, 0, v1, vcc_lo
	s_delay_alu instid0(VALU_DEP_3) | instskip(NEXT) | instid1(VALU_DEP_2)
	v_cmp_ne_u32_e32 vcc_lo, 0, v15
	v_dual_cndmask_b32 v1, v11, v1 :: v_dual_cndmask_b32 v10, v10, v16
	v_cmp_ne_u32_e32 vcc_lo, 0, v14
	s_delay_alu instid0(VALU_DEP_2)
	v_dual_cndmask_b32 v15, v9, v1 :: v_dual_cndmask_b32 v14, v3, v10
                                        ; implicit-def: $vgpr10_vgpr11
.LBB71_1083:                            ;   in Loop: Header=BB71_1081 Depth=1
	s_and_not1_saveexec_b32 s0, s49
	s_cbranch_execz .LBB71_1080
; %bb.1084:                             ;   in Loop: Header=BB71_1081 Depth=1
	v_cvt_f32_u32_e32 v1, v12
	v_dual_sub_nc_u32 v3, 0, v12 :: v_dual_mov_b32 v15, v8
	s_delay_alu instid0(VALU_DEP_2) | instskip(SKIP_1) | instid1(TRANS32_DEP_1)
	v_rcp_iflag_f32_e32 v1, v1
	v_nop
	v_mul_f32_e32 v1, 0x4f7ffffe, v1
	s_delay_alu instid0(VALU_DEP_1) | instskip(NEXT) | instid1(VALU_DEP_1)
	v_cvt_u32_f32_e32 v1, v1
	v_mul_lo_u32 v3, v3, v1
	s_delay_alu instid0(VALU_DEP_1) | instskip(NEXT) | instid1(VALU_DEP_1)
	v_mul_hi_u32 v3, v1, v3
	v_add_nc_u32_e32 v1, v1, v3
	s_delay_alu instid0(VALU_DEP_1) | instskip(NEXT) | instid1(VALU_DEP_1)
	v_mul_hi_u32 v1, v10, v1
	v_mul_lo_u32 v1, v1, v12
	s_delay_alu instid0(VALU_DEP_1) | instskip(NEXT) | instid1(VALU_DEP_1)
	v_sub_nc_u32_e32 v1, v10, v1
	v_sub_nc_u32_e32 v3, v1, v12
	v_cmp_ge_u32_e32 vcc_lo, v1, v12
	s_delay_alu instid0(VALU_DEP_2) | instskip(NEXT) | instid1(VALU_DEP_1)
	v_cndmask_b32_e32 v1, v1, v3, vcc_lo
	v_sub_nc_u32_e32 v3, v1, v12
	v_cmp_ge_u32_e32 vcc_lo, v1, v12
	s_delay_alu instid0(VALU_DEP_2)
	v_cndmask_b32_e32 v14, v1, v3, vcc_lo
	s_branch .LBB71_1080
.LBB71_1085:
	s_mov_b32 s50, 0
	s_mov_b32 s0, s43
	s_branch .LBB71_1216
.LBB71_1086:
	s_or_b32 exec_lo, exec_lo, s48
	v_mov_b64_e32 v[10:11], v[12:13]
.LBB71_1087:
	s_or_b32 exec_lo, exec_lo, s47
	v_mov_b64_e32 v[8:9], 0
	s_mov_b32 s47, exec_lo
	s_delay_alu instid0(VALU_DEP_2)
	v_cmpx_ne_u64_e32 0, v[10:11]
	s_cbranch_execz .LBB71_1093
; %bb.1088:
	v_dual_mov_b32 v8, 0 :: v_dual_bitop2_b32 v9, v5, v11 bitop3:0x54
                                        ; implicit-def: $vgpr12_vgpr13
	s_mov_b32 s0, exec_lo
	s_delay_alu instid0(VALU_DEP_1)
	v_cmpx_ne_u64_e32 0, v[8:9]
	s_xor_b32 s48, exec_lo, s0
	s_cbranch_execz .LBB71_1090
; %bb.1089:
	v_dual_mov_b32 v15, v8 :: v_dual_ashrrev_i32 v12, 31, v11
	v_dual_mov_b32 v23, v8 :: v_dual_mov_b32 v25, v8
	s_delay_alu instid0(VALU_DEP_2) | instskip(NEXT) | instid1(VALU_DEP_1)
	v_dual_mov_b32 v9, v8 :: v_dual_mov_b32 v13, v12
	v_add_nc_u64_e32 v[10:11], v[10:11], v[12:13]
	s_delay_alu instid0(VALU_DEP_1) | instskip(NEXT) | instid1(VALU_DEP_2)
	v_xor_b32_e32 v10, v10, v12
	v_xor_b32_e32 v11, v11, v12
	s_delay_alu instid0(VALU_DEP_2) | instskip(NEXT) | instid1(VALU_DEP_2)
	v_cvt_f32_u32_e32 v1, v10
	v_cvt_f32_u32_e32 v3, v11
	s_delay_alu instid0(VALU_DEP_1) | instskip(NEXT) | instid1(VALU_DEP_1)
	v_fmamk_f32 v1, v3, 0x4f800000, v1
	v_rcp_f32_e32 v1, v1
	v_nop
	s_delay_alu instid0(TRANS32_DEP_1) | instskip(NEXT) | instid1(VALU_DEP_1)
	v_mul_f32_e32 v1, 0x5f7ffffc, v1
	v_mul_f32_e32 v3, 0x2f800000, v1
	s_delay_alu instid0(VALU_DEP_1) | instskip(NEXT) | instid1(VALU_DEP_1)
	v_trunc_f32_e32 v3, v3
	v_fmamk_f32 v1, v3, 0xcf800000, v1
	v_cvt_u32_f32_e32 v19, v3
	s_delay_alu instid0(VALU_DEP_2) | instskip(NEXT) | instid1(VALU_DEP_1)
	v_cvt_u32_f32_e32 v14, v1
	v_dual_mov_b32 v24, v19 :: v_dual_mov_b32 v18, v14
	v_sub_nc_u64_e32 v[16:17], 0, v[10:11]
	s_delay_alu instid0(VALU_DEP_1) | instskip(NEXT) | instid1(VALU_DEP_1)
	v_mul_u64_e32 v[20:21], v[16:17], v[18:19]
	v_dual_mov_b32 v22, v21 :: v_dual_mov_b32 v21, v8
	s_delay_alu instid0(VALU_DEP_1) | instskip(NEXT) | instid1(VALU_DEP_2)
	v_mul_u64_e32 v[26:27], v[14:15], v[22:23]
	v_mul_u64_e32 v[28:29], v[24:25], v[20:21]
	;; [unrolled: 1-line block ×3, first 2 shown]
	v_mul_hi_u32 v20, v14, v20
	s_delay_alu instid0(VALU_DEP_1) | instskip(SKIP_1) | instid1(VALU_DEP_2)
	v_add_nc_u64_e32 v[20:21], v[20:21], v[26:27]
	v_ashrrev_i32_e32 v26, 31, v5
	v_add_co_u32 v1, vcc_lo, v20, v28
	s_delay_alu instid0(VALU_DEP_3) | instskip(SKIP_1) | instid1(VALU_DEP_1)
	v_add_co_ci_u32_e32 v24, vcc_lo, v21, v29, vcc_lo
	v_add_co_ci_u32_e32 v23, vcc_lo, 0, v23, vcc_lo
	v_add_nc_u64_e32 v[20:21], v[24:25], v[22:23]
	s_delay_alu instid0(VALU_DEP_1) | instskip(NEXT) | instid1(VALU_DEP_1)
	v_add_co_u32 v14, vcc_lo, v14, v20
	v_add_co_ci_u32_e64 v18, null, v19, v21, vcc_lo
	v_dual_mov_b32 v21, v8 :: v_dual_mov_b32 v19, v8
	s_delay_alu instid0(VALU_DEP_2) | instskip(NEXT) | instid1(VALU_DEP_1)
	v_mov_b32_e32 v15, v18
	v_mul_u64_e32 v[16:17], v[16:17], v[14:15]
	s_delay_alu instid0(VALU_DEP_1) | instskip(NEXT) | instid1(VALU_DEP_2)
	v_dual_mov_b32 v15, v8 :: v_dual_mov_b32 v20, v17
	v_dual_mov_b32 v24, v16 :: v_dual_mov_b32 v17, v8
	v_mul_hi_u32 v16, v14, v16
	s_delay_alu instid0(VALU_DEP_3) | instskip(NEXT) | instid1(VALU_DEP_3)
	v_mul_u64_e32 v[22:23], v[14:15], v[20:21]
	v_mul_u64_e32 v[24:25], v[18:19], v[24:25]
	;; [unrolled: 1-line block ×3, first 2 shown]
	s_delay_alu instid0(VALU_DEP_3) | instskip(SKIP_1) | instid1(VALU_DEP_2)
	v_add_nc_u64_e32 v[16:17], v[16:17], v[22:23]
	v_dual_mov_b32 v23, v8 :: v_dual_mov_b32 v27, v26
	v_add_co_u32 v1, vcc_lo, v16, v24
	s_delay_alu instid0(VALU_DEP_3) | instskip(SKIP_1) | instid1(VALU_DEP_1)
	v_add_co_ci_u32_e32 v22, vcc_lo, v17, v25, vcc_lo
	v_add_co_ci_u32_e32 v21, vcc_lo, 0, v21, vcc_lo
	v_add_nc_u64_e32 v[16:17], v[22:23], v[20:21]
	v_mov_b32_e32 v21, v8
	v_add_nc_u64_e32 v[4:5], v[4:5], v[26:27]
	s_delay_alu instid0(VALU_DEP_3) | instskip(NEXT) | instid1(VALU_DEP_1)
	v_add_co_u32 v16, vcc_lo, v14, v16
	v_add_co_ci_u32_e64 v14, null, v18, v17, vcc_lo
	s_delay_alu instid0(VALU_DEP_3) | instskip(NEXT) | instid1(VALU_DEP_4)
	v_dual_mov_b32 v17, v8 :: v_dual_bitop2_b32 v18, v5, v26 bitop3:0x14
	v_xor_b32_e32 v20, v4, v26
	s_delay_alu instid0(VALU_DEP_2) | instskip(NEXT) | instid1(VALU_DEP_2)
	v_mul_u64_e32 v[4:5], v[18:19], v[16:17]
	v_mul_u64_e32 v[22:23], v[20:21], v[14:15]
	;; [unrolled: 1-line block ×3, first 2 shown]
	v_mul_hi_u32 v16, v20, v16
	s_delay_alu instid0(VALU_DEP_1) | instskip(NEXT) | instid1(VALU_DEP_1)
	v_add_nc_u64_e32 v[16:17], v[16:17], v[22:23]
	v_add_co_u32 v1, vcc_lo, v16, v4
	s_delay_alu instid0(VALU_DEP_2) | instskip(SKIP_1) | instid1(VALU_DEP_1)
	v_add_co_ci_u32_e32 v8, vcc_lo, v17, v5, vcc_lo
	v_add_co_ci_u32_e32 v15, vcc_lo, 0, v15, vcc_lo
	v_add_nc_u64_e32 v[4:5], v[8:9], v[14:15]
	s_delay_alu instid0(VALU_DEP_1) | instskip(SKIP_1) | instid1(VALU_DEP_2)
	v_mul_u64_e32 v[8:9], v[10:11], v[4:5]
	v_add_nc_u64_e32 v[14:15], 1, v[4:5]
	v_sub_nc_u32_e32 v1, v18, v9
	s_delay_alu instid0(VALU_DEP_3) | instskip(NEXT) | instid1(VALU_DEP_1)
	v_sub_co_u32 v3, vcc_lo, v20, v8
	v_sub_co_ci_u32_e64 v13, null, v18, v9, vcc_lo
	s_delay_alu instid0(VALU_DEP_3) | instskip(NEXT) | instid1(VALU_DEP_3)
	v_sub_co_ci_u32_e64 v1, null, v1, v11, vcc_lo
	v_sub_co_u32 v8, s0, v3, v10
	s_delay_alu instid0(VALU_DEP_1) | instskip(NEXT) | instid1(VALU_DEP_2)
	v_subrev_co_ci_u32_e64 v1, null, 0, v1, s0
	v_cmp_ge_u32_e32 vcc_lo, v8, v10
	v_cndmask_b32_e64 v8, 0, -1, vcc_lo
	s_delay_alu instid0(VALU_DEP_3)
	v_cmp_ge_u32_e32 vcc_lo, v1, v11
	v_cndmask_b32_e64 v9, 0, -1, vcc_lo
	v_cmp_ge_u32_e32 vcc_lo, v3, v10
	v_cndmask_b32_e64 v3, 0, -1, vcc_lo
	;; [unrolled: 2-line block ×3, first 2 shown]
	v_cmp_eq_u32_e32 vcc_lo, v1, v11
	v_cndmask_b32_e32 v1, v9, v8, vcc_lo
	v_cmp_eq_u32_e32 vcc_lo, v13, v11
	v_add_nc_u64_e32 v[8:9], 2, v[4:5]
	v_cndmask_b32_e32 v3, v10, v3, vcc_lo
	s_delay_alu instid0(VALU_DEP_4) | instskip(NEXT) | instid1(VALU_DEP_2)
	v_cmp_ne_u32_e32 vcc_lo, 0, v1
                                        ; implicit-def: $vgpr10_vgpr11
	v_cmp_ne_u32_e64 s0, 0, v3
	s_delay_alu instid0(VALU_DEP_4) | instskip(NEXT) | instid1(VALU_DEP_1)
	v_dual_cndmask_b32 v1, v15, v9, vcc_lo :: v_dual_cndmask_b32 v3, v14, v8, vcc_lo
	v_dual_cndmask_b32 v1, v5, v1, s0 :: v_dual_bitop2_b32 v8, v26, v12 bitop3:0x14
	s_delay_alu instid0(VALU_DEP_2) | instskip(NEXT) | instid1(VALU_DEP_2)
	v_cndmask_b32_e64 v3, v4, v3, s0
	v_dual_mov_b32 v9, v8 :: v_dual_bitop2_b32 v5, v1, v8 bitop3:0x14
	s_delay_alu instid0(VALU_DEP_2) | instskip(NEXT) | instid1(VALU_DEP_1)
	v_xor_b32_e32 v4, v3, v8
	v_sub_nc_u64_e32 v[12:13], v[4:5], v[8:9]
                                        ; implicit-def: $vgpr4_vgpr5
.LBB71_1090:
	s_and_not1_saveexec_b32 s0, s48
	s_cbranch_execz .LBB71_1092
; %bb.1091:
	v_cvt_f32_u32_e32 v1, v10
	v_dual_sub_nc_u32 v3, 0, v10 :: v_dual_mov_b32 v13, 0
	s_delay_alu instid0(VALU_DEP_2) | instskip(SKIP_1) | instid1(TRANS32_DEP_1)
	v_rcp_iflag_f32_e32 v1, v1
	v_nop
	v_mul_f32_e32 v1, 0x4f7ffffe, v1
	s_delay_alu instid0(VALU_DEP_1) | instskip(NEXT) | instid1(VALU_DEP_1)
	v_cvt_u32_f32_e32 v1, v1
	v_mul_lo_u32 v3, v3, v1
	s_delay_alu instid0(VALU_DEP_1) | instskip(NEXT) | instid1(VALU_DEP_1)
	v_mul_hi_u32 v3, v1, v3
	v_add_nc_u32_e32 v1, v1, v3
	s_delay_alu instid0(VALU_DEP_1) | instskip(NEXT) | instid1(VALU_DEP_1)
	v_mul_hi_u32 v1, v4, v1
	v_mul_lo_u32 v3, v1, v10
	s_delay_alu instid0(VALU_DEP_1) | instskip(NEXT) | instid1(VALU_DEP_1)
	v_dual_sub_nc_u32 v3, v4, v3 :: v_dual_add_nc_u32 v4, 1, v1
	v_cmp_ge_u32_e32 vcc_lo, v3, v10
	s_delay_alu instid0(VALU_DEP_2) | instskip(NEXT) | instid1(VALU_DEP_1)
	v_dual_sub_nc_u32 v5, v3, v10 :: v_dual_cndmask_b32 v1, v1, v4, vcc_lo
	v_add_nc_u32_e32 v4, 1, v1
	s_delay_alu instid0(VALU_DEP_2) | instskip(NEXT) | instid1(VALU_DEP_1)
	v_cndmask_b32_e32 v3, v3, v5, vcc_lo
	v_cmp_ge_u32_e32 vcc_lo, v3, v10
	s_delay_alu instid0(VALU_DEP_3)
	v_cndmask_b32_e32 v12, v1, v4, vcc_lo
.LBB71_1092:
	s_or_b32 exec_lo, exec_lo, s0
	s_delay_alu instid0(VALU_DEP_1) | instskip(NEXT) | instid1(VALU_DEP_1)
	v_mul_u64_e32 v[4:5], v[12:13], v[6:7]
	v_sub_nc_u64_e32 v[6:7], 0, v[4:5]
	s_delay_alu instid0(VALU_DEP_1)
	v_max_i64 v[8:9], v[4:5], v[6:7]
.LBB71_1093:
	s_or_b32 exec_lo, exec_lo, s47
	v_mov_b32_e32 v3, 0
	s_and_b32 s47, s31, 0xff
	s_delay_alu instid0(SALU_CYCLE_1) | instskip(NEXT) | instid1(VALU_DEP_1)
	s_cmp_lt_i32 s47, 11
	v_add_nc_u64_e32 v[2:3], s[4:5], v[2:3]
	s_cbranch_scc1 .LBB71_1100
; %bb.1094:
	s_and_b32 s48, 0xffff, s47
	s_delay_alu instid0(SALU_CYCLE_1)
	s_cmp_gt_i32 s48, 25
	s_cbranch_scc0 .LBB71_1101
; %bb.1095:
	s_cmp_gt_i32 s48, 28
	s_cbranch_scc0 .LBB71_1102
; %bb.1096:
	s_cmp_gt_i32 s48, 43
	s_cbranch_scc0 .LBB71_1103
; %bb.1097:
	s_cmp_gt_i32 s48, 45
	s_cbranch_scc0 .LBB71_1104
; %bb.1098:
	s_mov_b32 s50, 0
	s_mov_b32 s0, -1
	s_cmp_eq_u32 s48, 46
	s_mov_b32 s49, 0
	s_cbranch_scc0 .LBB71_1105
; %bb.1099:
	s_delay_alu instid0(VALU_DEP_3) | instskip(SKIP_2) | instid1(VALU_DEP_1)
	v_clz_i32_u32_e32 v1, v9
	s_mov_b32 s49, -1
	s_mov_b32 s0, 0
	v_min_u32_e32 v1, 32, v1
	s_delay_alu instid0(VALU_DEP_1) | instskip(SKIP_1) | instid1(VALU_DEP_2)
	v_lshlrev_b64_e32 v[4:5], v1, v[8:9]
	v_sub_nc_u32_e32 v1, 32, v1
	v_min_u32_e32 v4, 1, v4
	s_delay_alu instid0(VALU_DEP_1) | instskip(NEXT) | instid1(VALU_DEP_1)
	v_or_b32_e32 v4, v5, v4
	v_cvt_f32_u32_e32 v4, v4
	s_delay_alu instid0(VALU_DEP_1) | instskip(NEXT) | instid1(VALU_DEP_1)
	v_ldexp_f32 v1, v4, v1
	v_bfe_u32 v4, v1, 16, 1
	s_delay_alu instid0(VALU_DEP_1) | instskip(NEXT) | instid1(VALU_DEP_1)
	v_add3_u32 v1, v1, v4, 0x7fff
	v_lshrrev_b32_e32 v1, 16, v1
	global_store_b32 v[2:3], v1, off
	s_branch .LBB71_1105
.LBB71_1100:
	s_mov_b32 s48, -1
	s_mov_b32 s49, 0
	s_mov_b32 s0, s43
	s_branch .LBB71_1174
.LBB71_1101:
	s_mov_b32 s50, -1
	s_mov_b32 s49, 0
	s_mov_b32 s0, s43
	s_branch .LBB71_1132
.LBB71_1102:
	s_mov_b32 s50, -1
	s_mov_b32 s49, 0
	s_mov_b32 s0, s43
	s_branch .LBB71_1115
.LBB71_1103:
	s_mov_b32 s50, -1
	s_mov_b32 s49, 0
	s_mov_b32 s0, s43
	s_branch .LBB71_1111
.LBB71_1104:
	s_mov_b32 s50, -1
	s_mov_b32 s49, 0
	s_mov_b32 s0, s43
.LBB71_1105:
	s_and_b32 vcc_lo, exec_lo, s50
	s_cbranch_vccz .LBB71_1110
; %bb.1106:
	s_cmp_eq_u32 s48, 44
	s_mov_b32 s0, -1
	s_cbranch_scc0 .LBB71_1110
; %bb.1107:
	s_wait_xcnt 0x0
	s_delay_alu instid0(VALU_DEP_3) | instskip(SKIP_1) | instid1(VALU_DEP_1)
	v_clz_i32_u32_e32 v1, v9
	s_mov_b32 s49, exec_lo
	v_min_u32_e32 v1, 32, v1
	s_delay_alu instid0(VALU_DEP_1) | instskip(SKIP_1) | instid1(VALU_DEP_2)
	v_lshlrev_b64_e32 v[4:5], v1, v[8:9]
	v_sub_nc_u32_e32 v1, 32, v1
	v_min_u32_e32 v4, 1, v4
	s_delay_alu instid0(VALU_DEP_1) | instskip(NEXT) | instid1(VALU_DEP_1)
	v_or_b32_e32 v4, v5, v4
	v_cvt_f32_u32_e32 v4, v4
	s_delay_alu instid0(VALU_DEP_1) | instskip(NEXT) | instid1(VALU_DEP_1)
	v_ldexp_f32 v5, v4, v1
	v_dual_mov_b32 v4, 0xff :: v_dual_lshrrev_b32 v1, 23, v5
	s_delay_alu instid0(VALU_DEP_1)
	v_cmpx_ne_u32_e32 0xff, v1
; %bb.1108:
	v_and_b32_e32 v4, 0x400000, v5
	v_and_or_b32 v5, 0x3fffff, v5, v1
	s_delay_alu instid0(VALU_DEP_2) | instskip(NEXT) | instid1(VALU_DEP_2)
	v_cmp_ne_u32_e32 vcc_lo, 0, v4
	v_cmp_ne_u32_e64 s0, 0, v5
	s_and_b32 s0, vcc_lo, s0
	s_delay_alu instid0(SALU_CYCLE_1) | instskip(NEXT) | instid1(VALU_DEP_1)
	v_cndmask_b32_e64 v4, 0, 1, s0
	v_add_nc_u32_e32 v4, v1, v4
; %bb.1109:
	s_or_b32 exec_lo, exec_lo, s49
	s_mov_b32 s49, -1
	s_mov_b32 s0, 0
	global_store_b8 v[2:3], v4, off
.LBB71_1110:
	s_mov_b32 s50, 0
.LBB71_1111:
	s_delay_alu instid0(SALU_CYCLE_1)
	s_and_b32 vcc_lo, exec_lo, s50
	s_cbranch_vccz .LBB71_1114
; %bb.1112:
	s_cmp_eq_u32 s48, 29
	s_mov_b32 s0, -1
	s_cbranch_scc0 .LBB71_1114
; %bb.1113:
	s_mov_b32 s49, -1
	s_mov_b32 s0, 0
	global_store_b64 v[2:3], v[8:9], off
.LBB71_1114:
	s_mov_b32 s50, 0
.LBB71_1115:
	s_delay_alu instid0(SALU_CYCLE_1)
	s_and_b32 vcc_lo, exec_lo, s50
	s_cbranch_vccz .LBB71_1131
; %bb.1116:
	s_cmp_lt_i32 s48, 27
	s_mov_b32 s49, -1
	s_cbranch_scc1 .LBB71_1122
; %bb.1117:
	s_cmp_gt_i32 s48, 27
	s_cbranch_scc0 .LBB71_1119
; %bb.1118:
	s_mov_b32 s49, 0
	global_store_b32 v[2:3], v8, off
.LBB71_1119:
	s_and_not1_b32 vcc_lo, exec_lo, s49
	s_cbranch_vccnz .LBB71_1121
; %bb.1120:
	global_store_b16 v[2:3], v8, off
.LBB71_1121:
	s_mov_b32 s49, 0
.LBB71_1122:
	s_delay_alu instid0(SALU_CYCLE_1)
	s_and_not1_b32 vcc_lo, exec_lo, s49
	s_cbranch_vccnz .LBB71_1130
; %bb.1123:
	s_wait_xcnt 0x0
	s_delay_alu instid0(VALU_DEP_3) | instskip(SKIP_1) | instid1(VALU_DEP_1)
	v_clz_i32_u32_e32 v1, v9
	s_mov_b32 s49, exec_lo
	v_min_u32_e32 v1, 32, v1
	s_delay_alu instid0(VALU_DEP_1) | instskip(SKIP_1) | instid1(VALU_DEP_2)
	v_lshlrev_b64_e32 v[4:5], v1, v[8:9]
	v_sub_nc_u32_e32 v1, 32, v1
	v_min_u32_e32 v4, 1, v4
	s_delay_alu instid0(VALU_DEP_1) | instskip(SKIP_1) | instid1(VALU_DEP_2)
	v_or_b32_e32 v4, v5, v4
	v_mov_b32_e32 v5, 0x80
	v_cvt_f32_u32_e32 v4, v4
	s_delay_alu instid0(VALU_DEP_1) | instskip(NEXT) | instid1(VALU_DEP_1)
	v_ldexp_f32 v4, v4, v1
	v_cmpx_gt_u32_e32 0x43800000, v4
	s_cbranch_execz .LBB71_1129
; %bb.1124:
	s_mov_b32 s50, 0
	s_mov_b32 s51, exec_lo
                                        ; implicit-def: $vgpr1
	v_cmpx_lt_u32_e32 0x3bffffff, v4
	s_xor_b32 s51, exec_lo, s51
	s_cbranch_execz .LBB71_1244
; %bb.1125:
	v_bfe_u32 v1, v4, 20, 1
	s_mov_b32 s50, exec_lo
	s_delay_alu instid0(VALU_DEP_1) | instskip(NEXT) | instid1(VALU_DEP_1)
	v_add3_u32 v1, v4, v1, 0x487ffff
                                        ; implicit-def: $vgpr4
	v_lshrrev_b32_e32 v1, 20, v1
	s_and_not1_saveexec_b32 s51, s51
	s_cbranch_execnz .LBB71_1245
.LBB71_1126:
	s_or_b32 exec_lo, exec_lo, s51
	v_mov_b32_e32 v5, 0
	s_and_saveexec_b32 s51, s50
.LBB71_1127:
	v_mov_b32_e32 v5, v1
.LBB71_1128:
	s_or_b32 exec_lo, exec_lo, s51
.LBB71_1129:
	s_delay_alu instid0(SALU_CYCLE_1)
	s_or_b32 exec_lo, exec_lo, s49
	global_store_b8 v[2:3], v5, off
.LBB71_1130:
	s_mov_b32 s49, -1
.LBB71_1131:
	s_mov_b32 s50, 0
.LBB71_1132:
	s_delay_alu instid0(SALU_CYCLE_1)
	s_and_b32 vcc_lo, exec_lo, s50
	s_cbranch_vccz .LBB71_1173
; %bb.1133:
	s_cmp_gt_i32 s48, 22
	s_mov_b32 s50, -1
	s_cbranch_scc0 .LBB71_1165
; %bb.1134:
	s_cmp_lt_i32 s48, 24
	s_mov_b32 s49, -1
	s_cbranch_scc1 .LBB71_1154
; %bb.1135:
	s_cmp_gt_i32 s48, 24
	s_cbranch_scc0 .LBB71_1143
; %bb.1136:
	s_wait_xcnt 0x0
	s_delay_alu instid0(VALU_DEP_3) | instskip(SKIP_1) | instid1(VALU_DEP_1)
	v_clz_i32_u32_e32 v1, v9
	s_mov_b32 s49, exec_lo
	v_min_u32_e32 v1, 32, v1
	s_delay_alu instid0(VALU_DEP_1) | instskip(SKIP_1) | instid1(VALU_DEP_2)
	v_lshlrev_b64_e32 v[4:5], v1, v[8:9]
	v_sub_nc_u32_e32 v1, 32, v1
	v_min_u32_e32 v4, 1, v4
	s_delay_alu instid0(VALU_DEP_1) | instskip(SKIP_1) | instid1(VALU_DEP_2)
	v_or_b32_e32 v4, v5, v4
	v_mov_b32_e32 v5, 0x80
	v_cvt_f32_u32_e32 v4, v4
	s_delay_alu instid0(VALU_DEP_1) | instskip(NEXT) | instid1(VALU_DEP_1)
	v_ldexp_f32 v4, v4, v1
	v_cmpx_gt_u32_e32 0x47800000, v4
	s_cbranch_execz .LBB71_1142
; %bb.1137:
	s_mov_b32 s50, 0
	s_mov_b32 s51, exec_lo
                                        ; implicit-def: $vgpr1
	v_cmpx_lt_u32_e32 0x37ffffff, v4
	s_xor_b32 s51, exec_lo, s51
	s_cbranch_execz .LBB71_2329
; %bb.1138:
	v_bfe_u32 v1, v4, 21, 1
	s_mov_b32 s50, exec_lo
	s_delay_alu instid0(VALU_DEP_1) | instskip(NEXT) | instid1(VALU_DEP_1)
	v_add3_u32 v1, v4, v1, 0x88fffff
                                        ; implicit-def: $vgpr4
	v_lshrrev_b32_e32 v1, 21, v1
	s_and_not1_saveexec_b32 s51, s51
	s_cbranch_execnz .LBB71_2330
.LBB71_1139:
	s_or_b32 exec_lo, exec_lo, s51
	v_mov_b32_e32 v5, 0
	s_and_saveexec_b32 s51, s50
.LBB71_1140:
	v_mov_b32_e32 v5, v1
.LBB71_1141:
	s_or_b32 exec_lo, exec_lo, s51
.LBB71_1142:
	s_delay_alu instid0(SALU_CYCLE_1)
	s_or_b32 exec_lo, exec_lo, s49
	s_mov_b32 s49, 0
	global_store_b8 v[2:3], v5, off
.LBB71_1143:
	s_and_b32 vcc_lo, exec_lo, s49
	s_cbranch_vccz .LBB71_1153
; %bb.1144:
	s_wait_xcnt 0x0
	s_delay_alu instid0(VALU_DEP_3) | instskip(SKIP_1) | instid1(VALU_DEP_1)
	v_clz_i32_u32_e32 v1, v9
	s_mov_b32 s49, exec_lo
	v_min_u32_e32 v1, 32, v1
	s_delay_alu instid0(VALU_DEP_1) | instskip(SKIP_1) | instid1(VALU_DEP_2)
	v_lshlrev_b64_e32 v[4:5], v1, v[8:9]
	v_sub_nc_u32_e32 v1, 32, v1
	v_min_u32_e32 v4, 1, v4
	s_delay_alu instid0(VALU_DEP_1) | instskip(NEXT) | instid1(VALU_DEP_1)
	v_or_b32_e32 v4, v5, v4
	v_cvt_f32_u32_e32 v4, v4
	s_delay_alu instid0(VALU_DEP_1) | instskip(NEXT) | instid1(VALU_DEP_1)
	v_ldexp_f32 v4, v4, v1
                                        ; implicit-def: $vgpr1
	v_cmpx_gt_u32_e32 0x43f00000, v4
	s_xor_b32 s49, exec_lo, s49
	s_cbranch_execz .LBB71_1150
; %bb.1145:
	s_mov_b32 s50, exec_lo
                                        ; implicit-def: $vgpr1
	v_cmpx_lt_u32_e32 0x3c7fffff, v4
	s_xor_b32 s50, exec_lo, s50
; %bb.1146:
	v_bfe_u32 v1, v4, 20, 1
	s_delay_alu instid0(VALU_DEP_1) | instskip(NEXT) | instid1(VALU_DEP_1)
	v_add3_u32 v1, v4, v1, 0x407ffff
	v_and_b32_e32 v4, 0xff00000, v1
	v_lshrrev_b32_e32 v1, 20, v1
	s_delay_alu instid0(VALU_DEP_2) | instskip(NEXT) | instid1(VALU_DEP_2)
	v_cmp_ne_u32_e32 vcc_lo, 0x7f00000, v4
                                        ; implicit-def: $vgpr4
	v_cndmask_b32_e32 v1, 0x7e, v1, vcc_lo
; %bb.1147:
	s_and_not1_saveexec_b32 s50, s50
; %bb.1148:
	v_add_f32_e32 v1, 0x46800000, v4
; %bb.1149:
	s_or_b32 exec_lo, exec_lo, s50
                                        ; implicit-def: $vgpr4
.LBB71_1150:
	s_and_not1_saveexec_b32 s49, s49
; %bb.1151:
	v_mov_b32_e32 v1, 0x7f
	v_cmp_lt_u32_e32 vcc_lo, 0x7f800000, v4
	s_delay_alu instid0(VALU_DEP_2)
	v_cndmask_b32_e32 v1, 0x7e, v1, vcc_lo
; %bb.1152:
	s_or_b32 exec_lo, exec_lo, s49
	global_store_b8 v[2:3], v1, off
.LBB71_1153:
	s_mov_b32 s49, 0
.LBB71_1154:
	s_delay_alu instid0(SALU_CYCLE_1)
	s_and_not1_b32 vcc_lo, exec_lo, s49
	s_cbranch_vccnz .LBB71_1164
; %bb.1155:
	s_wait_xcnt 0x0
	s_delay_alu instid0(VALU_DEP_3) | instskip(SKIP_1) | instid1(VALU_DEP_1)
	v_clz_i32_u32_e32 v1, v9
	s_mov_b32 s49, exec_lo
	v_min_u32_e32 v1, 32, v1
	s_delay_alu instid0(VALU_DEP_1) | instskip(SKIP_1) | instid1(VALU_DEP_2)
	v_lshlrev_b64_e32 v[4:5], v1, v[8:9]
	v_sub_nc_u32_e32 v1, 32, v1
	v_min_u32_e32 v4, 1, v4
	s_delay_alu instid0(VALU_DEP_1) | instskip(NEXT) | instid1(VALU_DEP_1)
	v_or_b32_e32 v4, v5, v4
	v_cvt_f32_u32_e32 v4, v4
	s_delay_alu instid0(VALU_DEP_1) | instskip(NEXT) | instid1(VALU_DEP_1)
	v_ldexp_f32 v4, v4, v1
                                        ; implicit-def: $vgpr1
	v_cmpx_gt_u32_e32 0x47800000, v4
	s_xor_b32 s49, exec_lo, s49
	s_cbranch_execz .LBB71_1161
; %bb.1156:
	s_mov_b32 s50, exec_lo
                                        ; implicit-def: $vgpr1
	v_cmpx_lt_u32_e32 0x387fffff, v4
	s_xor_b32 s50, exec_lo, s50
; %bb.1157:
	v_bfe_u32 v1, v4, 21, 1
	s_delay_alu instid0(VALU_DEP_1) | instskip(NEXT) | instid1(VALU_DEP_1)
	v_add3_u32 v1, v4, v1, 0x80fffff
                                        ; implicit-def: $vgpr4
	v_lshrrev_b32_e32 v1, 21, v1
; %bb.1158:
	s_and_not1_saveexec_b32 s50, s50
; %bb.1159:
	v_add_f32_e32 v1, 0x43000000, v4
; %bb.1160:
	s_or_b32 exec_lo, exec_lo, s50
                                        ; implicit-def: $vgpr4
.LBB71_1161:
	s_and_not1_saveexec_b32 s49, s49
; %bb.1162:
	v_mov_b32_e32 v1, 0x7f
	v_cmp_lt_u32_e32 vcc_lo, 0x7f800000, v4
	s_delay_alu instid0(VALU_DEP_2)
	v_cndmask_b32_e32 v1, 0x7c, v1, vcc_lo
; %bb.1163:
	s_or_b32 exec_lo, exec_lo, s49
	global_store_b8 v[2:3], v1, off
.LBB71_1164:
	s_mov_b32 s50, 0
	s_mov_b32 s49, -1
.LBB71_1165:
	s_and_not1_b32 vcc_lo, exec_lo, s50
	s_cbranch_vccnz .LBB71_1173
; %bb.1166:
	s_cmp_gt_i32 s48, 14
	s_mov_b32 s50, -1
	s_cbranch_scc0 .LBB71_1170
; %bb.1167:
	s_cmp_eq_u32 s48, 15
	s_mov_b32 s0, -1
	s_cbranch_scc0 .LBB71_1169
; %bb.1168:
	s_wait_xcnt 0x0
	s_delay_alu instid0(VALU_DEP_3) | instskip(SKIP_2) | instid1(VALU_DEP_1)
	v_clz_i32_u32_e32 v1, v9
	s_mov_b32 s49, -1
	s_mov_b32 s0, 0
	v_min_u32_e32 v1, 32, v1
	s_delay_alu instid0(VALU_DEP_1) | instskip(SKIP_1) | instid1(VALU_DEP_2)
	v_lshlrev_b64_e32 v[4:5], v1, v[8:9]
	v_sub_nc_u32_e32 v1, 32, v1
	v_min_u32_e32 v4, 1, v4
	s_delay_alu instid0(VALU_DEP_1) | instskip(NEXT) | instid1(VALU_DEP_1)
	v_or_b32_e32 v4, v5, v4
	v_cvt_f32_u32_e32 v4, v4
	s_delay_alu instid0(VALU_DEP_1) | instskip(NEXT) | instid1(VALU_DEP_1)
	v_ldexp_f32 v1, v4, v1
	v_bfe_u32 v4, v1, 16, 1
	s_delay_alu instid0(VALU_DEP_1)
	v_add3_u32 v1, v1, v4, 0x7fff
	global_store_d16_hi_b16 v[2:3], v1, off
.LBB71_1169:
	s_mov_b32 s50, 0
.LBB71_1170:
	s_delay_alu instid0(SALU_CYCLE_1)
	s_and_b32 vcc_lo, exec_lo, s50
	s_cbranch_vccz .LBB71_1173
; %bb.1171:
	s_cmp_eq_u32 s48, 11
	s_mov_b32 s0, -1
	s_cbranch_scc0 .LBB71_1173
; %bb.1172:
	s_delay_alu instid0(VALU_DEP_3)
	v_cmp_ne_u64_e32 vcc_lo, 0, v[8:9]
	s_mov_b32 s49, -1
	s_mov_b32 s0, 0
	s_wait_xcnt 0x0
	v_cndmask_b32_e64 v1, 0, 1, vcc_lo
	global_store_b8 v[2:3], v1, off
.LBB71_1173:
	s_mov_b32 s48, 0
.LBB71_1174:
	s_delay_alu instid0(SALU_CYCLE_1)
	s_and_b32 vcc_lo, exec_lo, s48
	s_cbranch_vccz .LBB71_1213
; %bb.1175:
	s_and_b32 s47, 0xffff, s47
	s_mov_b32 s48, -1
	s_cmp_lt_i32 s47, 5
	s_cbranch_scc1 .LBB71_1196
; %bb.1176:
	s_cmp_lt_i32 s47, 8
	s_cbranch_scc1 .LBB71_1186
; %bb.1177:
	;; [unrolled: 3-line block ×3, first 2 shown]
	s_cmp_gt_i32 s47, 9
	s_cbranch_scc0 .LBB71_1180
; %bb.1179:
	s_wait_xcnt 0x0
	s_delay_alu instid0(VALU_DEP_3) | instskip(NEXT) | instid1(VALU_DEP_4)
	v_cvt_f64_u32_e32 v[4:5], v9
	v_cvt_f64_u32_e32 v[6:7], v8
	s_mov_b32 s48, 0
	s_delay_alu instid0(VALU_DEP_2) | instskip(NEXT) | instid1(VALU_DEP_1)
	v_ldexp_f64 v[4:5], v[4:5], 32
	v_dual_add_f64 v[4:5], v[4:5], v[6:7] :: v_dual_mov_b32 v6, 0
	s_delay_alu instid0(VALU_DEP_1)
	v_mov_b32_e32 v7, v6
	global_store_b128 v[2:3], v[4:7], off
.LBB71_1180:
	s_and_not1_b32 vcc_lo, exec_lo, s48
	s_cbranch_vccnz .LBB71_1182
; %bb.1181:
	s_wait_xcnt 0x0
	s_delay_alu instid0(VALU_DEP_3) | instskip(NEXT) | instid1(VALU_DEP_1)
	v_clz_i32_u32_e32 v1, v9
	v_min_u32_e32 v1, 32, v1
	s_delay_alu instid0(VALU_DEP_1) | instskip(SKIP_1) | instid1(VALU_DEP_2)
	v_lshlrev_b64_e32 v[4:5], v1, v[8:9]
	v_sub_nc_u32_e32 v1, 32, v1
	v_min_u32_e32 v4, 1, v4
	s_delay_alu instid0(VALU_DEP_1) | instskip(NEXT) | instid1(VALU_DEP_1)
	v_dual_mov_b32 v5, 0 :: v_dual_bitop2_b32 v4, v5, v4 bitop3:0x54
	v_cvt_f32_u32_e32 v4, v4
	s_delay_alu instid0(VALU_DEP_1)
	v_ldexp_f32 v4, v4, v1
	global_store_b64 v[2:3], v[4:5], off
.LBB71_1182:
	s_mov_b32 s48, 0
.LBB71_1183:
	s_delay_alu instid0(SALU_CYCLE_1)
	s_and_not1_b32 vcc_lo, exec_lo, s48
	s_cbranch_vccnz .LBB71_1185
; %bb.1184:
	s_wait_xcnt 0x0
	s_delay_alu instid0(VALU_DEP_3) | instskip(NEXT) | instid1(VALU_DEP_1)
	v_clz_i32_u32_e32 v1, v9
	v_min_u32_e32 v1, 32, v1
	s_delay_alu instid0(VALU_DEP_1) | instskip(SKIP_1) | instid1(VALU_DEP_2)
	v_lshlrev_b64_e32 v[4:5], v1, v[8:9]
	v_sub_nc_u32_e32 v1, 32, v1
	v_min_u32_e32 v4, 1, v4
	s_delay_alu instid0(VALU_DEP_1) | instskip(NEXT) | instid1(VALU_DEP_1)
	v_or_b32_e32 v4, v5, v4
	v_cvt_f32_u32_e32 v4, v4
	s_delay_alu instid0(VALU_DEP_1) | instskip(NEXT) | instid1(VALU_DEP_1)
	v_ldexp_f32 v1, v4, v1
	v_cvt_f16_f32_e32 v1, v1
	s_delay_alu instid0(VALU_DEP_1)
	v_and_b32_e32 v1, 0xffff, v1
	global_store_b32 v[2:3], v1, off
.LBB71_1185:
	s_mov_b32 s48, 0
.LBB71_1186:
	s_delay_alu instid0(SALU_CYCLE_1)
	s_and_not1_b32 vcc_lo, exec_lo, s48
	s_cbranch_vccnz .LBB71_1195
; %bb.1187:
	s_cmp_lt_i32 s47, 6
	s_mov_b32 s48, -1
	s_cbranch_scc1 .LBB71_1193
; %bb.1188:
	s_cmp_gt_i32 s47, 6
	s_cbranch_scc0 .LBB71_1190
; %bb.1189:
	s_wait_xcnt 0x0
	s_delay_alu instid0(VALU_DEP_3) | instskip(NEXT) | instid1(VALU_DEP_4)
	v_cvt_f64_u32_e32 v[4:5], v9
	v_cvt_f64_u32_e32 v[6:7], v8
	s_mov_b32 s48, 0
	s_delay_alu instid0(VALU_DEP_2) | instskip(NEXT) | instid1(VALU_DEP_1)
	v_ldexp_f64 v[4:5], v[4:5], 32
	v_add_f64_e32 v[4:5], v[4:5], v[6:7]
	global_store_b64 v[2:3], v[4:5], off
.LBB71_1190:
	s_and_not1_b32 vcc_lo, exec_lo, s48
	s_cbranch_vccnz .LBB71_1192
; %bb.1191:
	s_wait_xcnt 0x0
	s_delay_alu instid0(VALU_DEP_3) | instskip(NEXT) | instid1(VALU_DEP_1)
	v_clz_i32_u32_e32 v1, v9
	v_min_u32_e32 v1, 32, v1
	s_delay_alu instid0(VALU_DEP_1) | instskip(SKIP_1) | instid1(VALU_DEP_2)
	v_lshlrev_b64_e32 v[4:5], v1, v[8:9]
	v_sub_nc_u32_e32 v1, 32, v1
	v_min_u32_e32 v4, 1, v4
	s_delay_alu instid0(VALU_DEP_1) | instskip(NEXT) | instid1(VALU_DEP_1)
	v_or_b32_e32 v4, v5, v4
	v_cvt_f32_u32_e32 v4, v4
	s_delay_alu instid0(VALU_DEP_1)
	v_ldexp_f32 v1, v4, v1
	global_store_b32 v[2:3], v1, off
.LBB71_1192:
	s_mov_b32 s48, 0
.LBB71_1193:
	s_delay_alu instid0(SALU_CYCLE_1)
	s_and_not1_b32 vcc_lo, exec_lo, s48
	s_cbranch_vccnz .LBB71_1195
; %bb.1194:
	s_wait_xcnt 0x0
	s_delay_alu instid0(VALU_DEP_3) | instskip(NEXT) | instid1(VALU_DEP_1)
	v_clz_i32_u32_e32 v1, v9
	v_min_u32_e32 v1, 32, v1
	s_delay_alu instid0(VALU_DEP_1) | instskip(SKIP_1) | instid1(VALU_DEP_2)
	v_lshlrev_b64_e32 v[4:5], v1, v[8:9]
	v_sub_nc_u32_e32 v1, 32, v1
	v_min_u32_e32 v4, 1, v4
	s_delay_alu instid0(VALU_DEP_1) | instskip(NEXT) | instid1(VALU_DEP_1)
	v_or_b32_e32 v4, v5, v4
	v_cvt_f32_u32_e32 v4, v4
	s_delay_alu instid0(VALU_DEP_1) | instskip(NEXT) | instid1(VALU_DEP_1)
	v_ldexp_f32 v1, v4, v1
	v_cvt_f16_f32_e32 v1, v1
	global_store_b16 v[2:3], v1, off
.LBB71_1195:
	s_mov_b32 s48, 0
.LBB71_1196:
	s_delay_alu instid0(SALU_CYCLE_1)
	s_and_not1_b32 vcc_lo, exec_lo, s48
	s_cbranch_vccnz .LBB71_1212
; %bb.1197:
	s_cmp_lt_i32 s47, 2
	s_mov_b32 s48, -1
	s_cbranch_scc1 .LBB71_1207
; %bb.1198:
	s_cmp_lt_i32 s47, 3
	s_cbranch_scc1 .LBB71_1204
; %bb.1199:
	s_cmp_gt_i32 s47, 3
	s_cbranch_scc0 .LBB71_1201
; %bb.1200:
	s_mov_b32 s48, 0
	global_store_b64 v[2:3], v[8:9], off
.LBB71_1201:
	s_and_not1_b32 vcc_lo, exec_lo, s48
	s_cbranch_vccnz .LBB71_1203
; %bb.1202:
	global_store_b32 v[2:3], v8, off
.LBB71_1203:
	s_mov_b32 s48, 0
.LBB71_1204:
	s_delay_alu instid0(SALU_CYCLE_1)
	s_and_not1_b32 vcc_lo, exec_lo, s48
	s_cbranch_vccnz .LBB71_1206
; %bb.1205:
	global_store_b16 v[2:3], v8, off
.LBB71_1206:
	s_mov_b32 s48, 0
.LBB71_1207:
	s_delay_alu instid0(SALU_CYCLE_1)
	s_and_not1_b32 vcc_lo, exec_lo, s48
	s_cbranch_vccnz .LBB71_1212
; %bb.1208:
	s_cmp_gt_i32 s47, 0
	s_mov_b32 s47, -1
	s_cbranch_scc0 .LBB71_1210
; %bb.1209:
	s_mov_b32 s47, 0
	global_store_b8 v[2:3], v8, off
.LBB71_1210:
	s_and_not1_b32 vcc_lo, exec_lo, s47
	s_cbranch_vccnz .LBB71_1212
; %bb.1211:
	global_store_b8 v[2:3], v8, off
.LBB71_1212:
	s_mov_b32 s49, -1
.LBB71_1213:
	s_delay_alu instid0(SALU_CYCLE_1)
	s_and_not1_b32 vcc_lo, exec_lo, s49
	s_cbranch_vccnz .LBB71_1215
; %bb.1214:
	v_add_nc_u32_e32 v0, 0x80, v0
	s_mov_b32 s50, -1
	s_branch .LBB71_1217
.LBB71_1215:
	s_mov_b32 s50, 0
.LBB71_1216:
                                        ; implicit-def: $vgpr0
.LBB71_1217:
	s_and_not1_b32 s47, s43, exec_lo
	s_and_b32 s0, s0, exec_lo
	s_and_b32 s25, s25, exec_lo
	s_or_b32 s48, s47, s0
	s_and_not1_b32 s0, s44, exec_lo
	s_and_not1_b32 s47, s42, exec_lo
	s_and_b32 s24, s24, exec_lo
	s_or_b32 s49, s0, s25
	s_or_b32 s47, s47, s24
	s_or_not1_b32 s51, s50, exec_lo
.LBB71_1218:
	s_wait_xcnt 0x0
	s_or_b32 exec_lo, exec_lo, s46
	s_mov_b32 s25, 0
	s_mov_b32 s50, 0
	;; [unrolled: 1-line block ×3, first 2 shown]
                                        ; implicit-def: $sgpr0
                                        ; implicit-def: $vgpr8_vgpr9
                                        ; implicit-def: $vgpr6
                                        ; implicit-def: $vgpr2
                                        ; implicit-def: $vgpr4_vgpr5
	s_and_saveexec_b32 s46, s51
	s_cbranch_execz .LBB71_1309
; %bb.1219:
	v_cmp_gt_i32_e32 vcc_lo, s36, v0
	s_mov_b32 s51, s47
                                        ; implicit-def: $sgpr0
                                        ; implicit-def: $vgpr8_vgpr9
                                        ; implicit-def: $vgpr6
                                        ; implicit-def: $vgpr2
                                        ; implicit-def: $vgpr4_vgpr5
	s_and_saveexec_b32 s36, vcc_lo
	s_cbranch_execz .LBB71_1308
; %bb.1220:
	s_and_not1_b32 vcc_lo, exec_lo, s29
	s_cbranch_vccnz .LBB71_1226
; %bb.1221:
	s_and_not1_b32 vcc_lo, exec_lo, s37
	s_cbranch_vccnz .LBB71_1227
; %bb.1222:
	v_dual_mov_b32 v2, 0 :: v_dual_mov_b32 v1, v0
	s_wait_loadcnt 0x0
	v_dual_mov_b32 v4, 0 :: v_dual_mov_b32 v6, 0
	s_add_co_i32 s0, s35, 1
	s_mov_b64 s[24:25], 0xffffffffffffffe8
	s_and_b32 s0, s0, 30
	s_add_nc_u64 s[24:25], s[2:3], s[24:25]
.LBB71_1223:                            ; =>This Inner Loop Header: Depth=1
	s_clause 0x1
	s_load_b128 s[52:55], s[24:25], 0x1c
	s_load_b64 s[50:51], s[24:25], 0x2c
	s_add_co_i32 s0, s0, -2
	s_delay_alu instid0(SALU_CYCLE_1) | instskip(SKIP_2) | instid1(VALU_DEP_1)
	s_cmp_eq_u32 s0, 0
	s_wait_kmcnt 0x0
	v_mul_hi_u32 v3, s53, v1
	v_add_nc_u32_e32 v3, v1, v3
	s_delay_alu instid0(VALU_DEP_1) | instskip(NEXT) | instid1(VALU_DEP_1)
	v_lshrrev_b32_e32 v3, s54, v3
	v_mul_hi_u32 v5, s50, v3
	v_mul_lo_u32 v7, v3, s52
	s_clause 0x1
	s_load_b128 s[56:59], s[24:25], 0xdc
	s_load_b64 s[52:53], s[24:25], 0xec
	s_wait_xcnt 0x0
	s_add_nc_u64 s[24:25], s[24:25], 24
	s_delay_alu instid0(VALU_DEP_1) | instskip(NEXT) | instid1(VALU_DEP_1)
	v_dual_add_nc_u32 v5, v3, v5 :: v_dual_sub_nc_u32 v7, v1, v7
	v_lshrrev_b32_e32 v1, s51, v5
	s_wait_kmcnt 0x0
	s_delay_alu instid0(VALU_DEP_2) | instskip(NEXT) | instid1(VALU_DEP_2)
	v_mad_u32 v2, v7, s56, v2
	v_mul_lo_u32 v5, v1, s55
	v_mad_u32 v6, v7, s58, v6
	v_mad_u32 v4, v7, s57, v4
	s_delay_alu instid0(VALU_DEP_3) | instskip(NEXT) | instid1(VALU_DEP_1)
	v_sub_nc_u32_e32 v3, v3, v5
	v_mad_u32 v2, v3, s59, v2
	s_delay_alu instid0(VALU_DEP_4) | instskip(NEXT) | instid1(VALU_DEP_4)
	v_mad_u32 v6, v3, s53, v6
	v_mad_u32 v4, v3, s52, v4
	s_cbranch_scc0 .LBB71_1223
; %bb.1224:
	s_bitcmp1_b32 s35, 0
	s_cselect_b32 s0, -1, 0
	s_delay_alu instid0(SALU_CYCLE_1)
	s_and_b32 vcc_lo, exec_lo, s0
	s_cbranch_vccnz .LBB71_1228
; %bb.1225:
	s_clause 0x1
	s_load_b96 s[52:54], s[24:25], 0x1c
	s_load_b96 s[56:58], s[24:25], 0xdc
	s_wait_kmcnt 0x0
	v_mul_hi_u32 v3, s53, v1
	s_delay_alu instid0(VALU_DEP_1) | instskip(NEXT) | instid1(VALU_DEP_1)
	v_add_nc_u32_e32 v3, v1, v3
	v_lshrrev_b32_e32 v3, s54, v3
	s_delay_alu instid0(VALU_DEP_1) | instskip(NEXT) | instid1(VALU_DEP_1)
	v_mul_lo_u32 v3, v3, s52
	v_sub_nc_u32_e32 v1, v1, v3
	s_delay_alu instid0(VALU_DEP_1)
	v_mad_u32 v2, v1, s56, v2
	v_mad_u32 v4, v1, s57, v4
	;; [unrolled: 1-line block ×3, first 2 shown]
	s_branch .LBB71_1228
.LBB71_1226:
	s_mov_b32 s0, -1
                                        ; implicit-def: $vgpr6
                                        ; implicit-def: $vgpr4
                                        ; implicit-def: $vgpr2
	s_branch .LBB71_1229
.LBB71_1227:
	s_wait_loadcnt 0x0
	v_dual_mov_b32 v6, 0 :: v_dual_mov_b32 v4, 0
	v_mov_b32_e32 v2, 0
.LBB71_1228:
	s_mov_b32 s0, 0
.LBB71_1229:
	s_delay_alu instid0(SALU_CYCLE_1)
	s_and_not1_b32 vcc_lo, exec_lo, s0
	s_cbranch_vccnz .LBB71_1232
; %bb.1230:
	v_mov_b32_e32 v1, 0
	s_and_not1_b32 vcc_lo, exec_lo, s34
	s_delay_alu instid0(VALU_DEP_1) | instskip(NEXT) | instid1(VALU_DEP_1)
	v_mul_u64_e32 v[2:3], s[18:19], v[0:1]
	v_add_nc_u32_e32 v2, v0, v3
	s_delay_alu instid0(VALU_DEP_1) | instskip(NEXT) | instid1(VALU_DEP_1)
	v_lshrrev_b32_e32 v8, s10, v2
	v_mul_lo_u32 v2, v8, s8
	s_delay_alu instid0(VALU_DEP_1) | instskip(NEXT) | instid1(VALU_DEP_1)
	v_sub_nc_u32_e32 v0, v0, v2
	v_mul_lo_u32 v2, v0, s12
	s_wait_loadcnt 0x0
	v_mul_lo_u32 v6, v0, s14
	v_mul_lo_u32 v4, v0, s13
	s_cbranch_vccnz .LBB71_1232
; %bb.1231:
	v_mov_b32_e32 v9, v1
	s_delay_alu instid0(VALU_DEP_1) | instskip(NEXT) | instid1(VALU_DEP_1)
	v_mul_u64_e32 v[0:1], s[22:23], v[8:9]
	v_add_nc_u32_e32 v0, v8, v1
	s_delay_alu instid0(VALU_DEP_1) | instskip(NEXT) | instid1(VALU_DEP_1)
	v_lshrrev_b32_e32 v0, s1, v0
	v_mul_lo_u32 v0, v0, s11
	s_delay_alu instid0(VALU_DEP_1) | instskip(NEXT) | instid1(VALU_DEP_1)
	v_sub_nc_u32_e32 v0, v8, v0
	v_mad_u32 v2, v0, s15, v2
	v_mad_u32 v4, v0, s20, v4
	;; [unrolled: 1-line block ×3, first 2 shown]
.LBB71_1232:
	s_wait_loadcnt 0x0
	v_mov_b32_e32 v5, 0
	s_and_b32 s0, s33, 0xff
	s_delay_alu instid0(SALU_CYCLE_1) | instskip(NEXT) | instid1(VALU_DEP_1)
	s_cmp_lt_i32 s0, 11
	v_add_nc_u64_e32 v[8:9], s[6:7], v[4:5]
	s_cbranch_scc1 .LBB71_1239
; %bb.1233:
	s_and_b32 s1, 0xffff, s0
	s_mov_b32 s7, 0
	s_cmp_gt_i32 s1, 25
	s_cbranch_scc0 .LBB71_1240
; %bb.1234:
	s_cmp_gt_i32 s1, 28
	s_cbranch_scc0 .LBB71_1241
; %bb.1235:
	;; [unrolled: 3-line block ×4, first 2 shown]
	s_cmp_eq_u32 s1, 46
	s_mov_b32 s10, 0
	s_cbranch_scc0 .LBB71_1246
; %bb.1238:
	global_load_b32 v0, v[8:9], off
	s_mov_b32 s6, 0
	s_mov_b32 s8, -1
	s_wait_loadcnt 0x0
	v_lshlrev_b32_e32 v0, 16, v0
	s_delay_alu instid0(VALU_DEP_1) | instskip(NEXT) | instid1(VALU_DEP_1)
	v_trunc_f32_e32 v0, v0
	v_mul_f32_e64 v1, 0x2f800000, |v0|
	s_delay_alu instid0(VALU_DEP_1) | instskip(NEXT) | instid1(VALU_DEP_1)
	v_floor_f32_e32 v1, v1
	v_fma_f32 v3, 0xcf800000, v1, |v0|
	v_ashrrev_i32_e32 v0, 31, v0
	v_cvt_u32_f32_e32 v4, v1
	s_delay_alu instid0(VALU_DEP_3) | instskip(NEXT) | instid1(VALU_DEP_3)
	v_cvt_u32_f32_e32 v3, v3
	v_mov_b32_e32 v1, v0
	s_delay_alu instid0(VALU_DEP_3) | instskip(NEXT) | instid1(VALU_DEP_3)
	v_xor_b32_e32 v5, v4, v0
	v_xor_b32_e32 v4, v3, v0
	s_delay_alu instid0(VALU_DEP_1)
	v_sub_nc_u64_e32 v[4:5], v[4:5], v[0:1]
	s_branch .LBB71_1248
.LBB71_1239:
	s_mov_b32 s1, -1
	s_mov_b32 s8, 0
	s_mov_b32 s7, 0
	;; [unrolled: 1-line block ×3, first 2 shown]
                                        ; implicit-def: $vgpr4_vgpr5
	s_branch .LBB71_1307
.LBB71_1240:
	s_mov_b32 s10, -1
	s_mov_b32 s8, 0
	s_mov_b32 s6, s47
                                        ; implicit-def: $vgpr4_vgpr5
	s_branch .LBB71_1275
.LBB71_1241:
	s_mov_b32 s10, -1
	s_mov_b32 s8, 0
	s_mov_b32 s6, s47
                                        ; implicit-def: $vgpr4_vgpr5
	s_branch .LBB71_1258
.LBB71_1242:
	s_mov_b32 s10, -1
	s_mov_b32 s8, 0
	s_mov_b32 s6, s47
                                        ; implicit-def: $vgpr4_vgpr5
	s_branch .LBB71_1253
.LBB71_1243:
	s_mov_b32 s10, -1
	s_mov_b32 s8, 0
	s_mov_b32 s6, s47
	s_branch .LBB71_1247
.LBB71_1244:
	s_and_not1_saveexec_b32 s51, s51
	s_cbranch_execz .LBB71_1126
.LBB71_1245:
	v_add_f32_e32 v1, 0x46000000, v4
	s_and_not1_b32 s50, s50, exec_lo
	s_delay_alu instid0(VALU_DEP_1) | instskip(NEXT) | instid1(VALU_DEP_1)
	v_and_b32_e32 v1, 0xff, v1
	v_cmp_ne_u32_e32 vcc_lo, 0, v1
	s_and_b32 s52, vcc_lo, exec_lo
	s_delay_alu instid0(SALU_CYCLE_1)
	s_or_b32 s50, s50, s52
	s_or_b32 exec_lo, exec_lo, s51
	v_mov_b32_e32 v5, 0
	s_and_saveexec_b32 s51, s50
	s_cbranch_execnz .LBB71_1127
	s_branch .LBB71_1128
.LBB71_1246:
	s_mov_b32 s6, -1
	s_mov_b32 s8, 0
.LBB71_1247:
                                        ; implicit-def: $vgpr4_vgpr5
.LBB71_1248:
	s_and_b32 vcc_lo, exec_lo, s10
	s_cbranch_vccz .LBB71_1252
; %bb.1249:
	s_cmp_eq_u32 s1, 44
	s_cbranch_scc0 .LBB71_1251
; %bb.1250:
	global_load_u8 v3, v[8:9], off
	s_mov_b32 s6, 0
	s_mov_b32 s8, -1
	s_wait_loadcnt 0x0
	v_cmp_ne_u32_e32 vcc_lo, 0, v3
	v_lshlrev_b32_e32 v0, 23, v3
	s_delay_alu instid0(VALU_DEP_1) | instskip(NEXT) | instid1(VALU_DEP_1)
	v_trunc_f32_e32 v0, v0
	v_mul_f32_e64 v1, 0x2f800000, |v0|
	s_delay_alu instid0(VALU_DEP_1) | instskip(NEXT) | instid1(VALU_DEP_1)
	v_floor_f32_e32 v1, v1
	v_fma_f32 v4, 0xcf800000, v1, |v0|
	v_ashrrev_i32_e32 v0, 31, v0
	v_cvt_u32_f32_e32 v5, v1
	s_delay_alu instid0(VALU_DEP_3) | instskip(NEXT) | instid1(VALU_DEP_2)
	v_cvt_u32_f32_e32 v4, v4
	v_dual_mov_b32 v1, v0 :: v_dual_bitop2_b32 v5, v5, v0 bitop3:0x14
	s_delay_alu instid0(VALU_DEP_2) | instskip(NEXT) | instid1(VALU_DEP_1)
	v_xor_b32_e32 v4, v4, v0
	v_sub_nc_u64_e32 v[0:1], v[4:5], v[0:1]
	s_delay_alu instid0(VALU_DEP_1)
	v_dual_cndmask_b32 v5, 0, v1 :: v_dual_cndmask_b32 v4, 0, v0
	s_branch .LBB71_1252
.LBB71_1251:
	s_mov_b32 s6, -1
                                        ; implicit-def: $vgpr4_vgpr5
.LBB71_1252:
	s_mov_b32 s10, 0
.LBB71_1253:
	s_delay_alu instid0(SALU_CYCLE_1)
	s_and_b32 vcc_lo, exec_lo, s10
	s_cbranch_vccz .LBB71_1257
; %bb.1254:
	s_cmp_eq_u32 s1, 29
	s_cbranch_scc0 .LBB71_1256
; %bb.1255:
	global_load_b64 v[4:5], v[8:9], off
	s_mov_b32 s6, 0
	s_mov_b32 s8, -1
	s_branch .LBB71_1257
.LBB71_1256:
	s_mov_b32 s6, -1
                                        ; implicit-def: $vgpr4_vgpr5
.LBB71_1257:
	s_mov_b32 s10, 0
.LBB71_1258:
	s_delay_alu instid0(SALU_CYCLE_1)
	s_and_b32 vcc_lo, exec_lo, s10
	s_cbranch_vccz .LBB71_1274
; %bb.1259:
	s_cmp_lt_i32 s1, 27
	s_cbranch_scc1 .LBB71_1262
; %bb.1260:
	s_cmp_gt_i32 s1, 27
	s_cbranch_scc0 .LBB71_1263
; %bb.1261:
	s_wait_loadcnt 0x0
	global_load_b32 v4, v[8:9], off
	v_mov_b32_e32 v5, 0
	s_mov_b32 s8, 0
	s_branch .LBB71_1264
.LBB71_1262:
	s_mov_b32 s8, -1
                                        ; implicit-def: $vgpr4_vgpr5
	s_branch .LBB71_1267
.LBB71_1263:
	s_mov_b32 s8, -1
                                        ; implicit-def: $vgpr4_vgpr5
.LBB71_1264:
	s_delay_alu instid0(SALU_CYCLE_1)
	s_and_not1_b32 vcc_lo, exec_lo, s8
	s_cbranch_vccnz .LBB71_1266
; %bb.1265:
	global_load_u16 v0, v[8:9], off
	s_mov_b32 s8, 0
	s_wait_loadcnt 0x1
	v_mov_b32_e32 v5, s8
	s_wait_loadcnt 0x0
	v_and_b32_e32 v4, 0xffff, v0
.LBB71_1266:
	s_mov_b32 s8, 0
.LBB71_1267:
	s_delay_alu instid0(SALU_CYCLE_1)
	s_and_not1_b32 vcc_lo, exec_lo, s8
	s_cbranch_vccnz .LBB71_1273
; %bb.1268:
	global_load_u8 v0, v[8:9], off
	s_mov_b32 s10, 0
	s_mov_b32 s8, exec_lo
	s_wait_loadcnt 0x0
	v_cmpx_lt_i16_e32 0x7f, v0
	s_xor_b32 s8, exec_lo, s8
	s_cbranch_execz .LBB71_1285
; %bb.1269:
	v_cmp_ne_u16_e32 vcc_lo, 0x80, v0
	s_and_b32 s10, vcc_lo, exec_lo
	s_and_not1_saveexec_b32 s8, s8
	s_cbranch_execnz .LBB71_1286
.LBB71_1270:
	s_or_b32 exec_lo, exec_lo, s8
	v_mov_b64_e32 v[4:5], 0
	s_and_saveexec_b32 s8, s10
	s_cbranch_execz .LBB71_1272
.LBB71_1271:
	v_and_b32_e32 v1, 0xffff, v0
	s_delay_alu instid0(VALU_DEP_1) | instskip(SKIP_1) | instid1(VALU_DEP_2)
	v_and_b32_e32 v3, 7, v1
	v_bfe_u32 v7, v1, 3, 4
	v_clz_i32_u32_e32 v4, v3
	s_delay_alu instid0(VALU_DEP_2) | instskip(NEXT) | instid1(VALU_DEP_2)
	v_cmp_eq_u32_e32 vcc_lo, 0, v7
	v_min_u32_e32 v4, 32, v4
	s_delay_alu instid0(VALU_DEP_1) | instskip(NEXT) | instid1(VALU_DEP_1)
	v_subrev_nc_u32_e32 v5, 28, v4
	v_dual_lshlrev_b32 v1, v5, v1 :: v_dual_sub_nc_u32 v4, 29, v4
	s_delay_alu instid0(VALU_DEP_1) | instskip(NEXT) | instid1(VALU_DEP_1)
	v_dual_lshlrev_b32 v0, 24, v0 :: v_dual_bitop2_b32 v1, 7, v1 bitop3:0x40
	v_cndmask_b32_e32 v1, v3, v1, vcc_lo
	s_delay_alu instid0(VALU_DEP_3) | instskip(NEXT) | instid1(VALU_DEP_3)
	v_cndmask_b32_e32 v4, v7, v4, vcc_lo
	v_and_b32_e32 v0, 0x80000000, v0
	s_delay_alu instid0(VALU_DEP_3) | instskip(NEXT) | instid1(VALU_DEP_3)
	v_lshlrev_b32_e32 v1, 20, v1
	v_lshl_add_u32 v3, v4, 23, 0x3b800000
	s_delay_alu instid0(VALU_DEP_1) | instskip(NEXT) | instid1(VALU_DEP_1)
	v_or3_b32 v0, v0, v3, v1
	v_trunc_f32_e32 v0, v0
	s_delay_alu instid0(VALU_DEP_1) | instskip(NEXT) | instid1(VALU_DEP_1)
	v_mul_f32_e64 v1, 0x2f800000, |v0|
	v_floor_f32_e32 v1, v1
	s_delay_alu instid0(VALU_DEP_1) | instskip(SKIP_2) | instid1(VALU_DEP_3)
	v_fma_f32 v3, 0xcf800000, v1, |v0|
	v_ashrrev_i32_e32 v0, 31, v0
	v_cvt_u32_f32_e32 v4, v1
	v_cvt_u32_f32_e32 v3, v3
	s_delay_alu instid0(VALU_DEP_3) | instskip(NEXT) | instid1(VALU_DEP_3)
	v_mov_b32_e32 v1, v0
	v_xor_b32_e32 v5, v4, v0
	s_delay_alu instid0(VALU_DEP_3) | instskip(NEXT) | instid1(VALU_DEP_1)
	v_xor_b32_e32 v4, v3, v0
	v_sub_nc_u64_e32 v[4:5], v[4:5], v[0:1]
.LBB71_1272:
	s_or_b32 exec_lo, exec_lo, s8
.LBB71_1273:
	s_mov_b32 s8, -1
.LBB71_1274:
	s_mov_b32 s10, 0
.LBB71_1275:
	s_delay_alu instid0(SALU_CYCLE_1)
	s_and_b32 vcc_lo, exec_lo, s10
	s_cbranch_vccz .LBB71_1306
; %bb.1276:
	s_cmp_gt_i32 s1, 22
	s_cbranch_scc0 .LBB71_1284
; %bb.1277:
	s_cmp_lt_i32 s1, 24
	s_cbranch_scc1 .LBB71_1287
; %bb.1278:
	s_cmp_gt_i32 s1, 24
	s_cbranch_scc0 .LBB71_1288
; %bb.1279:
	global_load_u8 v0, v[8:9], off
	s_mov_b32 s8, 0
	s_mov_b32 s7, exec_lo
	s_wait_loadcnt 0x0
	v_cmpx_lt_i16_e32 0x7f, v0
	s_xor_b32 s7, exec_lo, s7
	s_cbranch_execz .LBB71_1300
; %bb.1280:
	v_cmp_ne_u16_e32 vcc_lo, 0x80, v0
	s_and_b32 s8, vcc_lo, exec_lo
	s_and_not1_saveexec_b32 s7, s7
	s_cbranch_execnz .LBB71_1301
.LBB71_1281:
	s_or_b32 exec_lo, exec_lo, s7
	v_mov_b64_e32 v[4:5], 0
	s_and_saveexec_b32 s7, s8
	s_cbranch_execz .LBB71_1283
.LBB71_1282:
	v_and_b32_e32 v1, 0xffff, v0
	s_delay_alu instid0(VALU_DEP_1) | instskip(SKIP_1) | instid1(VALU_DEP_2)
	v_and_b32_e32 v3, 3, v1
	v_bfe_u32 v7, v1, 2, 5
	v_clz_i32_u32_e32 v4, v3
	s_delay_alu instid0(VALU_DEP_2) | instskip(NEXT) | instid1(VALU_DEP_2)
	v_cmp_eq_u32_e32 vcc_lo, 0, v7
	v_min_u32_e32 v4, 32, v4
	s_delay_alu instid0(VALU_DEP_1) | instskip(NEXT) | instid1(VALU_DEP_1)
	v_subrev_nc_u32_e32 v5, 29, v4
	v_dual_lshlrev_b32 v1, v5, v1 :: v_dual_sub_nc_u32 v4, 30, v4
	s_delay_alu instid0(VALU_DEP_1) | instskip(NEXT) | instid1(VALU_DEP_1)
	v_dual_lshlrev_b32 v0, 24, v0 :: v_dual_bitop2_b32 v1, 3, v1 bitop3:0x40
	v_cndmask_b32_e32 v1, v3, v1, vcc_lo
	s_delay_alu instid0(VALU_DEP_3) | instskip(NEXT) | instid1(VALU_DEP_3)
	v_cndmask_b32_e32 v4, v7, v4, vcc_lo
	v_and_b32_e32 v0, 0x80000000, v0
	s_delay_alu instid0(VALU_DEP_3) | instskip(NEXT) | instid1(VALU_DEP_3)
	v_lshlrev_b32_e32 v1, 21, v1
	v_lshl_add_u32 v3, v4, 23, 0x37800000
	s_delay_alu instid0(VALU_DEP_1) | instskip(NEXT) | instid1(VALU_DEP_1)
	v_or3_b32 v0, v0, v3, v1
	v_trunc_f32_e32 v0, v0
	s_delay_alu instid0(VALU_DEP_1) | instskip(NEXT) | instid1(VALU_DEP_1)
	v_mul_f32_e64 v1, 0x2f800000, |v0|
	v_floor_f32_e32 v1, v1
	s_delay_alu instid0(VALU_DEP_1) | instskip(SKIP_2) | instid1(VALU_DEP_3)
	v_fma_f32 v3, 0xcf800000, v1, |v0|
	v_ashrrev_i32_e32 v0, 31, v0
	v_cvt_u32_f32_e32 v4, v1
	v_cvt_u32_f32_e32 v3, v3
	s_delay_alu instid0(VALU_DEP_3) | instskip(NEXT) | instid1(VALU_DEP_3)
	v_mov_b32_e32 v1, v0
	v_xor_b32_e32 v5, v4, v0
	s_delay_alu instid0(VALU_DEP_3) | instskip(NEXT) | instid1(VALU_DEP_1)
	v_xor_b32_e32 v4, v3, v0
	v_sub_nc_u64_e32 v[4:5], v[4:5], v[0:1]
.LBB71_1283:
	s_or_b32 exec_lo, exec_lo, s7
	s_mov_b32 s7, 0
	s_branch .LBB71_1289
.LBB71_1284:
	s_mov_b32 s7, -1
                                        ; implicit-def: $vgpr4_vgpr5
	s_branch .LBB71_1295
.LBB71_1285:
	s_and_not1_saveexec_b32 s8, s8
	s_cbranch_execz .LBB71_1270
.LBB71_1286:
	v_cmp_ne_u16_e32 vcc_lo, 0, v0
	s_and_not1_b32 s10, s10, exec_lo
	s_and_b32 s11, vcc_lo, exec_lo
	s_delay_alu instid0(SALU_CYCLE_1)
	s_or_b32 s10, s10, s11
	s_or_b32 exec_lo, exec_lo, s8
	v_mov_b64_e32 v[4:5], 0
	s_and_saveexec_b32 s8, s10
	s_cbranch_execnz .LBB71_1271
	s_branch .LBB71_1272
.LBB71_1287:
	s_mov_b32 s7, -1
                                        ; implicit-def: $vgpr4_vgpr5
	s_branch .LBB71_1292
.LBB71_1288:
	s_mov_b32 s7, -1
                                        ; implicit-def: $vgpr4_vgpr5
.LBB71_1289:
	s_delay_alu instid0(SALU_CYCLE_1)
	s_and_b32 vcc_lo, exec_lo, s7
	s_cbranch_vccz .LBB71_1291
; %bb.1290:
	global_load_u8 v0, v[8:9], off
	s_wait_loadcnt 0x0
	v_lshlrev_b32_e32 v0, 24, v0
	s_delay_alu instid0(VALU_DEP_1) | instskip(NEXT) | instid1(VALU_DEP_1)
	v_and_b32_e32 v1, 0x7f000000, v0
	v_clz_i32_u32_e32 v3, v1
	v_add_nc_u32_e32 v5, 0x1000000, v1
	v_cmp_ne_u32_e32 vcc_lo, 0, v1
	s_delay_alu instid0(VALU_DEP_3) | instskip(NEXT) | instid1(VALU_DEP_1)
	v_min_u32_e32 v3, 32, v3
	v_sub_nc_u32_e64 v3, v3, 4 clamp
	s_delay_alu instid0(VALU_DEP_1) | instskip(NEXT) | instid1(VALU_DEP_1)
	v_dual_lshlrev_b32 v4, v3, v1 :: v_dual_lshlrev_b32 v3, 23, v3
	v_lshrrev_b32_e32 v4, 4, v4
	s_delay_alu instid0(VALU_DEP_1) | instskip(NEXT) | instid1(VALU_DEP_1)
	v_dual_sub_nc_u32 v3, v4, v3 :: v_dual_ashrrev_i32 v4, 8, v5
	v_add_nc_u32_e32 v3, 0x3c000000, v3
	s_delay_alu instid0(VALU_DEP_1) | instskip(NEXT) | instid1(VALU_DEP_1)
	v_and_or_b32 v3, 0x7f800000, v4, v3
	v_cndmask_b32_e32 v1, 0, v3, vcc_lo
	s_delay_alu instid0(VALU_DEP_1) | instskip(NEXT) | instid1(VALU_DEP_1)
	v_and_or_b32 v0, 0x80000000, v0, v1
	v_trunc_f32_e32 v0, v0
	s_delay_alu instid0(VALU_DEP_1) | instskip(NEXT) | instid1(VALU_DEP_1)
	v_mul_f32_e64 v1, 0x2f800000, |v0|
	v_floor_f32_e32 v1, v1
	s_delay_alu instid0(VALU_DEP_1) | instskip(SKIP_2) | instid1(VALU_DEP_3)
	v_fma_f32 v3, 0xcf800000, v1, |v0|
	v_ashrrev_i32_e32 v0, 31, v0
	v_cvt_u32_f32_e32 v4, v1
	v_cvt_u32_f32_e32 v3, v3
	s_delay_alu instid0(VALU_DEP_3) | instskip(NEXT) | instid1(VALU_DEP_3)
	v_mov_b32_e32 v1, v0
	v_xor_b32_e32 v5, v4, v0
	s_delay_alu instid0(VALU_DEP_3) | instskip(NEXT) | instid1(VALU_DEP_1)
	v_xor_b32_e32 v4, v3, v0
	v_sub_nc_u64_e32 v[4:5], v[4:5], v[0:1]
.LBB71_1291:
	s_mov_b32 s7, 0
.LBB71_1292:
	s_delay_alu instid0(SALU_CYCLE_1)
	s_and_not1_b32 vcc_lo, exec_lo, s7
	s_cbranch_vccnz .LBB71_1294
; %bb.1293:
	global_load_u8 v0, v[8:9], off
	s_wait_loadcnt 0x0
	v_lshlrev_b32_e32 v1, 25, v0
	v_lshlrev_b16 v0, 8, v0
	s_delay_alu instid0(VALU_DEP_2) | instskip(NEXT) | instid1(VALU_DEP_2)
	v_cmp_gt_u32_e32 vcc_lo, 0x8000000, v1
	v_and_or_b32 v4, 0x7f00, v0, 0.5
	v_lshrrev_b32_e32 v3, 4, v1
	v_bfe_i32 v0, v0, 0, 16
	s_delay_alu instid0(VALU_DEP_3) | instskip(NEXT) | instid1(VALU_DEP_3)
	v_add_f32_e32 v4, -0.5, v4
	v_or_b32_e32 v3, 0x70000000, v3
	s_delay_alu instid0(VALU_DEP_1) | instskip(NEXT) | instid1(VALU_DEP_1)
	v_mul_f32_e32 v3, 0x7800000, v3
	v_cndmask_b32_e32 v1, v3, v4, vcc_lo
	s_delay_alu instid0(VALU_DEP_1) | instskip(NEXT) | instid1(VALU_DEP_1)
	v_and_or_b32 v0, 0x80000000, v0, v1
	v_trunc_f32_e32 v0, v0
	s_delay_alu instid0(VALU_DEP_1) | instskip(NEXT) | instid1(VALU_DEP_1)
	v_mul_f32_e64 v1, 0x2f800000, |v0|
	v_floor_f32_e32 v1, v1
	s_delay_alu instid0(VALU_DEP_1) | instskip(SKIP_2) | instid1(VALU_DEP_3)
	v_fma_f32 v3, 0xcf800000, v1, |v0|
	v_ashrrev_i32_e32 v0, 31, v0
	v_cvt_u32_f32_e32 v4, v1
	v_cvt_u32_f32_e32 v3, v3
	s_delay_alu instid0(VALU_DEP_3) | instskip(NEXT) | instid1(VALU_DEP_3)
	v_mov_b32_e32 v1, v0
	v_xor_b32_e32 v5, v4, v0
	s_delay_alu instid0(VALU_DEP_3) | instskip(NEXT) | instid1(VALU_DEP_1)
	v_xor_b32_e32 v4, v3, v0
	v_sub_nc_u64_e32 v[4:5], v[4:5], v[0:1]
.LBB71_1294:
	s_mov_b32 s7, 0
	s_mov_b32 s8, -1
.LBB71_1295:
	s_and_not1_b32 vcc_lo, exec_lo, s7
	s_mov_b32 s7, 0
	s_cbranch_vccnz .LBB71_1306
; %bb.1296:
	s_cmp_gt_i32 s1, 14
	s_cbranch_scc0 .LBB71_1299
; %bb.1297:
	s_cmp_eq_u32 s1, 15
	s_cbranch_scc0 .LBB71_1302
; %bb.1298:
	global_load_u16 v0, v[8:9], off
	s_mov_b32 s6, 0
	s_mov_b32 s8, -1
	s_wait_loadcnt 0x0
	v_lshlrev_b32_e32 v0, 16, v0
	s_delay_alu instid0(VALU_DEP_1) | instskip(NEXT) | instid1(VALU_DEP_1)
	v_trunc_f32_e32 v0, v0
	v_mul_f32_e64 v1, 0x2f800000, |v0|
	s_delay_alu instid0(VALU_DEP_1) | instskip(NEXT) | instid1(VALU_DEP_1)
	v_floor_f32_e32 v1, v1
	v_fma_f32 v3, 0xcf800000, v1, |v0|
	v_ashrrev_i32_e32 v0, 31, v0
	v_cvt_u32_f32_e32 v4, v1
	s_delay_alu instid0(VALU_DEP_3) | instskip(NEXT) | instid1(VALU_DEP_3)
	v_cvt_u32_f32_e32 v3, v3
	v_mov_b32_e32 v1, v0
	s_delay_alu instid0(VALU_DEP_3) | instskip(NEXT) | instid1(VALU_DEP_3)
	v_xor_b32_e32 v5, v4, v0
	v_xor_b32_e32 v4, v3, v0
	s_delay_alu instid0(VALU_DEP_1)
	v_sub_nc_u64_e32 v[4:5], v[4:5], v[0:1]
	s_branch .LBB71_1304
.LBB71_1299:
	s_mov_b32 s7, -1
	s_branch .LBB71_1303
.LBB71_1300:
	s_and_not1_saveexec_b32 s7, s7
	s_cbranch_execz .LBB71_1281
.LBB71_1301:
	v_cmp_ne_u16_e32 vcc_lo, 0, v0
	s_and_not1_b32 s8, s8, exec_lo
	s_and_b32 s10, vcc_lo, exec_lo
	s_delay_alu instid0(SALU_CYCLE_1)
	s_or_b32 s8, s8, s10
	s_or_b32 exec_lo, exec_lo, s7
	v_mov_b64_e32 v[4:5], 0
	s_and_saveexec_b32 s7, s8
	s_cbranch_execnz .LBB71_1282
	s_branch .LBB71_1283
.LBB71_1302:
	s_mov_b32 s6, -1
.LBB71_1303:
                                        ; implicit-def: $vgpr4_vgpr5
.LBB71_1304:
	s_and_b32 vcc_lo, exec_lo, s7
	s_mov_b32 s7, 0
	s_cbranch_vccz .LBB71_1306
; %bb.1305:
	s_cmp_lg_u32 s1, 11
	s_mov_b32 s7, -1
	s_cselect_b32 s1, -1, 0
	s_and_not1_b32 s6, s6, exec_lo
	s_and_b32 s1, s1, exec_lo
	s_delay_alu instid0(SALU_CYCLE_1)
	s_or_b32 s6, s6, s1
.LBB71_1306:
	s_mov_b32 s1, 0
.LBB71_1307:
	s_delay_alu instid0(SALU_CYCLE_1)
	s_and_b32 s50, s1, exec_lo
	s_and_not1_b32 s1, s47, exec_lo
	s_and_b32 s6, s6, exec_lo
	s_and_b32 s24, s8, exec_lo
	s_and_b32 s25, s7, exec_lo
	s_or_b32 s51, s1, s6
.LBB71_1308:
	s_wait_xcnt 0x0
	s_or_b32 exec_lo, exec_lo, s36
	s_delay_alu instid0(SALU_CYCLE_1)
	s_and_not1_b32 s1, s47, exec_lo
	s_and_b32 s6, s51, exec_lo
	s_and_b32 s24, s24, exec_lo
	;; [unrolled: 1-line block ×4, first 2 shown]
	s_or_b32 s47, s1, s6
.LBB71_1309:
	s_or_b32 exec_lo, exec_lo, s46
	s_delay_alu instid0(SALU_CYCLE_1)
	s_and_not1_b32 s1, s43, exec_lo
	s_and_b32 s6, s48, exec_lo
	s_and_not1_b32 s7, s44, exec_lo
	s_and_b32 s8, s49, exec_lo
	s_or_b32 s43, s1, s6
	s_and_not1_b32 s1, s42, exec_lo
	s_and_b32 s6, s47, exec_lo
	s_or_b32 s44, s7, s8
	s_and_b32 s24, s24, exec_lo
	s_and_b32 s46, s50, exec_lo
	;; [unrolled: 1-line block ×3, first 2 shown]
	s_or_b32 s42, s1, s6
.LBB71_1310:
	s_or_b32 exec_lo, exec_lo, s45
	s_delay_alu instid0(SALU_CYCLE_1)
	s_and_not1_b32 s1, s38, exec_lo
	s_and_b32 s6, s43, exec_lo
	s_and_not1_b32 s7, s39, exec_lo
	s_and_b32 s8, s44, exec_lo
	s_or_b32 s38, s1, s6
	s_and_not1_b32 s1, s40, exec_lo
	s_and_b32 s6, s42, exec_lo
	s_or_b32 s39, s7, s8
	s_and_b32 s24, s24, exec_lo
	s_and_b32 s43, s46, exec_lo
	;; [unrolled: 1-line block ×3, first 2 shown]
	s_or_b32 s40, s1, s6
	s_or_b32 exec_lo, exec_lo, s41
	s_mov_b32 s1, 0
	s_and_saveexec_b32 s6, s40
	s_cbranch_execz .LBB71_408
.LBB71_1311:
	s_mov_b32 s1, exec_lo
	s_and_not1_b32 s19, s19, exec_lo
	s_trap 2
	s_or_b32 exec_lo, exec_lo, s6
	s_and_saveexec_b32 s6, s19
	s_delay_alu instid0(SALU_CYCLE_1)
	s_xor_b32 s6, exec_lo, s6
	s_cbranch_execnz .LBB71_409
.LBB71_1312:
	s_or_b32 exec_lo, exec_lo, s6
	s_and_saveexec_b32 s6, s43
	s_cbranch_execz .LBB71_1358
.LBB71_1313:
	s_sext_i32_i16 s7, s0
	s_delay_alu instid0(SALU_CYCLE_1)
	s_cmp_lt_i32 s7, 5
	s_cbranch_scc1 .LBB71_1318
; %bb.1314:
	s_cmp_lt_i32 s7, 8
	s_cbranch_scc1 .LBB71_1319
; %bb.1315:
	s_cmp_lt_i32 s7, 9
	s_cbranch_scc1 .LBB71_1320
; %bb.1316:
	s_cmp_gt_i32 s7, 9
	s_cbranch_scc0 .LBB71_1321
; %bb.1317:
	global_load_b64 v[0:1], v[8:9], off
	s_mov_b32 s7, 0
	s_wait_loadcnt 0x0
	v_trunc_f64_e32 v[0:1], v[0:1]
	s_delay_alu instid0(VALU_DEP_1) | instskip(NEXT) | instid1(VALU_DEP_1)
	v_ldexp_f64 v[4:5], v[0:1], 0xffffffe0
	v_floor_f64_e32 v[4:5], v[4:5]
	s_delay_alu instid0(VALU_DEP_1) | instskip(SKIP_1) | instid1(VALU_DEP_2)
	v_fmamk_f64 v[0:1], v[4:5], 0xc1f00000, v[0:1]
	v_cvt_i32_f64_e32 v5, v[4:5]
	v_cvt_u32_f64_e32 v4, v[0:1]
	s_branch .LBB71_1322
.LBB71_1318:
                                        ; implicit-def: $vgpr4_vgpr5
	s_branch .LBB71_1339
.LBB71_1319:
                                        ; implicit-def: $vgpr4_vgpr5
	s_branch .LBB71_1328
.LBB71_1320:
	s_mov_b32 s7, -1
                                        ; implicit-def: $vgpr4_vgpr5
	s_branch .LBB71_1325
.LBB71_1321:
	s_mov_b32 s7, -1
                                        ; implicit-def: $vgpr4_vgpr5
.LBB71_1322:
	s_delay_alu instid0(SALU_CYCLE_1)
	s_and_not1_b32 vcc_lo, exec_lo, s7
	s_cbranch_vccnz .LBB71_1324
; %bb.1323:
	global_load_b32 v0, v[8:9], off
	s_wait_loadcnt 0x0
	v_trunc_f32_e32 v0, v0
	s_delay_alu instid0(VALU_DEP_1) | instskip(NEXT) | instid1(VALU_DEP_1)
	v_mul_f32_e64 v1, 0x2f800000, |v0|
	v_floor_f32_e32 v1, v1
	s_delay_alu instid0(VALU_DEP_1) | instskip(SKIP_2) | instid1(VALU_DEP_3)
	v_fma_f32 v3, 0xcf800000, v1, |v0|
	v_ashrrev_i32_e32 v0, 31, v0
	v_cvt_u32_f32_e32 v4, v1
	v_cvt_u32_f32_e32 v3, v3
	s_delay_alu instid0(VALU_DEP_3) | instskip(NEXT) | instid1(VALU_DEP_3)
	v_mov_b32_e32 v1, v0
	v_xor_b32_e32 v5, v4, v0
	s_delay_alu instid0(VALU_DEP_3) | instskip(NEXT) | instid1(VALU_DEP_1)
	v_xor_b32_e32 v4, v3, v0
	v_sub_nc_u64_e32 v[4:5], v[4:5], v[0:1]
.LBB71_1324:
	s_mov_b32 s7, 0
.LBB71_1325:
	s_delay_alu instid0(SALU_CYCLE_1)
	s_and_not1_b32 vcc_lo, exec_lo, s7
	s_cbranch_vccnz .LBB71_1327
; %bb.1326:
	global_load_b32 v0, v[8:9], off
	s_wait_loadcnt 0x0
	v_cvt_f32_f16_e32 v0, v0
	s_delay_alu instid0(VALU_DEP_1) | instskip(NEXT) | instid1(VALU_DEP_1)
	v_cvt_i32_f32_e32 v4, v0
	v_ashrrev_i32_e32 v5, 31, v4
.LBB71_1327:
	s_cbranch_execnz .LBB71_1338
.LBB71_1328:
	s_sext_i32_i16 s7, s0
	s_delay_alu instid0(SALU_CYCLE_1)
	s_cmp_lt_i32 s7, 6
	s_cbranch_scc1 .LBB71_1331
; %bb.1329:
	s_cmp_gt_i32 s7, 6
	s_cbranch_scc0 .LBB71_1332
; %bb.1330:
	global_load_b64 v[0:1], v[8:9], off
	s_mov_b32 s7, 0
	s_wait_loadcnt 0x0
	v_trunc_f64_e32 v[0:1], v[0:1]
	s_delay_alu instid0(VALU_DEP_1) | instskip(NEXT) | instid1(VALU_DEP_1)
	v_ldexp_f64 v[4:5], v[0:1], 0xffffffe0
	v_floor_f64_e32 v[4:5], v[4:5]
	s_delay_alu instid0(VALU_DEP_1) | instskip(SKIP_1) | instid1(VALU_DEP_2)
	v_fmamk_f64 v[0:1], v[4:5], 0xc1f00000, v[0:1]
	v_cvt_i32_f64_e32 v5, v[4:5]
	v_cvt_u32_f64_e32 v4, v[0:1]
	s_branch .LBB71_1333
.LBB71_1331:
	s_mov_b32 s7, -1
                                        ; implicit-def: $vgpr4_vgpr5
	s_branch .LBB71_1336
.LBB71_1332:
	s_mov_b32 s7, -1
                                        ; implicit-def: $vgpr4_vgpr5
.LBB71_1333:
	s_delay_alu instid0(SALU_CYCLE_1)
	s_and_not1_b32 vcc_lo, exec_lo, s7
	s_cbranch_vccnz .LBB71_1335
; %bb.1334:
	global_load_b32 v0, v[8:9], off
	s_wait_loadcnt 0x0
	v_trunc_f32_e32 v0, v0
	s_delay_alu instid0(VALU_DEP_1) | instskip(NEXT) | instid1(VALU_DEP_1)
	v_mul_f32_e64 v1, 0x2f800000, |v0|
	v_floor_f32_e32 v1, v1
	s_delay_alu instid0(VALU_DEP_1) | instskip(SKIP_2) | instid1(VALU_DEP_3)
	v_fma_f32 v3, 0xcf800000, v1, |v0|
	v_ashrrev_i32_e32 v0, 31, v0
	v_cvt_u32_f32_e32 v4, v1
	v_cvt_u32_f32_e32 v3, v3
	s_delay_alu instid0(VALU_DEP_3) | instskip(NEXT) | instid1(VALU_DEP_3)
	v_mov_b32_e32 v1, v0
	v_xor_b32_e32 v5, v4, v0
	s_delay_alu instid0(VALU_DEP_3) | instskip(NEXT) | instid1(VALU_DEP_1)
	v_xor_b32_e32 v4, v3, v0
	v_sub_nc_u64_e32 v[4:5], v[4:5], v[0:1]
.LBB71_1335:
	s_mov_b32 s7, 0
.LBB71_1336:
	s_delay_alu instid0(SALU_CYCLE_1)
	s_and_not1_b32 vcc_lo, exec_lo, s7
	s_cbranch_vccnz .LBB71_1338
; %bb.1337:
	global_load_u16 v0, v[8:9], off
	s_wait_loadcnt 0x0
	v_cvt_f32_f16_e32 v0, v0
	s_delay_alu instid0(VALU_DEP_1) | instskip(NEXT) | instid1(VALU_DEP_1)
	v_cvt_i32_f32_e32 v4, v0
	v_ashrrev_i32_e32 v5, 31, v4
.LBB71_1338:
	s_cbranch_execnz .LBB71_1357
.LBB71_1339:
	s_sext_i32_i16 s7, s0
	s_delay_alu instid0(SALU_CYCLE_1)
	s_cmp_lt_i32 s7, 2
	s_cbranch_scc1 .LBB71_1343
; %bb.1340:
	s_cmp_lt_i32 s7, 3
	s_cbranch_scc1 .LBB71_1344
; %bb.1341:
	s_cmp_gt_i32 s7, 3
	s_cbranch_scc0 .LBB71_1345
; %bb.1342:
	s_wait_loadcnt 0x0
	global_load_b64 v[4:5], v[8:9], off
	s_mov_b32 s7, 0
	s_branch .LBB71_1346
.LBB71_1343:
                                        ; implicit-def: $vgpr4_vgpr5
	s_branch .LBB71_1352
.LBB71_1344:
	s_mov_b32 s7, -1
                                        ; implicit-def: $vgpr4_vgpr5
	s_branch .LBB71_1349
.LBB71_1345:
	s_mov_b32 s7, -1
                                        ; implicit-def: $vgpr4_vgpr5
.LBB71_1346:
	s_delay_alu instid0(SALU_CYCLE_1)
	s_and_not1_b32 vcc_lo, exec_lo, s7
	s_cbranch_vccnz .LBB71_1348
; %bb.1347:
	s_wait_loadcnt 0x0
	global_load_b32 v4, v[8:9], off
	s_wait_loadcnt 0x0
	v_ashrrev_i32_e32 v5, 31, v4
.LBB71_1348:
	s_mov_b32 s7, 0
.LBB71_1349:
	s_delay_alu instid0(SALU_CYCLE_1)
	s_and_not1_b32 vcc_lo, exec_lo, s7
	s_cbranch_vccnz .LBB71_1351
; %bb.1350:
	global_load_u16 v0, v[8:9], off
	s_wait_loadcnt 0x0
	v_bfe_i32 v4, v0, 0, 16
	s_delay_alu instid0(VALU_DEP_1)
	v_ashrrev_i32_e32 v5, 31, v4
.LBB71_1351:
	s_cbranch_execnz .LBB71_1357
.LBB71_1352:
	s_sext_i32_i16 s0, s0
	s_delay_alu instid0(SALU_CYCLE_1)
	s_cmp_gt_i32 s0, 0
	s_mov_b32 s0, 0
	s_cbranch_scc0 .LBB71_1354
; %bb.1353:
	global_load_i8 v0, v[8:9], off
	s_wait_loadcnt 0x0
	v_bfe_i32 v4, v0, 0, 16
	s_delay_alu instid0(VALU_DEP_1)
	v_ashrrev_i32_e32 v5, 31, v4
	s_branch .LBB71_1355
.LBB71_1354:
	s_mov_b32 s0, -1
                                        ; implicit-def: $vgpr4_vgpr5
.LBB71_1355:
	s_delay_alu instid0(SALU_CYCLE_1)
	s_and_not1_b32 vcc_lo, exec_lo, s0
	s_cbranch_vccnz .LBB71_1357
; %bb.1356:
	global_load_u8 v0, v[8:9], off
	s_mov_b32 s0, 0
	s_wait_loadcnt 0x1
	v_mov_b32_e32 v5, s0
	s_wait_loadcnt 0x0
	v_and_b32_e32 v4, 0xffff, v0
.LBB71_1357:
	s_or_b32 s24, s24, exec_lo
.LBB71_1358:
	s_wait_xcnt 0x0
	s_or_b32 exec_lo, exec_lo, s6
	s_mov_b32 s8, 0
	s_mov_b32 s7, 0
	;; [unrolled: 1-line block ×3, first 2 shown]
                                        ; implicit-def: $sgpr0
                                        ; implicit-def: $vgpr8_vgpr9
                                        ; implicit-def: $vgpr0_vgpr1
	s_and_saveexec_b32 s6, s24
	s_cbranch_execz .LBB71_1366
; %bb.1359:
	s_wait_loadcnt 0x0
	v_mov_b32_e32 v7, 0
	s_and_b32 s0, s9, 0xff
	s_delay_alu instid0(SALU_CYCLE_1) | instskip(NEXT) | instid1(VALU_DEP_1)
	s_cmp_lt_i32 s0, 11
	v_add_nc_u64_e32 v[8:9], s[16:17], v[6:7]
	s_cbranch_scc1 .LBB71_1369
; %bb.1360:
	s_and_b32 s7, 0xffff, s0
	s_mov_b32 s9, 0
	s_cmp_gt_i32 s7, 25
	s_cbranch_scc0 .LBB71_1370
; %bb.1361:
	s_cmp_gt_i32 s7, 28
	s_cbranch_scc0 .LBB71_1371
; %bb.1362:
	;; [unrolled: 3-line block ×4, first 2 shown]
	s_cmp_eq_u32 s7, 46
	s_mov_b32 s11, 0
	s_cbranch_scc0 .LBB71_1374
; %bb.1365:
	global_load_b32 v0, v[8:9], off
	s_mov_b32 s10, -1
	s_wait_loadcnt 0x0
	v_lshlrev_b32_e32 v0, 16, v0
	s_delay_alu instid0(VALU_DEP_1) | instskip(NEXT) | instid1(VALU_DEP_1)
	v_trunc_f32_e32 v0, v0
	v_mul_f32_e64 v1, 0x2f800000, |v0|
	s_delay_alu instid0(VALU_DEP_1) | instskip(NEXT) | instid1(VALU_DEP_1)
	v_floor_f32_e32 v1, v1
	v_fma_f32 v3, 0xcf800000, v1, |v0|
	v_ashrrev_i32_e32 v0, 31, v0
	v_cvt_u32_f32_e32 v6, v1
	s_delay_alu instid0(VALU_DEP_3) | instskip(NEXT) | instid1(VALU_DEP_2)
	v_cvt_u32_f32_e32 v3, v3
	v_dual_mov_b32 v1, v0 :: v_dual_bitop2_b32 v7, v6, v0 bitop3:0x14
	s_delay_alu instid0(VALU_DEP_2) | instskip(NEXT) | instid1(VALU_DEP_1)
	v_xor_b32_e32 v6, v3, v0
	v_sub_nc_u64_e32 v[0:1], v[6:7], v[0:1]
	s_branch .LBB71_1376
.LBB71_1366:
	s_or_b32 exec_lo, exec_lo, s6
	s_and_saveexec_b32 s6, s39
	s_cbranch_execnz .LBB71_1435
.LBB71_1367:
	s_or_b32 exec_lo, exec_lo, s6
	s_and_saveexec_b32 s6, s8
	s_delay_alu instid0(SALU_CYCLE_1)
	s_xor_b32 s6, exec_lo, s6
	s_cbranch_execz .LBB71_1436
.LBB71_1368:
	s_wait_loadcnt 0x0
	global_load_u8 v0, v[8:9], off
	s_mov_b32 s8, 0
	s_or_b32 s10, s10, exec_lo
	v_mov_b32_e32 v1, s8
	s_wait_loadcnt 0x0
	v_cmp_ne_u16_e32 vcc_lo, 0, v0
	v_cndmask_b32_e64 v0, 0, 1, vcc_lo
	s_wait_xcnt 0x0
	s_or_b32 exec_lo, exec_lo, s6
	s_and_saveexec_b32 s6, s7
	s_cbranch_execz .LBB71_1482
	s_branch .LBB71_1437
.LBB71_1369:
	s_mov_b32 s7, -1
	s_mov_b32 s9, 0
	s_mov_b32 s8, s39
                                        ; implicit-def: $vgpr0_vgpr1
	s_branch .LBB71_1434
.LBB71_1370:
	s_mov_b32 s8, s39
                                        ; implicit-def: $vgpr0_vgpr1
	s_cbranch_execnz .LBB71_1403
	s_branch .LBB71_1433
.LBB71_1371:
	s_mov_b32 s11, -1
	s_mov_b32 s8, s39
                                        ; implicit-def: $vgpr0_vgpr1
	s_branch .LBB71_1386
.LBB71_1372:
	s_mov_b32 s11, -1
	s_mov_b32 s8, s39
                                        ; implicit-def: $vgpr0_vgpr1
	s_branch .LBB71_1381
.LBB71_1373:
	s_mov_b32 s11, -1
	s_mov_b32 s8, s39
	s_branch .LBB71_1375
.LBB71_1374:
	s_mov_b32 s8, -1
.LBB71_1375:
                                        ; implicit-def: $vgpr0_vgpr1
.LBB71_1376:
	s_and_b32 vcc_lo, exec_lo, s11
	s_cbranch_vccz .LBB71_1380
; %bb.1377:
	s_cmp_eq_u32 s7, 44
	s_cbranch_scc0 .LBB71_1379
; %bb.1378:
	global_load_u8 v3, v[8:9], off
	s_mov_b32 s8, 0
	s_mov_b32 s10, -1
	s_wait_loadcnt 0x0
	v_cmp_ne_u32_e32 vcc_lo, 0, v3
	v_lshlrev_b32_e32 v0, 23, v3
	s_delay_alu instid0(VALU_DEP_1) | instskip(NEXT) | instid1(VALU_DEP_1)
	v_trunc_f32_e32 v0, v0
	v_mul_f32_e64 v1, 0x2f800000, |v0|
	s_delay_alu instid0(VALU_DEP_1) | instskip(NEXT) | instid1(VALU_DEP_1)
	v_floor_f32_e32 v1, v1
	v_fma_f32 v6, 0xcf800000, v1, |v0|
	v_ashrrev_i32_e32 v0, 31, v0
	v_cvt_u32_f32_e32 v7, v1
	s_delay_alu instid0(VALU_DEP_3) | instskip(NEXT) | instid1(VALU_DEP_2)
	v_cvt_u32_f32_e32 v6, v6
	v_dual_mov_b32 v1, v0 :: v_dual_bitop2_b32 v7, v7, v0 bitop3:0x14
	s_delay_alu instid0(VALU_DEP_2) | instskip(NEXT) | instid1(VALU_DEP_1)
	v_xor_b32_e32 v6, v6, v0
	v_sub_nc_u64_e32 v[0:1], v[6:7], v[0:1]
	s_delay_alu instid0(VALU_DEP_1)
	v_dual_cndmask_b32 v1, 0, v1 :: v_dual_cndmask_b32 v0, 0, v0
	s_branch .LBB71_1380
.LBB71_1379:
	s_mov_b32 s8, -1
                                        ; implicit-def: $vgpr0_vgpr1
.LBB71_1380:
	s_mov_b32 s11, 0
.LBB71_1381:
	s_delay_alu instid0(SALU_CYCLE_1)
	s_and_b32 vcc_lo, exec_lo, s11
	s_cbranch_vccz .LBB71_1385
; %bb.1382:
	s_cmp_eq_u32 s7, 29
	s_cbranch_scc0 .LBB71_1384
; %bb.1383:
	global_load_b64 v[0:1], v[8:9], off
	s_mov_b32 s8, 0
	s_mov_b32 s10, -1
	s_branch .LBB71_1385
.LBB71_1384:
	s_mov_b32 s8, -1
                                        ; implicit-def: $vgpr0_vgpr1
.LBB71_1385:
	s_mov_b32 s11, 0
.LBB71_1386:
	s_delay_alu instid0(SALU_CYCLE_1)
	s_and_b32 vcc_lo, exec_lo, s11
	s_cbranch_vccz .LBB71_1402
; %bb.1387:
	s_cmp_lt_i32 s7, 27
	s_cbranch_scc1 .LBB71_1390
; %bb.1388:
	s_cmp_gt_i32 s7, 27
	s_cbranch_scc0 .LBB71_1391
; %bb.1389:
	s_wait_loadcnt 0x0
	global_load_b32 v0, v[8:9], off
	v_mov_b32_e32 v1, 0
	s_mov_b32 s10, 0
	s_branch .LBB71_1392
.LBB71_1390:
	s_mov_b32 s10, -1
                                        ; implicit-def: $vgpr0_vgpr1
	s_branch .LBB71_1395
.LBB71_1391:
	s_mov_b32 s10, -1
                                        ; implicit-def: $vgpr0_vgpr1
.LBB71_1392:
	s_delay_alu instid0(SALU_CYCLE_1)
	s_and_not1_b32 vcc_lo, exec_lo, s10
	s_cbranch_vccnz .LBB71_1394
; %bb.1393:
	s_wait_loadcnt 0x0
	global_load_u16 v0, v[8:9], off
	s_mov_b32 s10, 0
	s_delay_alu instid0(SALU_CYCLE_1)
	v_mov_b32_e32 v1, s10
	s_wait_loadcnt 0x0
	v_and_b32_e32 v0, 0xffff, v0
.LBB71_1394:
	s_mov_b32 s10, 0
.LBB71_1395:
	s_delay_alu instid0(SALU_CYCLE_1)
	s_and_not1_b32 vcc_lo, exec_lo, s10
	s_cbranch_vccnz .LBB71_1401
; %bb.1396:
	global_load_u8 v3, v[8:9], off
	s_mov_b32 s11, 0
	s_mov_b32 s10, exec_lo
	s_wait_loadcnt 0x0
	v_cmpx_lt_i16_e32 0x7f, v3
	s_xor_b32 s10, exec_lo, s10
	s_cbranch_execz .LBB71_1412
; %bb.1397:
	v_cmp_ne_u16_e32 vcc_lo, 0x80, v3
	s_and_b32 s11, vcc_lo, exec_lo
	s_and_not1_saveexec_b32 s10, s10
	s_cbranch_execnz .LBB71_1413
.LBB71_1398:
	s_or_b32 exec_lo, exec_lo, s10
	v_mov_b64_e32 v[0:1], 0
	s_and_saveexec_b32 s10, s11
	s_cbranch_execz .LBB71_1400
.LBB71_1399:
	v_and_b32_e32 v0, 0xffff, v3
	s_delay_alu instid0(VALU_DEP_1) | instskip(SKIP_1) | instid1(VALU_DEP_2)
	v_and_b32_e32 v1, 7, v0
	v_bfe_u32 v10, v0, 3, 4
	v_clz_i32_u32_e32 v6, v1
	s_delay_alu instid0(VALU_DEP_2) | instskip(NEXT) | instid1(VALU_DEP_2)
	v_cmp_eq_u32_e32 vcc_lo, 0, v10
	v_min_u32_e32 v6, 32, v6
	s_delay_alu instid0(VALU_DEP_1) | instskip(NEXT) | instid1(VALU_DEP_1)
	v_subrev_nc_u32_e32 v7, 28, v6
	v_dual_lshlrev_b32 v0, v7, v0 :: v_dual_sub_nc_u32 v6, 29, v6
	s_delay_alu instid0(VALU_DEP_1) | instskip(NEXT) | instid1(VALU_DEP_1)
	v_dual_lshlrev_b32 v3, 24, v3 :: v_dual_bitop2_b32 v0, 7, v0 bitop3:0x40
	v_dual_cndmask_b32 v6, v10, v6, vcc_lo :: v_dual_cndmask_b32 v0, v1, v0, vcc_lo
	s_delay_alu instid0(VALU_DEP_2) | instskip(NEXT) | instid1(VALU_DEP_2)
	v_and_b32_e32 v1, 0x80000000, v3
	v_lshl_add_u32 v3, v6, 23, 0x3b800000
	s_delay_alu instid0(VALU_DEP_3) | instskip(NEXT) | instid1(VALU_DEP_1)
	v_lshlrev_b32_e32 v0, 20, v0
	v_or3_b32 v0, v1, v3, v0
	s_delay_alu instid0(VALU_DEP_1) | instskip(NEXT) | instid1(VALU_DEP_1)
	v_trunc_f32_e32 v0, v0
	v_mul_f32_e64 v1, 0x2f800000, |v0|
	s_delay_alu instid0(VALU_DEP_1) | instskip(NEXT) | instid1(VALU_DEP_1)
	v_floor_f32_e32 v1, v1
	v_fma_f32 v3, 0xcf800000, v1, |v0|
	v_ashrrev_i32_e32 v0, 31, v0
	v_cvt_u32_f32_e32 v6, v1
	s_delay_alu instid0(VALU_DEP_3) | instskip(NEXT) | instid1(VALU_DEP_2)
	v_cvt_u32_f32_e32 v3, v3
	v_dual_mov_b32 v1, v0 :: v_dual_bitop2_b32 v7, v6, v0 bitop3:0x14
	s_delay_alu instid0(VALU_DEP_2) | instskip(NEXT) | instid1(VALU_DEP_1)
	v_xor_b32_e32 v6, v3, v0
	v_sub_nc_u64_e32 v[0:1], v[6:7], v[0:1]
.LBB71_1400:
	s_or_b32 exec_lo, exec_lo, s10
.LBB71_1401:
	s_mov_b32 s10, -1
.LBB71_1402:
	s_branch .LBB71_1433
.LBB71_1403:
	s_cmp_gt_i32 s7, 22
	s_cbranch_scc0 .LBB71_1411
; %bb.1404:
	s_cmp_lt_i32 s7, 24
	s_cbranch_scc1 .LBB71_1414
; %bb.1405:
	s_cmp_gt_i32 s7, 24
	s_cbranch_scc0 .LBB71_1415
; %bb.1406:
	global_load_u8 v3, v[8:9], off
	s_mov_b32 s10, 0
	s_mov_b32 s9, exec_lo
	s_wait_loadcnt 0x0
	v_cmpx_lt_i16_e32 0x7f, v3
	s_xor_b32 s9, exec_lo, s9
	s_cbranch_execz .LBB71_1427
; %bb.1407:
	v_cmp_ne_u16_e32 vcc_lo, 0x80, v3
	s_and_b32 s10, vcc_lo, exec_lo
	s_and_not1_saveexec_b32 s9, s9
	s_cbranch_execnz .LBB71_1428
.LBB71_1408:
	s_or_b32 exec_lo, exec_lo, s9
	v_mov_b64_e32 v[0:1], 0
	s_and_saveexec_b32 s9, s10
	s_cbranch_execz .LBB71_1410
.LBB71_1409:
	v_and_b32_e32 v0, 0xffff, v3
	s_delay_alu instid0(VALU_DEP_1) | instskip(SKIP_1) | instid1(VALU_DEP_2)
	v_and_b32_e32 v1, 3, v0
	v_bfe_u32 v10, v0, 2, 5
	v_clz_i32_u32_e32 v6, v1
	s_delay_alu instid0(VALU_DEP_2) | instskip(NEXT) | instid1(VALU_DEP_2)
	v_cmp_eq_u32_e32 vcc_lo, 0, v10
	v_min_u32_e32 v6, 32, v6
	s_delay_alu instid0(VALU_DEP_1) | instskip(NEXT) | instid1(VALU_DEP_1)
	v_subrev_nc_u32_e32 v7, 29, v6
	v_dual_lshlrev_b32 v0, v7, v0 :: v_dual_sub_nc_u32 v6, 30, v6
	s_delay_alu instid0(VALU_DEP_1) | instskip(NEXT) | instid1(VALU_DEP_1)
	v_dual_lshlrev_b32 v3, 24, v3 :: v_dual_bitop2_b32 v0, 3, v0 bitop3:0x40
	v_dual_cndmask_b32 v6, v10, v6, vcc_lo :: v_dual_cndmask_b32 v0, v1, v0, vcc_lo
	s_delay_alu instid0(VALU_DEP_2) | instskip(NEXT) | instid1(VALU_DEP_2)
	v_and_b32_e32 v1, 0x80000000, v3
	v_lshl_add_u32 v3, v6, 23, 0x37800000
	s_delay_alu instid0(VALU_DEP_3) | instskip(NEXT) | instid1(VALU_DEP_1)
	v_lshlrev_b32_e32 v0, 21, v0
	v_or3_b32 v0, v1, v3, v0
	s_delay_alu instid0(VALU_DEP_1) | instskip(NEXT) | instid1(VALU_DEP_1)
	v_trunc_f32_e32 v0, v0
	v_mul_f32_e64 v1, 0x2f800000, |v0|
	s_delay_alu instid0(VALU_DEP_1) | instskip(NEXT) | instid1(VALU_DEP_1)
	v_floor_f32_e32 v1, v1
	v_fma_f32 v3, 0xcf800000, v1, |v0|
	v_ashrrev_i32_e32 v0, 31, v0
	v_cvt_u32_f32_e32 v6, v1
	s_delay_alu instid0(VALU_DEP_3) | instskip(NEXT) | instid1(VALU_DEP_2)
	v_cvt_u32_f32_e32 v3, v3
	v_dual_mov_b32 v1, v0 :: v_dual_bitop2_b32 v7, v6, v0 bitop3:0x14
	s_delay_alu instid0(VALU_DEP_2) | instskip(NEXT) | instid1(VALU_DEP_1)
	v_xor_b32_e32 v6, v3, v0
	v_sub_nc_u64_e32 v[0:1], v[6:7], v[0:1]
.LBB71_1410:
	s_or_b32 exec_lo, exec_lo, s9
	s_mov_b32 s9, 0
	s_branch .LBB71_1416
.LBB71_1411:
	s_mov_b32 s9, -1
                                        ; implicit-def: $vgpr0_vgpr1
	s_branch .LBB71_1422
.LBB71_1412:
	s_and_not1_saveexec_b32 s10, s10
	s_cbranch_execz .LBB71_1398
.LBB71_1413:
	v_cmp_ne_u16_e32 vcc_lo, 0, v3
	s_and_not1_b32 s11, s11, exec_lo
	s_and_b32 s12, vcc_lo, exec_lo
	s_delay_alu instid0(SALU_CYCLE_1)
	s_or_b32 s11, s11, s12
	s_or_b32 exec_lo, exec_lo, s10
	v_mov_b64_e32 v[0:1], 0
	s_and_saveexec_b32 s10, s11
	s_cbranch_execnz .LBB71_1399
	s_branch .LBB71_1400
.LBB71_1414:
	s_mov_b32 s9, -1
                                        ; implicit-def: $vgpr0_vgpr1
	s_branch .LBB71_1419
.LBB71_1415:
	s_mov_b32 s9, -1
                                        ; implicit-def: $vgpr0_vgpr1
.LBB71_1416:
	s_delay_alu instid0(SALU_CYCLE_1)
	s_and_b32 vcc_lo, exec_lo, s9
	s_cbranch_vccz .LBB71_1418
; %bb.1417:
	s_wait_loadcnt 0x0
	global_load_u8 v0, v[8:9], off
	s_wait_loadcnt 0x0
	v_lshlrev_b32_e32 v0, 24, v0
	s_delay_alu instid0(VALU_DEP_1) | instskip(NEXT) | instid1(VALU_DEP_1)
	v_and_b32_e32 v1, 0x7f000000, v0
	v_clz_i32_u32_e32 v3, v1
	v_add_nc_u32_e32 v7, 0x1000000, v1
	v_cmp_ne_u32_e32 vcc_lo, 0, v1
	s_delay_alu instid0(VALU_DEP_3) | instskip(NEXT) | instid1(VALU_DEP_1)
	v_min_u32_e32 v3, 32, v3
	v_sub_nc_u32_e64 v3, v3, 4 clamp
	s_delay_alu instid0(VALU_DEP_1) | instskip(NEXT) | instid1(VALU_DEP_1)
	v_dual_lshlrev_b32 v6, v3, v1 :: v_dual_lshlrev_b32 v3, 23, v3
	v_lshrrev_b32_e32 v6, 4, v6
	s_delay_alu instid0(VALU_DEP_1) | instskip(SKIP_1) | instid1(VALU_DEP_2)
	v_sub_nc_u32_e32 v3, v6, v3
	v_ashrrev_i32_e32 v6, 8, v7
	v_add_nc_u32_e32 v3, 0x3c000000, v3
	s_delay_alu instid0(VALU_DEP_1) | instskip(NEXT) | instid1(VALU_DEP_1)
	v_and_or_b32 v3, 0x7f800000, v6, v3
	v_cndmask_b32_e32 v1, 0, v3, vcc_lo
	s_delay_alu instid0(VALU_DEP_1) | instskip(NEXT) | instid1(VALU_DEP_1)
	v_and_or_b32 v0, 0x80000000, v0, v1
	v_trunc_f32_e32 v0, v0
	s_delay_alu instid0(VALU_DEP_1) | instskip(NEXT) | instid1(VALU_DEP_1)
	v_mul_f32_e64 v1, 0x2f800000, |v0|
	v_floor_f32_e32 v1, v1
	s_delay_alu instid0(VALU_DEP_1) | instskip(SKIP_2) | instid1(VALU_DEP_3)
	v_fma_f32 v3, 0xcf800000, v1, |v0|
	v_ashrrev_i32_e32 v0, 31, v0
	v_cvt_u32_f32_e32 v6, v1
	v_cvt_u32_f32_e32 v3, v3
	s_delay_alu instid0(VALU_DEP_2) | instskip(NEXT) | instid1(VALU_DEP_2)
	v_dual_mov_b32 v1, v0 :: v_dual_bitop2_b32 v7, v6, v0 bitop3:0x14
	v_xor_b32_e32 v6, v3, v0
	s_delay_alu instid0(VALU_DEP_1)
	v_sub_nc_u64_e32 v[0:1], v[6:7], v[0:1]
.LBB71_1418:
	s_mov_b32 s9, 0
.LBB71_1419:
	s_delay_alu instid0(SALU_CYCLE_1)
	s_and_not1_b32 vcc_lo, exec_lo, s9
	s_cbranch_vccnz .LBB71_1421
; %bb.1420:
	s_wait_loadcnt 0x0
	global_load_u8 v0, v[8:9], off
	s_wait_loadcnt 0x0
	v_lshlrev_b32_e32 v1, 25, v0
	v_lshlrev_b16 v0, 8, v0
	s_delay_alu instid0(VALU_DEP_1) | instskip(SKIP_1) | instid1(VALU_DEP_2)
	v_and_or_b32 v6, 0x7f00, v0, 0.5
	v_bfe_i32 v0, v0, 0, 16
	v_dual_add_f32 v6, -0.5, v6 :: v_dual_lshrrev_b32 v3, 4, v1
	v_cmp_gt_u32_e32 vcc_lo, 0x8000000, v1
	s_delay_alu instid0(VALU_DEP_2) | instskip(NEXT) | instid1(VALU_DEP_1)
	v_or_b32_e32 v3, 0x70000000, v3
	v_mul_f32_e32 v3, 0x7800000, v3
	s_delay_alu instid0(VALU_DEP_1) | instskip(NEXT) | instid1(VALU_DEP_1)
	v_cndmask_b32_e32 v1, v3, v6, vcc_lo
	v_and_or_b32 v0, 0x80000000, v0, v1
	s_delay_alu instid0(VALU_DEP_1) | instskip(NEXT) | instid1(VALU_DEP_1)
	v_trunc_f32_e32 v0, v0
	v_mul_f32_e64 v1, 0x2f800000, |v0|
	s_delay_alu instid0(VALU_DEP_1) | instskip(NEXT) | instid1(VALU_DEP_1)
	v_floor_f32_e32 v1, v1
	v_fma_f32 v3, 0xcf800000, v1, |v0|
	v_ashrrev_i32_e32 v0, 31, v0
	v_cvt_u32_f32_e32 v6, v1
	s_delay_alu instid0(VALU_DEP_3) | instskip(NEXT) | instid1(VALU_DEP_2)
	v_cvt_u32_f32_e32 v3, v3
	v_dual_mov_b32 v1, v0 :: v_dual_bitop2_b32 v7, v6, v0 bitop3:0x14
	s_delay_alu instid0(VALU_DEP_2) | instskip(NEXT) | instid1(VALU_DEP_1)
	v_xor_b32_e32 v6, v3, v0
	v_sub_nc_u64_e32 v[0:1], v[6:7], v[0:1]
.LBB71_1421:
	s_mov_b32 s9, 0
	s_mov_b32 s10, -1
.LBB71_1422:
	s_and_not1_b32 vcc_lo, exec_lo, s9
	s_mov_b32 s9, 0
	s_cbranch_vccnz .LBB71_1433
; %bb.1423:
	s_cmp_gt_i32 s7, 14
	s_cbranch_scc0 .LBB71_1426
; %bb.1424:
	s_cmp_eq_u32 s7, 15
	s_cbranch_scc0 .LBB71_1429
; %bb.1425:
	s_wait_loadcnt 0x0
	global_load_u16 v0, v[8:9], off
	s_mov_b32 s8, 0
	s_mov_b32 s10, -1
	s_wait_loadcnt 0x0
	v_lshlrev_b32_e32 v0, 16, v0
	s_delay_alu instid0(VALU_DEP_1) | instskip(NEXT) | instid1(VALU_DEP_1)
	v_trunc_f32_e32 v0, v0
	v_mul_f32_e64 v1, 0x2f800000, |v0|
	s_delay_alu instid0(VALU_DEP_1) | instskip(NEXT) | instid1(VALU_DEP_1)
	v_floor_f32_e32 v1, v1
	v_fma_f32 v3, 0xcf800000, v1, |v0|
	v_ashrrev_i32_e32 v0, 31, v0
	v_cvt_u32_f32_e32 v6, v1
	s_delay_alu instid0(VALU_DEP_3) | instskip(NEXT) | instid1(VALU_DEP_2)
	v_cvt_u32_f32_e32 v3, v3
	v_dual_mov_b32 v1, v0 :: v_dual_bitop2_b32 v7, v6, v0 bitop3:0x14
	s_delay_alu instid0(VALU_DEP_2) | instskip(NEXT) | instid1(VALU_DEP_1)
	v_xor_b32_e32 v6, v3, v0
	v_sub_nc_u64_e32 v[0:1], v[6:7], v[0:1]
	s_branch .LBB71_1431
.LBB71_1426:
	s_mov_b32 s9, -1
	s_branch .LBB71_1430
.LBB71_1427:
	s_and_not1_saveexec_b32 s9, s9
	s_cbranch_execz .LBB71_1408
.LBB71_1428:
	v_cmp_ne_u16_e32 vcc_lo, 0, v3
	s_and_not1_b32 s10, s10, exec_lo
	s_and_b32 s11, vcc_lo, exec_lo
	s_delay_alu instid0(SALU_CYCLE_1)
	s_or_b32 s10, s10, s11
	s_or_b32 exec_lo, exec_lo, s9
	v_mov_b64_e32 v[0:1], 0
	s_and_saveexec_b32 s9, s10
	s_cbranch_execnz .LBB71_1409
	s_branch .LBB71_1410
.LBB71_1429:
	s_mov_b32 s8, -1
.LBB71_1430:
                                        ; implicit-def: $vgpr0_vgpr1
.LBB71_1431:
	s_and_b32 vcc_lo, exec_lo, s9
	s_mov_b32 s9, 0
	s_cbranch_vccz .LBB71_1433
; %bb.1432:
	s_cmp_lg_u32 s7, 11
	s_mov_b32 s9, -1
	s_cselect_b32 s7, -1, 0
	s_and_not1_b32 s8, s8, exec_lo
	s_and_b32 s7, s7, exec_lo
	s_delay_alu instid0(SALU_CYCLE_1)
	s_or_b32 s8, s8, s7
.LBB71_1433:
	s_mov_b32 s7, 0
.LBB71_1434:
	s_and_not1_b32 s11, s39, exec_lo
	s_and_b32 s12, s8, exec_lo
	s_and_b32 s10, s10, exec_lo
	;; [unrolled: 1-line block ×4, first 2 shown]
	s_or_b32 s39, s11, s12
	s_wait_xcnt 0x0
	s_or_b32 exec_lo, exec_lo, s6
	s_and_saveexec_b32 s6, s39
	s_cbranch_execz .LBB71_1367
.LBB71_1435:
	s_or_b32 s1, s1, exec_lo
	s_and_not1_b32 s8, s8, exec_lo
	s_trap 2
	s_or_b32 exec_lo, exec_lo, s6
	s_and_saveexec_b32 s6, s8
	s_delay_alu instid0(SALU_CYCLE_1)
	s_xor_b32 s6, exec_lo, s6
	s_cbranch_execnz .LBB71_1368
.LBB71_1436:
	s_or_b32 exec_lo, exec_lo, s6
	s_and_saveexec_b32 s6, s7
	s_cbranch_execz .LBB71_1482
.LBB71_1437:
	s_sext_i32_i16 s7, s0
	s_delay_alu instid0(SALU_CYCLE_1)
	s_cmp_lt_i32 s7, 5
	s_cbranch_scc1 .LBB71_1442
; %bb.1438:
	s_cmp_lt_i32 s7, 8
	s_cbranch_scc1 .LBB71_1443
; %bb.1439:
	;; [unrolled: 3-line block ×3, first 2 shown]
	s_cmp_gt_i32 s7, 9
	s_cbranch_scc0 .LBB71_1445
; %bb.1441:
	s_wait_loadcnt 0x0
	global_load_b64 v[0:1], v[8:9], off
	s_mov_b32 s7, 0
	s_wait_loadcnt 0x0
	v_trunc_f64_e32 v[0:1], v[0:1]
	s_delay_alu instid0(VALU_DEP_1) | instskip(NEXT) | instid1(VALU_DEP_1)
	v_ldexp_f64 v[6:7], v[0:1], 0xffffffe0
	v_floor_f64_e32 v[6:7], v[6:7]
	s_delay_alu instid0(VALU_DEP_1) | instskip(SKIP_1) | instid1(VALU_DEP_2)
	v_fmamk_f64 v[10:11], v[6:7], 0xc1f00000, v[0:1]
	v_cvt_i32_f64_e32 v1, v[6:7]
	v_cvt_u32_f64_e32 v0, v[10:11]
	s_branch .LBB71_1446
.LBB71_1442:
                                        ; implicit-def: $vgpr0_vgpr1
	s_branch .LBB71_1463
.LBB71_1443:
                                        ; implicit-def: $vgpr0_vgpr1
	s_branch .LBB71_1452
.LBB71_1444:
	s_mov_b32 s7, -1
                                        ; implicit-def: $vgpr0_vgpr1
	s_branch .LBB71_1449
.LBB71_1445:
	s_mov_b32 s7, -1
                                        ; implicit-def: $vgpr0_vgpr1
.LBB71_1446:
	s_delay_alu instid0(SALU_CYCLE_1)
	s_and_not1_b32 vcc_lo, exec_lo, s7
	s_cbranch_vccnz .LBB71_1448
; %bb.1447:
	s_wait_loadcnt 0x0
	global_load_b32 v0, v[8:9], off
	s_wait_loadcnt 0x0
	v_trunc_f32_e32 v0, v0
	s_delay_alu instid0(VALU_DEP_1) | instskip(NEXT) | instid1(VALU_DEP_1)
	v_mul_f32_e64 v1, 0x2f800000, |v0|
	v_floor_f32_e32 v1, v1
	s_delay_alu instid0(VALU_DEP_1) | instskip(SKIP_2) | instid1(VALU_DEP_3)
	v_fma_f32 v3, 0xcf800000, v1, |v0|
	v_ashrrev_i32_e32 v0, 31, v0
	v_cvt_u32_f32_e32 v6, v1
	v_cvt_u32_f32_e32 v3, v3
	s_delay_alu instid0(VALU_DEP_2) | instskip(NEXT) | instid1(VALU_DEP_2)
	v_dual_mov_b32 v1, v0 :: v_dual_bitop2_b32 v7, v6, v0 bitop3:0x14
	v_xor_b32_e32 v6, v3, v0
	s_delay_alu instid0(VALU_DEP_1)
	v_sub_nc_u64_e32 v[0:1], v[6:7], v[0:1]
.LBB71_1448:
	s_mov_b32 s7, 0
.LBB71_1449:
	s_delay_alu instid0(SALU_CYCLE_1)
	s_and_not1_b32 vcc_lo, exec_lo, s7
	s_cbranch_vccnz .LBB71_1451
; %bb.1450:
	s_wait_loadcnt 0x0
	global_load_b32 v0, v[8:9], off
	s_wait_loadcnt 0x0
	v_cvt_f32_f16_e32 v0, v0
	s_delay_alu instid0(VALU_DEP_1) | instskip(NEXT) | instid1(VALU_DEP_1)
	v_cvt_i32_f32_e32 v0, v0
	v_ashrrev_i32_e32 v1, 31, v0
.LBB71_1451:
	s_cbranch_execnz .LBB71_1462
.LBB71_1452:
	s_sext_i32_i16 s7, s0
	s_delay_alu instid0(SALU_CYCLE_1)
	s_cmp_lt_i32 s7, 6
	s_cbranch_scc1 .LBB71_1455
; %bb.1453:
	s_cmp_gt_i32 s7, 6
	s_cbranch_scc0 .LBB71_1456
; %bb.1454:
	s_wait_loadcnt 0x0
	global_load_b64 v[0:1], v[8:9], off
	s_mov_b32 s7, 0
	s_wait_loadcnt 0x0
	v_trunc_f64_e32 v[0:1], v[0:1]
	s_delay_alu instid0(VALU_DEP_1) | instskip(NEXT) | instid1(VALU_DEP_1)
	v_ldexp_f64 v[6:7], v[0:1], 0xffffffe0
	v_floor_f64_e32 v[6:7], v[6:7]
	s_delay_alu instid0(VALU_DEP_1) | instskip(SKIP_1) | instid1(VALU_DEP_2)
	v_fmamk_f64 v[10:11], v[6:7], 0xc1f00000, v[0:1]
	v_cvt_i32_f64_e32 v1, v[6:7]
	v_cvt_u32_f64_e32 v0, v[10:11]
	s_branch .LBB71_1457
.LBB71_1455:
	s_mov_b32 s7, -1
                                        ; implicit-def: $vgpr0_vgpr1
	s_branch .LBB71_1460
.LBB71_1456:
	s_mov_b32 s7, -1
                                        ; implicit-def: $vgpr0_vgpr1
.LBB71_1457:
	s_delay_alu instid0(SALU_CYCLE_1)
	s_and_not1_b32 vcc_lo, exec_lo, s7
	s_cbranch_vccnz .LBB71_1459
; %bb.1458:
	s_wait_loadcnt 0x0
	global_load_b32 v0, v[8:9], off
	s_wait_loadcnt 0x0
	v_trunc_f32_e32 v0, v0
	s_delay_alu instid0(VALU_DEP_1) | instskip(NEXT) | instid1(VALU_DEP_1)
	v_mul_f32_e64 v1, 0x2f800000, |v0|
	v_floor_f32_e32 v1, v1
	s_delay_alu instid0(VALU_DEP_1) | instskip(SKIP_2) | instid1(VALU_DEP_3)
	v_fma_f32 v3, 0xcf800000, v1, |v0|
	v_ashrrev_i32_e32 v0, 31, v0
	v_cvt_u32_f32_e32 v6, v1
	v_cvt_u32_f32_e32 v3, v3
	s_delay_alu instid0(VALU_DEP_2) | instskip(NEXT) | instid1(VALU_DEP_2)
	v_dual_mov_b32 v1, v0 :: v_dual_bitop2_b32 v7, v6, v0 bitop3:0x14
	v_xor_b32_e32 v6, v3, v0
	s_delay_alu instid0(VALU_DEP_1)
	v_sub_nc_u64_e32 v[0:1], v[6:7], v[0:1]
.LBB71_1459:
	s_mov_b32 s7, 0
.LBB71_1460:
	s_delay_alu instid0(SALU_CYCLE_1)
	s_and_not1_b32 vcc_lo, exec_lo, s7
	s_cbranch_vccnz .LBB71_1462
; %bb.1461:
	s_wait_loadcnt 0x0
	global_load_u16 v0, v[8:9], off
	s_wait_loadcnt 0x0
	v_cvt_f32_f16_e32 v0, v0
	s_delay_alu instid0(VALU_DEP_1) | instskip(NEXT) | instid1(VALU_DEP_1)
	v_cvt_i32_f32_e32 v0, v0
	v_ashrrev_i32_e32 v1, 31, v0
.LBB71_1462:
	s_cbranch_execnz .LBB71_1481
.LBB71_1463:
	s_sext_i32_i16 s7, s0
	s_delay_alu instid0(SALU_CYCLE_1)
	s_cmp_lt_i32 s7, 2
	s_cbranch_scc1 .LBB71_1467
; %bb.1464:
	s_cmp_lt_i32 s7, 3
	s_cbranch_scc1 .LBB71_1468
; %bb.1465:
	s_cmp_gt_i32 s7, 3
	s_cbranch_scc0 .LBB71_1469
; %bb.1466:
	s_wait_loadcnt 0x0
	global_load_b64 v[0:1], v[8:9], off
	s_mov_b32 s7, 0
	s_branch .LBB71_1470
.LBB71_1467:
                                        ; implicit-def: $vgpr0_vgpr1
	s_branch .LBB71_1476
.LBB71_1468:
	s_mov_b32 s7, -1
                                        ; implicit-def: $vgpr0_vgpr1
	s_branch .LBB71_1473
.LBB71_1469:
	s_mov_b32 s7, -1
                                        ; implicit-def: $vgpr0_vgpr1
.LBB71_1470:
	s_delay_alu instid0(SALU_CYCLE_1)
	s_and_not1_b32 vcc_lo, exec_lo, s7
	s_cbranch_vccnz .LBB71_1472
; %bb.1471:
	s_wait_loadcnt 0x0
	global_load_b32 v0, v[8:9], off
	s_wait_loadcnt 0x0
	v_ashrrev_i32_e32 v1, 31, v0
.LBB71_1472:
	s_mov_b32 s7, 0
.LBB71_1473:
	s_delay_alu instid0(SALU_CYCLE_1)
	s_and_not1_b32 vcc_lo, exec_lo, s7
	s_cbranch_vccnz .LBB71_1475
; %bb.1474:
	s_wait_loadcnt 0x0
	global_load_u16 v0, v[8:9], off
	s_wait_loadcnt 0x0
	v_bfe_i32 v0, v0, 0, 16
	s_delay_alu instid0(VALU_DEP_1)
	v_ashrrev_i32_e32 v1, 31, v0
.LBB71_1475:
	s_cbranch_execnz .LBB71_1481
.LBB71_1476:
	s_sext_i32_i16 s0, s0
	s_delay_alu instid0(SALU_CYCLE_1)
	s_cmp_gt_i32 s0, 0
	s_mov_b32 s0, 0
	s_cbranch_scc0 .LBB71_1478
; %bb.1477:
	s_wait_loadcnt 0x0
	global_load_i8 v0, v[8:9], off
	s_wait_loadcnt 0x0
	v_bfe_i32 v0, v0, 0, 16
	s_delay_alu instid0(VALU_DEP_1)
	v_ashrrev_i32_e32 v1, 31, v0
	s_branch .LBB71_1479
.LBB71_1478:
	s_mov_b32 s0, -1
                                        ; implicit-def: $vgpr0_vgpr1
.LBB71_1479:
	s_delay_alu instid0(SALU_CYCLE_1)
	s_and_not1_b32 vcc_lo, exec_lo, s0
	s_cbranch_vccnz .LBB71_1481
; %bb.1480:
	s_wait_loadcnt 0x0
	global_load_u8 v0, v[8:9], off
	s_mov_b32 s0, 0
	s_delay_alu instid0(SALU_CYCLE_1)
	v_mov_b32_e32 v1, s0
	s_wait_loadcnt 0x0
	v_and_b32_e32 v0, 0xffff, v0
.LBB71_1481:
	s_or_b32 s10, s10, exec_lo
.LBB71_1482:
	s_wait_xcnt 0x0
	s_or_b32 exec_lo, exec_lo, s6
	s_mov_b32 s0, 0
	s_mov_b32 s8, 0
                                        ; implicit-def: $sgpr7
                                        ; implicit-def: $vgpr8_vgpr9
                                        ; implicit-def: $vgpr6_vgpr7
	s_and_saveexec_b32 s6, s10
	s_cbranch_execz .LBB71_1490
; %bb.1483:
	s_wait_loadcnt 0x0
	s_delay_alu instid0(VALU_DEP_1) | instskip(SKIP_1) | instid1(VALU_DEP_1)
	v_sub_nc_u64_e32 v[6:7], 0, v[0:1]
	s_mov_b32 s7, exec_lo
	v_max_i64 v[8:9], v[0:1], v[6:7]
	v_cmpx_ne_u64_e32 0, v[4:5]
	s_cbranch_execz .LBB71_1494
; %bb.1484:
	v_sub_nc_u64_e32 v[6:7], 0, v[4:5]
	s_delay_alu instid0(VALU_DEP_1)
	v_max_i64 v[12:13], v[4:5], v[6:7]
	v_mov_b32_e32 v6, 0
	s_branch .LBB71_1486
.LBB71_1485:                            ;   in Loop: Header=BB71_1486 Depth=1
	s_or_b32 exec_lo, exec_lo, s0
	s_delay_alu instid0(VALU_DEP_1) | instskip(SKIP_2) | instid1(SALU_CYCLE_1)
	v_cmp_eq_u64_e32 vcc_lo, 0, v[12:13]
	v_mov_b64_e32 v[8:9], v[10:11]
	s_or_b32 s8, vcc_lo, s8
	s_and_not1_b32 exec_lo, exec_lo, s8
	s_cbranch_execz .LBB71_1493
.LBB71_1486:                            ; =>This Inner Loop Header: Depth=1
	s_delay_alu instid0(VALU_DEP_2) | instskip(SKIP_1) | instid1(VALU_DEP_1)
	v_mov_b64_e32 v[10:11], v[12:13]
                                        ; implicit-def: $vgpr12_vgpr13
	s_mov_b32 s0, exec_lo
	v_or_b32_e32 v7, v9, v11
	s_delay_alu instid0(VALU_DEP_1)
	v_cmpx_ne_u64_e32 0, v[6:7]
	s_xor_b32 s9, exec_lo, s0
	s_cbranch_execz .LBB71_1488
; %bb.1487:                             ;   in Loop: Header=BB71_1486 Depth=1
	s_delay_alu instid0(VALU_DEP_3) | instskip(SKIP_4) | instid1(VALU_DEP_4)
	v_cvt_f32_u32_e32 v3, v10
	v_cvt_f32_u32_e32 v7, v11
	v_sub_nc_u64_e32 v[14:15], 0, v[10:11]
	v_dual_mov_b32 v13, v6 :: v_dual_mov_b32 v21, v6
	v_mov_b32_e32 v23, v6
	v_fmac_f32_e32 v3, 0x4f800000, v7
	s_delay_alu instid0(VALU_DEP_1) | instskip(SKIP_1) | instid1(TRANS32_DEP_1)
	v_rcp_f32_e32 v3, v3
	v_nop
	v_mul_f32_e32 v3, 0x5f7ffffc, v3
	s_delay_alu instid0(VALU_DEP_1) | instskip(NEXT) | instid1(VALU_DEP_1)
	v_mul_f32_e32 v7, 0x2f800000, v3
	v_trunc_f32_e32 v7, v7
	s_delay_alu instid0(VALU_DEP_1) | instskip(SKIP_1) | instid1(VALU_DEP_2)
	v_fmac_f32_e32 v3, 0xcf800000, v7
	v_cvt_u32_f32_e32 v17, v7
	v_cvt_u32_f32_e32 v12, v3
	s_delay_alu instid0(VALU_DEP_1) | instskip(NEXT) | instid1(VALU_DEP_1)
	v_dual_mov_b32 v22, v17 :: v_dual_mov_b32 v16, v12
	v_mul_u64_e32 v[18:19], v[14:15], v[16:17]
	s_delay_alu instid0(VALU_DEP_1) | instskip(NEXT) | instid1(VALU_DEP_1)
	v_dual_mov_b32 v20, v19 :: v_dual_mov_b32 v19, v6
	v_mul_u64_e32 v[24:25], v[12:13], v[20:21]
	s_delay_alu instid0(VALU_DEP_2) | instskip(SKIP_2) | instid1(VALU_DEP_1)
	v_mul_u64_e32 v[26:27], v[22:23], v[18:19]
	v_mul_u64_e32 v[20:21], v[22:23], v[20:21]
	v_mul_hi_u32 v18, v12, v18
	v_add_nc_u64_e32 v[18:19], v[18:19], v[24:25]
	s_delay_alu instid0(VALU_DEP_1) | instskip(NEXT) | instid1(VALU_DEP_2)
	v_add_co_u32 v3, vcc_lo, v18, v26
	v_add_co_ci_u32_e32 v22, vcc_lo, v19, v27, vcc_lo
	v_add_co_ci_u32_e32 v21, vcc_lo, 0, v21, vcc_lo
	s_delay_alu instid0(VALU_DEP_1) | instskip(NEXT) | instid1(VALU_DEP_1)
	v_add_nc_u64_e32 v[18:19], v[22:23], v[20:21]
	v_add_co_u32 v12, vcc_lo, v12, v18
	s_delay_alu instid0(VALU_DEP_1) | instskip(SKIP_1) | instid1(VALU_DEP_2)
	v_add_co_ci_u32_e64 v16, null, v17, v19, vcc_lo
	v_dual_mov_b32 v19, v6 :: v_dual_mov_b32 v17, v6
	v_mov_b32_e32 v13, v16
	s_delay_alu instid0(VALU_DEP_1) | instskip(NEXT) | instid1(VALU_DEP_1)
	v_mul_u64_e32 v[14:15], v[14:15], v[12:13]
	v_dual_mov_b32 v13, v6 :: v_dual_mov_b32 v18, v15
	s_delay_alu instid0(VALU_DEP_2) | instskip(SKIP_1) | instid1(VALU_DEP_3)
	v_dual_mov_b32 v22, v14 :: v_dual_mov_b32 v15, v6
	v_mul_hi_u32 v14, v12, v14
	v_mul_u64_e32 v[20:21], v[12:13], v[18:19]
	s_delay_alu instid0(VALU_DEP_3) | instskip(SKIP_1) | instid1(VALU_DEP_3)
	v_mul_u64_e32 v[22:23], v[16:17], v[22:23]
	v_mul_u64_e32 v[18:19], v[16:17], v[18:19]
	v_add_nc_u64_e32 v[14:15], v[14:15], v[20:21]
	v_mov_b32_e32 v21, v6
	s_delay_alu instid0(VALU_DEP_2) | instskip(NEXT) | instid1(VALU_DEP_3)
	v_add_co_u32 v3, vcc_lo, v14, v22
	v_add_co_ci_u32_e32 v20, vcc_lo, v15, v23, vcc_lo
	v_add_co_ci_u32_e32 v19, vcc_lo, 0, v19, vcc_lo
	s_delay_alu instid0(VALU_DEP_1) | instskip(SKIP_1) | instid1(VALU_DEP_2)
	v_add_nc_u64_e32 v[14:15], v[20:21], v[18:19]
	v_dual_mov_b32 v18, v8 :: v_dual_mov_b32 v19, v6
	v_add_co_u32 v14, vcc_lo, v12, v14
	s_delay_alu instid0(VALU_DEP_1) | instskip(SKIP_1) | instid1(VALU_DEP_2)
	v_add_co_ci_u32_e64 v12, null, v16, v15, vcc_lo
	v_dual_mov_b32 v16, v9 :: v_dual_mov_b32 v15, v6
	v_mul_u64_e32 v[18:19], v[18:19], v[12:13]
	s_delay_alu instid0(VALU_DEP_2) | instskip(NEXT) | instid1(VALU_DEP_3)
	v_mul_u64_e32 v[12:13], v[16:17], v[12:13]
	v_mul_u64_e32 v[20:21], v[16:17], v[14:15]
	v_mul_hi_u32 v14, v8, v14
	s_delay_alu instid0(VALU_DEP_1) | instskip(NEXT) | instid1(VALU_DEP_1)
	v_add_nc_u64_e32 v[14:15], v[14:15], v[18:19]
	v_add_co_u32 v3, vcc_lo, v14, v20
	s_delay_alu instid0(VALU_DEP_2) | instskip(SKIP_1) | instid1(VALU_DEP_1)
	v_add_co_ci_u32_e32 v16, vcc_lo, v15, v21, vcc_lo
	v_add_co_ci_u32_e32 v13, vcc_lo, 0, v13, vcc_lo
	v_add_nc_u64_e32 v[12:13], v[16:17], v[12:13]
	s_delay_alu instid0(VALU_DEP_1) | instskip(NEXT) | instid1(VALU_DEP_1)
	v_mul_u64_e32 v[12:13], v[10:11], v[12:13]
	v_sub_nc_u32_e32 v3, v9, v13
	s_delay_alu instid0(VALU_DEP_2) | instskip(NEXT) | instid1(VALU_DEP_1)
	v_sub_co_u32 v7, vcc_lo, v8, v12
	v_sub_co_ci_u32_e64 v8, null, v9, v13, vcc_lo
	s_delay_alu instid0(VALU_DEP_3) | instskip(NEXT) | instid1(VALU_DEP_3)
	v_sub_co_ci_u32_e64 v3, null, v3, v11, vcc_lo
	v_sub_co_u32 v9, vcc_lo, v7, v10
	v_cmp_ge_u32_e64 s0, v7, v10
	s_delay_alu instid0(VALU_DEP_3) | instskip(SKIP_1) | instid1(VALU_DEP_3)
	v_subrev_co_ci_u32_e64 v12, null, 0, v3, vcc_lo
	v_sub_co_ci_u32_e64 v3, null, v3, v11, vcc_lo
	v_cndmask_b32_e64 v13, 0, -1, s0
	v_cmp_ge_u32_e64 s0, v9, v10
	v_cmp_ge_u32_e32 vcc_lo, v8, v11
	s_delay_alu instid0(VALU_DEP_2) | instskip(SKIP_3) | instid1(VALU_DEP_3)
	v_cndmask_b32_e64 v14, 0, -1, s0
	v_cmp_ge_u32_e64 s0, v12, v11
	v_cndmask_b32_e64 v16, 0, -1, vcc_lo
	v_cmp_eq_u32_e32 vcc_lo, v12, v11
	v_cndmask_b32_e64 v15, 0, -1, s0
	v_cmp_eq_u32_e64 s0, v8, v11
	s_delay_alu instid0(VALU_DEP_1) | instskip(SKIP_1) | instid1(VALU_DEP_1)
	v_dual_cndmask_b32 v14, v15, v14, vcc_lo :: v_dual_cndmask_b32 v13, v16, v13, s0
	v_sub_co_u32 v15, vcc_lo, v9, v10
	v_subrev_co_ci_u32_e64 v3, null, 0, v3, vcc_lo
	s_delay_alu instid0(VALU_DEP_3) | instskip(NEXT) | instid1(VALU_DEP_3)
	v_cmp_ne_u32_e32 vcc_lo, 0, v14
	v_cndmask_b32_e32 v9, v9, v15, vcc_lo
	s_delay_alu instid0(VALU_DEP_3) | instskip(SKIP_1) | instid1(VALU_DEP_2)
	v_cndmask_b32_e32 v3, v12, v3, vcc_lo
	v_cmp_ne_u32_e32 vcc_lo, 0, v13
	v_dual_cndmask_b32 v12, v7, v9 :: v_dual_cndmask_b32 v13, v8, v3
                                        ; implicit-def: $vgpr8_vgpr9
.LBB71_1488:                            ;   in Loop: Header=BB71_1486 Depth=1
	s_and_not1_saveexec_b32 s0, s9
	s_cbranch_execz .LBB71_1485
; %bb.1489:                             ;   in Loop: Header=BB71_1486 Depth=1
	v_cvt_f32_u32_e32 v3, v10
	v_dual_sub_nc_u32 v7, 0, v10 :: v_dual_mov_b32 v13, v6
	s_delay_alu instid0(VALU_DEP_2) | instskip(SKIP_1) | instid1(TRANS32_DEP_1)
	v_rcp_iflag_f32_e32 v3, v3
	v_nop
	v_mul_f32_e32 v3, 0x4f7ffffe, v3
	s_delay_alu instid0(VALU_DEP_1) | instskip(NEXT) | instid1(VALU_DEP_1)
	v_cvt_u32_f32_e32 v3, v3
	v_mul_lo_u32 v7, v7, v3
	s_delay_alu instid0(VALU_DEP_1) | instskip(NEXT) | instid1(VALU_DEP_1)
	v_mul_hi_u32 v7, v3, v7
	v_add_nc_u32_e32 v3, v3, v7
	s_delay_alu instid0(VALU_DEP_1) | instskip(NEXT) | instid1(VALU_DEP_1)
	v_mul_hi_u32 v3, v8, v3
	v_mul_lo_u32 v3, v3, v10
	s_delay_alu instid0(VALU_DEP_1) | instskip(NEXT) | instid1(VALU_DEP_1)
	v_sub_nc_u32_e32 v3, v8, v3
	v_sub_nc_u32_e32 v7, v3, v10
	v_cmp_ge_u32_e32 vcc_lo, v3, v10
	s_delay_alu instid0(VALU_DEP_2) | instskip(NEXT) | instid1(VALU_DEP_1)
	v_cndmask_b32_e32 v3, v3, v7, vcc_lo
	v_sub_nc_u32_e32 v7, v3, v10
	v_cmp_ge_u32_e32 vcc_lo, v3, v10
	s_delay_alu instid0(VALU_DEP_2)
	v_cndmask_b32_e32 v12, v3, v7, vcc_lo
	s_branch .LBB71_1485
.LBB71_1490:
	s_or_b32 exec_lo, exec_lo, s6
	s_and_saveexec_b32 s4, s38
	s_cbranch_execnz .LBB71_1577
.LBB71_1491:
	s_or_b32 exec_lo, exec_lo, s4
	s_and_saveexec_b32 s4, s0
	s_delay_alu instid0(SALU_CYCLE_1)
	s_xor_b32 s0, exec_lo, s4
	s_cbranch_execz .LBB71_1578
.LBB71_1492:
	s_wait_loadcnt 0x0
	s_delay_alu instid0(VALU_DEP_3)
	v_cmp_ne_u64_e32 vcc_lo, 0, v[6:7]
	v_cndmask_b32_e64 v0, 0, 1, vcc_lo
	global_store_b8 v[8:9], v0, off
	s_wait_xcnt 0x0
	s_or_b32 exec_lo, exec_lo, s0
	s_and_saveexec_b32 s0, s8
	s_delay_alu instid0(SALU_CYCLE_1)
	s_xor_b32 s0, exec_lo, s0
	s_cbranch_execz .LBB71_1616
	s_branch .LBB71_1579
.LBB71_1493:
	s_or_b32 exec_lo, exec_lo, s8
	v_mov_b64_e32 v[8:9], v[10:11]
.LBB71_1494:
	s_or_b32 exec_lo, exec_lo, s7
	v_mov_b64_e32 v[6:7], 0
	s_mov_b32 s7, exec_lo
	s_delay_alu instid0(VALU_DEP_2)
	v_cmpx_ne_u64_e32 0, v[8:9]
	s_cbranch_execz .LBB71_1500
; %bb.1495:
	v_dual_mov_b32 v6, 0 :: v_dual_bitop2_b32 v7, v5, v9 bitop3:0x54
                                        ; implicit-def: $vgpr10_vgpr11
	s_mov_b32 s0, exec_lo
	s_delay_alu instid0(VALU_DEP_1)
	v_cmpx_ne_u64_e32 0, v[6:7]
	s_xor_b32 s8, exec_lo, s0
	s_cbranch_execz .LBB71_1497
; %bb.1496:
	v_dual_mov_b32 v13, v6 :: v_dual_ashrrev_i32 v10, 31, v9
	v_dual_mov_b32 v21, v6 :: v_dual_mov_b32 v23, v6
	s_delay_alu instid0(VALU_DEP_2) | instskip(NEXT) | instid1(VALU_DEP_1)
	v_mov_b32_e32 v11, v10
	v_add_nc_u64_e32 v[8:9], v[8:9], v[10:11]
	s_delay_alu instid0(VALU_DEP_1) | instskip(NEXT) | instid1(VALU_DEP_2)
	v_xor_b32_e32 v8, v8, v10
	v_xor_b32_e32 v9, v9, v10
	s_delay_alu instid0(VALU_DEP_2) | instskip(NEXT) | instid1(VALU_DEP_2)
	v_cvt_f32_u32_e32 v3, v8
	v_cvt_f32_u32_e32 v7, v9
	s_delay_alu instid0(VALU_DEP_1) | instskip(NEXT) | instid1(VALU_DEP_1)
	v_fmamk_f32 v3, v7, 0x4f800000, v3
	v_rcp_f32_e32 v3, v3
	v_nop
	s_delay_alu instid0(TRANS32_DEP_1) | instskip(NEXT) | instid1(VALU_DEP_1)
	v_mul_f32_e32 v3, 0x5f7ffffc, v3
	v_mul_f32_e32 v7, 0x2f800000, v3
	s_delay_alu instid0(VALU_DEP_1) | instskip(NEXT) | instid1(VALU_DEP_1)
	v_trunc_f32_e32 v7, v7
	v_fmamk_f32 v3, v7, 0xcf800000, v3
	v_cvt_u32_f32_e32 v17, v7
	v_mov_b32_e32 v7, v6
	s_delay_alu instid0(VALU_DEP_3) | instskip(NEXT) | instid1(VALU_DEP_1)
	v_cvt_u32_f32_e32 v12, v3
	v_dual_mov_b32 v22, v17 :: v_dual_mov_b32 v16, v12
	v_sub_nc_u64_e32 v[14:15], 0, v[8:9]
	s_delay_alu instid0(VALU_DEP_1) | instskip(NEXT) | instid1(VALU_DEP_1)
	v_mul_u64_e32 v[18:19], v[14:15], v[16:17]
	v_dual_mov_b32 v20, v19 :: v_dual_mov_b32 v19, v6
	s_delay_alu instid0(VALU_DEP_1) | instskip(NEXT) | instid1(VALU_DEP_2)
	v_mul_u64_e32 v[24:25], v[12:13], v[20:21]
	v_mul_u64_e32 v[26:27], v[22:23], v[18:19]
	;; [unrolled: 1-line block ×3, first 2 shown]
	v_mul_hi_u32 v18, v12, v18
	s_delay_alu instid0(VALU_DEP_1) | instskip(SKIP_1) | instid1(VALU_DEP_2)
	v_add_nc_u64_e32 v[18:19], v[18:19], v[24:25]
	v_ashrrev_i32_e32 v24, 31, v5
	v_add_co_u32 v3, vcc_lo, v18, v26
	s_delay_alu instid0(VALU_DEP_3) | instskip(SKIP_1) | instid1(VALU_DEP_1)
	v_add_co_ci_u32_e32 v22, vcc_lo, v19, v27, vcc_lo
	v_add_co_ci_u32_e32 v21, vcc_lo, 0, v21, vcc_lo
	v_add_nc_u64_e32 v[18:19], v[22:23], v[20:21]
	s_delay_alu instid0(VALU_DEP_1) | instskip(NEXT) | instid1(VALU_DEP_1)
	v_add_co_u32 v12, vcc_lo, v12, v18
	v_add_co_ci_u32_e64 v16, null, v17, v19, vcc_lo
	v_dual_mov_b32 v19, v6 :: v_dual_mov_b32 v17, v6
	s_delay_alu instid0(VALU_DEP_2) | instskip(NEXT) | instid1(VALU_DEP_1)
	v_mov_b32_e32 v13, v16
	v_mul_u64_e32 v[14:15], v[14:15], v[12:13]
	s_delay_alu instid0(VALU_DEP_1) | instskip(NEXT) | instid1(VALU_DEP_2)
	v_dual_mov_b32 v13, v6 :: v_dual_mov_b32 v18, v15
	v_dual_mov_b32 v22, v14 :: v_dual_mov_b32 v15, v6
	v_mul_hi_u32 v14, v12, v14
	s_delay_alu instid0(VALU_DEP_3) | instskip(NEXT) | instid1(VALU_DEP_3)
	v_mul_u64_e32 v[20:21], v[12:13], v[18:19]
	v_mul_u64_e32 v[22:23], v[16:17], v[22:23]
	;; [unrolled: 1-line block ×3, first 2 shown]
	s_delay_alu instid0(VALU_DEP_3) | instskip(SKIP_1) | instid1(VALU_DEP_2)
	v_add_nc_u64_e32 v[14:15], v[14:15], v[20:21]
	v_dual_mov_b32 v21, v6 :: v_dual_mov_b32 v25, v24
	v_add_co_u32 v3, vcc_lo, v14, v22
	s_delay_alu instid0(VALU_DEP_3) | instskip(SKIP_1) | instid1(VALU_DEP_1)
	v_add_co_ci_u32_e32 v20, vcc_lo, v15, v23, vcc_lo
	v_add_co_ci_u32_e32 v19, vcc_lo, 0, v19, vcc_lo
	v_add_nc_u64_e32 v[14:15], v[20:21], v[18:19]
	v_mov_b32_e32 v19, v6
	v_add_nc_u64_e32 v[4:5], v[4:5], v[24:25]
	s_delay_alu instid0(VALU_DEP_3) | instskip(NEXT) | instid1(VALU_DEP_2)
	v_add_co_u32 v14, vcc_lo, v12, v14
	v_xor_b32_e32 v18, v4, v24
	v_add_co_ci_u32_e64 v12, null, v16, v15, vcc_lo
	s_delay_alu instid0(VALU_DEP_4) | instskip(NEXT) | instid1(VALU_DEP_2)
	v_dual_mov_b32 v15, v6 :: v_dual_bitop2_b32 v16, v5, v24 bitop3:0x14
	v_mul_u64_e32 v[20:21], v[18:19], v[12:13]
	s_delay_alu instid0(VALU_DEP_2) | instskip(SKIP_2) | instid1(VALU_DEP_1)
	v_mul_u64_e32 v[4:5], v[16:17], v[14:15]
	v_mul_u64_e32 v[12:13], v[16:17], v[12:13]
	v_mul_hi_u32 v14, v18, v14
	v_add_nc_u64_e32 v[14:15], v[14:15], v[20:21]
	s_delay_alu instid0(VALU_DEP_1) | instskip(NEXT) | instid1(VALU_DEP_2)
	v_add_co_u32 v3, vcc_lo, v14, v4
	v_add_co_ci_u32_e32 v6, vcc_lo, v15, v5, vcc_lo
	v_add_co_ci_u32_e32 v13, vcc_lo, 0, v13, vcc_lo
	s_delay_alu instid0(VALU_DEP_1) | instskip(NEXT) | instid1(VALU_DEP_1)
	v_add_nc_u64_e32 v[4:5], v[6:7], v[12:13]
	v_mul_u64_e32 v[6:7], v[8:9], v[4:5]
	v_add_nc_u64_e32 v[12:13], 1, v[4:5]
	s_delay_alu instid0(VALU_DEP_2) | instskip(NEXT) | instid1(VALU_DEP_3)
	v_sub_nc_u32_e32 v3, v16, v7
	v_sub_co_u32 v6, vcc_lo, v18, v6
	s_delay_alu instid0(VALU_DEP_1) | instskip(NEXT) | instid1(VALU_DEP_3)
	v_sub_co_ci_u32_e64 v14, null, v16, v7, vcc_lo
	v_sub_co_ci_u32_e64 v3, null, v3, v9, vcc_lo
	s_delay_alu instid0(VALU_DEP_3) | instskip(NEXT) | instid1(VALU_DEP_1)
	v_sub_co_u32 v11, s0, v6, v8
	v_subrev_co_ci_u32_e64 v3, null, 0, v3, s0
	s_delay_alu instid0(VALU_DEP_2) | instskip(SKIP_1) | instid1(VALU_DEP_3)
	v_cmp_ge_u32_e32 vcc_lo, v11, v8
	v_cndmask_b32_e64 v7, 0, -1, vcc_lo
	v_cmp_ge_u32_e32 vcc_lo, v3, v9
	v_cndmask_b32_e64 v11, 0, -1, vcc_lo
	;; [unrolled: 2-line block ×4, first 2 shown]
	v_cmp_eq_u32_e32 vcc_lo, v3, v9
	v_cndmask_b32_e32 v3, v11, v7, vcc_lo
	v_cmp_eq_u32_e32 vcc_lo, v14, v9
	v_add_nc_u64_e32 v[6:7], 2, v[4:5]
	v_cndmask_b32_e32 v8, v15, v8, vcc_lo
	s_delay_alu instid0(VALU_DEP_4) | instskip(NEXT) | instid1(VALU_DEP_2)
	v_cmp_ne_u32_e32 vcc_lo, 0, v3
	v_cmp_ne_u32_e64 s0, 0, v8
	s_delay_alu instid0(VALU_DEP_4) | instskip(SKIP_1) | instid1(VALU_DEP_2)
	v_dual_cndmask_b32 v3, v13, v7, vcc_lo :: v_dual_cndmask_b32 v7, v12, v6, vcc_lo
	v_xor_b32_e32 v6, v24, v10
                                        ; implicit-def: $vgpr8_vgpr9
	v_cndmask_b32_e64 v3, v5, v3, s0
	s_delay_alu instid0(VALU_DEP_2) | instskip(NEXT) | instid1(VALU_DEP_2)
	v_dual_cndmask_b32 v4, v4, v7, s0 :: v_dual_mov_b32 v7, v6
	v_xor_b32_e32 v5, v3, v6
	s_delay_alu instid0(VALU_DEP_2) | instskip(NEXT) | instid1(VALU_DEP_1)
	v_xor_b32_e32 v4, v4, v6
	v_sub_nc_u64_e32 v[10:11], v[4:5], v[6:7]
                                        ; implicit-def: $vgpr4_vgpr5
.LBB71_1497:
	s_and_not1_saveexec_b32 s0, s8
	s_cbranch_execz .LBB71_1499
; %bb.1498:
	v_cvt_f32_u32_e32 v3, v8
	v_dual_sub_nc_u32 v5, 0, v8 :: v_dual_mov_b32 v11, 0
	s_delay_alu instid0(VALU_DEP_2) | instskip(SKIP_1) | instid1(TRANS32_DEP_1)
	v_rcp_iflag_f32_e32 v3, v3
	v_nop
	v_mul_f32_e32 v3, 0x4f7ffffe, v3
	s_delay_alu instid0(VALU_DEP_1) | instskip(NEXT) | instid1(VALU_DEP_1)
	v_cvt_u32_f32_e32 v3, v3
	v_mul_lo_u32 v5, v5, v3
	s_delay_alu instid0(VALU_DEP_1) | instskip(NEXT) | instid1(VALU_DEP_1)
	v_mul_hi_u32 v5, v3, v5
	v_add_nc_u32_e32 v3, v3, v5
	s_delay_alu instid0(VALU_DEP_1) | instskip(NEXT) | instid1(VALU_DEP_1)
	v_mul_hi_u32 v3, v4, v3
	v_mul_lo_u32 v5, v3, v8
	s_delay_alu instid0(VALU_DEP_1) | instskip(NEXT) | instid1(VALU_DEP_1)
	v_dual_sub_nc_u32 v4, v4, v5 :: v_dual_add_nc_u32 v5, 1, v3
	v_sub_nc_u32_e32 v6, v4, v8
	v_cmp_ge_u32_e32 vcc_lo, v4, v8
	s_delay_alu instid0(VALU_DEP_2) | instskip(NEXT) | instid1(VALU_DEP_1)
	v_dual_cndmask_b32 v4, v4, v6 :: v_dual_cndmask_b32 v3, v3, v5
	v_cmp_ge_u32_e32 vcc_lo, v4, v8
	s_delay_alu instid0(VALU_DEP_2) | instskip(NEXT) | instid1(VALU_DEP_1)
	v_add_nc_u32_e32 v5, 1, v3
	v_cndmask_b32_e32 v10, v3, v5, vcc_lo
.LBB71_1499:
	s_or_b32 exec_lo, exec_lo, s0
	s_delay_alu instid0(VALU_DEP_1) | instskip(NEXT) | instid1(VALU_DEP_1)
	v_mul_u64_e32 v[0:1], v[10:11], v[0:1]
	v_sub_nc_u64_e32 v[4:5], 0, v[0:1]
	s_delay_alu instid0(VALU_DEP_1)
	v_max_i64 v[6:7], v[0:1], v[4:5]
.LBB71_1500:
	s_or_b32 exec_lo, exec_lo, s7
	v_mov_b32_e32 v3, 0
	s_and_b32 s7, s31, 0xff
	s_delay_alu instid0(SALU_CYCLE_1) | instskip(NEXT) | instid1(VALU_DEP_1)
	s_cmp_lt_i32 s7, 11
	v_add_nc_u64_e32 v[8:9], s[4:5], v[2:3]
	s_cbranch_scc1 .LBB71_1507
; %bb.1501:
	s_and_b32 s4, 0xffff, s7
	s_mov_b32 s5, -1
	s_cmp_gt_i32 s4, 25
	s_mov_b32 s0, s38
	s_cbranch_scc0 .LBB71_1535
; %bb.1502:
	s_cmp_gt_i32 s4, 28
	s_mov_b32 s0, s38
	s_cbranch_scc0 .LBB71_1519
; %bb.1503:
	;; [unrolled: 4-line block ×4, first 2 shown]
	s_cmp_eq_u32 s4, 46
	s_mov_b32 s0, -1
	s_cbranch_scc0 .LBB71_1508
; %bb.1506:
	s_delay_alu instid0(VALU_DEP_3) | instskip(SKIP_2) | instid1(VALU_DEP_1)
	v_clz_i32_u32_e32 v0, v7
	s_mov_b32 s0, 0
	s_mov_b32 s5, 0
	v_min_u32_e32 v2, 32, v0
	s_delay_alu instid0(VALU_DEP_1) | instskip(NEXT) | instid1(VALU_DEP_1)
	v_lshlrev_b64_e32 v[0:1], v2, v[6:7]
	v_min_u32_e32 v0, 1, v0
	s_delay_alu instid0(VALU_DEP_1) | instskip(NEXT) | instid1(VALU_DEP_1)
	v_dual_sub_nc_u32 v1, 32, v2 :: v_dual_bitop2_b32 v0, v1, v0 bitop3:0x54
	v_cvt_f32_u32_e32 v0, v0
	s_delay_alu instid0(VALU_DEP_1) | instskip(NEXT) | instid1(VALU_DEP_1)
	v_ldexp_f32 v0, v0, v1
	v_bfe_u32 v1, v0, 16, 1
	s_delay_alu instid0(VALU_DEP_1) | instskip(NEXT) | instid1(VALU_DEP_1)
	v_add3_u32 v0, v0, v1, 0x7fff
	v_lshrrev_b32_e32 v0, 16, v0
	global_store_b32 v[8:9], v0, off
	s_branch .LBB71_1509
.LBB71_1507:
	s_mov_b32 s9, 0
	s_mov_b32 s5, -1
	s_mov_b32 s0, s38
	s_branch .LBB71_1576
.LBB71_1508:
	s_mov_b32 s5, 0
.LBB71_1509:
	s_delay_alu instid0(SALU_CYCLE_1)
	s_and_b32 vcc_lo, exec_lo, s5
	s_cbranch_vccz .LBB71_1514
; %bb.1510:
	s_cmp_eq_u32 s4, 44
	s_mov_b32 s0, -1
	s_cbranch_scc0 .LBB71_1514
; %bb.1511:
	s_wait_xcnt 0x0
	s_delay_alu instid0(VALU_DEP_3) | instskip(SKIP_1) | instid1(VALU_DEP_1)
	v_clz_i32_u32_e32 v0, v7
	s_mov_b32 s5, exec_lo
	v_min_u32_e32 v2, 32, v0
	s_delay_alu instid0(VALU_DEP_1) | instskip(NEXT) | instid1(VALU_DEP_1)
	v_lshlrev_b64_e32 v[0:1], v2, v[6:7]
	v_min_u32_e32 v0, 1, v0
	s_delay_alu instid0(VALU_DEP_1) | instskip(NEXT) | instid1(VALU_DEP_1)
	v_dual_sub_nc_u32 v1, 32, v2 :: v_dual_bitop2_b32 v0, v1, v0 bitop3:0x54
	v_cvt_f32_u32_e32 v0, v0
	s_delay_alu instid0(VALU_DEP_1) | instskip(NEXT) | instid1(VALU_DEP_1)
	v_ldexp_f32 v2, v0, v1
	v_dual_mov_b32 v1, 0xff :: v_dual_lshrrev_b32 v0, 23, v2
	s_delay_alu instid0(VALU_DEP_1)
	v_cmpx_ne_u32_e32 0xff, v0
; %bb.1512:
	v_and_b32_e32 v1, 0x400000, v2
	v_and_or_b32 v2, 0x3fffff, v2, v0
	s_delay_alu instid0(VALU_DEP_2) | instskip(NEXT) | instid1(VALU_DEP_2)
	v_cmp_ne_u32_e32 vcc_lo, 0, v1
	v_cmp_ne_u32_e64 s0, 0, v2
	s_and_b32 s0, vcc_lo, s0
	s_delay_alu instid0(SALU_CYCLE_1) | instskip(NEXT) | instid1(VALU_DEP_1)
	v_cndmask_b32_e64 v1, 0, 1, s0
	v_add_nc_u32_e32 v1, v0, v1
; %bb.1513:
	s_or_b32 exec_lo, exec_lo, s5
	s_mov_b32 s0, 0
	global_store_b8 v[8:9], v1, off
.LBB71_1514:
	s_mov_b32 s5, 0
.LBB71_1515:
	s_delay_alu instid0(SALU_CYCLE_1)
	s_and_b32 vcc_lo, exec_lo, s5
	s_cbranch_vccz .LBB71_1518
; %bb.1516:
	s_cmp_eq_u32 s4, 29
	s_mov_b32 s0, -1
	s_cbranch_scc0 .LBB71_1518
; %bb.1517:
	s_mov_b32 s0, 0
	global_store_b64 v[8:9], v[6:7], off
.LBB71_1518:
	s_mov_b32 s5, 0
.LBB71_1519:
	s_delay_alu instid0(SALU_CYCLE_1)
	s_and_b32 vcc_lo, exec_lo, s5
	s_cbranch_vccz .LBB71_1534
; %bb.1520:
	s_cmp_lt_i32 s4, 27
	s_mov_b32 s5, -1
	s_cbranch_scc1 .LBB71_1526
; %bb.1521:
	s_cmp_gt_i32 s4, 27
	s_cbranch_scc0 .LBB71_1523
; %bb.1522:
	s_mov_b32 s5, 0
	global_store_b32 v[8:9], v6, off
.LBB71_1523:
	s_and_not1_b32 vcc_lo, exec_lo, s5
	s_cbranch_vccnz .LBB71_1525
; %bb.1524:
	global_store_b16 v[8:9], v6, off
.LBB71_1525:
	s_mov_b32 s5, 0
.LBB71_1526:
	s_delay_alu instid0(SALU_CYCLE_1)
	s_and_not1_b32 vcc_lo, exec_lo, s5
	s_cbranch_vccnz .LBB71_1534
; %bb.1527:
	s_wait_xcnt 0x0
	s_delay_alu instid0(VALU_DEP_3) | instskip(SKIP_1) | instid1(VALU_DEP_1)
	v_clz_i32_u32_e32 v0, v7
	s_mov_b32 s5, exec_lo
	v_min_u32_e32 v2, 32, v0
	s_delay_alu instid0(VALU_DEP_1) | instskip(NEXT) | instid1(VALU_DEP_1)
	v_lshlrev_b64_e32 v[0:1], v2, v[6:7]
	v_min_u32_e32 v0, 1, v0
	s_delay_alu instid0(VALU_DEP_1) | instskip(SKIP_1) | instid1(VALU_DEP_2)
	v_dual_sub_nc_u32 v1, 32, v2 :: v_dual_bitop2_b32 v0, v1, v0 bitop3:0x54
	v_mov_b32_e32 v2, 0x80
	v_cvt_f32_u32_e32 v0, v0
	s_delay_alu instid0(VALU_DEP_1) | instskip(NEXT) | instid1(VALU_DEP_1)
	v_ldexp_f32 v1, v0, v1
	v_cmpx_gt_u32_e32 0x43800000, v1
	s_cbranch_execz .LBB71_1533
; %bb.1528:
	s_mov_b32 s8, 0
	s_mov_b32 s9, exec_lo
                                        ; implicit-def: $vgpr0
	v_cmpx_lt_u32_e32 0x3bffffff, v1
	s_xor_b32 s9, exec_lo, s9
	s_cbranch_execz .LBB71_1675
; %bb.1529:
	v_bfe_u32 v0, v1, 20, 1
	s_mov_b32 s8, exec_lo
	s_delay_alu instid0(VALU_DEP_1) | instskip(NEXT) | instid1(VALU_DEP_1)
	v_add3_u32 v0, v1, v0, 0x487ffff
                                        ; implicit-def: $vgpr1
	v_lshrrev_b32_e32 v0, 20, v0
	s_and_not1_saveexec_b32 s9, s9
	s_cbranch_execnz .LBB71_1676
.LBB71_1530:
	s_or_b32 exec_lo, exec_lo, s9
	v_mov_b32_e32 v2, 0
	s_and_saveexec_b32 s9, s8
.LBB71_1531:
	v_mov_b32_e32 v2, v0
.LBB71_1532:
	s_or_b32 exec_lo, exec_lo, s9
.LBB71_1533:
	s_delay_alu instid0(SALU_CYCLE_1)
	s_or_b32 exec_lo, exec_lo, s5
	global_store_b8 v[8:9], v2, off
.LBB71_1534:
	s_mov_b32 s5, 0
.LBB71_1535:
	s_delay_alu instid0(SALU_CYCLE_1)
	s_and_b32 vcc_lo, exec_lo, s5
	s_mov_b32 s5, 0
	s_cbranch_vccz .LBB71_1575
; %bb.1536:
	s_cmp_gt_i32 s4, 22
	s_mov_b32 s8, -1
	s_cbranch_scc0 .LBB71_1568
; %bb.1537:
	s_cmp_lt_i32 s4, 24
	s_cbranch_scc1 .LBB71_1557
; %bb.1538:
	s_cmp_gt_i32 s4, 24
	s_cbranch_scc0 .LBB71_1546
; %bb.1539:
	s_wait_xcnt 0x0
	s_delay_alu instid0(VALU_DEP_3) | instskip(SKIP_1) | instid1(VALU_DEP_1)
	v_clz_i32_u32_e32 v0, v7
	s_mov_b32 s8, exec_lo
	v_min_u32_e32 v2, 32, v0
	s_delay_alu instid0(VALU_DEP_1) | instskip(NEXT) | instid1(VALU_DEP_1)
	v_lshlrev_b64_e32 v[0:1], v2, v[6:7]
	v_min_u32_e32 v0, 1, v0
	s_delay_alu instid0(VALU_DEP_1) | instskip(SKIP_1) | instid1(VALU_DEP_2)
	v_dual_sub_nc_u32 v1, 32, v2 :: v_dual_bitop2_b32 v0, v1, v0 bitop3:0x54
	v_mov_b32_e32 v2, 0x80
	v_cvt_f32_u32_e32 v0, v0
	s_delay_alu instid0(VALU_DEP_1) | instskip(NEXT) | instid1(VALU_DEP_1)
	v_ldexp_f32 v1, v0, v1
	v_cmpx_gt_u32_e32 0x47800000, v1
	s_cbranch_execz .LBB71_1545
; %bb.1540:
	s_mov_b32 s9, 0
	s_mov_b32 s10, exec_lo
                                        ; implicit-def: $vgpr0
	v_cmpx_lt_u32_e32 0x37ffffff, v1
	s_xor_b32 s10, exec_lo, s10
	s_cbranch_execz .LBB71_1796
; %bb.1541:
	v_bfe_u32 v0, v1, 21, 1
	s_mov_b32 s9, exec_lo
	s_delay_alu instid0(VALU_DEP_1) | instskip(NEXT) | instid1(VALU_DEP_1)
	v_add3_u32 v0, v1, v0, 0x88fffff
                                        ; implicit-def: $vgpr1
	v_lshrrev_b32_e32 v0, 21, v0
	s_and_not1_saveexec_b32 s10, s10
	s_cbranch_execnz .LBB71_1797
.LBB71_1542:
	s_or_b32 exec_lo, exec_lo, s10
	v_mov_b32_e32 v2, 0
	s_and_saveexec_b32 s10, s9
.LBB71_1543:
	v_mov_b32_e32 v2, v0
.LBB71_1544:
	s_or_b32 exec_lo, exec_lo, s10
.LBB71_1545:
	s_delay_alu instid0(SALU_CYCLE_1)
	s_or_b32 exec_lo, exec_lo, s8
	s_mov_b32 s8, 0
	global_store_b8 v[8:9], v2, off
.LBB71_1546:
	s_and_b32 vcc_lo, exec_lo, s8
	s_cbranch_vccz .LBB71_1556
; %bb.1547:
	s_wait_xcnt 0x0
	s_delay_alu instid0(VALU_DEP_3) | instskip(SKIP_1) | instid1(VALU_DEP_1)
	v_clz_i32_u32_e32 v0, v7
	s_mov_b32 s8, exec_lo
	v_min_u32_e32 v2, 32, v0
	s_delay_alu instid0(VALU_DEP_1) | instskip(NEXT) | instid1(VALU_DEP_1)
	v_lshlrev_b64_e32 v[0:1], v2, v[6:7]
	v_min_u32_e32 v0, 1, v0
	s_delay_alu instid0(VALU_DEP_1) | instskip(NEXT) | instid1(VALU_DEP_1)
	v_dual_sub_nc_u32 v1, 32, v2 :: v_dual_bitop2_b32 v0, v1, v0 bitop3:0x54
	v_cvt_f32_u32_e32 v0, v0
	s_delay_alu instid0(VALU_DEP_1) | instskip(NEXT) | instid1(VALU_DEP_1)
	v_ldexp_f32 v1, v0, v1
                                        ; implicit-def: $vgpr0
	v_cmpx_gt_u32_e32 0x43f00000, v1
	s_xor_b32 s8, exec_lo, s8
	s_cbranch_execz .LBB71_1553
; %bb.1548:
	s_mov_b32 s9, exec_lo
                                        ; implicit-def: $vgpr0
	v_cmpx_lt_u32_e32 0x3c7fffff, v1
	s_xor_b32 s9, exec_lo, s9
; %bb.1549:
	v_bfe_u32 v0, v1, 20, 1
	s_delay_alu instid0(VALU_DEP_1) | instskip(NEXT) | instid1(VALU_DEP_1)
	v_add3_u32 v0, v1, v0, 0x407ffff
	v_and_b32_e32 v1, 0xff00000, v0
	v_lshrrev_b32_e32 v0, 20, v0
	s_delay_alu instid0(VALU_DEP_2) | instskip(NEXT) | instid1(VALU_DEP_2)
	v_cmp_ne_u32_e32 vcc_lo, 0x7f00000, v1
                                        ; implicit-def: $vgpr1
	v_cndmask_b32_e32 v0, 0x7e, v0, vcc_lo
; %bb.1550:
	s_and_not1_saveexec_b32 s9, s9
; %bb.1551:
	v_add_f32_e32 v0, 0x46800000, v1
; %bb.1552:
	s_or_b32 exec_lo, exec_lo, s9
                                        ; implicit-def: $vgpr1
.LBB71_1553:
	s_and_not1_saveexec_b32 s8, s8
; %bb.1554:
	v_mov_b32_e32 v0, 0x7f
	v_cmp_lt_u32_e32 vcc_lo, 0x7f800000, v1
	s_delay_alu instid0(VALU_DEP_2)
	v_cndmask_b32_e32 v0, 0x7e, v0, vcc_lo
; %bb.1555:
	s_or_b32 exec_lo, exec_lo, s8
	global_store_b8 v[8:9], v0, off
.LBB71_1556:
	s_mov_b32 s8, 0
.LBB71_1557:
	s_delay_alu instid0(SALU_CYCLE_1)
	s_and_not1_b32 vcc_lo, exec_lo, s8
	s_cbranch_vccnz .LBB71_1567
; %bb.1558:
	s_wait_xcnt 0x0
	s_delay_alu instid0(VALU_DEP_3) | instskip(SKIP_1) | instid1(VALU_DEP_1)
	v_clz_i32_u32_e32 v0, v7
	s_mov_b32 s8, exec_lo
	v_min_u32_e32 v2, 32, v0
	s_delay_alu instid0(VALU_DEP_1) | instskip(NEXT) | instid1(VALU_DEP_1)
	v_lshlrev_b64_e32 v[0:1], v2, v[6:7]
	v_min_u32_e32 v0, 1, v0
	s_delay_alu instid0(VALU_DEP_1) | instskip(NEXT) | instid1(VALU_DEP_1)
	v_dual_sub_nc_u32 v1, 32, v2 :: v_dual_bitop2_b32 v0, v1, v0 bitop3:0x54
	v_cvt_f32_u32_e32 v0, v0
	s_delay_alu instid0(VALU_DEP_1) | instskip(NEXT) | instid1(VALU_DEP_1)
	v_ldexp_f32 v1, v0, v1
                                        ; implicit-def: $vgpr0
	v_cmpx_gt_u32_e32 0x47800000, v1
	s_xor_b32 s8, exec_lo, s8
	s_cbranch_execz .LBB71_1564
; %bb.1559:
	s_mov_b32 s9, exec_lo
                                        ; implicit-def: $vgpr0
	v_cmpx_lt_u32_e32 0x387fffff, v1
	s_xor_b32 s9, exec_lo, s9
; %bb.1560:
	v_bfe_u32 v0, v1, 21, 1
	s_delay_alu instid0(VALU_DEP_1) | instskip(NEXT) | instid1(VALU_DEP_1)
	v_add3_u32 v0, v1, v0, 0x80fffff
                                        ; implicit-def: $vgpr1
	v_lshrrev_b32_e32 v0, 21, v0
; %bb.1561:
	s_and_not1_saveexec_b32 s9, s9
; %bb.1562:
	v_add_f32_e32 v0, 0x43000000, v1
; %bb.1563:
	s_or_b32 exec_lo, exec_lo, s9
                                        ; implicit-def: $vgpr1
.LBB71_1564:
	s_and_not1_saveexec_b32 s8, s8
; %bb.1565:
	v_mov_b32_e32 v0, 0x7f
	v_cmp_lt_u32_e32 vcc_lo, 0x7f800000, v1
	s_delay_alu instid0(VALU_DEP_2)
	v_cndmask_b32_e32 v0, 0x7c, v0, vcc_lo
; %bb.1566:
	s_or_b32 exec_lo, exec_lo, s8
	global_store_b8 v[8:9], v0, off
.LBB71_1567:
	s_mov_b32 s8, 0
.LBB71_1568:
	s_delay_alu instid0(SALU_CYCLE_1)
	s_and_not1_b32 vcc_lo, exec_lo, s8
	s_mov_b32 s9, 0
	s_cbranch_vccnz .LBB71_1576
; %bb.1569:
	s_cmp_gt_i32 s4, 14
	s_mov_b32 s8, -1
	s_cbranch_scc0 .LBB71_1573
; %bb.1570:
	s_cmp_eq_u32 s4, 15
	s_mov_b32 s0, -1
	s_cbranch_scc0 .LBB71_1572
; %bb.1571:
	s_wait_xcnt 0x0
	s_delay_alu instid0(VALU_DEP_3) | instskip(SKIP_1) | instid1(VALU_DEP_1)
	v_clz_i32_u32_e32 v0, v7
	s_mov_b32 s0, 0
	v_min_u32_e32 v2, 32, v0
	s_delay_alu instid0(VALU_DEP_1) | instskip(NEXT) | instid1(VALU_DEP_1)
	v_lshlrev_b64_e32 v[0:1], v2, v[6:7]
	v_min_u32_e32 v0, 1, v0
	s_delay_alu instid0(VALU_DEP_1) | instskip(NEXT) | instid1(VALU_DEP_1)
	v_dual_sub_nc_u32 v1, 32, v2 :: v_dual_bitop2_b32 v0, v1, v0 bitop3:0x54
	v_cvt_f32_u32_e32 v0, v0
	s_delay_alu instid0(VALU_DEP_1) | instskip(NEXT) | instid1(VALU_DEP_1)
	v_ldexp_f32 v0, v0, v1
	v_bfe_u32 v1, v0, 16, 1
	s_delay_alu instid0(VALU_DEP_1)
	v_add3_u32 v0, v0, v1, 0x7fff
	global_store_d16_hi_b16 v[8:9], v0, off
.LBB71_1572:
	s_mov_b32 s8, 0
.LBB71_1573:
	s_delay_alu instid0(SALU_CYCLE_1)
	s_and_b32 vcc_lo, exec_lo, s8
	s_cbranch_vccz .LBB71_1576
; %bb.1574:
	s_cmp_lg_u32 s4, 11
	s_mov_b32 s9, -1
	s_cselect_b32 s4, -1, 0
	s_and_not1_b32 s0, s0, exec_lo
	s_and_b32 s4, s4, exec_lo
	s_delay_alu instid0(SALU_CYCLE_1)
	s_or_b32 s0, s0, s4
	s_branch .LBB71_1576
.LBB71_1575:
	s_mov_b32 s9, 0
.LBB71_1576:
	s_and_b32 s8, s5, exec_lo
	s_and_not1_b32 s4, s38, exec_lo
	s_and_b32 s5, s0, exec_lo
	s_and_b32 s0, s9, exec_lo
	s_or_b32 s38, s4, s5
	s_wait_xcnt 0x0
	s_or_b32 exec_lo, exec_lo, s6
	s_and_saveexec_b32 s4, s38
	s_cbranch_execz .LBB71_1491
.LBB71_1577:
	s_or_b32 s1, s1, exec_lo
	s_and_not1_b32 s0, s0, exec_lo
	s_trap 2
	s_or_b32 exec_lo, exec_lo, s4
	s_and_saveexec_b32 s4, s0
	s_delay_alu instid0(SALU_CYCLE_1)
	s_xor_b32 s0, exec_lo, s4
	s_cbranch_execnz .LBB71_1492
.LBB71_1578:
	s_or_b32 exec_lo, exec_lo, s0
	s_and_saveexec_b32 s0, s8
	s_delay_alu instid0(SALU_CYCLE_1)
	s_xor_b32 s0, exec_lo, s0
	s_cbranch_execz .LBB71_1616
.LBB71_1579:
	s_sext_i32_i16 s5, s7
	s_mov_b32 s4, -1
	s_cmp_lt_i32 s5, 5
	s_cbranch_scc1 .LBB71_1600
; %bb.1580:
	s_cmp_lt_i32 s5, 8
	s_cbranch_scc1 .LBB71_1590
; %bb.1581:
	;; [unrolled: 3-line block ×3, first 2 shown]
	s_cmp_gt_i32 s5, 9
	s_cbranch_scc0 .LBB71_1584
; %bb.1583:
	s_wait_loadcnt 0x0
	v_cvt_f64_u32_e32 v[0:1], v7
	v_cvt_f64_u32_e32 v[2:3], v6
	s_mov_b32 s4, 0
	s_delay_alu instid0(VALU_DEP_2) | instskip(NEXT) | instid1(VALU_DEP_1)
	v_ldexp_f64 v[0:1], v[0:1], 32
	v_dual_add_f64 v[0:1], v[0:1], v[2:3] :: v_dual_mov_b32 v2, 0
	s_delay_alu instid0(VALU_DEP_1)
	v_mov_b32_e32 v3, v2
	global_store_b128 v[8:9], v[0:3], off
.LBB71_1584:
	s_and_not1_b32 vcc_lo, exec_lo, s4
	s_cbranch_vccnz .LBB71_1586
; %bb.1585:
	s_wait_loadcnt 0x0
	v_clz_i32_u32_e32 v0, v7
	s_delay_alu instid0(VALU_DEP_1) | instskip(NEXT) | instid1(VALU_DEP_1)
	v_min_u32_e32 v2, 32, v0
	v_lshlrev_b64_e32 v[0:1], v2, v[6:7]
	s_delay_alu instid0(VALU_DEP_1) | instskip(NEXT) | instid1(VALU_DEP_1)
	v_min_u32_e32 v0, 1, v0
	v_dual_sub_nc_u32 v1, 32, v2 :: v_dual_bitop2_b32 v0, v1, v0 bitop3:0x54
	s_delay_alu instid0(VALU_DEP_1) | instskip(NEXT) | instid1(VALU_DEP_1)
	v_cvt_f32_u32_e32 v0, v0
	v_ldexp_f32 v0, v0, v1
	v_mov_b32_e32 v1, 0
	global_store_b64 v[8:9], v[0:1], off
.LBB71_1586:
	s_mov_b32 s4, 0
.LBB71_1587:
	s_delay_alu instid0(SALU_CYCLE_1)
	s_and_not1_b32 vcc_lo, exec_lo, s4
	s_cbranch_vccnz .LBB71_1589
; %bb.1588:
	s_wait_loadcnt 0x0
	v_clz_i32_u32_e32 v0, v7
	s_delay_alu instid0(VALU_DEP_1) | instskip(NEXT) | instid1(VALU_DEP_1)
	v_min_u32_e32 v2, 32, v0
	v_lshlrev_b64_e32 v[0:1], v2, v[6:7]
	s_delay_alu instid0(VALU_DEP_1) | instskip(NEXT) | instid1(VALU_DEP_1)
	v_min_u32_e32 v0, 1, v0
	v_dual_sub_nc_u32 v1, 32, v2 :: v_dual_bitop2_b32 v0, v1, v0 bitop3:0x54
	s_delay_alu instid0(VALU_DEP_1) | instskip(NEXT) | instid1(VALU_DEP_1)
	v_cvt_f32_u32_e32 v0, v0
	v_ldexp_f32 v0, v0, v1
	s_delay_alu instid0(VALU_DEP_1) | instskip(NEXT) | instid1(VALU_DEP_1)
	v_cvt_f16_f32_e32 v0, v0
	v_and_b32_e32 v0, 0xffff, v0
	global_store_b32 v[8:9], v0, off
.LBB71_1589:
	s_mov_b32 s4, 0
.LBB71_1590:
	s_delay_alu instid0(SALU_CYCLE_1)
	s_and_not1_b32 vcc_lo, exec_lo, s4
	s_cbranch_vccnz .LBB71_1599
; %bb.1591:
	s_sext_i32_i16 s5, s7
	s_mov_b32 s4, -1
	s_cmp_lt_i32 s5, 6
	s_cbranch_scc1 .LBB71_1597
; %bb.1592:
	s_cmp_gt_i32 s5, 6
	s_cbranch_scc0 .LBB71_1594
; %bb.1593:
	s_wait_loadcnt 0x0
	v_cvt_f64_u32_e32 v[0:1], v7
	v_cvt_f64_u32_e32 v[2:3], v6
	s_mov_b32 s4, 0
	s_delay_alu instid0(VALU_DEP_2) | instskip(NEXT) | instid1(VALU_DEP_1)
	v_ldexp_f64 v[0:1], v[0:1], 32
	v_add_f64_e32 v[0:1], v[0:1], v[2:3]
	global_store_b64 v[8:9], v[0:1], off
.LBB71_1594:
	s_and_not1_b32 vcc_lo, exec_lo, s4
	s_cbranch_vccnz .LBB71_1596
; %bb.1595:
	s_wait_loadcnt 0x0
	v_clz_i32_u32_e32 v0, v7
	s_delay_alu instid0(VALU_DEP_1) | instskip(NEXT) | instid1(VALU_DEP_1)
	v_min_u32_e32 v2, 32, v0
	v_lshlrev_b64_e32 v[0:1], v2, v[6:7]
	s_delay_alu instid0(VALU_DEP_1) | instskip(NEXT) | instid1(VALU_DEP_1)
	v_min_u32_e32 v0, 1, v0
	v_dual_sub_nc_u32 v1, 32, v2 :: v_dual_bitop2_b32 v0, v1, v0 bitop3:0x54
	s_delay_alu instid0(VALU_DEP_1) | instskip(NEXT) | instid1(VALU_DEP_1)
	v_cvt_f32_u32_e32 v0, v0
	v_ldexp_f32 v0, v0, v1
	global_store_b32 v[8:9], v0, off
.LBB71_1596:
	s_mov_b32 s4, 0
.LBB71_1597:
	s_delay_alu instid0(SALU_CYCLE_1)
	s_and_not1_b32 vcc_lo, exec_lo, s4
	s_cbranch_vccnz .LBB71_1599
; %bb.1598:
	s_wait_loadcnt 0x0
	v_clz_i32_u32_e32 v0, v7
	s_delay_alu instid0(VALU_DEP_1) | instskip(NEXT) | instid1(VALU_DEP_1)
	v_min_u32_e32 v2, 32, v0
	v_lshlrev_b64_e32 v[0:1], v2, v[6:7]
	s_delay_alu instid0(VALU_DEP_1) | instskip(NEXT) | instid1(VALU_DEP_1)
	v_min_u32_e32 v0, 1, v0
	v_dual_sub_nc_u32 v1, 32, v2 :: v_dual_bitop2_b32 v0, v1, v0 bitop3:0x54
	s_delay_alu instid0(VALU_DEP_1) | instskip(NEXT) | instid1(VALU_DEP_1)
	v_cvt_f32_u32_e32 v0, v0
	v_ldexp_f32 v0, v0, v1
	s_delay_alu instid0(VALU_DEP_1)
	v_cvt_f16_f32_e32 v0, v0
	global_store_b16 v[8:9], v0, off
.LBB71_1599:
	s_mov_b32 s4, 0
.LBB71_1600:
	s_delay_alu instid0(SALU_CYCLE_1)
	s_and_not1_b32 vcc_lo, exec_lo, s4
	s_cbranch_vccnz .LBB71_1616
; %bb.1601:
	s_sext_i32_i16 s5, s7
	s_mov_b32 s4, -1
	s_cmp_lt_i32 s5, 2
	s_cbranch_scc1 .LBB71_1611
; %bb.1602:
	s_cmp_lt_i32 s5, 3
	s_cbranch_scc1 .LBB71_1608
; %bb.1603:
	s_cmp_gt_i32 s5, 3
	s_cbranch_scc0 .LBB71_1605
; %bb.1604:
	s_mov_b32 s4, 0
	s_wait_loadcnt 0x0
	global_store_b64 v[8:9], v[6:7], off
.LBB71_1605:
	s_and_not1_b32 vcc_lo, exec_lo, s4
	s_cbranch_vccnz .LBB71_1607
; %bb.1606:
	s_wait_loadcnt 0x0
	global_store_b32 v[8:9], v6, off
.LBB71_1607:
	s_mov_b32 s4, 0
.LBB71_1608:
	s_delay_alu instid0(SALU_CYCLE_1)
	s_and_not1_b32 vcc_lo, exec_lo, s4
	s_cbranch_vccnz .LBB71_1610
; %bb.1609:
	s_wait_loadcnt 0x0
	global_store_b16 v[8:9], v6, off
.LBB71_1610:
	s_mov_b32 s4, 0
.LBB71_1611:
	s_delay_alu instid0(SALU_CYCLE_1)
	s_and_not1_b32 vcc_lo, exec_lo, s4
	s_cbranch_vccnz .LBB71_1616
; %bb.1612:
	s_sext_i32_i16 s4, s7
	s_delay_alu instid0(SALU_CYCLE_1)
	s_cmp_gt_i32 s4, 0
	s_mov_b32 s4, -1
	s_cbranch_scc0 .LBB71_1614
; %bb.1613:
	s_mov_b32 s4, 0
	s_wait_loadcnt 0x0
	global_store_b8 v[8:9], v6, off
.LBB71_1614:
	s_and_not1_b32 vcc_lo, exec_lo, s4
	s_cbranch_vccnz .LBB71_1616
; %bb.1615:
	s_wait_loadcnt 0x0
	global_store_b8 v[8:9], v6, off
.LBB71_1616:
	s_wait_xcnt 0x0
	s_or_b32 exec_lo, exec_lo, s0
	s_delay_alu instid0(SALU_CYCLE_1)
	s_and_b32 s10, s1, exec_lo
                                        ; implicit-def: $vgpr1
                                        ; implicit-def: $vgpr0
.LBB71_1617:
	s_or_saveexec_b32 s11, s30
	s_mov_b32 s0, 0
                                        ; implicit-def: $vgpr2_vgpr3
                                        ; implicit-def: $sgpr6
                                        ; implicit-def: $vgpr8_vgpr9
	s_xor_b32 exec_lo, exec_lo, s11
	s_cbranch_execz .LBB71_2717
; %bb.1618:
	v_cndmask_b32_e64 v3, 0, 1, s29
	s_and_not1_b32 vcc_lo, exec_lo, s29
	s_cbranch_vccnz .LBB71_1624
; %bb.1619:
	s_cmp_lg_u32 s26, 0
	s_mov_b32 s4, 0
	s_cbranch_scc0 .LBB71_1628
; %bb.1620:
	s_min_u32 s5, s27, 15
	s_wait_loadcnt 0x0
	v_dual_mov_b32 v6, 0 :: v_dual_mov_b32 v2, v0
	v_dual_mov_b32 v22, 0 :: v_dual_mov_b32 v10, 0
	s_add_co_i32 s6, s5, 1
	s_mov_b64 s[0:1], 0xffffffffffffffe8
	s_and_b32 s6, s6, 30
	s_add_nc_u64 s[0:1], s[2:3], s[0:1]
.LBB71_1621:                            ; =>This Inner Loop Header: Depth=1
	s_clause 0x1
	s_load_b128 s[12:15], s[0:1], 0x1c
	s_load_b64 s[8:9], s[0:1], 0x2c
	s_add_co_i32 s6, s6, -2
	s_delay_alu instid0(SALU_CYCLE_1) | instskip(SKIP_2) | instid1(VALU_DEP_1)
	s_cmp_lg_u32 s6, 0
	s_wait_kmcnt 0x0
	v_mul_hi_u32 v4, s13, v2
	v_add_nc_u32_e32 v4, v2, v4
	s_delay_alu instid0(VALU_DEP_1) | instskip(NEXT) | instid1(VALU_DEP_1)
	v_lshrrev_b32_e32 v4, s14, v4
	v_mul_hi_u32 v5, s8, v4
	v_mul_lo_u32 v7, v4, s12
	s_clause 0x1
	s_load_b128 s[16:19], s[0:1], 0xdc
	s_load_b64 s[12:13], s[0:1], 0xec
	s_wait_xcnt 0x0
	s_add_nc_u64 s[0:1], s[0:1], 24
	s_delay_alu instid0(VALU_DEP_1) | instskip(NEXT) | instid1(VALU_DEP_1)
	v_dual_add_nc_u32 v5, v4, v5 :: v_dual_sub_nc_u32 v7, v2, v7
	v_lshrrev_b32_e32 v2, s9, v5
	s_wait_kmcnt 0x0
	s_delay_alu instid0(VALU_DEP_2) | instskip(NEXT) | instid1(VALU_DEP_2)
	v_mad_u32 v6, v7, s16, v6
	v_mul_lo_u32 v5, v2, s15
	v_mad_u32 v8, v7, s18, v10
	v_mad_u32 v7, v7, s17, v22
	s_delay_alu instid0(VALU_DEP_3) | instskip(NEXT) | instid1(VALU_DEP_1)
	v_sub_nc_u32_e32 v4, v4, v5
	v_mad_u32 v6, v4, s19, v6
	s_delay_alu instid0(VALU_DEP_4) | instskip(NEXT) | instid1(VALU_DEP_4)
	v_mad_u32 v10, v4, s13, v8
	v_mad_u32 v22, v4, s12, v7
	s_cbranch_scc1 .LBB71_1621
; %bb.1622:
	s_bitcmp1_b32 s5, 0
	s_cselect_b32 s5, -1, 0
	s_delay_alu instid0(SALU_CYCLE_1)
	s_and_b32 vcc_lo, exec_lo, s5
	s_cbranch_vccnz .LBB71_1625
; %bb.1623:
	s_clause 0x1
	s_load_b96 s[12:14], s[0:1], 0x1c
	s_load_b96 s[16:18], s[0:1], 0xdc
	s_wait_kmcnt 0x0
	v_mul_hi_u32 v4, s13, v2
	s_delay_alu instid0(VALU_DEP_1) | instskip(NEXT) | instid1(VALU_DEP_1)
	v_add_nc_u32_e32 v4, v2, v4
	v_lshrrev_b32_e32 v4, s14, v4
	s_delay_alu instid0(VALU_DEP_1) | instskip(NEXT) | instid1(VALU_DEP_1)
	v_mul_lo_u32 v4, v4, s12
	v_sub_nc_u32_e32 v2, v2, v4
	s_delay_alu instid0(VALU_DEP_1)
	v_mad_u32 v6, v2, s16, v6
	v_mad_u32 v22, v2, s17, v22
	;; [unrolled: 1-line block ×3, first 2 shown]
	s_and_not1_b32 vcc_lo, exec_lo, s4
	s_cbranch_vccz .LBB71_1626
	s_branch .LBB71_1629
.LBB71_1624:
	s_mov_b32 s4, -1
                                        ; implicit-def: $vgpr10
                                        ; implicit-def: $vgpr22
                                        ; implicit-def: $vgpr6
.LBB71_1625:
	s_delay_alu instid0(SALU_CYCLE_1)
	s_and_not1_b32 vcc_lo, exec_lo, s4
	s_cbranch_vccnz .LBB71_1629
.LBB71_1626:
	s_clause 0x1
	s_load_b96 s[4:6], s[2:3], 0x4
	s_load_b96 s[12:14], s[2:3], 0xc4
	s_cmp_lt_u32 s26, 2
	s_wait_loadcnt 0x0
	s_wait_kmcnt 0x0
	v_mul_hi_u32 v2, s5, v0
	s_delay_alu instid0(VALU_DEP_1) | instskip(NEXT) | instid1(VALU_DEP_1)
	v_add_nc_u32_e32 v2, v0, v2
	v_lshrrev_b32_e32 v2, s6, v2
	s_delay_alu instid0(VALU_DEP_1) | instskip(NEXT) | instid1(VALU_DEP_1)
	v_mul_lo_u32 v4, v2, s4
	v_sub_nc_u32_e32 v4, v0, v4
	s_delay_alu instid0(VALU_DEP_1)
	v_mul_lo_u32 v6, v4, s12
	v_mul_lo_u32 v10, v4, s14
	;; [unrolled: 1-line block ×3, first 2 shown]
	s_cbranch_scc1 .LBB71_1629
; %bb.1627:
	s_clause 0x1
	s_load_b96 s[4:6], s[2:3], 0x10
	s_load_b96 s[12:14], s[2:3], 0xd0
	s_wait_kmcnt 0x0
	v_mul_hi_u32 v4, s5, v2
	s_delay_alu instid0(VALU_DEP_1) | instskip(NEXT) | instid1(VALU_DEP_1)
	v_add_nc_u32_e32 v4, v2, v4
	v_lshrrev_b32_e32 v4, s6, v4
	s_delay_alu instid0(VALU_DEP_1) | instskip(NEXT) | instid1(VALU_DEP_1)
	v_mul_lo_u32 v4, v4, s4
	v_sub_nc_u32_e32 v2, v2, v4
	s_delay_alu instid0(VALU_DEP_1)
	v_mad_u32 v6, v2, s12, v6
	v_mad_u32 v22, v2, s13, v22
	;; [unrolled: 1-line block ×3, first 2 shown]
	s_branch .LBB71_1629
.LBB71_1628:
	v_dual_mov_b32 v10, 0 :: v_dual_mov_b32 v22, 0
	s_wait_loadcnt 0x0
	v_mov_b32_e32 v6, 0
	s_and_not1_b32 vcc_lo, exec_lo, s4
	s_cbranch_vccz .LBB71_1626
.LBB71_1629:
	v_cmp_ne_u32_e32 vcc_lo, 1, v3
	s_wait_loadcnt 0x0
	v_add_nc_u32_e32 v2, 0x80, v0
	s_cbranch_vccnz .LBB71_1635
; %bb.1630:
	s_cmp_lg_u32 s26, 0
	s_mov_b32 s4, 0
	s_cbranch_scc0 .LBB71_1639
; %bb.1631:
	s_min_u32 s5, s27, 15
	v_dual_mov_b32 v4, 0 :: v_dual_mov_b32 v5, v2
	v_dual_mov_b32 v20, 0 :: v_dual_mov_b32 v14, 0
	s_add_co_i32 s6, s5, 1
	s_mov_b64 s[0:1], 0xffffffffffffffe8
	s_and_b32 s6, s6, 30
	s_add_nc_u64 s[0:1], s[2:3], s[0:1]
.LBB71_1632:                            ; =>This Inner Loop Header: Depth=1
	s_clause 0x1
	s_load_b128 s[12:15], s[0:1], 0x1c
	s_load_b64 s[8:9], s[0:1], 0x2c
	s_add_co_i32 s6, s6, -2
	s_delay_alu instid0(SALU_CYCLE_1) | instskip(SKIP_2) | instid1(VALU_DEP_1)
	s_cmp_lg_u32 s6, 0
	s_wait_kmcnt 0x0
	v_mul_hi_u32 v7, s13, v5
	v_add_nc_u32_e32 v7, v5, v7
	s_delay_alu instid0(VALU_DEP_1) | instskip(NEXT) | instid1(VALU_DEP_1)
	v_lshrrev_b32_e32 v7, s14, v7
	v_mul_hi_u32 v8, s8, v7
	v_mul_lo_u32 v9, v7, s12
	s_clause 0x1
	s_load_b128 s[16:19], s[0:1], 0xdc
	s_load_b64 s[12:13], s[0:1], 0xec
	s_wait_xcnt 0x0
	s_add_nc_u64 s[0:1], s[0:1], 24
	s_delay_alu instid0(VALU_DEP_1) | instskip(NEXT) | instid1(VALU_DEP_1)
	v_dual_add_nc_u32 v8, v7, v8 :: v_dual_sub_nc_u32 v9, v5, v9
	v_lshrrev_b32_e32 v5, s9, v8
	s_wait_kmcnt 0x0
	s_delay_alu instid0(VALU_DEP_2) | instskip(NEXT) | instid1(VALU_DEP_2)
	v_mad_u32 v4, v9, s16, v4
	v_mul_lo_u32 v8, v5, s15
	v_mad_u32 v11, v9, s18, v14
	v_mad_u32 v9, v9, s17, v20
	s_delay_alu instid0(VALU_DEP_3) | instskip(NEXT) | instid1(VALU_DEP_1)
	v_sub_nc_u32_e32 v7, v7, v8
	v_mad_u32 v4, v7, s19, v4
	s_delay_alu instid0(VALU_DEP_4) | instskip(NEXT) | instid1(VALU_DEP_4)
	v_mad_u32 v14, v7, s13, v11
	v_mad_u32 v20, v7, s12, v9
	s_cbranch_scc1 .LBB71_1632
; %bb.1633:
	s_bitcmp1_b32 s5, 0
	s_cselect_b32 s5, -1, 0
	s_delay_alu instid0(SALU_CYCLE_1)
	s_and_b32 vcc_lo, exec_lo, s5
	s_cbranch_vccnz .LBB71_1636
; %bb.1634:
	s_clause 0x1
	s_load_b96 s[12:14], s[0:1], 0x1c
	s_load_b96 s[16:18], s[0:1], 0xdc
	s_wait_kmcnt 0x0
	v_mul_hi_u32 v7, s13, v5
	s_delay_alu instid0(VALU_DEP_1) | instskip(NEXT) | instid1(VALU_DEP_1)
	v_add_nc_u32_e32 v7, v5, v7
	v_lshrrev_b32_e32 v7, s14, v7
	s_delay_alu instid0(VALU_DEP_1) | instskip(NEXT) | instid1(VALU_DEP_1)
	v_mul_lo_u32 v7, v7, s12
	v_sub_nc_u32_e32 v5, v5, v7
	s_delay_alu instid0(VALU_DEP_1)
	v_mad_u32 v4, v5, s16, v4
	v_mad_u32 v20, v5, s17, v20
	;; [unrolled: 1-line block ×3, first 2 shown]
	s_and_not1_b32 vcc_lo, exec_lo, s4
	s_cbranch_vccz .LBB71_1637
	s_branch .LBB71_1640
.LBB71_1635:
	s_mov_b32 s4, -1
                                        ; implicit-def: $vgpr14
                                        ; implicit-def: $vgpr20
                                        ; implicit-def: $vgpr4
.LBB71_1636:
	s_delay_alu instid0(SALU_CYCLE_1)
	s_and_not1_b32 vcc_lo, exec_lo, s4
	s_cbranch_vccnz .LBB71_1640
.LBB71_1637:
	s_clause 0x1
	s_load_b96 s[4:6], s[2:3], 0x4
	s_load_b96 s[12:14], s[2:3], 0xc4
	s_cmp_lt_u32 s26, 2
	s_wait_kmcnt 0x0
	v_mul_hi_u32 v4, s5, v2
	s_delay_alu instid0(VALU_DEP_1) | instskip(NEXT) | instid1(VALU_DEP_1)
	v_add_nc_u32_e32 v4, v2, v4
	v_lshrrev_b32_e32 v5, s6, v4
	s_delay_alu instid0(VALU_DEP_1) | instskip(NEXT) | instid1(VALU_DEP_1)
	v_mul_lo_u32 v4, v5, s4
	v_sub_nc_u32_e32 v2, v2, v4
	s_delay_alu instid0(VALU_DEP_1)
	v_mul_lo_u32 v4, v2, s12
	v_mul_lo_u32 v14, v2, s14
	;; [unrolled: 1-line block ×3, first 2 shown]
	s_cbranch_scc1 .LBB71_1640
; %bb.1638:
	s_clause 0x1
	s_load_b96 s[4:6], s[2:3], 0x10
	s_load_b96 s[12:14], s[2:3], 0xd0
	s_wait_kmcnt 0x0
	v_mul_hi_u32 v2, s5, v5
	s_delay_alu instid0(VALU_DEP_1) | instskip(NEXT) | instid1(VALU_DEP_1)
	v_add_nc_u32_e32 v2, v5, v2
	v_lshrrev_b32_e32 v2, s6, v2
	s_delay_alu instid0(VALU_DEP_1) | instskip(NEXT) | instid1(VALU_DEP_1)
	v_mul_lo_u32 v2, v2, s4
	v_sub_nc_u32_e32 v2, v5, v2
	s_delay_alu instid0(VALU_DEP_1)
	v_mad_u32 v4, v2, s12, v4
	v_mad_u32 v20, v2, s13, v20
	;; [unrolled: 1-line block ×3, first 2 shown]
	s_branch .LBB71_1640
.LBB71_1639:
	v_dual_mov_b32 v14, 0 :: v_dual_mov_b32 v20, 0
	v_mov_b32_e32 v4, 0
	s_and_not1_b32 vcc_lo, exec_lo, s4
	s_cbranch_vccz .LBB71_1637
.LBB71_1640:
	v_cmp_ne_u32_e32 vcc_lo, 1, v3
	v_add_nc_u32_e32 v0, 0x100, v0
	s_cbranch_vccnz .LBB71_1646
; %bb.1641:
	s_cmp_lg_u32 s26, 0
	s_mov_b32 s4, 0
	s_cbranch_scc0 .LBB71_1650
; %bb.1642:
	s_min_u32 s5, s27, 15
	v_dual_mov_b32 v2, 0 :: v_dual_mov_b32 v5, v0
	v_dual_mov_b32 v18, 0 :: v_dual_mov_b32 v16, 0
	s_add_co_i32 s6, s5, 1
	s_mov_b64 s[0:1], 0xffffffffffffffe8
	s_and_b32 s6, s6, 30
	s_add_nc_u64 s[0:1], s[2:3], s[0:1]
.LBB71_1643:                            ; =>This Inner Loop Header: Depth=1
	s_clause 0x1
	s_load_b128 s[12:15], s[0:1], 0x1c
	s_load_b64 s[8:9], s[0:1], 0x2c
	s_add_co_i32 s6, s6, -2
	s_delay_alu instid0(SALU_CYCLE_1) | instskip(SKIP_2) | instid1(VALU_DEP_1)
	s_cmp_lg_u32 s6, 0
	s_wait_kmcnt 0x0
	v_mul_hi_u32 v7, s13, v5
	v_add_nc_u32_e32 v7, v5, v7
	s_delay_alu instid0(VALU_DEP_1) | instskip(NEXT) | instid1(VALU_DEP_1)
	v_lshrrev_b32_e32 v7, s14, v7
	v_mul_hi_u32 v8, s8, v7
	v_mul_lo_u32 v9, v7, s12
	s_clause 0x1
	s_load_b128 s[16:19], s[0:1], 0xdc
	s_load_b64 s[12:13], s[0:1], 0xec
	s_wait_xcnt 0x0
	s_add_nc_u64 s[0:1], s[0:1], 24
	s_delay_alu instid0(VALU_DEP_1) | instskip(NEXT) | instid1(VALU_DEP_1)
	v_dual_add_nc_u32 v8, v7, v8 :: v_dual_sub_nc_u32 v9, v5, v9
	v_lshrrev_b32_e32 v5, s9, v8
	s_wait_kmcnt 0x0
	s_delay_alu instid0(VALU_DEP_2) | instskip(NEXT) | instid1(VALU_DEP_2)
	v_mad_u32 v2, v9, s16, v2
	v_mul_lo_u32 v8, v5, s15
	v_mad_u32 v11, v9, s18, v16
	v_mad_u32 v9, v9, s17, v18
	s_delay_alu instid0(VALU_DEP_3) | instskip(NEXT) | instid1(VALU_DEP_1)
	v_sub_nc_u32_e32 v7, v7, v8
	v_mad_u32 v2, v7, s19, v2
	s_delay_alu instid0(VALU_DEP_4) | instskip(NEXT) | instid1(VALU_DEP_4)
	v_mad_u32 v16, v7, s13, v11
	v_mad_u32 v18, v7, s12, v9
	s_cbranch_scc1 .LBB71_1643
; %bb.1644:
	s_bitcmp1_b32 s5, 0
	s_cselect_b32 s5, -1, 0
	s_delay_alu instid0(SALU_CYCLE_1)
	s_and_b32 vcc_lo, exec_lo, s5
	s_cbranch_vccnz .LBB71_1647
; %bb.1645:
	s_clause 0x1
	s_load_b96 s[12:14], s[0:1], 0x1c
	s_load_b96 s[16:18], s[0:1], 0xdc
	s_wait_kmcnt 0x0
	v_mul_hi_u32 v7, s13, v5
	s_delay_alu instid0(VALU_DEP_1) | instskip(NEXT) | instid1(VALU_DEP_1)
	v_add_nc_u32_e32 v7, v5, v7
	v_lshrrev_b32_e32 v7, s14, v7
	s_delay_alu instid0(VALU_DEP_1) | instskip(NEXT) | instid1(VALU_DEP_1)
	v_mul_lo_u32 v7, v7, s12
	v_sub_nc_u32_e32 v5, v5, v7
	s_delay_alu instid0(VALU_DEP_1)
	v_mad_u32 v2, v5, s16, v2
	v_mad_u32 v18, v5, s17, v18
	;; [unrolled: 1-line block ×3, first 2 shown]
	s_and_not1_b32 vcc_lo, exec_lo, s4
	s_cbranch_vccz .LBB71_1648
	s_branch .LBB71_1651
.LBB71_1646:
	s_mov_b32 s4, -1
                                        ; implicit-def: $vgpr16
                                        ; implicit-def: $vgpr18
                                        ; implicit-def: $vgpr2
.LBB71_1647:
	s_delay_alu instid0(SALU_CYCLE_1)
	s_and_not1_b32 vcc_lo, exec_lo, s4
	s_cbranch_vccnz .LBB71_1651
.LBB71_1648:
	s_clause 0x1
	s_load_b96 s[4:6], s[2:3], 0x4
	s_load_b96 s[12:14], s[2:3], 0xc4
	s_cmp_lt_u32 s26, 2
	s_wait_kmcnt 0x0
	v_mul_hi_u32 v2, s5, v0
	s_delay_alu instid0(VALU_DEP_1) | instskip(NEXT) | instid1(VALU_DEP_1)
	v_add_nc_u32_e32 v2, v0, v2
	v_lshrrev_b32_e32 v5, s6, v2
	s_delay_alu instid0(VALU_DEP_1) | instskip(NEXT) | instid1(VALU_DEP_1)
	v_mul_lo_u32 v2, v5, s4
	v_sub_nc_u32_e32 v0, v0, v2
	s_delay_alu instid0(VALU_DEP_1)
	v_mul_lo_u32 v2, v0, s12
	v_mul_lo_u32 v16, v0, s14
	;; [unrolled: 1-line block ×3, first 2 shown]
	s_cbranch_scc1 .LBB71_1651
; %bb.1649:
	s_clause 0x1
	s_load_b96 s[4:6], s[2:3], 0x10
	s_load_b96 s[12:14], s[2:3], 0xd0
	s_wait_kmcnt 0x0
	v_mul_hi_u32 v0, s5, v5
	s_delay_alu instid0(VALU_DEP_1) | instskip(NEXT) | instid1(VALU_DEP_1)
	v_add_nc_u32_e32 v0, v5, v0
	v_lshrrev_b32_e32 v0, s6, v0
	s_delay_alu instid0(VALU_DEP_1) | instskip(NEXT) | instid1(VALU_DEP_1)
	v_mul_lo_u32 v0, v0, s4
	v_sub_nc_u32_e32 v0, v5, v0
	s_delay_alu instid0(VALU_DEP_1)
	v_mad_u32 v2, v0, s12, v2
	v_mad_u32 v18, v0, s13, v18
	;; [unrolled: 1-line block ×3, first 2 shown]
	s_branch .LBB71_1651
.LBB71_1650:
	v_dual_mov_b32 v16, 0 :: v_dual_mov_b32 v18, 0
	v_mov_b32_e32 v2, 0
	s_and_not1_b32 vcc_lo, exec_lo, s4
	s_cbranch_vccz .LBB71_1648
.LBB71_1651:
	v_cmp_ne_u32_e32 vcc_lo, 1, v3
	s_cbranch_vccnz .LBB71_1657
; %bb.1652:
	s_cmp_lg_u32 s26, 0
	s_mov_b32 s4, 0
	s_cbranch_scc0 .LBB71_1661
; %bb.1653:
	s_min_u32 s5, s27, 15
	v_dual_mov_b32 v0, 0 :: v_dual_mov_b32 v3, v1
	v_dual_mov_b32 v12, 0 :: v_dual_mov_b32 v8, 0
	s_add_co_i32 s6, s5, 1
	s_mov_b64 s[0:1], 0xffffffffffffffe8
	s_and_b32 s6, s6, 30
	s_add_nc_u64 s[0:1], s[2:3], s[0:1]
.LBB71_1654:                            ; =>This Inner Loop Header: Depth=1
	s_clause 0x1
	s_load_b128 s[12:15], s[0:1], 0x1c
	s_load_b64 s[8:9], s[0:1], 0x2c
	s_add_co_i32 s6, s6, -2
	s_delay_alu instid0(SALU_CYCLE_1) | instskip(SKIP_2) | instid1(VALU_DEP_1)
	s_cmp_lg_u32 s6, 0
	s_wait_kmcnt 0x0
	v_mul_hi_u32 v5, s13, v3
	v_add_nc_u32_e32 v5, v3, v5
	s_delay_alu instid0(VALU_DEP_1) | instskip(NEXT) | instid1(VALU_DEP_1)
	v_lshrrev_b32_e32 v5, s14, v5
	v_mul_hi_u32 v7, s8, v5
	v_mul_lo_u32 v9, v5, s12
	s_clause 0x1
	s_load_b128 s[16:19], s[0:1], 0xdc
	s_load_b64 s[12:13], s[0:1], 0xec
	s_wait_xcnt 0x0
	s_add_nc_u64 s[0:1], s[0:1], 24
	s_delay_alu instid0(VALU_DEP_1) | instskip(NEXT) | instid1(VALU_DEP_1)
	v_dual_add_nc_u32 v7, v5, v7 :: v_dual_sub_nc_u32 v9, v3, v9
	v_lshrrev_b32_e32 v3, s9, v7
	s_wait_kmcnt 0x0
	s_delay_alu instid0(VALU_DEP_2) | instskip(NEXT) | instid1(VALU_DEP_2)
	v_mad_u32 v0, v9, s16, v0
	v_mul_lo_u32 v7, v3, s15
	v_mad_u32 v8, v9, s18, v8
	v_mad_u32 v9, v9, s17, v12
	s_delay_alu instid0(VALU_DEP_3) | instskip(NEXT) | instid1(VALU_DEP_1)
	v_sub_nc_u32_e32 v5, v5, v7
	v_mad_u32 v0, v5, s19, v0
	s_delay_alu instid0(VALU_DEP_4) | instskip(NEXT) | instid1(VALU_DEP_4)
	v_mad_u32 v8, v5, s13, v8
	v_mad_u32 v12, v5, s12, v9
	s_cbranch_scc1 .LBB71_1654
; %bb.1655:
	s_bitcmp1_b32 s5, 0
	s_cselect_b32 s5, -1, 0
	s_delay_alu instid0(SALU_CYCLE_1)
	s_and_b32 vcc_lo, exec_lo, s5
	s_cbranch_vccnz .LBB71_1658
; %bb.1656:
	s_clause 0x1
	s_load_b96 s[12:14], s[0:1], 0x1c
	s_load_b96 s[16:18], s[0:1], 0xdc
	s_wait_kmcnt 0x0
	v_mul_hi_u32 v5, s13, v3
	s_delay_alu instid0(VALU_DEP_1) | instskip(NEXT) | instid1(VALU_DEP_1)
	v_add_nc_u32_e32 v5, v3, v5
	v_lshrrev_b32_e32 v5, s14, v5
	s_delay_alu instid0(VALU_DEP_1) | instskip(NEXT) | instid1(VALU_DEP_1)
	v_mul_lo_u32 v5, v5, s12
	v_sub_nc_u32_e32 v3, v3, v5
	s_delay_alu instid0(VALU_DEP_1)
	v_mad_u32 v0, v3, s16, v0
	v_mad_u32 v12, v3, s17, v12
	;; [unrolled: 1-line block ×3, first 2 shown]
	s_and_not1_b32 vcc_lo, exec_lo, s4
	s_cbranch_vccz .LBB71_1659
	s_branch .LBB71_1662
.LBB71_1657:
	s_mov_b32 s4, -1
                                        ; implicit-def: $vgpr8
                                        ; implicit-def: $vgpr12
                                        ; implicit-def: $vgpr0
.LBB71_1658:
	s_delay_alu instid0(SALU_CYCLE_1)
	s_and_not1_b32 vcc_lo, exec_lo, s4
	s_cbranch_vccnz .LBB71_1662
.LBB71_1659:
	s_clause 0x1
	s_load_b96 s[4:6], s[2:3], 0x4
	s_load_b96 s[12:14], s[2:3], 0xc4
	s_cmp_lt_u32 s26, 2
	s_wait_kmcnt 0x0
	v_mul_hi_u32 v0, s5, v1
	s_delay_alu instid0(VALU_DEP_1) | instskip(NEXT) | instid1(VALU_DEP_1)
	v_add_nc_u32_e32 v0, v1, v0
	v_lshrrev_b32_e32 v3, s6, v0
	s_delay_alu instid0(VALU_DEP_1) | instskip(NEXT) | instid1(VALU_DEP_1)
	v_mul_lo_u32 v0, v3, s4
	v_sub_nc_u32_e32 v1, v1, v0
	s_delay_alu instid0(VALU_DEP_1)
	v_mul_lo_u32 v0, v1, s12
	v_mul_lo_u32 v8, v1, s14
	;; [unrolled: 1-line block ×3, first 2 shown]
	s_cbranch_scc1 .LBB71_1662
; %bb.1660:
	s_clause 0x1
	s_load_b96 s[4:6], s[2:3], 0x10
	s_load_b96 s[12:14], s[2:3], 0xd0
	s_wait_kmcnt 0x0
	v_mul_hi_u32 v1, s5, v3
	s_delay_alu instid0(VALU_DEP_1) | instskip(NEXT) | instid1(VALU_DEP_1)
	v_add_nc_u32_e32 v1, v3, v1
	v_lshrrev_b32_e32 v1, s6, v1
	s_delay_alu instid0(VALU_DEP_1) | instskip(NEXT) | instid1(VALU_DEP_1)
	v_mul_lo_u32 v1, v1, s4
	v_sub_nc_u32_e32 v1, v3, v1
	s_delay_alu instid0(VALU_DEP_1)
	v_mad_u32 v0, v1, s12, v0
	v_mad_u32 v12, v1, s13, v12
	;; [unrolled: 1-line block ×3, first 2 shown]
	s_branch .LBB71_1662
.LBB71_1661:
	v_dual_mov_b32 v8, 0 :: v_dual_mov_b32 v12, 0
	v_mov_b32_e32 v0, 0
	s_and_not1_b32 vcc_lo, exec_lo, s4
	s_cbranch_vccz .LBB71_1659
.LBB71_1662:
	v_mov_b32_e32 v23, 0
	s_load_b128 s[4:7], s[2:3], 0x188
	global_load_u8 v1, v23, s[2:3] offset:418
	s_wait_kmcnt 0x0
	v_add_nc_u64_e32 v[24:25], s[6:7], v[22:23]
	s_wait_loadcnt 0x0
	v_and_b32_e32 v3, 0xffff, v1
	v_readfirstlane_b32 s12, v1
	s_delay_alu instid0(VALU_DEP_2)
	v_cmp_gt_i32_e32 vcc_lo, 11, v3
	s_cbranch_vccnz .LBB71_1669
; %bb.1663:
	s_and_b32 s0, 0xffff, s12
	s_mov_b32 s8, 0
	s_cmp_gt_i32 s0, 25
	s_cbranch_scc0 .LBB71_1671
; %bb.1664:
	s_cmp_gt_i32 s0, 28
	s_cbranch_scc0 .LBB71_1672
; %bb.1665:
	;; [unrolled: 3-line block ×4, first 2 shown]
	s_cmp_eq_u32 s0, 46
	s_mov_b32 s13, 0
	s_cbranch_scc0 .LBB71_1677
; %bb.1668:
	global_load_b32 v1, v[24:25], off
	s_mov_b32 s1, 0
	s_mov_b32 s9, -1
	s_wait_loadcnt 0x0
	v_lshlrev_b32_e32 v1, 16, v1
	s_delay_alu instid0(VALU_DEP_1) | instskip(NEXT) | instid1(VALU_DEP_1)
	v_trunc_f32_e32 v1, v1
	v_mul_f32_e64 v3, 0x2f800000, |v1|
	v_ashrrev_i32_e32 v22, 31, v1
	s_delay_alu instid0(VALU_DEP_2) | instskip(SKIP_1) | instid1(VALU_DEP_2)
	v_floor_f32_e32 v3, v3
	s_wait_xcnt 0x1
	v_mov_b32_e32 v23, v22
	s_delay_alu instid0(VALU_DEP_2) | instskip(SKIP_1) | instid1(VALU_DEP_2)
	v_fma_f32 v5, 0xcf800000, v3, |v1|
	v_cvt_u32_f32_e32 v1, v3
	v_cvt_u32_f32_e32 v3, v5
	s_delay_alu instid0(VALU_DEP_2) | instskip(NEXT) | instid1(VALU_DEP_2)
	v_xor_b32_e32 v27, v1, v22
	v_xor_b32_e32 v26, v3, v22
	s_delay_alu instid0(VALU_DEP_1)
	v_sub_nc_u64_e32 v[22:23], v[26:27], v[22:23]
	s_branch .LBB71_1679
.LBB71_1669:
	s_mov_b32 s9, 0
	s_mov_b32 s1, s10
                                        ; implicit-def: $vgpr22_vgpr23
	s_cbranch_execnz .LBB71_1737
.LBB71_1670:
	s_and_not1_b32 vcc_lo, exec_lo, s9
	s_cbranch_vccz .LBB71_1782
	s_branch .LBB71_2715
.LBB71_1671:
	s_mov_b32 s9, 0
	s_mov_b32 s1, 0
                                        ; implicit-def: $vgpr22_vgpr23
	s_cbranch_execnz .LBB71_1704
	s_branch .LBB71_1733
.LBB71_1672:
	s_mov_b32 s9, 0
	s_mov_b32 s1, 0
                                        ; implicit-def: $vgpr22_vgpr23
	s_cbranch_execz .LBB71_1703
	s_branch .LBB71_1688
.LBB71_1673:
	s_mov_b32 s9, 0
	s_mov_b32 s1, 0
                                        ; implicit-def: $vgpr22_vgpr23
	s_cbranch_execnz .LBB71_1684
	s_branch .LBB71_1687
.LBB71_1674:
	s_mov_b32 s13, -1
	s_mov_b32 s9, 0
	s_mov_b32 s1, 0
	s_branch .LBB71_1678
.LBB71_1675:
	s_and_not1_saveexec_b32 s9, s9
	s_cbranch_execz .LBB71_1530
.LBB71_1676:
	v_add_f32_e32 v0, 0x46000000, v1
	s_and_not1_b32 s8, s8, exec_lo
	s_delay_alu instid0(VALU_DEP_1) | instskip(NEXT) | instid1(VALU_DEP_1)
	v_and_b32_e32 v0, 0xff, v0
	v_cmp_ne_u32_e32 vcc_lo, 0, v0
	s_and_b32 s10, vcc_lo, exec_lo
	s_delay_alu instid0(SALU_CYCLE_1)
	s_or_b32 s8, s8, s10
	s_or_b32 exec_lo, exec_lo, s9
	v_mov_b32_e32 v2, 0
	s_and_saveexec_b32 s9, s8
	s_cbranch_execnz .LBB71_1531
	s_branch .LBB71_1532
.LBB71_1677:
	s_mov_b32 s1, -1
	s_mov_b32 s9, 0
.LBB71_1678:
                                        ; implicit-def: $vgpr22_vgpr23
.LBB71_1679:
	s_and_b32 vcc_lo, exec_lo, s13
	s_cbranch_vccz .LBB71_1682
; %bb.1680:
	s_cmp_eq_u32 s0, 44
	s_cbranch_scc0 .LBB71_1683
; %bb.1681:
	global_load_u8 v1, v[24:25], off
	s_mov_b32 s1, 0
	s_mov_b32 s9, -1
	s_wait_loadcnt 0x0
	v_lshlrev_b32_e32 v3, 23, v1
	v_cmp_ne_u32_e32 vcc_lo, 0, v1
	s_delay_alu instid0(VALU_DEP_2) | instskip(NEXT) | instid1(VALU_DEP_1)
	v_trunc_f32_e32 v3, v3
	v_mul_f32_e64 v5, 0x2f800000, |v3|
	v_ashrrev_i32_e32 v22, 31, v3
	s_delay_alu instid0(VALU_DEP_2) | instskip(SKIP_1) | instid1(VALU_DEP_2)
	v_floor_f32_e32 v5, v5
	s_wait_xcnt 0x1
	v_mov_b32_e32 v23, v22
	s_delay_alu instid0(VALU_DEP_2) | instskip(SKIP_1) | instid1(VALU_DEP_2)
	v_fma_f32 v7, 0xcf800000, v5, |v3|
	v_cvt_u32_f32_e32 v3, v5
	v_cvt_u32_f32_e32 v5, v7
	s_delay_alu instid0(VALU_DEP_2) | instskip(NEXT) | instid1(VALU_DEP_2)
	v_xor_b32_e32 v27, v3, v22
	v_xor_b32_e32 v26, v5, v22
	s_delay_alu instid0(VALU_DEP_1) | instskip(NEXT) | instid1(VALU_DEP_1)
	v_sub_nc_u64_e32 v[22:23], v[26:27], v[22:23]
	v_dual_cndmask_b32 v23, 0, v23 :: v_dual_cndmask_b32 v22, 0, v22
.LBB71_1682:
	s_branch .LBB71_1687
.LBB71_1683:
	s_mov_b32 s1, -1
                                        ; implicit-def: $vgpr22_vgpr23
	s_branch .LBB71_1687
.LBB71_1684:
	s_cmp_eq_u32 s0, 29
	s_cbranch_scc0 .LBB71_1686
; %bb.1685:
	global_load_b64 v[22:23], v[24:25], off
	s_mov_b32 s1, 0
	s_mov_b32 s9, -1
	s_branch .LBB71_1687
.LBB71_1686:
	s_mov_b32 s1, -1
                                        ; implicit-def: $vgpr22_vgpr23
.LBB71_1687:
	s_branch .LBB71_1703
.LBB71_1688:
	s_cmp_lt_i32 s0, 27
	s_cbranch_scc1 .LBB71_1691
; %bb.1689:
	s_cmp_gt_i32 s0, 27
	s_cbranch_scc0 .LBB71_1692
; %bb.1690:
	s_wait_loadcnt 0x0
	global_load_b32 v22, v[24:25], off
	s_wait_xcnt 0x1
	v_mov_b32_e32 v23, 0
	s_mov_b32 s9, 0
	s_branch .LBB71_1693
.LBB71_1691:
	s_mov_b32 s9, -1
                                        ; implicit-def: $vgpr22_vgpr23
	s_branch .LBB71_1696
.LBB71_1692:
	s_mov_b32 s9, -1
                                        ; implicit-def: $vgpr22_vgpr23
.LBB71_1693:
	s_delay_alu instid0(SALU_CYCLE_1)
	s_and_not1_b32 vcc_lo, exec_lo, s9
	s_cbranch_vccnz .LBB71_1695
; %bb.1694:
	global_load_u16 v1, v[24:25], off
	s_mov_b32 s9, 0
	s_wait_loadcnt 0x1
	s_wait_xcnt 0x1
	v_mov_b32_e32 v23, s9
	s_wait_loadcnt 0x0
	v_and_b32_e32 v22, 0xffff, v1
.LBB71_1695:
	s_mov_b32 s9, 0
.LBB71_1696:
	s_delay_alu instid0(SALU_CYCLE_1)
	s_and_not1_b32 vcc_lo, exec_lo, s9
	s_cbranch_vccnz .LBB71_1702
; %bb.1697:
	global_load_u8 v1, v[24:25], off
	s_mov_b32 s13, 0
	s_mov_b32 s9, exec_lo
	s_wait_loadcnt 0x0
	v_cmpx_lt_i16_e32 0x7f, v1
	s_xor_b32 s9, exec_lo, s9
	s_cbranch_execz .LBB71_1713
; %bb.1698:
	v_cmp_ne_u16_e32 vcc_lo, 0x80, v1
	s_and_b32 s13, vcc_lo, exec_lo
	s_and_not1_saveexec_b32 s9, s9
	s_cbranch_execnz .LBB71_1714
.LBB71_1699:
	s_or_b32 exec_lo, exec_lo, s9
	v_mov_b64_e32 v[22:23], 0
	s_and_saveexec_b32 s9, s13
	s_cbranch_execz .LBB71_1701
.LBB71_1700:
	v_and_b32_e32 v3, 0xffff, v1
	s_delay_alu instid0(VALU_DEP_1) | instskip(SKIP_1) | instid1(VALU_DEP_2)
	v_dual_lshlrev_b32 v1, 24, v1 :: v_dual_bitop2_b32 v5, 7, v3 bitop3:0x40
	v_bfe_u32 v11, v3, 3, 4
	v_and_b32_e32 v1, 0x80000000, v1
	s_delay_alu instid0(VALU_DEP_3) | instskip(NEXT) | instid1(VALU_DEP_3)
	v_clz_i32_u32_e32 v7, v5
	v_cmp_eq_u32_e32 vcc_lo, 0, v11
	s_delay_alu instid0(VALU_DEP_2) | instskip(NEXT) | instid1(VALU_DEP_1)
	v_min_u32_e32 v7, 32, v7
	v_subrev_nc_u32_e32 v9, 28, v7
	v_sub_nc_u32_e32 v7, 29, v7
	s_delay_alu instid0(VALU_DEP_2) | instskip(NEXT) | instid1(VALU_DEP_2)
	v_lshlrev_b32_e32 v3, v9, v3
	v_cndmask_b32_e32 v7, v11, v7, vcc_lo
	s_delay_alu instid0(VALU_DEP_2) | instskip(NEXT) | instid1(VALU_DEP_1)
	v_and_b32_e32 v3, 7, v3
	v_cndmask_b32_e32 v3, v5, v3, vcc_lo
	s_delay_alu instid0(VALU_DEP_3) | instskip(NEXT) | instid1(VALU_DEP_2)
	v_lshl_add_u32 v5, v7, 23, 0x3b800000
	v_lshlrev_b32_e32 v3, 20, v3
	s_delay_alu instid0(VALU_DEP_1) | instskip(NEXT) | instid1(VALU_DEP_1)
	v_or3_b32 v1, v1, v5, v3
	v_trunc_f32_e32 v1, v1
	s_delay_alu instid0(VALU_DEP_1) | instskip(SKIP_1) | instid1(VALU_DEP_2)
	v_mul_f32_e64 v3, 0x2f800000, |v1|
	v_ashrrev_i32_e32 v22, 31, v1
	v_floor_f32_e32 v3, v3
	s_delay_alu instid0(VALU_DEP_2) | instskip(NEXT) | instid1(VALU_DEP_2)
	v_mov_b32_e32 v23, v22
	v_fma_f32 v5, 0xcf800000, v3, |v1|
	v_cvt_u32_f32_e32 v1, v3
	s_delay_alu instid0(VALU_DEP_2) | instskip(NEXT) | instid1(VALU_DEP_2)
	v_cvt_u32_f32_e32 v3, v5
	v_xor_b32_e32 v27, v1, v22
	s_delay_alu instid0(VALU_DEP_2) | instskip(NEXT) | instid1(VALU_DEP_1)
	v_xor_b32_e32 v26, v3, v22
	v_sub_nc_u64_e32 v[22:23], v[26:27], v[22:23]
.LBB71_1701:
	s_or_b32 exec_lo, exec_lo, s9
.LBB71_1702:
	s_mov_b32 s9, -1
.LBB71_1703:
	s_branch .LBB71_1733
.LBB71_1704:
	s_cmp_gt_i32 s0, 22
	s_cbranch_scc0 .LBB71_1712
; %bb.1705:
	s_cmp_lt_i32 s0, 24
	s_cbranch_scc1 .LBB71_1715
; %bb.1706:
	s_cmp_gt_i32 s0, 24
	s_cbranch_scc0 .LBB71_1716
; %bb.1707:
	global_load_u8 v1, v[24:25], off
	s_mov_b32 s9, 0
	s_mov_b32 s8, exec_lo
	s_wait_loadcnt 0x0
	v_cmpx_lt_i16_e32 0x7f, v1
	s_xor_b32 s8, exec_lo, s8
	s_cbranch_execz .LBB71_1727
; %bb.1708:
	v_cmp_ne_u16_e32 vcc_lo, 0x80, v1
	s_and_b32 s9, vcc_lo, exec_lo
	s_and_not1_saveexec_b32 s8, s8
	s_cbranch_execnz .LBB71_1728
.LBB71_1709:
	s_or_b32 exec_lo, exec_lo, s8
	v_mov_b64_e32 v[22:23], 0
	s_and_saveexec_b32 s8, s9
	s_cbranch_execz .LBB71_1711
.LBB71_1710:
	v_and_b32_e32 v3, 0xffff, v1
	s_delay_alu instid0(VALU_DEP_1) | instskip(SKIP_1) | instid1(VALU_DEP_2)
	v_dual_lshlrev_b32 v1, 24, v1 :: v_dual_bitop2_b32 v5, 3, v3 bitop3:0x40
	v_bfe_u32 v11, v3, 2, 5
	v_and_b32_e32 v1, 0x80000000, v1
	s_delay_alu instid0(VALU_DEP_3) | instskip(NEXT) | instid1(VALU_DEP_3)
	v_clz_i32_u32_e32 v7, v5
	v_cmp_eq_u32_e32 vcc_lo, 0, v11
	s_delay_alu instid0(VALU_DEP_2) | instskip(NEXT) | instid1(VALU_DEP_1)
	v_min_u32_e32 v7, 32, v7
	v_subrev_nc_u32_e32 v9, 29, v7
	v_sub_nc_u32_e32 v7, 30, v7
	s_delay_alu instid0(VALU_DEP_2) | instskip(NEXT) | instid1(VALU_DEP_2)
	v_lshlrev_b32_e32 v3, v9, v3
	v_cndmask_b32_e32 v7, v11, v7, vcc_lo
	s_delay_alu instid0(VALU_DEP_2) | instskip(NEXT) | instid1(VALU_DEP_1)
	v_and_b32_e32 v3, 3, v3
	v_cndmask_b32_e32 v3, v5, v3, vcc_lo
	s_delay_alu instid0(VALU_DEP_3) | instskip(NEXT) | instid1(VALU_DEP_2)
	v_lshl_add_u32 v5, v7, 23, 0x37800000
	v_lshlrev_b32_e32 v3, 21, v3
	s_delay_alu instid0(VALU_DEP_1) | instskip(NEXT) | instid1(VALU_DEP_1)
	v_or3_b32 v1, v1, v5, v3
	v_trunc_f32_e32 v1, v1
	s_delay_alu instid0(VALU_DEP_1) | instskip(SKIP_1) | instid1(VALU_DEP_2)
	v_mul_f32_e64 v3, 0x2f800000, |v1|
	v_ashrrev_i32_e32 v22, 31, v1
	v_floor_f32_e32 v3, v3
	s_delay_alu instid0(VALU_DEP_2) | instskip(NEXT) | instid1(VALU_DEP_2)
	v_mov_b32_e32 v23, v22
	v_fma_f32 v5, 0xcf800000, v3, |v1|
	v_cvt_u32_f32_e32 v1, v3
	s_delay_alu instid0(VALU_DEP_2) | instskip(NEXT) | instid1(VALU_DEP_2)
	v_cvt_u32_f32_e32 v3, v5
	v_xor_b32_e32 v27, v1, v22
	s_delay_alu instid0(VALU_DEP_2) | instskip(NEXT) | instid1(VALU_DEP_1)
	v_xor_b32_e32 v26, v3, v22
	v_sub_nc_u64_e32 v[22:23], v[26:27], v[22:23]
.LBB71_1711:
	s_or_b32 exec_lo, exec_lo, s8
	s_mov_b32 s8, 0
	s_branch .LBB71_1717
.LBB71_1712:
                                        ; implicit-def: $vgpr22_vgpr23
	s_mov_b32 s8, 0
	s_branch .LBB71_1723
.LBB71_1713:
	s_and_not1_saveexec_b32 s9, s9
	s_cbranch_execz .LBB71_1699
.LBB71_1714:
	v_cmp_ne_u16_e32 vcc_lo, 0, v1
	s_and_not1_b32 s13, s13, exec_lo
	s_and_b32 s14, vcc_lo, exec_lo
	s_delay_alu instid0(SALU_CYCLE_1)
	s_or_b32 s13, s13, s14
	s_or_b32 exec_lo, exec_lo, s9
	v_mov_b64_e32 v[22:23], 0
	s_and_saveexec_b32 s9, s13
	s_cbranch_execnz .LBB71_1700
	s_branch .LBB71_1701
.LBB71_1715:
	s_mov_b32 s8, -1
                                        ; implicit-def: $vgpr22_vgpr23
	s_branch .LBB71_1720
.LBB71_1716:
	s_mov_b32 s8, -1
                                        ; implicit-def: $vgpr22_vgpr23
.LBB71_1717:
	s_delay_alu instid0(SALU_CYCLE_1)
	s_and_b32 vcc_lo, exec_lo, s8
	s_cbranch_vccz .LBB71_1719
; %bb.1718:
	global_load_u8 v1, v[24:25], off
	s_wait_loadcnt 0x0
	v_lshlrev_b32_e32 v1, 24, v1
	s_delay_alu instid0(VALU_DEP_1) | instskip(NEXT) | instid1(VALU_DEP_1)
	v_and_b32_e32 v3, 0x7f000000, v1
	v_clz_i32_u32_e32 v5, v3
	v_add_nc_u32_e32 v9, 0x1000000, v3
	v_cmp_ne_u32_e32 vcc_lo, 0, v3
	s_delay_alu instid0(VALU_DEP_3) | instskip(NEXT) | instid1(VALU_DEP_1)
	v_min_u32_e32 v5, 32, v5
	v_sub_nc_u32_e64 v5, v5, 4 clamp
	s_delay_alu instid0(VALU_DEP_1) | instskip(NEXT) | instid1(VALU_DEP_1)
	v_dual_lshlrev_b32 v7, v5, v3 :: v_dual_lshlrev_b32 v5, 23, v5
	v_lshrrev_b32_e32 v7, 4, v7
	s_delay_alu instid0(VALU_DEP_1) | instskip(SKIP_1) | instid1(VALU_DEP_2)
	v_sub_nc_u32_e32 v5, v7, v5
	v_ashrrev_i32_e32 v7, 8, v9
	v_add_nc_u32_e32 v5, 0x3c000000, v5
	s_delay_alu instid0(VALU_DEP_1) | instskip(NEXT) | instid1(VALU_DEP_1)
	v_and_or_b32 v5, 0x7f800000, v7, v5
	v_cndmask_b32_e32 v3, 0, v5, vcc_lo
	s_delay_alu instid0(VALU_DEP_1) | instskip(NEXT) | instid1(VALU_DEP_1)
	v_and_or_b32 v1, 0x80000000, v1, v3
	v_trunc_f32_e32 v1, v1
	s_delay_alu instid0(VALU_DEP_1) | instskip(SKIP_1) | instid1(VALU_DEP_2)
	v_mul_f32_e64 v3, 0x2f800000, |v1|
	v_ashrrev_i32_e32 v22, 31, v1
	v_floor_f32_e32 v3, v3
	s_wait_xcnt 0x1
	s_delay_alu instid0(VALU_DEP_2) | instskip(NEXT) | instid1(VALU_DEP_2)
	v_mov_b32_e32 v23, v22
	v_fma_f32 v5, 0xcf800000, v3, |v1|
	v_cvt_u32_f32_e32 v1, v3
	s_delay_alu instid0(VALU_DEP_2) | instskip(NEXT) | instid1(VALU_DEP_2)
	v_cvt_u32_f32_e32 v3, v5
	v_xor_b32_e32 v27, v1, v22
	s_delay_alu instid0(VALU_DEP_2) | instskip(NEXT) | instid1(VALU_DEP_1)
	v_xor_b32_e32 v26, v3, v22
	v_sub_nc_u64_e32 v[22:23], v[26:27], v[22:23]
.LBB71_1719:
	s_mov_b32 s8, 0
.LBB71_1720:
	s_delay_alu instid0(SALU_CYCLE_1)
	s_and_not1_b32 vcc_lo, exec_lo, s8
	s_cbranch_vccnz .LBB71_1722
; %bb.1721:
	global_load_u8 v1, v[24:25], off
	s_wait_loadcnt 0x0
	v_lshlrev_b32_e32 v3, 25, v1
	v_lshlrev_b16 v1, 8, v1
	s_delay_alu instid0(VALU_DEP_1) | instskip(SKIP_1) | instid1(VALU_DEP_2)
	v_and_or_b32 v7, 0x7f00, v1, 0.5
	v_bfe_i32 v1, v1, 0, 16
	v_add_f32_e32 v7, -0.5, v7
	v_lshrrev_b32_e32 v5, 4, v3
	v_cmp_gt_u32_e32 vcc_lo, 0x8000000, v3
	s_delay_alu instid0(VALU_DEP_2) | instskip(NEXT) | instid1(VALU_DEP_1)
	v_or_b32_e32 v5, 0x70000000, v5
	v_mul_f32_e32 v5, 0x7800000, v5
	s_delay_alu instid0(VALU_DEP_1) | instskip(NEXT) | instid1(VALU_DEP_1)
	v_cndmask_b32_e32 v3, v5, v7, vcc_lo
	v_and_or_b32 v1, 0x80000000, v1, v3
	s_delay_alu instid0(VALU_DEP_1) | instskip(NEXT) | instid1(VALU_DEP_1)
	v_trunc_f32_e32 v1, v1
	v_mul_f32_e64 v3, 0x2f800000, |v1|
	v_ashrrev_i32_e32 v22, 31, v1
	s_delay_alu instid0(VALU_DEP_2) | instskip(SKIP_1) | instid1(VALU_DEP_2)
	v_floor_f32_e32 v3, v3
	s_wait_xcnt 0x1
	v_mov_b32_e32 v23, v22
	s_delay_alu instid0(VALU_DEP_2) | instskip(SKIP_1) | instid1(VALU_DEP_2)
	v_fma_f32 v5, 0xcf800000, v3, |v1|
	v_cvt_u32_f32_e32 v1, v3
	v_cvt_u32_f32_e32 v3, v5
	s_delay_alu instid0(VALU_DEP_2) | instskip(NEXT) | instid1(VALU_DEP_2)
	v_xor_b32_e32 v27, v1, v22
	v_xor_b32_e32 v26, v3, v22
	s_delay_alu instid0(VALU_DEP_1)
	v_sub_nc_u64_e32 v[22:23], v[26:27], v[22:23]
.LBB71_1722:
	s_mov_b32 s9, -1
	s_mov_b32 s8, 0
	s_cbranch_execnz .LBB71_1733
.LBB71_1723:
	s_cmp_gt_i32 s0, 14
	s_cbranch_scc0 .LBB71_1726
; %bb.1724:
	s_cmp_eq_u32 s0, 15
	s_cbranch_scc0 .LBB71_1729
; %bb.1725:
	global_load_u16 v1, v[24:25], off
	s_mov_b32 s1, 0
	s_mov_b32 s9, -1
	s_wait_loadcnt 0x0
	v_lshlrev_b32_e32 v1, 16, v1
	s_delay_alu instid0(VALU_DEP_1) | instskip(NEXT) | instid1(VALU_DEP_1)
	v_trunc_f32_e32 v1, v1
	v_mul_f32_e64 v3, 0x2f800000, |v1|
	v_ashrrev_i32_e32 v22, 31, v1
	s_delay_alu instid0(VALU_DEP_2) | instskip(SKIP_1) | instid1(VALU_DEP_2)
	v_floor_f32_e32 v3, v3
	s_wait_xcnt 0x1
	v_mov_b32_e32 v23, v22
	s_delay_alu instid0(VALU_DEP_2) | instskip(SKIP_1) | instid1(VALU_DEP_2)
	v_fma_f32 v5, 0xcf800000, v3, |v1|
	v_cvt_u32_f32_e32 v1, v3
	v_cvt_u32_f32_e32 v3, v5
	s_delay_alu instid0(VALU_DEP_2) | instskip(NEXT) | instid1(VALU_DEP_2)
	v_xor_b32_e32 v27, v1, v22
	v_xor_b32_e32 v26, v3, v22
	s_delay_alu instid0(VALU_DEP_1)
	v_sub_nc_u64_e32 v[22:23], v[26:27], v[22:23]
	s_branch .LBB71_1731
.LBB71_1726:
	s_mov_b32 s8, -1
	s_branch .LBB71_1730
.LBB71_1727:
	s_and_not1_saveexec_b32 s8, s8
	s_cbranch_execz .LBB71_1709
.LBB71_1728:
	v_cmp_ne_u16_e32 vcc_lo, 0, v1
	s_and_not1_b32 s9, s9, exec_lo
	s_and_b32 s13, vcc_lo, exec_lo
	s_delay_alu instid0(SALU_CYCLE_1)
	s_or_b32 s9, s9, s13
	s_or_b32 exec_lo, exec_lo, s8
	v_mov_b64_e32 v[22:23], 0
	s_and_saveexec_b32 s8, s9
	s_cbranch_execnz .LBB71_1710
	s_branch .LBB71_1711
.LBB71_1729:
	s_mov_b32 s1, -1
.LBB71_1730:
                                        ; implicit-def: $vgpr22_vgpr23
.LBB71_1731:
	s_and_b32 vcc_lo, exec_lo, s8
	s_mov_b32 s8, 0
	s_cbranch_vccz .LBB71_1733
; %bb.1732:
	s_cmp_lg_u32 s0, 11
	s_mov_b32 s8, -1
	s_cselect_b32 s1, -1, 0
.LBB71_1733:
	s_delay_alu instid0(SALU_CYCLE_1)
	s_and_b32 vcc_lo, exec_lo, s1
	s_mov_b32 s1, s10
	s_cbranch_vccnz .LBB71_1794
; %bb.1734:
	s_and_not1_b32 vcc_lo, exec_lo, s8
	s_cbranch_vccnz .LBB71_1736
.LBB71_1735:
	global_load_u8 v1, v[24:25], off
	s_mov_b32 s0, 0
	s_mov_b32 s9, -1
	s_wait_loadcnt 0x1
	s_wait_xcnt 0x1
	v_mov_b32_e32 v23, s0
	s_wait_loadcnt 0x0
	v_cmp_ne_u16_e32 vcc_lo, 0, v1
	v_cndmask_b32_e64 v22, 0, 1, vcc_lo
.LBB71_1736:
	s_branch .LBB71_1670
.LBB71_1737:
	s_and_b32 s0, 0xffff, s12
	s_delay_alu instid0(SALU_CYCLE_1)
	s_cmp_lt_i32 s0, 5
	s_cbranch_scc1 .LBB71_1742
; %bb.1738:
	s_cmp_lt_i32 s0, 8
	s_cbranch_scc1 .LBB71_1743
; %bb.1739:
	;; [unrolled: 3-line block ×3, first 2 shown]
	s_cmp_gt_i32 s0, 9
	s_cbranch_scc0 .LBB71_1745
; %bb.1741:
	s_wait_loadcnt 0x0
	global_load_b64 v[22:23], v[24:25], off
	s_mov_b32 s8, 0
	s_wait_loadcnt 0x0
	v_trunc_f64_e32 v[22:23], v[22:23]
	s_delay_alu instid0(VALU_DEP_1) | instskip(NEXT) | instid1(VALU_DEP_1)
	v_ldexp_f64 v[26:27], v[22:23], 0xffffffe0
	v_floor_f64_e32 v[26:27], v[26:27]
	s_delay_alu instid0(VALU_DEP_1) | instskip(SKIP_1) | instid1(VALU_DEP_2)
	v_fmamk_f64 v[28:29], v[26:27], 0xc1f00000, v[22:23]
	v_cvt_i32_f64_e32 v23, v[26:27]
	v_cvt_u32_f64_e32 v22, v[28:29]
	s_branch .LBB71_1746
.LBB71_1742:
                                        ; implicit-def: $vgpr22_vgpr23
	s_branch .LBB71_1763
.LBB71_1743:
                                        ; implicit-def: $vgpr22_vgpr23
	s_branch .LBB71_1752
.LBB71_1744:
	s_mov_b32 s8, -1
                                        ; implicit-def: $vgpr22_vgpr23
	s_branch .LBB71_1749
.LBB71_1745:
	s_mov_b32 s8, -1
                                        ; implicit-def: $vgpr22_vgpr23
.LBB71_1746:
	s_delay_alu instid0(SALU_CYCLE_1)
	s_and_not1_b32 vcc_lo, exec_lo, s8
	s_cbranch_vccnz .LBB71_1748
; %bb.1747:
	global_load_b32 v1, v[24:25], off
	s_wait_loadcnt 0x0
	v_trunc_f32_e32 v1, v1
	s_delay_alu instid0(VALU_DEP_1) | instskip(SKIP_1) | instid1(VALU_DEP_2)
	v_mul_f32_e64 v3, 0x2f800000, |v1|
	v_ashrrev_i32_e32 v22, 31, v1
	v_floor_f32_e32 v3, v3
	s_delay_alu instid0(VALU_DEP_1) | instskip(SKIP_3) | instid1(VALU_DEP_3)
	v_fma_f32 v5, 0xcf800000, v3, |v1|
	v_cvt_u32_f32_e32 v1, v3
	s_wait_xcnt 0x1
	v_mov_b32_e32 v23, v22
	v_cvt_u32_f32_e32 v3, v5
	s_delay_alu instid0(VALU_DEP_3) | instskip(NEXT) | instid1(VALU_DEP_2)
	v_xor_b32_e32 v27, v1, v22
	v_xor_b32_e32 v26, v3, v22
	s_delay_alu instid0(VALU_DEP_1)
	v_sub_nc_u64_e32 v[22:23], v[26:27], v[22:23]
.LBB71_1748:
	s_mov_b32 s8, 0
.LBB71_1749:
	s_delay_alu instid0(SALU_CYCLE_1)
	s_and_not1_b32 vcc_lo, exec_lo, s8
	s_cbranch_vccnz .LBB71_1751
; %bb.1750:
	global_load_b32 v1, v[24:25], off
	s_wait_loadcnt 0x0
	v_cvt_f32_f16_e32 v1, v1
	s_delay_alu instid0(VALU_DEP_1) | instskip(SKIP_1) | instid1(VALU_DEP_1)
	v_cvt_i32_f32_e32 v22, v1
	s_wait_xcnt 0x1
	v_ashrrev_i32_e32 v23, 31, v22
.LBB71_1751:
	s_cbranch_execnz .LBB71_1762
.LBB71_1752:
	s_cmp_lt_i32 s0, 6
	s_cbranch_scc1 .LBB71_1755
; %bb.1753:
	s_cmp_gt_i32 s0, 6
	s_cbranch_scc0 .LBB71_1756
; %bb.1754:
	s_wait_loadcnt 0x0
	global_load_b64 v[22:23], v[24:25], off
	s_mov_b32 s8, 0
	s_wait_loadcnt 0x0
	v_trunc_f64_e32 v[22:23], v[22:23]
	s_delay_alu instid0(VALU_DEP_1) | instskip(NEXT) | instid1(VALU_DEP_1)
	v_ldexp_f64 v[26:27], v[22:23], 0xffffffe0
	v_floor_f64_e32 v[26:27], v[26:27]
	s_delay_alu instid0(VALU_DEP_1) | instskip(SKIP_1) | instid1(VALU_DEP_2)
	v_fmamk_f64 v[28:29], v[26:27], 0xc1f00000, v[22:23]
	v_cvt_i32_f64_e32 v23, v[26:27]
	v_cvt_u32_f64_e32 v22, v[28:29]
	s_branch .LBB71_1757
.LBB71_1755:
	s_mov_b32 s8, -1
                                        ; implicit-def: $vgpr22_vgpr23
	s_branch .LBB71_1760
.LBB71_1756:
	s_mov_b32 s8, -1
                                        ; implicit-def: $vgpr22_vgpr23
.LBB71_1757:
	s_delay_alu instid0(SALU_CYCLE_1)
	s_and_not1_b32 vcc_lo, exec_lo, s8
	s_cbranch_vccnz .LBB71_1759
; %bb.1758:
	global_load_b32 v1, v[24:25], off
	s_wait_loadcnt 0x0
	v_trunc_f32_e32 v1, v1
	s_delay_alu instid0(VALU_DEP_1) | instskip(SKIP_1) | instid1(VALU_DEP_2)
	v_mul_f32_e64 v3, 0x2f800000, |v1|
	v_ashrrev_i32_e32 v22, 31, v1
	v_floor_f32_e32 v3, v3
	s_delay_alu instid0(VALU_DEP_1) | instskip(SKIP_3) | instid1(VALU_DEP_3)
	v_fma_f32 v5, 0xcf800000, v3, |v1|
	v_cvt_u32_f32_e32 v1, v3
	s_wait_xcnt 0x1
	v_mov_b32_e32 v23, v22
	v_cvt_u32_f32_e32 v3, v5
	s_delay_alu instid0(VALU_DEP_3) | instskip(NEXT) | instid1(VALU_DEP_2)
	v_xor_b32_e32 v27, v1, v22
	v_xor_b32_e32 v26, v3, v22
	s_delay_alu instid0(VALU_DEP_1)
	v_sub_nc_u64_e32 v[22:23], v[26:27], v[22:23]
.LBB71_1759:
	s_mov_b32 s8, 0
.LBB71_1760:
	s_delay_alu instid0(SALU_CYCLE_1)
	s_and_not1_b32 vcc_lo, exec_lo, s8
	s_cbranch_vccnz .LBB71_1762
; %bb.1761:
	global_load_u16 v1, v[24:25], off
	s_wait_loadcnt 0x0
	v_cvt_f32_f16_e32 v1, v1
	s_delay_alu instid0(VALU_DEP_1) | instskip(SKIP_1) | instid1(VALU_DEP_1)
	v_cvt_i32_f32_e32 v22, v1
	s_wait_xcnt 0x1
	v_ashrrev_i32_e32 v23, 31, v22
.LBB71_1762:
	s_cbranch_execnz .LBB71_1781
.LBB71_1763:
	s_cmp_lt_i32 s0, 2
	s_cbranch_scc1 .LBB71_1767
; %bb.1764:
	s_cmp_lt_i32 s0, 3
	s_cbranch_scc1 .LBB71_1768
; %bb.1765:
	s_cmp_gt_i32 s0, 3
	s_cbranch_scc0 .LBB71_1769
; %bb.1766:
	s_wait_loadcnt 0x0
	global_load_b64 v[22:23], v[24:25], off
	s_mov_b32 s8, 0
	s_branch .LBB71_1770
.LBB71_1767:
                                        ; implicit-def: $vgpr22_vgpr23
	s_branch .LBB71_1776
.LBB71_1768:
	s_mov_b32 s8, -1
                                        ; implicit-def: $vgpr22_vgpr23
	s_branch .LBB71_1773
.LBB71_1769:
	s_mov_b32 s8, -1
                                        ; implicit-def: $vgpr22_vgpr23
.LBB71_1770:
	s_delay_alu instid0(SALU_CYCLE_1)
	s_and_not1_b32 vcc_lo, exec_lo, s8
	s_cbranch_vccnz .LBB71_1772
; %bb.1771:
	s_wait_loadcnt 0x0
	global_load_b32 v22, v[24:25], off
	s_wait_loadcnt 0x0
	s_wait_xcnt 0x1
	v_ashrrev_i32_e32 v23, 31, v22
.LBB71_1772:
	s_mov_b32 s8, 0
.LBB71_1773:
	s_delay_alu instid0(SALU_CYCLE_1)
	s_and_not1_b32 vcc_lo, exec_lo, s8
	s_cbranch_vccnz .LBB71_1775
; %bb.1774:
	global_load_u16 v1, v[24:25], off
	s_wait_loadcnt 0x0
	v_bfe_i32 v22, v1, 0, 16
	s_wait_xcnt 0x1
	s_delay_alu instid0(VALU_DEP_1)
	v_ashrrev_i32_e32 v23, 31, v22
.LBB71_1775:
	s_cbranch_execnz .LBB71_1781
.LBB71_1776:
	s_cmp_gt_i32 s0, 0
	s_mov_b32 s0, 0
	s_cbranch_scc0 .LBB71_1778
; %bb.1777:
	global_load_i8 v1, v[24:25], off
	s_wait_loadcnt 0x0
	v_bfe_i32 v22, v1, 0, 16
	s_wait_xcnt 0x1
	s_delay_alu instid0(VALU_DEP_1)
	v_ashrrev_i32_e32 v23, 31, v22
	s_branch .LBB71_1779
.LBB71_1778:
	s_mov_b32 s0, -1
                                        ; implicit-def: $vgpr22_vgpr23
.LBB71_1779:
	s_delay_alu instid0(SALU_CYCLE_1)
	s_and_not1_b32 vcc_lo, exec_lo, s0
	s_cbranch_vccnz .LBB71_1781
; %bb.1780:
	global_load_u8 v1, v[24:25], off
	s_mov_b32 s0, 0
	s_wait_loadcnt 0x1
	s_wait_xcnt 0x1
	v_mov_b32_e32 v23, s0
	s_wait_loadcnt 0x0
	v_and_b32_e32 v22, 0xffff, v1
.LBB71_1781:
.LBB71_1782:
	v_mov_b32_e32 v11, 0
	s_load_b64 s[8:9], s[2:3], 0x198
	global_load_u8 v1, v11, s[2:3] offset:419
	s_wait_kmcnt 0x0
	v_add_nc_u64_e32 v[10:11], s[8:9], v[10:11]
	s_wait_loadcnt 0x0
	v_and_b32_e32 v3, 0xffff, v1
	v_readfirstlane_b32 s13, v1
	s_delay_alu instid0(VALU_DEP_2)
	v_cmp_gt_i32_e32 vcc_lo, 11, v3
	s_cbranch_vccnz .LBB71_1789
; %bb.1783:
	s_and_b32 s0, 0xffff, s13
	s_mov_b32 s15, 0
	s_cmp_gt_i32 s0, 25
	s_cbranch_scc0 .LBB71_1791
; %bb.1784:
	s_cmp_gt_i32 s0, 28
	s_cbranch_scc0 .LBB71_1792
; %bb.1785:
	;; [unrolled: 3-line block ×4, first 2 shown]
	s_cmp_eq_u32 s0, 46
	s_mov_b32 s17, 0
	s_cbranch_scc0 .LBB71_1798
; %bb.1788:
	global_load_b32 v1, v[10:11], off
	s_mov_b32 s14, 0
	s_mov_b32 s16, -1
	s_wait_loadcnt 0x0
	v_lshlrev_b32_e32 v1, 16, v1
	s_delay_alu instid0(VALU_DEP_1) | instskip(NEXT) | instid1(VALU_DEP_1)
	v_trunc_f32_e32 v1, v1
	v_mul_f32_e64 v3, 0x2f800000, |v1|
	v_ashrrev_i32_e32 v24, 31, v1
	s_delay_alu instid0(VALU_DEP_2) | instskip(NEXT) | instid1(VALU_DEP_2)
	v_floor_f32_e32 v3, v3
	v_mov_b32_e32 v25, v24
	s_delay_alu instid0(VALU_DEP_2) | instskip(SKIP_1) | instid1(VALU_DEP_2)
	v_fma_f32 v5, 0xcf800000, v3, |v1|
	v_cvt_u32_f32_e32 v1, v3
	v_cvt_u32_f32_e32 v3, v5
	s_delay_alu instid0(VALU_DEP_2) | instskip(NEXT) | instid1(VALU_DEP_2)
	v_xor_b32_e32 v27, v1, v24
	v_xor_b32_e32 v26, v3, v24
	s_delay_alu instid0(VALU_DEP_1)
	v_sub_nc_u64_e32 v[24:25], v[26:27], v[24:25]
	s_branch .LBB71_1800
.LBB71_1789:
	s_mov_b32 s16, 0
                                        ; implicit-def: $vgpr24_vgpr25
	s_cbranch_execnz .LBB71_1861
.LBB71_1790:
	s_and_not1_b32 vcc_lo, exec_lo, s16
	s_cbranch_vccnz .LBB71_2715
	s_branch .LBB71_1908
.LBB71_1791:
	s_mov_b32 s16, 0
	s_mov_b32 s14, 0
                                        ; implicit-def: $vgpr24_vgpr25
	s_cbranch_execnz .LBB71_1827
	s_branch .LBB71_1857
.LBB71_1792:
	s_mov_b32 s17, -1
	s_mov_b32 s16, 0
	s_mov_b32 s14, 0
                                        ; implicit-def: $vgpr24_vgpr25
	s_branch .LBB71_1810
.LBB71_1793:
	s_mov_b32 s17, -1
	s_mov_b32 s16, 0
	s_mov_b32 s14, 0
                                        ; implicit-def: $vgpr24_vgpr25
	s_branch .LBB71_1805
.LBB71_1794:
	s_or_b32 s1, s10, exec_lo
	s_trap 2
	s_cbranch_execz .LBB71_1735
	s_branch .LBB71_1736
.LBB71_1795:
	s_mov_b32 s17, -1
	s_mov_b32 s16, 0
	s_mov_b32 s14, 0
	s_branch .LBB71_1799
.LBB71_1796:
	s_and_not1_saveexec_b32 s10, s10
	s_cbranch_execz .LBB71_1542
.LBB71_1797:
	v_add_f32_e32 v0, 0x42800000, v1
	s_and_not1_b32 s9, s9, exec_lo
	s_delay_alu instid0(VALU_DEP_1) | instskip(NEXT) | instid1(VALU_DEP_1)
	v_and_b32_e32 v0, 0xff, v0
	v_cmp_ne_u32_e32 vcc_lo, 0, v0
	s_and_b32 s11, vcc_lo, exec_lo
	s_delay_alu instid0(SALU_CYCLE_1)
	s_or_b32 s9, s9, s11
	s_or_b32 exec_lo, exec_lo, s10
	v_mov_b32_e32 v2, 0
	s_and_saveexec_b32 s10, s9
	s_cbranch_execnz .LBB71_1543
	s_branch .LBB71_1544
.LBB71_1798:
	s_mov_b32 s14, -1
	s_mov_b32 s16, 0
.LBB71_1799:
                                        ; implicit-def: $vgpr24_vgpr25
.LBB71_1800:
	s_and_b32 vcc_lo, exec_lo, s17
	s_cbranch_vccz .LBB71_1804
; %bb.1801:
	s_cmp_eq_u32 s0, 44
	s_cbranch_scc0 .LBB71_1803
; %bb.1802:
	global_load_u8 v1, v[10:11], off
	s_mov_b32 s14, 0
	s_mov_b32 s16, -1
	s_wait_loadcnt 0x0
	v_lshlrev_b32_e32 v3, 23, v1
	v_cmp_ne_u32_e32 vcc_lo, 0, v1
	s_delay_alu instid0(VALU_DEP_2) | instskip(NEXT) | instid1(VALU_DEP_1)
	v_trunc_f32_e32 v3, v3
	v_mul_f32_e64 v5, 0x2f800000, |v3|
	v_ashrrev_i32_e32 v24, 31, v3
	s_delay_alu instid0(VALU_DEP_2) | instskip(NEXT) | instid1(VALU_DEP_2)
	v_floor_f32_e32 v5, v5
	v_mov_b32_e32 v25, v24
	s_delay_alu instid0(VALU_DEP_2) | instskip(SKIP_1) | instid1(VALU_DEP_2)
	v_fma_f32 v7, 0xcf800000, v5, |v3|
	v_cvt_u32_f32_e32 v3, v5
	v_cvt_u32_f32_e32 v5, v7
	s_delay_alu instid0(VALU_DEP_2) | instskip(NEXT) | instid1(VALU_DEP_2)
	v_xor_b32_e32 v27, v3, v24
	v_xor_b32_e32 v26, v5, v24
	s_delay_alu instid0(VALU_DEP_1) | instskip(NEXT) | instid1(VALU_DEP_1)
	v_sub_nc_u64_e32 v[24:25], v[26:27], v[24:25]
	v_dual_cndmask_b32 v25, 0, v25 :: v_dual_cndmask_b32 v24, 0, v24
	s_branch .LBB71_1804
.LBB71_1803:
	s_mov_b32 s14, -1
                                        ; implicit-def: $vgpr24_vgpr25
.LBB71_1804:
	s_mov_b32 s17, 0
.LBB71_1805:
	s_delay_alu instid0(SALU_CYCLE_1)
	s_and_b32 vcc_lo, exec_lo, s17
	s_cbranch_vccz .LBB71_1809
; %bb.1806:
	s_cmp_eq_u32 s0, 29
	s_cbranch_scc0 .LBB71_1808
; %bb.1807:
	global_load_b64 v[24:25], v[10:11], off
	s_mov_b32 s14, 0
	s_mov_b32 s16, -1
	s_branch .LBB71_1809
.LBB71_1808:
	s_mov_b32 s14, -1
                                        ; implicit-def: $vgpr24_vgpr25
.LBB71_1809:
	s_mov_b32 s17, 0
.LBB71_1810:
	s_delay_alu instid0(SALU_CYCLE_1)
	s_and_b32 vcc_lo, exec_lo, s17
	s_cbranch_vccz .LBB71_1826
; %bb.1811:
	s_cmp_lt_i32 s0, 27
	s_cbranch_scc1 .LBB71_1814
; %bb.1812:
	s_cmp_gt_i32 s0, 27
	s_cbranch_scc0 .LBB71_1815
; %bb.1813:
	s_wait_loadcnt 0x0
	global_load_b32 v24, v[10:11], off
	v_mov_b32_e32 v25, 0
	s_mov_b32 s16, 0
	s_branch .LBB71_1816
.LBB71_1814:
	s_mov_b32 s16, -1
                                        ; implicit-def: $vgpr24_vgpr25
	s_branch .LBB71_1819
.LBB71_1815:
	s_mov_b32 s16, -1
                                        ; implicit-def: $vgpr24_vgpr25
.LBB71_1816:
	s_delay_alu instid0(SALU_CYCLE_1)
	s_and_not1_b32 vcc_lo, exec_lo, s16
	s_cbranch_vccnz .LBB71_1818
; %bb.1817:
	global_load_u16 v1, v[10:11], off
	s_mov_b32 s16, 0
	s_wait_loadcnt 0x1
	v_mov_b32_e32 v25, s16
	s_wait_loadcnt 0x0
	v_and_b32_e32 v24, 0xffff, v1
.LBB71_1818:
	s_mov_b32 s16, 0
.LBB71_1819:
	s_delay_alu instid0(SALU_CYCLE_1)
	s_and_not1_b32 vcc_lo, exec_lo, s16
	s_cbranch_vccnz .LBB71_1825
; %bb.1820:
	global_load_u8 v1, v[10:11], off
	s_mov_b32 s17, 0
	s_mov_b32 s16, exec_lo
	s_wait_loadcnt 0x0
	v_cmpx_lt_i16_e32 0x7f, v1
	s_xor_b32 s16, exec_lo, s16
	s_cbranch_execz .LBB71_1836
; %bb.1821:
	v_cmp_ne_u16_e32 vcc_lo, 0x80, v1
	s_and_b32 s17, vcc_lo, exec_lo
	s_and_not1_saveexec_b32 s16, s16
	s_cbranch_execnz .LBB71_1837
.LBB71_1822:
	s_or_b32 exec_lo, exec_lo, s16
	v_mov_b64_e32 v[24:25], 0
	s_and_saveexec_b32 s16, s17
	s_cbranch_execz .LBB71_1824
.LBB71_1823:
	v_and_b32_e32 v3, 0xffff, v1
	s_delay_alu instid0(VALU_DEP_1) | instskip(SKIP_1) | instid1(VALU_DEP_2)
	v_dual_lshlrev_b32 v1, 24, v1 :: v_dual_bitop2_b32 v5, 7, v3 bitop3:0x40
	v_bfe_u32 v13, v3, 3, 4
	v_and_b32_e32 v1, 0x80000000, v1
	s_delay_alu instid0(VALU_DEP_3) | instskip(NEXT) | instid1(VALU_DEP_3)
	v_clz_i32_u32_e32 v7, v5
	v_cmp_eq_u32_e32 vcc_lo, 0, v13
	s_delay_alu instid0(VALU_DEP_2) | instskip(NEXT) | instid1(VALU_DEP_1)
	v_min_u32_e32 v7, 32, v7
	v_subrev_nc_u32_e32 v9, 28, v7
	v_sub_nc_u32_e32 v7, 29, v7
	s_delay_alu instid0(VALU_DEP_2) | instskip(NEXT) | instid1(VALU_DEP_2)
	v_lshlrev_b32_e32 v3, v9, v3
	v_cndmask_b32_e32 v7, v13, v7, vcc_lo
	s_delay_alu instid0(VALU_DEP_2) | instskip(NEXT) | instid1(VALU_DEP_1)
	v_and_b32_e32 v3, 7, v3
	v_cndmask_b32_e32 v3, v5, v3, vcc_lo
	s_delay_alu instid0(VALU_DEP_3) | instskip(NEXT) | instid1(VALU_DEP_2)
	v_lshl_add_u32 v5, v7, 23, 0x3b800000
	v_lshlrev_b32_e32 v3, 20, v3
	s_delay_alu instid0(VALU_DEP_1) | instskip(NEXT) | instid1(VALU_DEP_1)
	v_or3_b32 v1, v1, v5, v3
	v_trunc_f32_e32 v1, v1
	s_delay_alu instid0(VALU_DEP_1) | instskip(SKIP_1) | instid1(VALU_DEP_2)
	v_mul_f32_e64 v3, 0x2f800000, |v1|
	v_ashrrev_i32_e32 v24, 31, v1
	v_floor_f32_e32 v3, v3
	s_delay_alu instid0(VALU_DEP_2) | instskip(NEXT) | instid1(VALU_DEP_2)
	v_mov_b32_e32 v25, v24
	v_fma_f32 v5, 0xcf800000, v3, |v1|
	v_cvt_u32_f32_e32 v1, v3
	s_delay_alu instid0(VALU_DEP_2) | instskip(NEXT) | instid1(VALU_DEP_2)
	v_cvt_u32_f32_e32 v3, v5
	v_xor_b32_e32 v27, v1, v24
	s_delay_alu instid0(VALU_DEP_2) | instskip(NEXT) | instid1(VALU_DEP_1)
	v_xor_b32_e32 v26, v3, v24
	v_sub_nc_u64_e32 v[24:25], v[26:27], v[24:25]
.LBB71_1824:
	s_or_b32 exec_lo, exec_lo, s16
.LBB71_1825:
	s_mov_b32 s16, -1
.LBB71_1826:
	s_branch .LBB71_1857
.LBB71_1827:
	s_cmp_gt_i32 s0, 22
	s_cbranch_scc0 .LBB71_1835
; %bb.1828:
	s_cmp_lt_i32 s0, 24
	s_cbranch_scc1 .LBB71_1838
; %bb.1829:
	s_cmp_gt_i32 s0, 24
	s_cbranch_scc0 .LBB71_1839
; %bb.1830:
	global_load_u8 v1, v[10:11], off
	s_mov_b32 s16, 0
	s_mov_b32 s15, exec_lo
	s_wait_loadcnt 0x0
	v_cmpx_lt_i16_e32 0x7f, v1
	s_xor_b32 s15, exec_lo, s15
	s_cbranch_execz .LBB71_1851
; %bb.1831:
	v_cmp_ne_u16_e32 vcc_lo, 0x80, v1
	s_and_b32 s16, vcc_lo, exec_lo
	s_and_not1_saveexec_b32 s15, s15
	s_cbranch_execnz .LBB71_1852
.LBB71_1832:
	s_or_b32 exec_lo, exec_lo, s15
	v_mov_b64_e32 v[24:25], 0
	s_and_saveexec_b32 s15, s16
	s_cbranch_execz .LBB71_1834
.LBB71_1833:
	v_and_b32_e32 v3, 0xffff, v1
	s_delay_alu instid0(VALU_DEP_1) | instskip(SKIP_1) | instid1(VALU_DEP_2)
	v_dual_lshlrev_b32 v1, 24, v1 :: v_dual_bitop2_b32 v5, 3, v3 bitop3:0x40
	v_bfe_u32 v13, v3, 2, 5
	v_and_b32_e32 v1, 0x80000000, v1
	s_delay_alu instid0(VALU_DEP_3) | instskip(NEXT) | instid1(VALU_DEP_3)
	v_clz_i32_u32_e32 v7, v5
	v_cmp_eq_u32_e32 vcc_lo, 0, v13
	s_delay_alu instid0(VALU_DEP_2) | instskip(NEXT) | instid1(VALU_DEP_1)
	v_min_u32_e32 v7, 32, v7
	v_subrev_nc_u32_e32 v9, 29, v7
	v_sub_nc_u32_e32 v7, 30, v7
	s_delay_alu instid0(VALU_DEP_2) | instskip(NEXT) | instid1(VALU_DEP_2)
	v_lshlrev_b32_e32 v3, v9, v3
	v_cndmask_b32_e32 v7, v13, v7, vcc_lo
	s_delay_alu instid0(VALU_DEP_2) | instskip(NEXT) | instid1(VALU_DEP_1)
	v_and_b32_e32 v3, 3, v3
	v_cndmask_b32_e32 v3, v5, v3, vcc_lo
	s_delay_alu instid0(VALU_DEP_3) | instskip(NEXT) | instid1(VALU_DEP_2)
	v_lshl_add_u32 v5, v7, 23, 0x37800000
	v_lshlrev_b32_e32 v3, 21, v3
	s_delay_alu instid0(VALU_DEP_1) | instskip(NEXT) | instid1(VALU_DEP_1)
	v_or3_b32 v1, v1, v5, v3
	v_trunc_f32_e32 v1, v1
	s_delay_alu instid0(VALU_DEP_1) | instskip(SKIP_1) | instid1(VALU_DEP_2)
	v_mul_f32_e64 v3, 0x2f800000, |v1|
	v_ashrrev_i32_e32 v24, 31, v1
	v_floor_f32_e32 v3, v3
	s_delay_alu instid0(VALU_DEP_2) | instskip(NEXT) | instid1(VALU_DEP_2)
	v_mov_b32_e32 v25, v24
	v_fma_f32 v5, 0xcf800000, v3, |v1|
	v_cvt_u32_f32_e32 v1, v3
	s_delay_alu instid0(VALU_DEP_2) | instskip(NEXT) | instid1(VALU_DEP_2)
	v_cvt_u32_f32_e32 v3, v5
	v_xor_b32_e32 v27, v1, v24
	s_delay_alu instid0(VALU_DEP_2) | instskip(NEXT) | instid1(VALU_DEP_1)
	v_xor_b32_e32 v26, v3, v24
	v_sub_nc_u64_e32 v[24:25], v[26:27], v[24:25]
.LBB71_1834:
	s_or_b32 exec_lo, exec_lo, s15
	s_mov_b32 s15, 0
	s_branch .LBB71_1840
.LBB71_1835:
	s_mov_b32 s15, -1
                                        ; implicit-def: $vgpr24_vgpr25
	s_branch .LBB71_1846
.LBB71_1836:
	s_and_not1_saveexec_b32 s16, s16
	s_cbranch_execz .LBB71_1822
.LBB71_1837:
	v_cmp_ne_u16_e32 vcc_lo, 0, v1
	s_and_not1_b32 s17, s17, exec_lo
	s_and_b32 s18, vcc_lo, exec_lo
	s_delay_alu instid0(SALU_CYCLE_1)
	s_or_b32 s17, s17, s18
	s_or_b32 exec_lo, exec_lo, s16
	v_mov_b64_e32 v[24:25], 0
	s_and_saveexec_b32 s16, s17
	s_cbranch_execnz .LBB71_1823
	s_branch .LBB71_1824
.LBB71_1838:
	s_mov_b32 s15, -1
                                        ; implicit-def: $vgpr24_vgpr25
	s_branch .LBB71_1843
.LBB71_1839:
	s_mov_b32 s15, -1
                                        ; implicit-def: $vgpr24_vgpr25
.LBB71_1840:
	s_delay_alu instid0(SALU_CYCLE_1)
	s_and_b32 vcc_lo, exec_lo, s15
	s_cbranch_vccz .LBB71_1842
; %bb.1841:
	global_load_u8 v1, v[10:11], off
	s_wait_loadcnt 0x0
	v_lshlrev_b32_e32 v1, 24, v1
	s_delay_alu instid0(VALU_DEP_1) | instskip(NEXT) | instid1(VALU_DEP_1)
	v_and_b32_e32 v3, 0x7f000000, v1
	v_clz_i32_u32_e32 v5, v3
	v_add_nc_u32_e32 v9, 0x1000000, v3
	v_cmp_ne_u32_e32 vcc_lo, 0, v3
	s_delay_alu instid0(VALU_DEP_3) | instskip(NEXT) | instid1(VALU_DEP_1)
	v_min_u32_e32 v5, 32, v5
	v_sub_nc_u32_e64 v5, v5, 4 clamp
	s_delay_alu instid0(VALU_DEP_1) | instskip(NEXT) | instid1(VALU_DEP_1)
	v_dual_lshlrev_b32 v7, v5, v3 :: v_dual_lshlrev_b32 v5, 23, v5
	v_lshrrev_b32_e32 v7, 4, v7
	s_delay_alu instid0(VALU_DEP_1) | instskip(SKIP_1) | instid1(VALU_DEP_2)
	v_sub_nc_u32_e32 v5, v7, v5
	v_ashrrev_i32_e32 v7, 8, v9
	v_add_nc_u32_e32 v5, 0x3c000000, v5
	s_delay_alu instid0(VALU_DEP_1) | instskip(NEXT) | instid1(VALU_DEP_1)
	v_and_or_b32 v5, 0x7f800000, v7, v5
	v_cndmask_b32_e32 v3, 0, v5, vcc_lo
	s_delay_alu instid0(VALU_DEP_1) | instskip(NEXT) | instid1(VALU_DEP_1)
	v_and_or_b32 v1, 0x80000000, v1, v3
	v_trunc_f32_e32 v1, v1
	s_delay_alu instid0(VALU_DEP_1) | instskip(SKIP_1) | instid1(VALU_DEP_2)
	v_mul_f32_e64 v3, 0x2f800000, |v1|
	v_ashrrev_i32_e32 v24, 31, v1
	v_floor_f32_e32 v3, v3
	s_delay_alu instid0(VALU_DEP_2) | instskip(NEXT) | instid1(VALU_DEP_2)
	v_mov_b32_e32 v25, v24
	v_fma_f32 v5, 0xcf800000, v3, |v1|
	v_cvt_u32_f32_e32 v1, v3
	s_delay_alu instid0(VALU_DEP_2) | instskip(NEXT) | instid1(VALU_DEP_2)
	v_cvt_u32_f32_e32 v3, v5
	v_xor_b32_e32 v27, v1, v24
	s_delay_alu instid0(VALU_DEP_2) | instskip(NEXT) | instid1(VALU_DEP_1)
	v_xor_b32_e32 v26, v3, v24
	v_sub_nc_u64_e32 v[24:25], v[26:27], v[24:25]
.LBB71_1842:
	s_mov_b32 s15, 0
.LBB71_1843:
	s_delay_alu instid0(SALU_CYCLE_1)
	s_and_not1_b32 vcc_lo, exec_lo, s15
	s_cbranch_vccnz .LBB71_1845
; %bb.1844:
	global_load_u8 v1, v[10:11], off
	s_wait_loadcnt 0x0
	v_lshlrev_b32_e32 v3, 25, v1
	v_lshlrev_b16 v1, 8, v1
	s_delay_alu instid0(VALU_DEP_1) | instskip(SKIP_1) | instid1(VALU_DEP_2)
	v_and_or_b32 v7, 0x7f00, v1, 0.5
	v_bfe_i32 v1, v1, 0, 16
	v_add_f32_e32 v7, -0.5, v7
	v_lshrrev_b32_e32 v5, 4, v3
	v_cmp_gt_u32_e32 vcc_lo, 0x8000000, v3
	s_delay_alu instid0(VALU_DEP_2) | instskip(NEXT) | instid1(VALU_DEP_1)
	v_or_b32_e32 v5, 0x70000000, v5
	v_mul_f32_e32 v5, 0x7800000, v5
	s_delay_alu instid0(VALU_DEP_1) | instskip(NEXT) | instid1(VALU_DEP_1)
	v_cndmask_b32_e32 v3, v5, v7, vcc_lo
	v_and_or_b32 v1, 0x80000000, v1, v3
	s_delay_alu instid0(VALU_DEP_1) | instskip(NEXT) | instid1(VALU_DEP_1)
	v_trunc_f32_e32 v1, v1
	v_mul_f32_e64 v3, 0x2f800000, |v1|
	v_ashrrev_i32_e32 v24, 31, v1
	s_delay_alu instid0(VALU_DEP_2) | instskip(NEXT) | instid1(VALU_DEP_2)
	v_floor_f32_e32 v3, v3
	v_mov_b32_e32 v25, v24
	s_delay_alu instid0(VALU_DEP_2) | instskip(SKIP_1) | instid1(VALU_DEP_2)
	v_fma_f32 v5, 0xcf800000, v3, |v1|
	v_cvt_u32_f32_e32 v1, v3
	v_cvt_u32_f32_e32 v3, v5
	s_delay_alu instid0(VALU_DEP_2) | instskip(NEXT) | instid1(VALU_DEP_2)
	v_xor_b32_e32 v27, v1, v24
	v_xor_b32_e32 v26, v3, v24
	s_delay_alu instid0(VALU_DEP_1)
	v_sub_nc_u64_e32 v[24:25], v[26:27], v[24:25]
.LBB71_1845:
	s_mov_b32 s15, 0
	s_mov_b32 s16, -1
.LBB71_1846:
	s_and_not1_b32 vcc_lo, exec_lo, s15
	s_mov_b32 s15, 0
	s_cbranch_vccnz .LBB71_1857
; %bb.1847:
	s_cmp_gt_i32 s0, 14
	s_cbranch_scc0 .LBB71_1850
; %bb.1848:
	s_cmp_eq_u32 s0, 15
	s_cbranch_scc0 .LBB71_1853
; %bb.1849:
	global_load_u16 v1, v[10:11], off
	s_mov_b32 s14, 0
	s_mov_b32 s16, -1
	s_wait_loadcnt 0x0
	v_lshlrev_b32_e32 v1, 16, v1
	s_delay_alu instid0(VALU_DEP_1) | instskip(NEXT) | instid1(VALU_DEP_1)
	v_trunc_f32_e32 v1, v1
	v_mul_f32_e64 v3, 0x2f800000, |v1|
	v_ashrrev_i32_e32 v24, 31, v1
	s_delay_alu instid0(VALU_DEP_2) | instskip(NEXT) | instid1(VALU_DEP_2)
	v_floor_f32_e32 v3, v3
	v_mov_b32_e32 v25, v24
	s_delay_alu instid0(VALU_DEP_2) | instskip(SKIP_1) | instid1(VALU_DEP_2)
	v_fma_f32 v5, 0xcf800000, v3, |v1|
	v_cvt_u32_f32_e32 v1, v3
	v_cvt_u32_f32_e32 v3, v5
	s_delay_alu instid0(VALU_DEP_2) | instskip(NEXT) | instid1(VALU_DEP_2)
	v_xor_b32_e32 v27, v1, v24
	v_xor_b32_e32 v26, v3, v24
	s_delay_alu instid0(VALU_DEP_1)
	v_sub_nc_u64_e32 v[24:25], v[26:27], v[24:25]
	s_branch .LBB71_1855
.LBB71_1850:
	s_mov_b32 s15, -1
	s_branch .LBB71_1854
.LBB71_1851:
	s_and_not1_saveexec_b32 s15, s15
	s_cbranch_execz .LBB71_1832
.LBB71_1852:
	v_cmp_ne_u16_e32 vcc_lo, 0, v1
	s_and_not1_b32 s16, s16, exec_lo
	s_and_b32 s17, vcc_lo, exec_lo
	s_delay_alu instid0(SALU_CYCLE_1)
	s_or_b32 s16, s16, s17
	s_or_b32 exec_lo, exec_lo, s15
	v_mov_b64_e32 v[24:25], 0
	s_and_saveexec_b32 s15, s16
	s_cbranch_execnz .LBB71_1833
	s_branch .LBB71_1834
.LBB71_1853:
	s_mov_b32 s14, -1
.LBB71_1854:
                                        ; implicit-def: $vgpr24_vgpr25
.LBB71_1855:
	s_and_b32 vcc_lo, exec_lo, s15
	s_mov_b32 s15, 0
	s_cbranch_vccz .LBB71_1857
; %bb.1856:
	s_cmp_lg_u32 s0, 11
	s_mov_b32 s15, -1
	s_cselect_b32 s14, -1, 0
.LBB71_1857:
	s_delay_alu instid0(SALU_CYCLE_1)
	s_and_b32 vcc_lo, exec_lo, s14
	s_cbranch_vccnz .LBB71_1934
; %bb.1858:
	s_and_not1_b32 vcc_lo, exec_lo, s15
	s_cbranch_vccnz .LBB71_1860
.LBB71_1859:
	global_load_u8 v1, v[10:11], off
	s_mov_b32 s0, 0
	s_mov_b32 s16, -1
	s_wait_loadcnt 0x1
	v_mov_b32_e32 v25, s0
	s_wait_loadcnt 0x0
	v_cmp_ne_u16_e32 vcc_lo, 0, v1
	v_cndmask_b32_e64 v24, 0, 1, vcc_lo
.LBB71_1860:
	s_branch .LBB71_1790
.LBB71_1861:
	s_and_b32 s0, 0xffff, s13
	s_delay_alu instid0(SALU_CYCLE_1)
	s_cmp_lt_i32 s0, 5
	s_cbranch_scc1 .LBB71_1866
; %bb.1862:
	s_cmp_lt_i32 s0, 8
	s_cbranch_scc1 .LBB71_1867
; %bb.1863:
	;; [unrolled: 3-line block ×3, first 2 shown]
	s_cmp_gt_i32 s0, 9
	s_cbranch_scc0 .LBB71_1869
; %bb.1865:
	s_wait_loadcnt 0x0
	global_load_b64 v[24:25], v[10:11], off
	s_mov_b32 s14, 0
	s_wait_loadcnt 0x0
	v_trunc_f64_e32 v[24:25], v[24:25]
	s_delay_alu instid0(VALU_DEP_1) | instskip(NEXT) | instid1(VALU_DEP_1)
	v_ldexp_f64 v[26:27], v[24:25], 0xffffffe0
	v_floor_f64_e32 v[26:27], v[26:27]
	s_delay_alu instid0(VALU_DEP_1) | instskip(SKIP_1) | instid1(VALU_DEP_2)
	v_fmamk_f64 v[28:29], v[26:27], 0xc1f00000, v[24:25]
	v_cvt_i32_f64_e32 v25, v[26:27]
	v_cvt_u32_f64_e32 v24, v[28:29]
	s_branch .LBB71_1870
.LBB71_1866:
                                        ; implicit-def: $vgpr24_vgpr25
	s_branch .LBB71_1888
.LBB71_1867:
	s_mov_b32 s14, -1
                                        ; implicit-def: $vgpr24_vgpr25
	s_branch .LBB71_1876
.LBB71_1868:
	s_mov_b32 s14, -1
                                        ; implicit-def: $vgpr24_vgpr25
	s_branch .LBB71_1873
.LBB71_1869:
	s_mov_b32 s14, -1
                                        ; implicit-def: $vgpr24_vgpr25
.LBB71_1870:
	s_delay_alu instid0(SALU_CYCLE_1)
	s_and_not1_b32 vcc_lo, exec_lo, s14
	s_cbranch_vccnz .LBB71_1872
; %bb.1871:
	global_load_b32 v1, v[10:11], off
	s_wait_loadcnt 0x0
	v_trunc_f32_e32 v1, v1
	s_delay_alu instid0(VALU_DEP_1) | instskip(SKIP_1) | instid1(VALU_DEP_2)
	v_mul_f32_e64 v3, 0x2f800000, |v1|
	v_ashrrev_i32_e32 v24, 31, v1
	v_floor_f32_e32 v3, v3
	s_delay_alu instid0(VALU_DEP_1) | instskip(SKIP_1) | instid1(VALU_DEP_4)
	v_fma_f32 v5, 0xcf800000, v3, |v1|
	v_cvt_u32_f32_e32 v1, v3
	v_mov_b32_e32 v25, v24
	s_delay_alu instid0(VALU_DEP_3) | instskip(NEXT) | instid1(VALU_DEP_3)
	v_cvt_u32_f32_e32 v3, v5
	v_xor_b32_e32 v27, v1, v24
	s_delay_alu instid0(VALU_DEP_2) | instskip(NEXT) | instid1(VALU_DEP_1)
	v_xor_b32_e32 v26, v3, v24
	v_sub_nc_u64_e32 v[24:25], v[26:27], v[24:25]
.LBB71_1872:
	s_mov_b32 s14, 0
.LBB71_1873:
	s_delay_alu instid0(SALU_CYCLE_1)
	s_and_not1_b32 vcc_lo, exec_lo, s14
	s_cbranch_vccnz .LBB71_1875
; %bb.1874:
	global_load_b32 v1, v[10:11], off
	s_wait_loadcnt 0x0
	v_cvt_f32_f16_e32 v1, v1
	s_delay_alu instid0(VALU_DEP_1) | instskip(NEXT) | instid1(VALU_DEP_1)
	v_cvt_i32_f32_e32 v24, v1
	v_ashrrev_i32_e32 v25, 31, v24
.LBB71_1875:
	s_mov_b32 s14, 0
.LBB71_1876:
	s_delay_alu instid0(SALU_CYCLE_1)
	s_and_not1_b32 vcc_lo, exec_lo, s14
	s_cbranch_vccnz .LBB71_1887
; %bb.1877:
	s_cmp_lt_i32 s0, 6
	s_cbranch_scc1 .LBB71_1880
; %bb.1878:
	s_cmp_gt_i32 s0, 6
	s_cbranch_scc0 .LBB71_1881
; %bb.1879:
	s_wait_loadcnt 0x0
	global_load_b64 v[24:25], v[10:11], off
	s_mov_b32 s14, 0
	s_wait_loadcnt 0x0
	v_trunc_f64_e32 v[24:25], v[24:25]
	s_delay_alu instid0(VALU_DEP_1) | instskip(NEXT) | instid1(VALU_DEP_1)
	v_ldexp_f64 v[26:27], v[24:25], 0xffffffe0
	v_floor_f64_e32 v[26:27], v[26:27]
	s_delay_alu instid0(VALU_DEP_1) | instskip(SKIP_1) | instid1(VALU_DEP_2)
	v_fmamk_f64 v[28:29], v[26:27], 0xc1f00000, v[24:25]
	v_cvt_i32_f64_e32 v25, v[26:27]
	v_cvt_u32_f64_e32 v24, v[28:29]
	s_branch .LBB71_1882
.LBB71_1880:
	s_mov_b32 s14, -1
                                        ; implicit-def: $vgpr24_vgpr25
	s_branch .LBB71_1885
.LBB71_1881:
	s_mov_b32 s14, -1
                                        ; implicit-def: $vgpr24_vgpr25
.LBB71_1882:
	s_delay_alu instid0(SALU_CYCLE_1)
	s_and_not1_b32 vcc_lo, exec_lo, s14
	s_cbranch_vccnz .LBB71_1884
; %bb.1883:
	global_load_b32 v1, v[10:11], off
	s_wait_loadcnt 0x0
	v_trunc_f32_e32 v1, v1
	s_delay_alu instid0(VALU_DEP_1) | instskip(SKIP_1) | instid1(VALU_DEP_2)
	v_mul_f32_e64 v3, 0x2f800000, |v1|
	v_ashrrev_i32_e32 v24, 31, v1
	v_floor_f32_e32 v3, v3
	s_delay_alu instid0(VALU_DEP_1) | instskip(SKIP_1) | instid1(VALU_DEP_4)
	v_fma_f32 v5, 0xcf800000, v3, |v1|
	v_cvt_u32_f32_e32 v1, v3
	v_mov_b32_e32 v25, v24
	s_delay_alu instid0(VALU_DEP_3) | instskip(NEXT) | instid1(VALU_DEP_3)
	v_cvt_u32_f32_e32 v3, v5
	v_xor_b32_e32 v27, v1, v24
	s_delay_alu instid0(VALU_DEP_2) | instskip(NEXT) | instid1(VALU_DEP_1)
	v_xor_b32_e32 v26, v3, v24
	v_sub_nc_u64_e32 v[24:25], v[26:27], v[24:25]
.LBB71_1884:
	s_mov_b32 s14, 0
.LBB71_1885:
	s_delay_alu instid0(SALU_CYCLE_1)
	s_and_not1_b32 vcc_lo, exec_lo, s14
	s_cbranch_vccnz .LBB71_1887
; %bb.1886:
	global_load_u16 v1, v[10:11], off
	s_wait_loadcnt 0x0
	v_cvt_f32_f16_e32 v1, v1
	s_delay_alu instid0(VALU_DEP_1) | instskip(NEXT) | instid1(VALU_DEP_1)
	v_cvt_i32_f32_e32 v24, v1
	v_ashrrev_i32_e32 v25, 31, v24
.LBB71_1887:
	s_cbranch_execnz .LBB71_1907
.LBB71_1888:
	s_cmp_lt_i32 s0, 2
	s_cbranch_scc1 .LBB71_1892
; %bb.1889:
	s_cmp_lt_i32 s0, 3
	s_cbranch_scc1 .LBB71_1893
; %bb.1890:
	s_cmp_gt_i32 s0, 3
	s_cbranch_scc0 .LBB71_1894
; %bb.1891:
	s_wait_loadcnt 0x0
	global_load_b64 v[24:25], v[10:11], off
	s_mov_b32 s14, 0
	s_branch .LBB71_1895
.LBB71_1892:
	s_mov_b32 s14, -1
                                        ; implicit-def: $vgpr24_vgpr25
	s_branch .LBB71_1901
.LBB71_1893:
	s_mov_b32 s14, -1
                                        ; implicit-def: $vgpr24_vgpr25
	s_branch .LBB71_1898
.LBB71_1894:
	s_mov_b32 s14, -1
                                        ; implicit-def: $vgpr24_vgpr25
.LBB71_1895:
	s_delay_alu instid0(SALU_CYCLE_1)
	s_and_not1_b32 vcc_lo, exec_lo, s14
	s_cbranch_vccnz .LBB71_1897
; %bb.1896:
	s_wait_loadcnt 0x0
	global_load_b32 v24, v[10:11], off
	s_wait_loadcnt 0x0
	v_ashrrev_i32_e32 v25, 31, v24
.LBB71_1897:
	s_mov_b32 s14, 0
.LBB71_1898:
	s_delay_alu instid0(SALU_CYCLE_1)
	s_and_not1_b32 vcc_lo, exec_lo, s14
	s_cbranch_vccnz .LBB71_1900
; %bb.1899:
	global_load_u16 v1, v[10:11], off
	s_wait_loadcnt 0x0
	v_bfe_i32 v24, v1, 0, 16
	s_delay_alu instid0(VALU_DEP_1)
	v_ashrrev_i32_e32 v25, 31, v24
.LBB71_1900:
	s_mov_b32 s14, 0
.LBB71_1901:
	s_delay_alu instid0(SALU_CYCLE_1)
	s_and_not1_b32 vcc_lo, exec_lo, s14
	s_cbranch_vccnz .LBB71_1907
; %bb.1902:
	s_cmp_gt_i32 s0, 0
	s_mov_b32 s0, 0
	s_cbranch_scc0 .LBB71_1904
; %bb.1903:
	global_load_i8 v1, v[10:11], off
	s_wait_loadcnt 0x0
	v_bfe_i32 v24, v1, 0, 16
	s_delay_alu instid0(VALU_DEP_1)
	v_ashrrev_i32_e32 v25, 31, v24
	s_branch .LBB71_1905
.LBB71_1904:
	s_mov_b32 s0, -1
                                        ; implicit-def: $vgpr24_vgpr25
.LBB71_1905:
	s_delay_alu instid0(SALU_CYCLE_1)
	s_and_not1_b32 vcc_lo, exec_lo, s0
	s_cbranch_vccnz .LBB71_1907
; %bb.1906:
	global_load_u8 v1, v[10:11], off
	s_mov_b32 s0, 0
	s_wait_loadcnt 0x1
	v_mov_b32_e32 v25, s0
	s_wait_loadcnt 0x0
	v_and_b32_e32 v24, 0xffff, v1
.LBB71_1907:
.LBB71_1908:
	s_wait_loadcnt 0x0
	s_delay_alu instid0(VALU_DEP_1) | instskip(SKIP_1) | instid1(VALU_DEP_1)
	v_sub_nc_u64_e32 v[10:11], 0, v[24:25]
	s_mov_b32 s14, exec_lo
	v_max_i64 v[26:27], v[24:25], v[10:11]
	v_cmpx_ne_u64_e32 0, v[22:23]
	s_cbranch_execz .LBB71_1916
; %bb.1909:
	v_sub_nc_u64_e32 v[10:11], 0, v[22:23]
	s_mov_b32 s15, 0
	s_delay_alu instid0(VALU_DEP_1)
	v_max_i64 v[30:31], v[22:23], v[10:11]
	v_mov_b32_e32 v10, 0
	s_branch .LBB71_1911
.LBB71_1910:                            ;   in Loop: Header=BB71_1911 Depth=1
	s_or_b32 exec_lo, exec_lo, s0
	s_delay_alu instid0(VALU_DEP_1) | instskip(SKIP_2) | instid1(SALU_CYCLE_1)
	v_cmp_eq_u64_e32 vcc_lo, 0, v[30:31]
	v_mov_b64_e32 v[26:27], v[28:29]
	s_or_b32 s15, vcc_lo, s15
	s_and_not1_b32 exec_lo, exec_lo, s15
	s_cbranch_execz .LBB71_1915
.LBB71_1911:                            ; =>This Inner Loop Header: Depth=1
	s_delay_alu instid0(VALU_DEP_2) | instskip(SKIP_1) | instid1(VALU_DEP_1)
	v_mov_b64_e32 v[28:29], v[30:31]
                                        ; implicit-def: $vgpr30_vgpr31
	s_mov_b32 s0, exec_lo
	v_or_b32_e32 v11, v27, v29
	s_delay_alu instid0(VALU_DEP_1)
	v_cmpx_ne_u64_e32 0, v[10:11]
	s_xor_b32 s16, exec_lo, s0
	s_cbranch_execz .LBB71_1913
; %bb.1912:                             ;   in Loop: Header=BB71_1911 Depth=1
	s_delay_alu instid0(VALU_DEP_3) | instskip(SKIP_4) | instid1(VALU_DEP_4)
	v_cvt_f32_u32_e32 v1, v28
	v_cvt_f32_u32_e32 v3, v29
	v_sub_nc_u64_e32 v[32:33], 0, v[28:29]
	v_dual_mov_b32 v31, v10 :: v_dual_mov_b32 v39, v10
	v_mov_b32_e32 v41, v10
	v_fmac_f32_e32 v1, 0x4f800000, v3
	s_delay_alu instid0(VALU_DEP_1) | instskip(SKIP_1) | instid1(TRANS32_DEP_1)
	v_rcp_f32_e32 v1, v1
	v_nop
	v_mul_f32_e32 v1, 0x5f7ffffc, v1
	s_delay_alu instid0(VALU_DEP_1) | instskip(NEXT) | instid1(VALU_DEP_1)
	v_mul_f32_e32 v3, 0x2f800000, v1
	v_trunc_f32_e32 v3, v3
	s_delay_alu instid0(VALU_DEP_1) | instskip(SKIP_1) | instid1(VALU_DEP_2)
	v_fmac_f32_e32 v1, 0xcf800000, v3
	v_cvt_u32_f32_e32 v35, v3
	v_cvt_u32_f32_e32 v30, v1
	s_delay_alu instid0(VALU_DEP_1) | instskip(NEXT) | instid1(VALU_DEP_1)
	v_dual_mov_b32 v40, v35 :: v_dual_mov_b32 v34, v30
	v_mul_u64_e32 v[36:37], v[32:33], v[34:35]
	s_delay_alu instid0(VALU_DEP_1) | instskip(NEXT) | instid1(VALU_DEP_1)
	v_dual_mov_b32 v38, v37 :: v_dual_mov_b32 v37, v10
	v_mul_u64_e32 v[42:43], v[30:31], v[38:39]
	s_delay_alu instid0(VALU_DEP_2) | instskip(SKIP_2) | instid1(VALU_DEP_1)
	v_mul_u64_e32 v[44:45], v[40:41], v[36:37]
	v_mul_u64_e32 v[38:39], v[40:41], v[38:39]
	v_mul_hi_u32 v36, v30, v36
	v_add_nc_u64_e32 v[36:37], v[36:37], v[42:43]
	s_delay_alu instid0(VALU_DEP_1) | instskip(NEXT) | instid1(VALU_DEP_2)
	v_add_co_u32 v1, vcc_lo, v36, v44
	v_add_co_ci_u32_e32 v40, vcc_lo, v37, v45, vcc_lo
	v_add_co_ci_u32_e32 v39, vcc_lo, 0, v39, vcc_lo
	s_delay_alu instid0(VALU_DEP_1) | instskip(NEXT) | instid1(VALU_DEP_1)
	v_add_nc_u64_e32 v[36:37], v[40:41], v[38:39]
	v_add_co_u32 v30, vcc_lo, v30, v36
	s_delay_alu instid0(VALU_DEP_1) | instskip(SKIP_1) | instid1(VALU_DEP_2)
	v_add_co_ci_u32_e64 v34, null, v35, v37, vcc_lo
	v_dual_mov_b32 v37, v10 :: v_dual_mov_b32 v35, v10
	v_mov_b32_e32 v31, v34
	s_delay_alu instid0(VALU_DEP_1) | instskip(NEXT) | instid1(VALU_DEP_1)
	v_mul_u64_e32 v[32:33], v[32:33], v[30:31]
	v_dual_mov_b32 v31, v10 :: v_dual_mov_b32 v36, v33
	s_delay_alu instid0(VALU_DEP_2) | instskip(SKIP_1) | instid1(VALU_DEP_3)
	v_dual_mov_b32 v40, v32 :: v_dual_mov_b32 v33, v10
	v_mul_hi_u32 v32, v30, v32
	v_mul_u64_e32 v[38:39], v[30:31], v[36:37]
	s_delay_alu instid0(VALU_DEP_3) | instskip(SKIP_1) | instid1(VALU_DEP_3)
	v_mul_u64_e32 v[40:41], v[34:35], v[40:41]
	v_mul_u64_e32 v[36:37], v[34:35], v[36:37]
	v_add_nc_u64_e32 v[32:33], v[32:33], v[38:39]
	v_mov_b32_e32 v39, v10
	s_delay_alu instid0(VALU_DEP_2) | instskip(NEXT) | instid1(VALU_DEP_3)
	v_add_co_u32 v1, vcc_lo, v32, v40
	v_add_co_ci_u32_e32 v38, vcc_lo, v33, v41, vcc_lo
	v_add_co_ci_u32_e32 v37, vcc_lo, 0, v37, vcc_lo
	s_delay_alu instid0(VALU_DEP_1) | instskip(SKIP_1) | instid1(VALU_DEP_2)
	v_add_nc_u64_e32 v[32:33], v[38:39], v[36:37]
	v_dual_mov_b32 v36, v26 :: v_dual_mov_b32 v37, v10
	v_add_co_u32 v32, vcc_lo, v30, v32
	s_delay_alu instid0(VALU_DEP_1) | instskip(SKIP_1) | instid1(VALU_DEP_2)
	v_add_co_ci_u32_e64 v30, null, v34, v33, vcc_lo
	v_dual_mov_b32 v34, v27 :: v_dual_mov_b32 v33, v10
	v_mul_u64_e32 v[36:37], v[36:37], v[30:31]
	s_delay_alu instid0(VALU_DEP_2) | instskip(NEXT) | instid1(VALU_DEP_3)
	v_mul_u64_e32 v[30:31], v[34:35], v[30:31]
	v_mul_u64_e32 v[38:39], v[34:35], v[32:33]
	v_mul_hi_u32 v32, v26, v32
	s_delay_alu instid0(VALU_DEP_1) | instskip(NEXT) | instid1(VALU_DEP_1)
	v_add_nc_u64_e32 v[32:33], v[32:33], v[36:37]
	v_add_co_u32 v1, vcc_lo, v32, v38
	s_delay_alu instid0(VALU_DEP_2) | instskip(SKIP_1) | instid1(VALU_DEP_1)
	v_add_co_ci_u32_e32 v34, vcc_lo, v33, v39, vcc_lo
	v_add_co_ci_u32_e32 v31, vcc_lo, 0, v31, vcc_lo
	v_add_nc_u64_e32 v[30:31], v[34:35], v[30:31]
	s_delay_alu instid0(VALU_DEP_1) | instskip(NEXT) | instid1(VALU_DEP_1)
	v_mul_u64_e32 v[30:31], v[28:29], v[30:31]
	v_sub_nc_u32_e32 v1, v27, v31
	s_delay_alu instid0(VALU_DEP_2) | instskip(NEXT) | instid1(VALU_DEP_1)
	v_sub_co_u32 v3, vcc_lo, v26, v30
	v_sub_co_ci_u32_e64 v5, null, v27, v31, vcc_lo
	s_delay_alu instid0(VALU_DEP_3) | instskip(NEXT) | instid1(VALU_DEP_3)
	v_sub_co_ci_u32_e64 v1, null, v1, v29, vcc_lo
	v_sub_co_u32 v7, vcc_lo, v3, v28
	v_cmp_ge_u32_e64 s0, v3, v28
	s_delay_alu instid0(VALU_DEP_3) | instskip(SKIP_1) | instid1(VALU_DEP_3)
	v_subrev_co_ci_u32_e64 v9, null, 0, v1, vcc_lo
	v_sub_co_ci_u32_e64 v1, null, v1, v29, vcc_lo
	v_cndmask_b32_e64 v11, 0, -1, s0
	v_cmp_ge_u32_e64 s0, v7, v28
	v_cmp_ge_u32_e32 vcc_lo, v5, v29
                                        ; implicit-def: $vgpr26_vgpr27
	s_delay_alu instid0(VALU_DEP_2) | instskip(SKIP_3) | instid1(VALU_DEP_3)
	v_cndmask_b32_e64 v13, 0, -1, s0
	v_cmp_ge_u32_e64 s0, v9, v29
	v_cndmask_b32_e64 v17, 0, -1, vcc_lo
	v_cmp_eq_u32_e32 vcc_lo, v9, v29
	v_cndmask_b32_e64 v15, 0, -1, s0
	v_cmp_eq_u32_e64 s0, v5, v29
	s_delay_alu instid0(VALU_DEP_1) | instskip(SKIP_1) | instid1(VALU_DEP_1)
	v_dual_cndmask_b32 v13, v15, v13, vcc_lo :: v_dual_cndmask_b32 v11, v17, v11, s0
	v_sub_co_u32 v15, vcc_lo, v7, v28
	v_subrev_co_ci_u32_e64 v1, null, 0, v1, vcc_lo
	s_delay_alu instid0(VALU_DEP_3) | instskip(NEXT) | instid1(VALU_DEP_2)
	v_cmp_ne_u32_e32 vcc_lo, 0, v13
	v_dual_cndmask_b32 v1, v9, v1, vcc_lo :: v_dual_cndmask_b32 v7, v7, v15, vcc_lo
	v_cmp_ne_u32_e32 vcc_lo, 0, v11
	s_delay_alu instid0(VALU_DEP_2)
	v_dual_cndmask_b32 v31, v5, v1 :: v_dual_cndmask_b32 v30, v3, v7
.LBB71_1913:                            ;   in Loop: Header=BB71_1911 Depth=1
	s_and_not1_saveexec_b32 s0, s16
	s_cbranch_execz .LBB71_1910
; %bb.1914:                             ;   in Loop: Header=BB71_1911 Depth=1
	v_cvt_f32_u32_e32 v1, v28
	v_dual_sub_nc_u32 v3, 0, v28 :: v_dual_mov_b32 v31, v10
	s_delay_alu instid0(VALU_DEP_2) | instskip(SKIP_1) | instid1(TRANS32_DEP_1)
	v_rcp_iflag_f32_e32 v1, v1
	v_nop
	v_mul_f32_e32 v1, 0x4f7ffffe, v1
	s_delay_alu instid0(VALU_DEP_1) | instskip(NEXT) | instid1(VALU_DEP_1)
	v_cvt_u32_f32_e32 v1, v1
	v_mul_lo_u32 v3, v3, v1
	s_delay_alu instid0(VALU_DEP_1) | instskip(NEXT) | instid1(VALU_DEP_1)
	v_mul_hi_u32 v3, v1, v3
	v_add_nc_u32_e32 v1, v1, v3
	s_delay_alu instid0(VALU_DEP_1) | instskip(NEXT) | instid1(VALU_DEP_1)
	v_mul_hi_u32 v1, v26, v1
	v_mul_lo_u32 v1, v1, v28
	s_delay_alu instid0(VALU_DEP_1) | instskip(NEXT) | instid1(VALU_DEP_1)
	v_sub_nc_u32_e32 v1, v26, v1
	v_sub_nc_u32_e32 v3, v1, v28
	v_cmp_ge_u32_e32 vcc_lo, v1, v28
	s_delay_alu instid0(VALU_DEP_2) | instskip(NEXT) | instid1(VALU_DEP_1)
	v_cndmask_b32_e32 v1, v1, v3, vcc_lo
	v_sub_nc_u32_e32 v3, v1, v28
	v_cmp_ge_u32_e32 vcc_lo, v1, v28
	s_delay_alu instid0(VALU_DEP_2)
	v_cndmask_b32_e32 v30, v1, v3, vcc_lo
	s_branch .LBB71_1910
.LBB71_1915:
	s_or_b32 exec_lo, exec_lo, s15
	v_mov_b64_e32 v[26:27], v[28:29]
.LBB71_1916:
	s_or_b32 exec_lo, exec_lo, s14
	v_mov_b64_e32 v[10:11], 0
	s_mov_b32 s14, exec_lo
	s_delay_alu instid0(VALU_DEP_2)
	v_cmpx_ne_u64_e32 0, v[26:27]
	s_cbranch_execz .LBB71_1922
; %bb.1917:
	v_dual_mov_b32 v10, 0 :: v_dual_bitop2_b32 v11, v23, v27 bitop3:0x54
                                        ; implicit-def: $vgpr28_vgpr29
	s_mov_b32 s0, exec_lo
	s_delay_alu instid0(VALU_DEP_1)
	v_cmpx_ne_u64_e32 0, v[10:11]
	s_xor_b32 s15, exec_lo, s0
	s_cbranch_execz .LBB71_1919
; %bb.1918:
	v_dual_mov_b32 v31, v10 :: v_dual_ashrrev_i32 v28, 31, v27
	v_dual_mov_b32 v39, v10 :: v_dual_mov_b32 v41, v10
	s_delay_alu instid0(VALU_DEP_2) | instskip(NEXT) | instid1(VALU_DEP_1)
	v_dual_mov_b32 v11, v10 :: v_dual_mov_b32 v29, v28
	v_add_nc_u64_e32 v[26:27], v[26:27], v[28:29]
	s_delay_alu instid0(VALU_DEP_1) | instskip(NEXT) | instid1(VALU_DEP_2)
	v_xor_b32_e32 v26, v26, v28
	v_xor_b32_e32 v27, v27, v28
	s_delay_alu instid0(VALU_DEP_2) | instskip(NEXT) | instid1(VALU_DEP_2)
	v_cvt_f32_u32_e32 v1, v26
	v_cvt_f32_u32_e32 v3, v27
	s_delay_alu instid0(VALU_DEP_1) | instskip(NEXT) | instid1(VALU_DEP_1)
	v_fmamk_f32 v1, v3, 0x4f800000, v1
	v_rcp_f32_e32 v1, v1
	v_nop
	s_delay_alu instid0(TRANS32_DEP_1) | instskip(NEXT) | instid1(VALU_DEP_1)
	v_mul_f32_e32 v1, 0x5f7ffffc, v1
	v_mul_f32_e32 v3, 0x2f800000, v1
	s_delay_alu instid0(VALU_DEP_1) | instskip(NEXT) | instid1(VALU_DEP_1)
	v_trunc_f32_e32 v3, v3
	v_fmamk_f32 v1, v3, 0xcf800000, v1
	v_cvt_u32_f32_e32 v35, v3
	s_delay_alu instid0(VALU_DEP_2) | instskip(NEXT) | instid1(VALU_DEP_1)
	v_cvt_u32_f32_e32 v30, v1
	v_dual_mov_b32 v40, v35 :: v_dual_mov_b32 v34, v30
	v_sub_nc_u64_e32 v[32:33], 0, v[26:27]
	s_delay_alu instid0(VALU_DEP_1) | instskip(NEXT) | instid1(VALU_DEP_1)
	v_mul_u64_e32 v[36:37], v[32:33], v[34:35]
	v_dual_mov_b32 v38, v37 :: v_dual_mov_b32 v37, v10
	s_delay_alu instid0(VALU_DEP_1) | instskip(NEXT) | instid1(VALU_DEP_2)
	v_mul_u64_e32 v[42:43], v[30:31], v[38:39]
	v_mul_u64_e32 v[44:45], v[40:41], v[36:37]
	;; [unrolled: 1-line block ×3, first 2 shown]
	v_mul_hi_u32 v36, v30, v36
	s_delay_alu instid0(VALU_DEP_1) | instskip(SKIP_1) | instid1(VALU_DEP_2)
	v_add_nc_u64_e32 v[36:37], v[36:37], v[42:43]
	v_ashrrev_i32_e32 v42, 31, v23
	v_add_co_u32 v1, vcc_lo, v36, v44
	s_delay_alu instid0(VALU_DEP_3) | instskip(SKIP_1) | instid1(VALU_DEP_1)
	v_add_co_ci_u32_e32 v40, vcc_lo, v37, v45, vcc_lo
	v_add_co_ci_u32_e32 v39, vcc_lo, 0, v39, vcc_lo
	v_add_nc_u64_e32 v[36:37], v[40:41], v[38:39]
	s_delay_alu instid0(VALU_DEP_1) | instskip(NEXT) | instid1(VALU_DEP_1)
	v_add_co_u32 v30, vcc_lo, v30, v36
	v_add_co_ci_u32_e64 v34, null, v35, v37, vcc_lo
	v_dual_mov_b32 v37, v10 :: v_dual_mov_b32 v35, v10
	s_delay_alu instid0(VALU_DEP_2) | instskip(NEXT) | instid1(VALU_DEP_1)
	v_mov_b32_e32 v31, v34
	v_mul_u64_e32 v[32:33], v[32:33], v[30:31]
	s_delay_alu instid0(VALU_DEP_1) | instskip(NEXT) | instid1(VALU_DEP_2)
	v_dual_mov_b32 v31, v10 :: v_dual_mov_b32 v36, v33
	v_dual_mov_b32 v40, v32 :: v_dual_mov_b32 v33, v10
	v_mul_hi_u32 v32, v30, v32
	s_delay_alu instid0(VALU_DEP_3) | instskip(NEXT) | instid1(VALU_DEP_3)
	v_mul_u64_e32 v[38:39], v[30:31], v[36:37]
	v_mul_u64_e32 v[40:41], v[34:35], v[40:41]
	;; [unrolled: 1-line block ×3, first 2 shown]
	s_delay_alu instid0(VALU_DEP_3) | instskip(SKIP_1) | instid1(VALU_DEP_2)
	v_add_nc_u64_e32 v[32:33], v[32:33], v[38:39]
	v_dual_mov_b32 v39, v10 :: v_dual_mov_b32 v43, v42
	v_add_co_u32 v1, vcc_lo, v32, v40
	s_delay_alu instid0(VALU_DEP_3) | instskip(SKIP_1) | instid1(VALU_DEP_1)
	v_add_co_ci_u32_e32 v38, vcc_lo, v33, v41, vcc_lo
	v_add_co_ci_u32_e32 v37, vcc_lo, 0, v37, vcc_lo
	v_add_nc_u64_e32 v[32:33], v[38:39], v[36:37]
	v_mov_b32_e32 v37, v10
	v_add_nc_u64_e32 v[22:23], v[22:23], v[42:43]
	s_delay_alu instid0(VALU_DEP_3) | instskip(NEXT) | instid1(VALU_DEP_2)
	v_add_co_u32 v32, vcc_lo, v30, v32
	v_xor_b32_e32 v36, v22, v42
	v_add_co_ci_u32_e64 v30, null, v34, v33, vcc_lo
	s_delay_alu instid0(VALU_DEP_4) | instskip(NEXT) | instid1(VALU_DEP_2)
	v_dual_mov_b32 v33, v10 :: v_dual_bitop2_b32 v34, v23, v42 bitop3:0x14
	v_mul_u64_e32 v[38:39], v[36:37], v[30:31]
	s_delay_alu instid0(VALU_DEP_2) | instskip(SKIP_2) | instid1(VALU_DEP_1)
	v_mul_u64_e32 v[22:23], v[34:35], v[32:33]
	v_mul_u64_e32 v[30:31], v[34:35], v[30:31]
	v_mul_hi_u32 v32, v36, v32
	v_add_nc_u64_e32 v[32:33], v[32:33], v[38:39]
	s_delay_alu instid0(VALU_DEP_1) | instskip(NEXT) | instid1(VALU_DEP_2)
	v_add_co_u32 v1, vcc_lo, v32, v22
	v_add_co_ci_u32_e32 v10, vcc_lo, v33, v23, vcc_lo
	v_add_co_ci_u32_e32 v31, vcc_lo, 0, v31, vcc_lo
	s_delay_alu instid0(VALU_DEP_1) | instskip(NEXT) | instid1(VALU_DEP_1)
	v_add_nc_u64_e32 v[10:11], v[10:11], v[30:31]
	v_mul_u64_e32 v[22:23], v[26:27], v[10:11]
	v_add_nc_u64_e32 v[30:31], 1, v[10:11]
	s_delay_alu instid0(VALU_DEP_2) | instskip(NEXT) | instid1(VALU_DEP_3)
	v_sub_nc_u32_e32 v1, v34, v23
	v_sub_co_u32 v3, vcc_lo, v36, v22
	s_delay_alu instid0(VALU_DEP_1) | instskip(NEXT) | instid1(VALU_DEP_3)
	v_sub_co_ci_u32_e64 v7, null, v34, v23, vcc_lo
	v_sub_co_ci_u32_e64 v1, null, v1, v27, vcc_lo
	s_delay_alu instid0(VALU_DEP_3) | instskip(SKIP_1) | instid1(VALU_DEP_3)
	v_sub_co_u32 v5, s0, v3, v26
	v_add_nc_u64_e32 v[22:23], 2, v[10:11]
	v_subrev_co_ci_u32_e64 v1, null, 0, v1, s0
	s_delay_alu instid0(VALU_DEP_3) | instskip(SKIP_1) | instid1(VALU_DEP_3)
	v_cmp_ge_u32_e32 vcc_lo, v5, v26
	v_cndmask_b32_e64 v5, 0, -1, vcc_lo
	v_cmp_ge_u32_e32 vcc_lo, v1, v27
	v_cndmask_b32_e64 v9, 0, -1, vcc_lo
	;; [unrolled: 2-line block ×4, first 2 shown]
	v_cmp_eq_u32_e32 vcc_lo, v1, v27
	v_cndmask_b32_e32 v1, v9, v5, vcc_lo
	v_cmp_eq_u32_e32 vcc_lo, v7, v27
                                        ; implicit-def: $vgpr26_vgpr27
	s_delay_alu instid0(VALU_DEP_4) | instskip(NEXT) | instid1(VALU_DEP_3)
	v_cndmask_b32_e32 v3, v13, v3, vcc_lo
	v_cmp_ne_u32_e32 vcc_lo, 0, v1
	s_delay_alu instid0(VALU_DEP_2) | instskip(SKIP_1) | instid1(VALU_DEP_1)
	v_cmp_ne_u32_e64 s0, 0, v3
	v_dual_cndmask_b32 v1, v31, v23, vcc_lo :: v_dual_cndmask_b32 v3, v30, v22, vcc_lo
	v_dual_cndmask_b32 v1, v11, v1, s0 :: v_dual_bitop2_b32 v22, v42, v28 bitop3:0x14
	s_delay_alu instid0(VALU_DEP_2) | instskip(NEXT) | instid1(VALU_DEP_2)
	v_cndmask_b32_e64 v3, v10, v3, s0
	v_dual_mov_b32 v23, v22 :: v_dual_bitop2_b32 v11, v1, v22 bitop3:0x14
	s_delay_alu instid0(VALU_DEP_2) | instskip(NEXT) | instid1(VALU_DEP_1)
	v_xor_b32_e32 v10, v3, v22
	v_sub_nc_u64_e32 v[28:29], v[10:11], v[22:23]
                                        ; implicit-def: $vgpr22_vgpr23
.LBB71_1919:
	s_and_not1_saveexec_b32 s0, s15
	s_cbranch_execz .LBB71_1921
; %bb.1920:
	v_cvt_f32_u32_e32 v1, v26
	v_dual_sub_nc_u32 v3, 0, v26 :: v_dual_mov_b32 v29, 0
	s_delay_alu instid0(VALU_DEP_2) | instskip(SKIP_1) | instid1(TRANS32_DEP_1)
	v_rcp_iflag_f32_e32 v1, v1
	v_nop
	v_mul_f32_e32 v1, 0x4f7ffffe, v1
	s_delay_alu instid0(VALU_DEP_1) | instskip(NEXT) | instid1(VALU_DEP_1)
	v_cvt_u32_f32_e32 v1, v1
	v_mul_lo_u32 v3, v3, v1
	s_delay_alu instid0(VALU_DEP_1) | instskip(NEXT) | instid1(VALU_DEP_1)
	v_mul_hi_u32 v3, v1, v3
	v_add_nc_u32_e32 v1, v1, v3
	s_delay_alu instid0(VALU_DEP_1) | instskip(NEXT) | instid1(VALU_DEP_1)
	v_mul_hi_u32 v1, v22, v1
	v_mul_lo_u32 v3, v1, v26
	s_delay_alu instid0(VALU_DEP_1) | instskip(NEXT) | instid1(VALU_DEP_1)
	v_dual_add_nc_u32 v5, 1, v1 :: v_dual_sub_nc_u32 v3, v22, v3
	v_cmp_ge_u32_e32 vcc_lo, v3, v26
	s_delay_alu instid0(VALU_DEP_2) | instskip(NEXT) | instid1(VALU_DEP_1)
	v_dual_sub_nc_u32 v7, v3, v26 :: v_dual_cndmask_b32 v1, v1, v5, vcc_lo
	v_dual_cndmask_b32 v3, v3, v7, vcc_lo :: v_dual_add_nc_u32 v5, 1, v1
	s_delay_alu instid0(VALU_DEP_1) | instskip(NEXT) | instid1(VALU_DEP_2)
	v_cmp_ge_u32_e32 vcc_lo, v3, v26
	v_cndmask_b32_e32 v28, v1, v5, vcc_lo
.LBB71_1921:
	s_or_b32 exec_lo, exec_lo, s0
	s_delay_alu instid0(VALU_DEP_1) | instskip(NEXT) | instid1(VALU_DEP_1)
	v_mul_u64_e32 v[10:11], v[28:29], v[24:25]
	v_sub_nc_u64_e32 v[22:23], 0, v[10:11]
	s_delay_alu instid0(VALU_DEP_1)
	v_max_i64 v[10:11], v[10:11], v[22:23]
.LBB71_1922:
	s_or_b32 exec_lo, exec_lo, s14
	v_mov_b32_e32 v21, 0
	s_and_b32 s12, 0xffff, s12
	s_delay_alu instid0(SALU_CYCLE_1) | instskip(NEXT) | instid1(VALU_DEP_1)
	s_cmp_lt_i32 s12, 11
	v_add_nc_u64_e32 v[22:23], s[6:7], v[20:21]
	s_cbranch_scc1 .LBB71_1929
; %bb.1923:
	s_cmp_gt_i32 s12, 25
	s_mov_b32 s14, 0
	s_cbranch_scc0 .LBB71_1931
; %bb.1924:
	s_cmp_gt_i32 s12, 28
	s_cbranch_scc0 .LBB71_1932
; %bb.1925:
	s_cmp_gt_i32 s12, 43
	;; [unrolled: 3-line block ×3, first 2 shown]
	s_cbranch_scc0 .LBB71_1935
; %bb.1927:
	s_cmp_eq_u32 s12, 46
	s_mov_b32 s16, 0
	s_cbranch_scc0 .LBB71_1936
; %bb.1928:
	global_load_b32 v1, v[22:23], off
	s_mov_b32 s0, 0
	s_mov_b32 s15, -1
	s_wait_loadcnt 0x0
	v_lshlrev_b32_e32 v1, 16, v1
	s_delay_alu instid0(VALU_DEP_1) | instskip(NEXT) | instid1(VALU_DEP_1)
	v_trunc_f32_e32 v1, v1
	v_mul_f32_e64 v3, 0x2f800000, |v1|
	v_ashrrev_i32_e32 v20, 31, v1
	s_delay_alu instid0(VALU_DEP_2) | instskip(NEXT) | instid1(VALU_DEP_2)
	v_floor_f32_e32 v3, v3
	v_mov_b32_e32 v21, v20
	s_delay_alu instid0(VALU_DEP_2) | instskip(SKIP_1) | instid1(VALU_DEP_2)
	v_fma_f32 v5, 0xcf800000, v3, |v1|
	v_cvt_u32_f32_e32 v1, v3
	v_cvt_u32_f32_e32 v3, v5
	s_delay_alu instid0(VALU_DEP_2) | instskip(NEXT) | instid1(VALU_DEP_2)
	v_xor_b32_e32 v25, v1, v20
	v_xor_b32_e32 v24, v3, v20
	s_delay_alu instid0(VALU_DEP_1)
	v_sub_nc_u64_e32 v[20:21], v[24:25], v[20:21]
	s_branch .LBB71_1938
.LBB71_1929:
	s_mov_b32 s15, 0
                                        ; implicit-def: $vgpr20_vgpr21
	s_cbranch_execnz .LBB71_2000
.LBB71_1930:
	s_and_not1_b32 vcc_lo, exec_lo, s15
	s_cbranch_vccnz .LBB71_2715
	s_branch .LBB71_2048
.LBB71_1931:
	s_mov_b32 s16, -1
	s_mov_b32 s15, 0
	s_mov_b32 s0, 0
                                        ; implicit-def: $vgpr20_vgpr21
	s_branch .LBB71_1965
.LBB71_1932:
	s_mov_b32 s16, -1
	s_mov_b32 s15, 0
	s_mov_b32 s0, 0
                                        ; implicit-def: $vgpr20_vgpr21
	s_branch .LBB71_1948
.LBB71_1933:
	s_mov_b32 s16, -1
	s_mov_b32 s15, 0
	s_mov_b32 s0, 0
                                        ; implicit-def: $vgpr20_vgpr21
	s_branch .LBB71_1943
.LBB71_1934:
	s_or_b32 s1, s1, exec_lo
	s_trap 2
	s_cbranch_execz .LBB71_1859
	s_branch .LBB71_1860
.LBB71_1935:
	s_mov_b32 s16, -1
	s_mov_b32 s15, 0
	s_mov_b32 s0, 0
	s_branch .LBB71_1937
.LBB71_1936:
	s_mov_b32 s0, -1
	s_mov_b32 s15, 0
.LBB71_1937:
                                        ; implicit-def: $vgpr20_vgpr21
.LBB71_1938:
	s_and_b32 vcc_lo, exec_lo, s16
	s_cbranch_vccz .LBB71_1942
; %bb.1939:
	s_cmp_eq_u32 s12, 44
	s_cbranch_scc0 .LBB71_1941
; %bb.1940:
	global_load_u8 v1, v[22:23], off
	s_mov_b32 s0, 0
	s_mov_b32 s15, -1
	s_wait_loadcnt 0x0
	v_lshlrev_b32_e32 v3, 23, v1
	v_cmp_ne_u32_e32 vcc_lo, 0, v1
	s_delay_alu instid0(VALU_DEP_2) | instskip(NEXT) | instid1(VALU_DEP_1)
	v_trunc_f32_e32 v3, v3
	v_mul_f32_e64 v5, 0x2f800000, |v3|
	v_ashrrev_i32_e32 v20, 31, v3
	s_delay_alu instid0(VALU_DEP_2) | instskip(NEXT) | instid1(VALU_DEP_2)
	v_floor_f32_e32 v5, v5
	v_mov_b32_e32 v21, v20
	s_delay_alu instid0(VALU_DEP_2) | instskip(SKIP_1) | instid1(VALU_DEP_2)
	v_fma_f32 v7, 0xcf800000, v5, |v3|
	v_cvt_u32_f32_e32 v3, v5
	v_cvt_u32_f32_e32 v5, v7
	s_delay_alu instid0(VALU_DEP_2) | instskip(NEXT) | instid1(VALU_DEP_2)
	v_xor_b32_e32 v25, v3, v20
	v_xor_b32_e32 v24, v5, v20
	s_delay_alu instid0(VALU_DEP_1) | instskip(NEXT) | instid1(VALU_DEP_1)
	v_sub_nc_u64_e32 v[20:21], v[24:25], v[20:21]
	v_dual_cndmask_b32 v21, 0, v21 :: v_dual_cndmask_b32 v20, 0, v20
	s_branch .LBB71_1942
.LBB71_1941:
	s_mov_b32 s0, -1
                                        ; implicit-def: $vgpr20_vgpr21
.LBB71_1942:
	s_mov_b32 s16, 0
.LBB71_1943:
	s_delay_alu instid0(SALU_CYCLE_1)
	s_and_b32 vcc_lo, exec_lo, s16
	s_cbranch_vccz .LBB71_1947
; %bb.1944:
	s_cmp_eq_u32 s12, 29
	s_cbranch_scc0 .LBB71_1946
; %bb.1945:
	global_load_b64 v[20:21], v[22:23], off
	s_mov_b32 s0, 0
	s_mov_b32 s15, -1
	s_branch .LBB71_1947
.LBB71_1946:
	s_mov_b32 s0, -1
                                        ; implicit-def: $vgpr20_vgpr21
.LBB71_1947:
	s_mov_b32 s16, 0
.LBB71_1948:
	s_delay_alu instid0(SALU_CYCLE_1)
	s_and_b32 vcc_lo, exec_lo, s16
	s_cbranch_vccz .LBB71_1964
; %bb.1949:
	s_cmp_lt_i32 s12, 27
	s_cbranch_scc1 .LBB71_1952
; %bb.1950:
	s_cmp_gt_i32 s12, 27
	s_cbranch_scc0 .LBB71_1953
; %bb.1951:
	s_wait_loadcnt 0x0
	global_load_b32 v20, v[22:23], off
	v_mov_b32_e32 v21, 0
	s_mov_b32 s15, 0
	s_branch .LBB71_1954
.LBB71_1952:
	s_mov_b32 s15, -1
                                        ; implicit-def: $vgpr20_vgpr21
	s_branch .LBB71_1957
.LBB71_1953:
	s_mov_b32 s15, -1
                                        ; implicit-def: $vgpr20_vgpr21
.LBB71_1954:
	s_delay_alu instid0(SALU_CYCLE_1)
	s_and_not1_b32 vcc_lo, exec_lo, s15
	s_cbranch_vccnz .LBB71_1956
; %bb.1955:
	global_load_u16 v1, v[22:23], off
	s_mov_b32 s15, 0
	s_wait_loadcnt 0x1
	v_mov_b32_e32 v21, s15
	s_wait_loadcnt 0x0
	v_and_b32_e32 v20, 0xffff, v1
.LBB71_1956:
	s_mov_b32 s15, 0
.LBB71_1957:
	s_delay_alu instid0(SALU_CYCLE_1)
	s_and_not1_b32 vcc_lo, exec_lo, s15
	s_cbranch_vccnz .LBB71_1963
; %bb.1958:
	global_load_u8 v1, v[22:23], off
	s_mov_b32 s16, 0
	s_mov_b32 s15, exec_lo
	s_wait_loadcnt 0x0
	v_cmpx_lt_i16_e32 0x7f, v1
	s_xor_b32 s15, exec_lo, s15
	s_cbranch_execz .LBB71_1975
; %bb.1959:
	v_cmp_ne_u16_e32 vcc_lo, 0x80, v1
	s_and_b32 s16, vcc_lo, exec_lo
	s_and_not1_saveexec_b32 s15, s15
	s_cbranch_execnz .LBB71_1976
.LBB71_1960:
	s_or_b32 exec_lo, exec_lo, s15
	v_mov_b64_e32 v[20:21], 0
	s_and_saveexec_b32 s15, s16
	s_cbranch_execz .LBB71_1962
.LBB71_1961:
	v_and_b32_e32 v3, 0xffff, v1
	s_delay_alu instid0(VALU_DEP_1) | instskip(SKIP_1) | instid1(VALU_DEP_2)
	v_dual_lshlrev_b32 v1, 24, v1 :: v_dual_bitop2_b32 v5, 7, v3 bitop3:0x40
	v_bfe_u32 v13, v3, 3, 4
	v_and_b32_e32 v1, 0x80000000, v1
	s_delay_alu instid0(VALU_DEP_3) | instskip(NEXT) | instid1(VALU_DEP_3)
	v_clz_i32_u32_e32 v7, v5
	v_cmp_eq_u32_e32 vcc_lo, 0, v13
	s_delay_alu instid0(VALU_DEP_2) | instskip(NEXT) | instid1(VALU_DEP_1)
	v_min_u32_e32 v7, 32, v7
	v_subrev_nc_u32_e32 v9, 28, v7
	v_sub_nc_u32_e32 v7, 29, v7
	s_delay_alu instid0(VALU_DEP_2) | instskip(NEXT) | instid1(VALU_DEP_2)
	v_lshlrev_b32_e32 v3, v9, v3
	v_cndmask_b32_e32 v7, v13, v7, vcc_lo
	s_delay_alu instid0(VALU_DEP_2) | instskip(NEXT) | instid1(VALU_DEP_1)
	v_and_b32_e32 v3, 7, v3
	v_cndmask_b32_e32 v3, v5, v3, vcc_lo
	s_delay_alu instid0(VALU_DEP_3) | instskip(NEXT) | instid1(VALU_DEP_2)
	v_lshl_add_u32 v5, v7, 23, 0x3b800000
	v_lshlrev_b32_e32 v3, 20, v3
	s_delay_alu instid0(VALU_DEP_1) | instskip(NEXT) | instid1(VALU_DEP_1)
	v_or3_b32 v1, v1, v5, v3
	v_trunc_f32_e32 v1, v1
	s_delay_alu instid0(VALU_DEP_1) | instskip(SKIP_1) | instid1(VALU_DEP_2)
	v_mul_f32_e64 v3, 0x2f800000, |v1|
	v_ashrrev_i32_e32 v20, 31, v1
	v_floor_f32_e32 v3, v3
	s_delay_alu instid0(VALU_DEP_2) | instskip(NEXT) | instid1(VALU_DEP_2)
	v_mov_b32_e32 v21, v20
	v_fma_f32 v5, 0xcf800000, v3, |v1|
	v_cvt_u32_f32_e32 v1, v3
	s_delay_alu instid0(VALU_DEP_2) | instskip(NEXT) | instid1(VALU_DEP_2)
	v_cvt_u32_f32_e32 v3, v5
	v_xor_b32_e32 v25, v1, v20
	s_delay_alu instid0(VALU_DEP_2) | instskip(NEXT) | instid1(VALU_DEP_1)
	v_xor_b32_e32 v24, v3, v20
	v_sub_nc_u64_e32 v[20:21], v[24:25], v[20:21]
.LBB71_1962:
	s_or_b32 exec_lo, exec_lo, s15
.LBB71_1963:
	s_mov_b32 s15, -1
.LBB71_1964:
	s_mov_b32 s16, 0
.LBB71_1965:
	s_delay_alu instid0(SALU_CYCLE_1)
	s_and_b32 vcc_lo, exec_lo, s16
	s_cbranch_vccz .LBB71_1996
; %bb.1966:
	s_cmp_gt_i32 s12, 22
	s_cbranch_scc0 .LBB71_1974
; %bb.1967:
	s_cmp_lt_i32 s12, 24
	s_cbranch_scc1 .LBB71_1977
; %bb.1968:
	s_cmp_gt_i32 s12, 24
	s_cbranch_scc0 .LBB71_1978
; %bb.1969:
	global_load_u8 v1, v[22:23], off
	s_mov_b32 s15, 0
	s_mov_b32 s14, exec_lo
	s_wait_loadcnt 0x0
	v_cmpx_lt_i16_e32 0x7f, v1
	s_xor_b32 s14, exec_lo, s14
	s_cbranch_execz .LBB71_1990
; %bb.1970:
	v_cmp_ne_u16_e32 vcc_lo, 0x80, v1
	s_and_b32 s15, vcc_lo, exec_lo
	s_and_not1_saveexec_b32 s14, s14
	s_cbranch_execnz .LBB71_1991
.LBB71_1971:
	s_or_b32 exec_lo, exec_lo, s14
	v_mov_b64_e32 v[20:21], 0
	s_and_saveexec_b32 s14, s15
	s_cbranch_execz .LBB71_1973
.LBB71_1972:
	v_and_b32_e32 v3, 0xffff, v1
	s_delay_alu instid0(VALU_DEP_1) | instskip(SKIP_1) | instid1(VALU_DEP_2)
	v_dual_lshlrev_b32 v1, 24, v1 :: v_dual_bitop2_b32 v5, 3, v3 bitop3:0x40
	v_bfe_u32 v13, v3, 2, 5
	v_and_b32_e32 v1, 0x80000000, v1
	s_delay_alu instid0(VALU_DEP_3) | instskip(NEXT) | instid1(VALU_DEP_3)
	v_clz_i32_u32_e32 v7, v5
	v_cmp_eq_u32_e32 vcc_lo, 0, v13
	s_delay_alu instid0(VALU_DEP_2) | instskip(NEXT) | instid1(VALU_DEP_1)
	v_min_u32_e32 v7, 32, v7
	v_subrev_nc_u32_e32 v9, 29, v7
	v_sub_nc_u32_e32 v7, 30, v7
	s_delay_alu instid0(VALU_DEP_2) | instskip(NEXT) | instid1(VALU_DEP_2)
	v_lshlrev_b32_e32 v3, v9, v3
	v_cndmask_b32_e32 v7, v13, v7, vcc_lo
	s_delay_alu instid0(VALU_DEP_2) | instskip(NEXT) | instid1(VALU_DEP_1)
	v_and_b32_e32 v3, 3, v3
	v_cndmask_b32_e32 v3, v5, v3, vcc_lo
	s_delay_alu instid0(VALU_DEP_3) | instskip(NEXT) | instid1(VALU_DEP_2)
	v_lshl_add_u32 v5, v7, 23, 0x37800000
	v_lshlrev_b32_e32 v3, 21, v3
	s_delay_alu instid0(VALU_DEP_1) | instskip(NEXT) | instid1(VALU_DEP_1)
	v_or3_b32 v1, v1, v5, v3
	v_trunc_f32_e32 v1, v1
	s_delay_alu instid0(VALU_DEP_1) | instskip(SKIP_1) | instid1(VALU_DEP_2)
	v_mul_f32_e64 v3, 0x2f800000, |v1|
	v_ashrrev_i32_e32 v20, 31, v1
	v_floor_f32_e32 v3, v3
	s_delay_alu instid0(VALU_DEP_2) | instskip(NEXT) | instid1(VALU_DEP_2)
	v_mov_b32_e32 v21, v20
	v_fma_f32 v5, 0xcf800000, v3, |v1|
	v_cvt_u32_f32_e32 v1, v3
	s_delay_alu instid0(VALU_DEP_2) | instskip(NEXT) | instid1(VALU_DEP_2)
	v_cvt_u32_f32_e32 v3, v5
	v_xor_b32_e32 v25, v1, v20
	s_delay_alu instid0(VALU_DEP_2) | instskip(NEXT) | instid1(VALU_DEP_1)
	v_xor_b32_e32 v24, v3, v20
	v_sub_nc_u64_e32 v[20:21], v[24:25], v[20:21]
.LBB71_1973:
	s_or_b32 exec_lo, exec_lo, s14
	s_mov_b32 s14, 0
	s_branch .LBB71_1979
.LBB71_1974:
	s_mov_b32 s14, -1
                                        ; implicit-def: $vgpr20_vgpr21
	s_branch .LBB71_1985
.LBB71_1975:
	s_and_not1_saveexec_b32 s15, s15
	s_cbranch_execz .LBB71_1960
.LBB71_1976:
	v_cmp_ne_u16_e32 vcc_lo, 0, v1
	s_and_not1_b32 s16, s16, exec_lo
	s_and_b32 s17, vcc_lo, exec_lo
	s_delay_alu instid0(SALU_CYCLE_1)
	s_or_b32 s16, s16, s17
	s_or_b32 exec_lo, exec_lo, s15
	v_mov_b64_e32 v[20:21], 0
	s_and_saveexec_b32 s15, s16
	s_cbranch_execnz .LBB71_1961
	s_branch .LBB71_1962
.LBB71_1977:
	s_mov_b32 s14, -1
                                        ; implicit-def: $vgpr20_vgpr21
	s_branch .LBB71_1982
.LBB71_1978:
	s_mov_b32 s14, -1
                                        ; implicit-def: $vgpr20_vgpr21
.LBB71_1979:
	s_delay_alu instid0(SALU_CYCLE_1)
	s_and_b32 vcc_lo, exec_lo, s14
	s_cbranch_vccz .LBB71_1981
; %bb.1980:
	global_load_u8 v1, v[22:23], off
	s_wait_loadcnt 0x0
	v_lshlrev_b32_e32 v1, 24, v1
	s_delay_alu instid0(VALU_DEP_1) | instskip(NEXT) | instid1(VALU_DEP_1)
	v_and_b32_e32 v3, 0x7f000000, v1
	v_clz_i32_u32_e32 v5, v3
	v_add_nc_u32_e32 v9, 0x1000000, v3
	v_cmp_ne_u32_e32 vcc_lo, 0, v3
	s_delay_alu instid0(VALU_DEP_3) | instskip(NEXT) | instid1(VALU_DEP_1)
	v_min_u32_e32 v5, 32, v5
	v_sub_nc_u32_e64 v5, v5, 4 clamp
	s_delay_alu instid0(VALU_DEP_1) | instskip(NEXT) | instid1(VALU_DEP_1)
	v_dual_lshlrev_b32 v7, v5, v3 :: v_dual_lshlrev_b32 v5, 23, v5
	v_lshrrev_b32_e32 v7, 4, v7
	s_delay_alu instid0(VALU_DEP_1) | instskip(SKIP_1) | instid1(VALU_DEP_2)
	v_sub_nc_u32_e32 v5, v7, v5
	v_ashrrev_i32_e32 v7, 8, v9
	v_add_nc_u32_e32 v5, 0x3c000000, v5
	s_delay_alu instid0(VALU_DEP_1) | instskip(NEXT) | instid1(VALU_DEP_1)
	v_and_or_b32 v5, 0x7f800000, v7, v5
	v_cndmask_b32_e32 v3, 0, v5, vcc_lo
	s_delay_alu instid0(VALU_DEP_1) | instskip(NEXT) | instid1(VALU_DEP_1)
	v_and_or_b32 v1, 0x80000000, v1, v3
	v_trunc_f32_e32 v1, v1
	s_delay_alu instid0(VALU_DEP_1) | instskip(SKIP_1) | instid1(VALU_DEP_2)
	v_mul_f32_e64 v3, 0x2f800000, |v1|
	v_ashrrev_i32_e32 v20, 31, v1
	v_floor_f32_e32 v3, v3
	s_delay_alu instid0(VALU_DEP_2) | instskip(NEXT) | instid1(VALU_DEP_2)
	v_mov_b32_e32 v21, v20
	v_fma_f32 v5, 0xcf800000, v3, |v1|
	v_cvt_u32_f32_e32 v1, v3
	s_delay_alu instid0(VALU_DEP_2) | instskip(NEXT) | instid1(VALU_DEP_2)
	v_cvt_u32_f32_e32 v3, v5
	v_xor_b32_e32 v25, v1, v20
	s_delay_alu instid0(VALU_DEP_2) | instskip(NEXT) | instid1(VALU_DEP_1)
	v_xor_b32_e32 v24, v3, v20
	v_sub_nc_u64_e32 v[20:21], v[24:25], v[20:21]
.LBB71_1981:
	s_mov_b32 s14, 0
.LBB71_1982:
	s_delay_alu instid0(SALU_CYCLE_1)
	s_and_not1_b32 vcc_lo, exec_lo, s14
	s_cbranch_vccnz .LBB71_1984
; %bb.1983:
	global_load_u8 v1, v[22:23], off
	s_wait_loadcnt 0x0
	v_lshlrev_b32_e32 v3, 25, v1
	v_lshlrev_b16 v1, 8, v1
	s_delay_alu instid0(VALU_DEP_1) | instskip(SKIP_1) | instid1(VALU_DEP_2)
	v_and_or_b32 v7, 0x7f00, v1, 0.5
	v_bfe_i32 v1, v1, 0, 16
	v_add_f32_e32 v7, -0.5, v7
	v_lshrrev_b32_e32 v5, 4, v3
	v_cmp_gt_u32_e32 vcc_lo, 0x8000000, v3
	s_delay_alu instid0(VALU_DEP_2) | instskip(NEXT) | instid1(VALU_DEP_1)
	v_or_b32_e32 v5, 0x70000000, v5
	v_mul_f32_e32 v5, 0x7800000, v5
	s_delay_alu instid0(VALU_DEP_1) | instskip(NEXT) | instid1(VALU_DEP_1)
	v_cndmask_b32_e32 v3, v5, v7, vcc_lo
	v_and_or_b32 v1, 0x80000000, v1, v3
	s_delay_alu instid0(VALU_DEP_1) | instskip(NEXT) | instid1(VALU_DEP_1)
	v_trunc_f32_e32 v1, v1
	v_mul_f32_e64 v3, 0x2f800000, |v1|
	v_ashrrev_i32_e32 v20, 31, v1
	s_delay_alu instid0(VALU_DEP_2) | instskip(NEXT) | instid1(VALU_DEP_2)
	v_floor_f32_e32 v3, v3
	v_mov_b32_e32 v21, v20
	s_delay_alu instid0(VALU_DEP_2) | instskip(SKIP_1) | instid1(VALU_DEP_2)
	v_fma_f32 v5, 0xcf800000, v3, |v1|
	v_cvt_u32_f32_e32 v1, v3
	v_cvt_u32_f32_e32 v3, v5
	s_delay_alu instid0(VALU_DEP_2) | instskip(NEXT) | instid1(VALU_DEP_2)
	v_xor_b32_e32 v25, v1, v20
	v_xor_b32_e32 v24, v3, v20
	s_delay_alu instid0(VALU_DEP_1)
	v_sub_nc_u64_e32 v[20:21], v[24:25], v[20:21]
.LBB71_1984:
	s_mov_b32 s14, 0
	s_mov_b32 s15, -1
.LBB71_1985:
	s_and_not1_b32 vcc_lo, exec_lo, s14
	s_mov_b32 s14, 0
	s_cbranch_vccnz .LBB71_1996
; %bb.1986:
	s_cmp_gt_i32 s12, 14
	s_cbranch_scc0 .LBB71_1989
; %bb.1987:
	s_cmp_eq_u32 s12, 15
	s_cbranch_scc0 .LBB71_1992
; %bb.1988:
	global_load_u16 v1, v[22:23], off
	s_mov_b32 s0, 0
	s_mov_b32 s15, -1
	s_wait_loadcnt 0x0
	v_lshlrev_b32_e32 v1, 16, v1
	s_delay_alu instid0(VALU_DEP_1) | instskip(NEXT) | instid1(VALU_DEP_1)
	v_trunc_f32_e32 v1, v1
	v_mul_f32_e64 v3, 0x2f800000, |v1|
	v_ashrrev_i32_e32 v20, 31, v1
	s_delay_alu instid0(VALU_DEP_2) | instskip(NEXT) | instid1(VALU_DEP_2)
	v_floor_f32_e32 v3, v3
	v_mov_b32_e32 v21, v20
	s_delay_alu instid0(VALU_DEP_2) | instskip(SKIP_1) | instid1(VALU_DEP_2)
	v_fma_f32 v5, 0xcf800000, v3, |v1|
	v_cvt_u32_f32_e32 v1, v3
	v_cvt_u32_f32_e32 v3, v5
	s_delay_alu instid0(VALU_DEP_2) | instskip(NEXT) | instid1(VALU_DEP_2)
	v_xor_b32_e32 v25, v1, v20
	v_xor_b32_e32 v24, v3, v20
	s_delay_alu instid0(VALU_DEP_1)
	v_sub_nc_u64_e32 v[20:21], v[24:25], v[20:21]
	s_branch .LBB71_1994
.LBB71_1989:
	s_mov_b32 s14, -1
	s_branch .LBB71_1993
.LBB71_1990:
	s_and_not1_saveexec_b32 s14, s14
	s_cbranch_execz .LBB71_1971
.LBB71_1991:
	v_cmp_ne_u16_e32 vcc_lo, 0, v1
	s_and_not1_b32 s15, s15, exec_lo
	s_and_b32 s16, vcc_lo, exec_lo
	s_delay_alu instid0(SALU_CYCLE_1)
	s_or_b32 s15, s15, s16
	s_or_b32 exec_lo, exec_lo, s14
	v_mov_b64_e32 v[20:21], 0
	s_and_saveexec_b32 s14, s15
	s_cbranch_execnz .LBB71_1972
	s_branch .LBB71_1973
.LBB71_1992:
	s_mov_b32 s0, -1
.LBB71_1993:
                                        ; implicit-def: $vgpr20_vgpr21
.LBB71_1994:
	s_and_b32 vcc_lo, exec_lo, s14
	s_mov_b32 s14, 0
	s_cbranch_vccz .LBB71_1996
; %bb.1995:
	s_cmp_lg_u32 s12, 11
	s_mov_b32 s14, -1
	s_cselect_b32 s0, -1, 0
.LBB71_1996:
	s_delay_alu instid0(SALU_CYCLE_1)
	s_and_b32 vcc_lo, exec_lo, s0
	s_cbranch_vccnz .LBB71_2059
; %bb.1997:
	s_and_not1_b32 vcc_lo, exec_lo, s14
	s_cbranch_vccnz .LBB71_1999
.LBB71_1998:
	global_load_u8 v1, v[22:23], off
	s_mov_b32 s0, 0
	s_mov_b32 s15, -1
	s_wait_loadcnt 0x1
	v_mov_b32_e32 v21, s0
	s_wait_loadcnt 0x0
	v_cmp_ne_u16_e32 vcc_lo, 0, v1
	v_cndmask_b32_e64 v20, 0, 1, vcc_lo
.LBB71_1999:
	s_branch .LBB71_1930
.LBB71_2000:
	s_cmp_lt_i32 s12, 5
	s_cbranch_scc1 .LBB71_2005
; %bb.2001:
	s_cmp_lt_i32 s12, 8
	s_cbranch_scc1 .LBB71_2006
; %bb.2002:
	;; [unrolled: 3-line block ×3, first 2 shown]
	s_cmp_gt_i32 s12, 9
	s_cbranch_scc0 .LBB71_2008
; %bb.2004:
	s_wait_loadcnt 0x0
	global_load_b64 v[20:21], v[22:23], off
	s_mov_b32 s0, 0
	s_wait_loadcnt 0x0
	v_trunc_f64_e32 v[20:21], v[20:21]
	s_delay_alu instid0(VALU_DEP_1) | instskip(NEXT) | instid1(VALU_DEP_1)
	v_ldexp_f64 v[24:25], v[20:21], 0xffffffe0
	v_floor_f64_e32 v[24:25], v[24:25]
	s_delay_alu instid0(VALU_DEP_1) | instskip(SKIP_1) | instid1(VALU_DEP_2)
	v_fmamk_f64 v[26:27], v[24:25], 0xc1f00000, v[20:21]
	v_cvt_i32_f64_e32 v21, v[24:25]
	v_cvt_u32_f64_e32 v20, v[26:27]
	s_branch .LBB71_2009
.LBB71_2005:
	s_mov_b32 s0, -1
                                        ; implicit-def: $vgpr20_vgpr21
	s_branch .LBB71_2027
.LBB71_2006:
	s_mov_b32 s0, -1
                                        ; implicit-def: $vgpr20_vgpr21
	s_branch .LBB71_2015
.LBB71_2007:
	s_mov_b32 s0, -1
                                        ; implicit-def: $vgpr20_vgpr21
	s_branch .LBB71_2012
.LBB71_2008:
	s_mov_b32 s0, -1
                                        ; implicit-def: $vgpr20_vgpr21
.LBB71_2009:
	s_delay_alu instid0(SALU_CYCLE_1)
	s_and_not1_b32 vcc_lo, exec_lo, s0
	s_cbranch_vccnz .LBB71_2011
; %bb.2010:
	global_load_b32 v1, v[22:23], off
	s_wait_loadcnt 0x0
	v_trunc_f32_e32 v1, v1
	s_delay_alu instid0(VALU_DEP_1) | instskip(SKIP_1) | instid1(VALU_DEP_2)
	v_mul_f32_e64 v3, 0x2f800000, |v1|
	v_ashrrev_i32_e32 v20, 31, v1
	v_floor_f32_e32 v3, v3
	s_delay_alu instid0(VALU_DEP_1) | instskip(SKIP_1) | instid1(VALU_DEP_4)
	v_fma_f32 v5, 0xcf800000, v3, |v1|
	v_cvt_u32_f32_e32 v1, v3
	v_mov_b32_e32 v21, v20
	s_delay_alu instid0(VALU_DEP_3) | instskip(NEXT) | instid1(VALU_DEP_3)
	v_cvt_u32_f32_e32 v3, v5
	v_xor_b32_e32 v25, v1, v20
	s_delay_alu instid0(VALU_DEP_2) | instskip(NEXT) | instid1(VALU_DEP_1)
	v_xor_b32_e32 v24, v3, v20
	v_sub_nc_u64_e32 v[20:21], v[24:25], v[20:21]
.LBB71_2011:
	s_mov_b32 s0, 0
.LBB71_2012:
	s_delay_alu instid0(SALU_CYCLE_1)
	s_and_not1_b32 vcc_lo, exec_lo, s0
	s_cbranch_vccnz .LBB71_2014
; %bb.2013:
	global_load_b32 v1, v[22:23], off
	s_wait_loadcnt 0x0
	v_cvt_f32_f16_e32 v1, v1
	s_delay_alu instid0(VALU_DEP_1) | instskip(NEXT) | instid1(VALU_DEP_1)
	v_cvt_i32_f32_e32 v20, v1
	v_ashrrev_i32_e32 v21, 31, v20
.LBB71_2014:
	s_mov_b32 s0, 0
.LBB71_2015:
	s_delay_alu instid0(SALU_CYCLE_1)
	s_and_not1_b32 vcc_lo, exec_lo, s0
	s_cbranch_vccnz .LBB71_2026
; %bb.2016:
	s_cmp_lt_i32 s12, 6
	s_cbranch_scc1 .LBB71_2019
; %bb.2017:
	s_cmp_gt_i32 s12, 6
	s_cbranch_scc0 .LBB71_2020
; %bb.2018:
	s_wait_loadcnt 0x0
	global_load_b64 v[20:21], v[22:23], off
	s_mov_b32 s0, 0
	s_wait_loadcnt 0x0
	v_trunc_f64_e32 v[20:21], v[20:21]
	s_delay_alu instid0(VALU_DEP_1) | instskip(NEXT) | instid1(VALU_DEP_1)
	v_ldexp_f64 v[24:25], v[20:21], 0xffffffe0
	v_floor_f64_e32 v[24:25], v[24:25]
	s_delay_alu instid0(VALU_DEP_1) | instskip(SKIP_1) | instid1(VALU_DEP_2)
	v_fmamk_f64 v[26:27], v[24:25], 0xc1f00000, v[20:21]
	v_cvt_i32_f64_e32 v21, v[24:25]
	v_cvt_u32_f64_e32 v20, v[26:27]
	s_branch .LBB71_2021
.LBB71_2019:
	s_mov_b32 s0, -1
                                        ; implicit-def: $vgpr20_vgpr21
	s_branch .LBB71_2024
.LBB71_2020:
	s_mov_b32 s0, -1
                                        ; implicit-def: $vgpr20_vgpr21
.LBB71_2021:
	s_delay_alu instid0(SALU_CYCLE_1)
	s_and_not1_b32 vcc_lo, exec_lo, s0
	s_cbranch_vccnz .LBB71_2023
; %bb.2022:
	global_load_b32 v1, v[22:23], off
	s_wait_loadcnt 0x0
	v_trunc_f32_e32 v1, v1
	s_delay_alu instid0(VALU_DEP_1) | instskip(SKIP_1) | instid1(VALU_DEP_2)
	v_mul_f32_e64 v3, 0x2f800000, |v1|
	v_ashrrev_i32_e32 v20, 31, v1
	v_floor_f32_e32 v3, v3
	s_delay_alu instid0(VALU_DEP_1) | instskip(SKIP_1) | instid1(VALU_DEP_4)
	v_fma_f32 v5, 0xcf800000, v3, |v1|
	v_cvt_u32_f32_e32 v1, v3
	v_mov_b32_e32 v21, v20
	s_delay_alu instid0(VALU_DEP_3) | instskip(NEXT) | instid1(VALU_DEP_3)
	v_cvt_u32_f32_e32 v3, v5
	v_xor_b32_e32 v25, v1, v20
	s_delay_alu instid0(VALU_DEP_2) | instskip(NEXT) | instid1(VALU_DEP_1)
	v_xor_b32_e32 v24, v3, v20
	v_sub_nc_u64_e32 v[20:21], v[24:25], v[20:21]
.LBB71_2023:
	s_mov_b32 s0, 0
.LBB71_2024:
	s_delay_alu instid0(SALU_CYCLE_1)
	s_and_not1_b32 vcc_lo, exec_lo, s0
	s_cbranch_vccnz .LBB71_2026
; %bb.2025:
	global_load_u16 v1, v[22:23], off
	s_wait_loadcnt 0x0
	v_cvt_f32_f16_e32 v1, v1
	s_delay_alu instid0(VALU_DEP_1) | instskip(NEXT) | instid1(VALU_DEP_1)
	v_cvt_i32_f32_e32 v20, v1
	v_ashrrev_i32_e32 v21, 31, v20
.LBB71_2026:
	s_mov_b32 s0, 0
.LBB71_2027:
	s_delay_alu instid0(SALU_CYCLE_1)
	s_and_not1_b32 vcc_lo, exec_lo, s0
	s_cbranch_vccnz .LBB71_2047
; %bb.2028:
	s_cmp_lt_i32 s12, 2
	s_cbranch_scc1 .LBB71_2032
; %bb.2029:
	s_cmp_lt_i32 s12, 3
	s_cbranch_scc1 .LBB71_2033
; %bb.2030:
	s_cmp_gt_i32 s12, 3
	s_cbranch_scc0 .LBB71_2034
; %bb.2031:
	s_wait_loadcnt 0x0
	global_load_b64 v[20:21], v[22:23], off
	s_mov_b32 s0, 0
	s_branch .LBB71_2035
.LBB71_2032:
	s_mov_b32 s0, -1
                                        ; implicit-def: $vgpr20_vgpr21
	s_branch .LBB71_2041
.LBB71_2033:
	s_mov_b32 s0, -1
                                        ; implicit-def: $vgpr20_vgpr21
	s_branch .LBB71_2038
.LBB71_2034:
	s_mov_b32 s0, -1
                                        ; implicit-def: $vgpr20_vgpr21
.LBB71_2035:
	s_delay_alu instid0(SALU_CYCLE_1)
	s_and_not1_b32 vcc_lo, exec_lo, s0
	s_cbranch_vccnz .LBB71_2037
; %bb.2036:
	s_wait_loadcnt 0x0
	global_load_b32 v20, v[22:23], off
	s_wait_loadcnt 0x0
	v_ashrrev_i32_e32 v21, 31, v20
.LBB71_2037:
	s_mov_b32 s0, 0
.LBB71_2038:
	s_delay_alu instid0(SALU_CYCLE_1)
	s_and_not1_b32 vcc_lo, exec_lo, s0
	s_cbranch_vccnz .LBB71_2040
; %bb.2039:
	global_load_u16 v1, v[22:23], off
	s_wait_loadcnt 0x0
	v_bfe_i32 v20, v1, 0, 16
	s_delay_alu instid0(VALU_DEP_1)
	v_ashrrev_i32_e32 v21, 31, v20
.LBB71_2040:
	s_mov_b32 s0, 0
.LBB71_2041:
	s_delay_alu instid0(SALU_CYCLE_1)
	s_and_not1_b32 vcc_lo, exec_lo, s0
	s_cbranch_vccnz .LBB71_2047
; %bb.2042:
	s_cmp_gt_i32 s12, 0
	s_mov_b32 s0, 0
	s_cbranch_scc0 .LBB71_2044
; %bb.2043:
	global_load_i8 v1, v[22:23], off
	s_wait_loadcnt 0x0
	v_bfe_i32 v20, v1, 0, 16
	s_delay_alu instid0(VALU_DEP_1)
	v_ashrrev_i32_e32 v21, 31, v20
	s_branch .LBB71_2045
.LBB71_2044:
	s_mov_b32 s0, -1
                                        ; implicit-def: $vgpr20_vgpr21
.LBB71_2045:
	s_delay_alu instid0(SALU_CYCLE_1)
	s_and_not1_b32 vcc_lo, exec_lo, s0
	s_cbranch_vccnz .LBB71_2047
; %bb.2046:
	global_load_u8 v1, v[22:23], off
	s_mov_b32 s0, 0
	s_wait_loadcnt 0x1
	v_mov_b32_e32 v21, s0
	s_wait_loadcnt 0x0
	v_and_b32_e32 v20, 0xffff, v1
.LBB71_2047:
.LBB71_2048:
	v_mov_b32_e32 v15, 0
	s_and_b32 s13, 0xffff, s13
	s_delay_alu instid0(SALU_CYCLE_1) | instskip(NEXT) | instid1(VALU_DEP_1)
	s_cmp_lt_i32 s13, 11
	v_add_nc_u64_e32 v[14:15], s[8:9], v[14:15]
	s_cbranch_scc1 .LBB71_2055
; %bb.2049:
	s_cmp_gt_i32 s13, 25
	s_mov_b32 s14, 0
	s_cbranch_scc0 .LBB71_2056
; %bb.2050:
	s_cmp_gt_i32 s13, 28
	s_cbranch_scc0 .LBB71_2057
; %bb.2051:
	s_cmp_gt_i32 s13, 43
	;; [unrolled: 3-line block ×3, first 2 shown]
	s_cbranch_scc0 .LBB71_2060
; %bb.2053:
	s_cmp_eq_u32 s13, 46
	s_mov_b32 s16, 0
	s_cbranch_scc0 .LBB71_2061
; %bb.2054:
	global_load_b32 v1, v[14:15], off
	s_mov_b32 s0, 0
	s_mov_b32 s15, -1
	s_wait_loadcnt 0x0
	v_lshlrev_b32_e32 v1, 16, v1
	s_delay_alu instid0(VALU_DEP_1) | instskip(NEXT) | instid1(VALU_DEP_1)
	v_trunc_f32_e32 v1, v1
	v_mul_f32_e64 v3, 0x2f800000, |v1|
	s_wait_xcnt 0x1
	v_ashrrev_i32_e32 v22, 31, v1
	s_delay_alu instid0(VALU_DEP_2) | instskip(NEXT) | instid1(VALU_DEP_2)
	v_floor_f32_e32 v3, v3
	v_mov_b32_e32 v23, v22
	s_delay_alu instid0(VALU_DEP_2) | instskip(SKIP_1) | instid1(VALU_DEP_2)
	v_fma_f32 v5, 0xcf800000, v3, |v1|
	v_cvt_u32_f32_e32 v1, v3
	v_cvt_u32_f32_e32 v3, v5
	s_delay_alu instid0(VALU_DEP_2) | instskip(NEXT) | instid1(VALU_DEP_2)
	v_xor_b32_e32 v25, v1, v22
	v_xor_b32_e32 v24, v3, v22
	s_delay_alu instid0(VALU_DEP_1)
	v_sub_nc_u64_e32 v[22:23], v[24:25], v[22:23]
	s_branch .LBB71_2063
.LBB71_2055:
	s_mov_b32 s0, -1
	s_mov_b32 s15, 0
                                        ; implicit-def: $vgpr22_vgpr23
	s_branch .LBB71_2125
.LBB71_2056:
	s_mov_b32 s16, -1
	s_mov_b32 s15, 0
	s_mov_b32 s0, 0
                                        ; implicit-def: $vgpr22_vgpr23
	s_branch .LBB71_2090
.LBB71_2057:
	s_mov_b32 s16, -1
	s_mov_b32 s15, 0
	s_mov_b32 s0, 0
                                        ; implicit-def: $vgpr22_vgpr23
	s_branch .LBB71_2073
.LBB71_2058:
	s_mov_b32 s16, -1
	s_mov_b32 s15, 0
	s_mov_b32 s0, 0
                                        ; implicit-def: $vgpr22_vgpr23
	s_branch .LBB71_2068
.LBB71_2059:
	s_or_b32 s1, s1, exec_lo
	s_trap 2
	s_cbranch_execz .LBB71_1998
	s_branch .LBB71_1999
.LBB71_2060:
	s_mov_b32 s16, -1
	s_mov_b32 s15, 0
	s_mov_b32 s0, 0
	s_branch .LBB71_2062
.LBB71_2061:
	s_mov_b32 s0, -1
	s_mov_b32 s15, 0
.LBB71_2062:
                                        ; implicit-def: $vgpr22_vgpr23
.LBB71_2063:
	s_and_b32 vcc_lo, exec_lo, s16
	s_cbranch_vccz .LBB71_2067
; %bb.2064:
	s_cmp_eq_u32 s13, 44
	s_cbranch_scc0 .LBB71_2066
; %bb.2065:
	global_load_u8 v1, v[14:15], off
	s_mov_b32 s0, 0
	s_mov_b32 s15, -1
	s_wait_loadcnt 0x0
	v_lshlrev_b32_e32 v3, 23, v1
	v_cmp_ne_u32_e32 vcc_lo, 0, v1
	s_delay_alu instid0(VALU_DEP_2) | instskip(NEXT) | instid1(VALU_DEP_1)
	v_trunc_f32_e32 v3, v3
	v_mul_f32_e64 v5, 0x2f800000, |v3|
	s_wait_xcnt 0x1
	v_ashrrev_i32_e32 v22, 31, v3
	s_delay_alu instid0(VALU_DEP_2) | instskip(NEXT) | instid1(VALU_DEP_2)
	v_floor_f32_e32 v5, v5
	v_mov_b32_e32 v23, v22
	s_delay_alu instid0(VALU_DEP_2) | instskip(SKIP_1) | instid1(VALU_DEP_2)
	v_fma_f32 v7, 0xcf800000, v5, |v3|
	v_cvt_u32_f32_e32 v3, v5
	v_cvt_u32_f32_e32 v5, v7
	s_delay_alu instid0(VALU_DEP_2) | instskip(NEXT) | instid1(VALU_DEP_2)
	v_xor_b32_e32 v25, v3, v22
	v_xor_b32_e32 v24, v5, v22
	s_delay_alu instid0(VALU_DEP_1) | instskip(NEXT) | instid1(VALU_DEP_1)
	v_sub_nc_u64_e32 v[22:23], v[24:25], v[22:23]
	v_dual_cndmask_b32 v23, 0, v23 :: v_dual_cndmask_b32 v22, 0, v22
	s_branch .LBB71_2067
.LBB71_2066:
	s_mov_b32 s0, -1
                                        ; implicit-def: $vgpr22_vgpr23
.LBB71_2067:
	s_mov_b32 s16, 0
.LBB71_2068:
	s_delay_alu instid0(SALU_CYCLE_1)
	s_and_b32 vcc_lo, exec_lo, s16
	s_cbranch_vccz .LBB71_2072
; %bb.2069:
	s_cmp_eq_u32 s13, 29
	s_cbranch_scc0 .LBB71_2071
; %bb.2070:
	global_load_b64 v[22:23], v[14:15], off
	s_mov_b32 s0, 0
	s_mov_b32 s15, -1
	s_branch .LBB71_2072
.LBB71_2071:
	s_mov_b32 s0, -1
                                        ; implicit-def: $vgpr22_vgpr23
.LBB71_2072:
	s_mov_b32 s16, 0
.LBB71_2073:
	s_delay_alu instid0(SALU_CYCLE_1)
	s_and_b32 vcc_lo, exec_lo, s16
	s_cbranch_vccz .LBB71_2089
; %bb.2074:
	s_cmp_lt_i32 s13, 27
	s_cbranch_scc1 .LBB71_2077
; %bb.2075:
	s_cmp_gt_i32 s13, 27
	s_cbranch_scc0 .LBB71_2078
; %bb.2076:
	s_wait_loadcnt 0x0
	global_load_b32 v22, v[14:15], off
	v_mov_b32_e32 v23, 0
	s_mov_b32 s15, 0
	s_branch .LBB71_2079
.LBB71_2077:
	s_mov_b32 s15, -1
                                        ; implicit-def: $vgpr22_vgpr23
	s_branch .LBB71_2082
.LBB71_2078:
	s_mov_b32 s15, -1
                                        ; implicit-def: $vgpr22_vgpr23
.LBB71_2079:
	s_delay_alu instid0(SALU_CYCLE_1)
	s_and_not1_b32 vcc_lo, exec_lo, s15
	s_cbranch_vccnz .LBB71_2081
; %bb.2080:
	global_load_u16 v1, v[14:15], off
	s_mov_b32 s15, 0
	s_wait_loadcnt 0x1
	s_wait_xcnt 0x1
	v_mov_b32_e32 v23, s15
	s_wait_loadcnt 0x0
	v_and_b32_e32 v22, 0xffff, v1
.LBB71_2081:
	s_mov_b32 s15, 0
.LBB71_2082:
	s_delay_alu instid0(SALU_CYCLE_1)
	s_and_not1_b32 vcc_lo, exec_lo, s15
	s_cbranch_vccnz .LBB71_2088
; %bb.2083:
	global_load_u8 v1, v[14:15], off
	s_mov_b32 s16, 0
	s_mov_b32 s15, exec_lo
	s_wait_loadcnt 0x0
	v_cmpx_lt_i16_e32 0x7f, v1
	s_xor_b32 s15, exec_lo, s15
	s_cbranch_execz .LBB71_2100
; %bb.2084:
	v_cmp_ne_u16_e32 vcc_lo, 0x80, v1
	s_and_b32 s16, vcc_lo, exec_lo
	s_and_not1_saveexec_b32 s15, s15
	s_cbranch_execnz .LBB71_2101
.LBB71_2085:
	s_or_b32 exec_lo, exec_lo, s15
	v_mov_b64_e32 v[22:23], 0
	s_and_saveexec_b32 s15, s16
	s_cbranch_execz .LBB71_2087
.LBB71_2086:
	v_and_b32_e32 v3, 0xffff, v1
	s_delay_alu instid0(VALU_DEP_1) | instskip(SKIP_1) | instid1(VALU_DEP_2)
	v_dual_lshlrev_b32 v1, 24, v1 :: v_dual_bitop2_b32 v5, 7, v3 bitop3:0x40
	v_bfe_u32 v13, v3, 3, 4
	v_and_b32_e32 v1, 0x80000000, v1
	s_delay_alu instid0(VALU_DEP_3) | instskip(NEXT) | instid1(VALU_DEP_3)
	v_clz_i32_u32_e32 v7, v5
	v_cmp_eq_u32_e32 vcc_lo, 0, v13
	s_delay_alu instid0(VALU_DEP_2) | instskip(NEXT) | instid1(VALU_DEP_1)
	v_min_u32_e32 v7, 32, v7
	v_subrev_nc_u32_e32 v9, 28, v7
	v_sub_nc_u32_e32 v7, 29, v7
	s_delay_alu instid0(VALU_DEP_2) | instskip(NEXT) | instid1(VALU_DEP_2)
	v_lshlrev_b32_e32 v3, v9, v3
	v_cndmask_b32_e32 v7, v13, v7, vcc_lo
	s_delay_alu instid0(VALU_DEP_2) | instskip(NEXT) | instid1(VALU_DEP_1)
	v_and_b32_e32 v3, 7, v3
	v_cndmask_b32_e32 v3, v5, v3, vcc_lo
	s_delay_alu instid0(VALU_DEP_3) | instskip(NEXT) | instid1(VALU_DEP_2)
	v_lshl_add_u32 v5, v7, 23, 0x3b800000
	v_lshlrev_b32_e32 v3, 20, v3
	s_delay_alu instid0(VALU_DEP_1) | instskip(NEXT) | instid1(VALU_DEP_1)
	v_or3_b32 v1, v1, v5, v3
	v_trunc_f32_e32 v1, v1
	s_delay_alu instid0(VALU_DEP_1) | instskip(SKIP_1) | instid1(VALU_DEP_2)
	v_mul_f32_e64 v3, 0x2f800000, |v1|
	v_ashrrev_i32_e32 v22, 31, v1
	v_floor_f32_e32 v3, v3
	s_delay_alu instid0(VALU_DEP_2) | instskip(NEXT) | instid1(VALU_DEP_2)
	v_mov_b32_e32 v23, v22
	v_fma_f32 v5, 0xcf800000, v3, |v1|
	v_cvt_u32_f32_e32 v1, v3
	s_delay_alu instid0(VALU_DEP_2) | instskip(NEXT) | instid1(VALU_DEP_2)
	v_cvt_u32_f32_e32 v3, v5
	v_xor_b32_e32 v25, v1, v22
	s_delay_alu instid0(VALU_DEP_2) | instskip(NEXT) | instid1(VALU_DEP_1)
	v_xor_b32_e32 v24, v3, v22
	v_sub_nc_u64_e32 v[22:23], v[24:25], v[22:23]
.LBB71_2087:
	s_or_b32 exec_lo, exec_lo, s15
.LBB71_2088:
	s_mov_b32 s15, -1
.LBB71_2089:
	s_mov_b32 s16, 0
.LBB71_2090:
	s_delay_alu instid0(SALU_CYCLE_1)
	s_and_b32 vcc_lo, exec_lo, s16
	s_cbranch_vccz .LBB71_2121
; %bb.2091:
	s_cmp_gt_i32 s13, 22
	s_cbranch_scc0 .LBB71_2099
; %bb.2092:
	s_cmp_lt_i32 s13, 24
	s_cbranch_scc1 .LBB71_2102
; %bb.2093:
	s_cmp_gt_i32 s13, 24
	s_cbranch_scc0 .LBB71_2103
; %bb.2094:
	global_load_u8 v1, v[14:15], off
	s_mov_b32 s15, 0
	s_mov_b32 s14, exec_lo
	s_wait_loadcnt 0x0
	v_cmpx_lt_i16_e32 0x7f, v1
	s_xor_b32 s14, exec_lo, s14
	s_cbranch_execz .LBB71_2115
; %bb.2095:
	v_cmp_ne_u16_e32 vcc_lo, 0x80, v1
	s_and_b32 s15, vcc_lo, exec_lo
	s_and_not1_saveexec_b32 s14, s14
	s_cbranch_execnz .LBB71_2116
.LBB71_2096:
	s_or_b32 exec_lo, exec_lo, s14
	v_mov_b64_e32 v[22:23], 0
	s_and_saveexec_b32 s14, s15
	s_cbranch_execz .LBB71_2098
.LBB71_2097:
	v_and_b32_e32 v3, 0xffff, v1
	s_delay_alu instid0(VALU_DEP_1) | instskip(SKIP_1) | instid1(VALU_DEP_2)
	v_dual_lshlrev_b32 v1, 24, v1 :: v_dual_bitop2_b32 v5, 3, v3 bitop3:0x40
	v_bfe_u32 v13, v3, 2, 5
	v_and_b32_e32 v1, 0x80000000, v1
	s_delay_alu instid0(VALU_DEP_3) | instskip(NEXT) | instid1(VALU_DEP_3)
	v_clz_i32_u32_e32 v7, v5
	v_cmp_eq_u32_e32 vcc_lo, 0, v13
	s_delay_alu instid0(VALU_DEP_2) | instskip(NEXT) | instid1(VALU_DEP_1)
	v_min_u32_e32 v7, 32, v7
	v_subrev_nc_u32_e32 v9, 29, v7
	v_sub_nc_u32_e32 v7, 30, v7
	s_delay_alu instid0(VALU_DEP_2) | instskip(NEXT) | instid1(VALU_DEP_2)
	v_lshlrev_b32_e32 v3, v9, v3
	v_cndmask_b32_e32 v7, v13, v7, vcc_lo
	s_delay_alu instid0(VALU_DEP_2) | instskip(NEXT) | instid1(VALU_DEP_1)
	v_and_b32_e32 v3, 3, v3
	v_cndmask_b32_e32 v3, v5, v3, vcc_lo
	s_delay_alu instid0(VALU_DEP_3) | instskip(NEXT) | instid1(VALU_DEP_2)
	v_lshl_add_u32 v5, v7, 23, 0x37800000
	v_lshlrev_b32_e32 v3, 21, v3
	s_delay_alu instid0(VALU_DEP_1) | instskip(NEXT) | instid1(VALU_DEP_1)
	v_or3_b32 v1, v1, v5, v3
	v_trunc_f32_e32 v1, v1
	s_delay_alu instid0(VALU_DEP_1) | instskip(SKIP_1) | instid1(VALU_DEP_2)
	v_mul_f32_e64 v3, 0x2f800000, |v1|
	v_ashrrev_i32_e32 v22, 31, v1
	v_floor_f32_e32 v3, v3
	s_delay_alu instid0(VALU_DEP_2) | instskip(NEXT) | instid1(VALU_DEP_2)
	v_mov_b32_e32 v23, v22
	v_fma_f32 v5, 0xcf800000, v3, |v1|
	v_cvt_u32_f32_e32 v1, v3
	s_delay_alu instid0(VALU_DEP_2) | instskip(NEXT) | instid1(VALU_DEP_2)
	v_cvt_u32_f32_e32 v3, v5
	v_xor_b32_e32 v25, v1, v22
	s_delay_alu instid0(VALU_DEP_2) | instskip(NEXT) | instid1(VALU_DEP_1)
	v_xor_b32_e32 v24, v3, v22
	v_sub_nc_u64_e32 v[22:23], v[24:25], v[22:23]
.LBB71_2098:
	s_or_b32 exec_lo, exec_lo, s14
	s_mov_b32 s14, 0
	s_branch .LBB71_2104
.LBB71_2099:
	s_mov_b32 s14, -1
                                        ; implicit-def: $vgpr22_vgpr23
	s_branch .LBB71_2110
.LBB71_2100:
	s_and_not1_saveexec_b32 s15, s15
	s_cbranch_execz .LBB71_2085
.LBB71_2101:
	v_cmp_ne_u16_e32 vcc_lo, 0, v1
	s_and_not1_b32 s16, s16, exec_lo
	s_and_b32 s17, vcc_lo, exec_lo
	s_delay_alu instid0(SALU_CYCLE_1)
	s_or_b32 s16, s16, s17
	s_or_b32 exec_lo, exec_lo, s15
	v_mov_b64_e32 v[22:23], 0
	s_and_saveexec_b32 s15, s16
	s_cbranch_execnz .LBB71_2086
	s_branch .LBB71_2087
.LBB71_2102:
	s_mov_b32 s14, -1
                                        ; implicit-def: $vgpr22_vgpr23
	s_branch .LBB71_2107
.LBB71_2103:
	s_mov_b32 s14, -1
                                        ; implicit-def: $vgpr22_vgpr23
.LBB71_2104:
	s_delay_alu instid0(SALU_CYCLE_1)
	s_and_b32 vcc_lo, exec_lo, s14
	s_cbranch_vccz .LBB71_2106
; %bb.2105:
	global_load_u8 v1, v[14:15], off
	s_wait_loadcnt 0x0
	v_lshlrev_b32_e32 v1, 24, v1
	s_delay_alu instid0(VALU_DEP_1) | instskip(NEXT) | instid1(VALU_DEP_1)
	v_and_b32_e32 v3, 0x7f000000, v1
	v_clz_i32_u32_e32 v5, v3
	v_add_nc_u32_e32 v9, 0x1000000, v3
	v_cmp_ne_u32_e32 vcc_lo, 0, v3
	s_delay_alu instid0(VALU_DEP_3) | instskip(NEXT) | instid1(VALU_DEP_1)
	v_min_u32_e32 v5, 32, v5
	v_sub_nc_u32_e64 v5, v5, 4 clamp
	s_delay_alu instid0(VALU_DEP_1) | instskip(NEXT) | instid1(VALU_DEP_1)
	v_dual_lshlrev_b32 v7, v5, v3 :: v_dual_lshlrev_b32 v5, 23, v5
	v_lshrrev_b32_e32 v7, 4, v7
	s_delay_alu instid0(VALU_DEP_1) | instskip(SKIP_1) | instid1(VALU_DEP_2)
	v_sub_nc_u32_e32 v5, v7, v5
	v_ashrrev_i32_e32 v7, 8, v9
	v_add_nc_u32_e32 v5, 0x3c000000, v5
	s_delay_alu instid0(VALU_DEP_1) | instskip(NEXT) | instid1(VALU_DEP_1)
	v_and_or_b32 v5, 0x7f800000, v7, v5
	v_cndmask_b32_e32 v3, 0, v5, vcc_lo
	s_delay_alu instid0(VALU_DEP_1) | instskip(NEXT) | instid1(VALU_DEP_1)
	v_and_or_b32 v1, 0x80000000, v1, v3
	v_trunc_f32_e32 v1, v1
	s_delay_alu instid0(VALU_DEP_1) | instskip(SKIP_2) | instid1(VALU_DEP_2)
	v_mul_f32_e64 v3, 0x2f800000, |v1|
	s_wait_xcnt 0x1
	v_ashrrev_i32_e32 v22, 31, v1
	v_floor_f32_e32 v3, v3
	s_delay_alu instid0(VALU_DEP_2) | instskip(NEXT) | instid1(VALU_DEP_2)
	v_mov_b32_e32 v23, v22
	v_fma_f32 v5, 0xcf800000, v3, |v1|
	v_cvt_u32_f32_e32 v1, v3
	s_delay_alu instid0(VALU_DEP_2) | instskip(NEXT) | instid1(VALU_DEP_2)
	v_cvt_u32_f32_e32 v3, v5
	v_xor_b32_e32 v25, v1, v22
	s_delay_alu instid0(VALU_DEP_2) | instskip(NEXT) | instid1(VALU_DEP_1)
	v_xor_b32_e32 v24, v3, v22
	v_sub_nc_u64_e32 v[22:23], v[24:25], v[22:23]
.LBB71_2106:
	s_mov_b32 s14, 0
.LBB71_2107:
	s_delay_alu instid0(SALU_CYCLE_1)
	s_and_not1_b32 vcc_lo, exec_lo, s14
	s_cbranch_vccnz .LBB71_2109
; %bb.2108:
	global_load_u8 v1, v[14:15], off
	s_wait_loadcnt 0x0
	v_lshlrev_b32_e32 v3, 25, v1
	v_lshlrev_b16 v1, 8, v1
	s_delay_alu instid0(VALU_DEP_1) | instskip(SKIP_1) | instid1(VALU_DEP_2)
	v_and_or_b32 v7, 0x7f00, v1, 0.5
	v_bfe_i32 v1, v1, 0, 16
	v_add_f32_e32 v7, -0.5, v7
	v_lshrrev_b32_e32 v5, 4, v3
	v_cmp_gt_u32_e32 vcc_lo, 0x8000000, v3
	s_delay_alu instid0(VALU_DEP_2) | instskip(NEXT) | instid1(VALU_DEP_1)
	v_or_b32_e32 v5, 0x70000000, v5
	v_mul_f32_e32 v5, 0x7800000, v5
	s_delay_alu instid0(VALU_DEP_1) | instskip(NEXT) | instid1(VALU_DEP_1)
	v_cndmask_b32_e32 v3, v5, v7, vcc_lo
	v_and_or_b32 v1, 0x80000000, v1, v3
	s_delay_alu instid0(VALU_DEP_1) | instskip(NEXT) | instid1(VALU_DEP_1)
	v_trunc_f32_e32 v1, v1
	v_mul_f32_e64 v3, 0x2f800000, |v1|
	s_wait_xcnt 0x1
	v_ashrrev_i32_e32 v22, 31, v1
	s_delay_alu instid0(VALU_DEP_2) | instskip(NEXT) | instid1(VALU_DEP_2)
	v_floor_f32_e32 v3, v3
	v_mov_b32_e32 v23, v22
	s_delay_alu instid0(VALU_DEP_2) | instskip(SKIP_1) | instid1(VALU_DEP_2)
	v_fma_f32 v5, 0xcf800000, v3, |v1|
	v_cvt_u32_f32_e32 v1, v3
	v_cvt_u32_f32_e32 v3, v5
	s_delay_alu instid0(VALU_DEP_2) | instskip(NEXT) | instid1(VALU_DEP_2)
	v_xor_b32_e32 v25, v1, v22
	v_xor_b32_e32 v24, v3, v22
	s_delay_alu instid0(VALU_DEP_1)
	v_sub_nc_u64_e32 v[22:23], v[24:25], v[22:23]
.LBB71_2109:
	s_mov_b32 s14, 0
	s_mov_b32 s15, -1
.LBB71_2110:
	s_and_not1_b32 vcc_lo, exec_lo, s14
	s_mov_b32 s14, 0
	s_cbranch_vccnz .LBB71_2121
; %bb.2111:
	s_cmp_gt_i32 s13, 14
	s_cbranch_scc0 .LBB71_2114
; %bb.2112:
	s_cmp_eq_u32 s13, 15
	s_cbranch_scc0 .LBB71_2117
; %bb.2113:
	global_load_u16 v1, v[14:15], off
	s_mov_b32 s0, 0
	s_mov_b32 s15, -1
	s_wait_loadcnt 0x0
	v_lshlrev_b32_e32 v1, 16, v1
	s_delay_alu instid0(VALU_DEP_1) | instskip(NEXT) | instid1(VALU_DEP_1)
	v_trunc_f32_e32 v1, v1
	v_mul_f32_e64 v3, 0x2f800000, |v1|
	s_wait_xcnt 0x1
	v_ashrrev_i32_e32 v22, 31, v1
	s_delay_alu instid0(VALU_DEP_2) | instskip(NEXT) | instid1(VALU_DEP_2)
	v_floor_f32_e32 v3, v3
	v_mov_b32_e32 v23, v22
	s_delay_alu instid0(VALU_DEP_2) | instskip(SKIP_1) | instid1(VALU_DEP_2)
	v_fma_f32 v5, 0xcf800000, v3, |v1|
	v_cvt_u32_f32_e32 v1, v3
	v_cvt_u32_f32_e32 v3, v5
	s_delay_alu instid0(VALU_DEP_2) | instskip(NEXT) | instid1(VALU_DEP_2)
	v_xor_b32_e32 v25, v1, v22
	v_xor_b32_e32 v24, v3, v22
	s_delay_alu instid0(VALU_DEP_1)
	v_sub_nc_u64_e32 v[22:23], v[24:25], v[22:23]
	s_branch .LBB71_2119
.LBB71_2114:
	s_mov_b32 s14, -1
	s_branch .LBB71_2118
.LBB71_2115:
	s_and_not1_saveexec_b32 s14, s14
	s_cbranch_execz .LBB71_2096
.LBB71_2116:
	v_cmp_ne_u16_e32 vcc_lo, 0, v1
	s_and_not1_b32 s15, s15, exec_lo
	s_and_b32 s16, vcc_lo, exec_lo
	s_delay_alu instid0(SALU_CYCLE_1)
	s_or_b32 s15, s15, s16
	s_or_b32 exec_lo, exec_lo, s14
	v_mov_b64_e32 v[22:23], 0
	s_and_saveexec_b32 s14, s15
	s_cbranch_execnz .LBB71_2097
	s_branch .LBB71_2098
.LBB71_2117:
	s_mov_b32 s0, -1
.LBB71_2118:
                                        ; implicit-def: $vgpr22_vgpr23
.LBB71_2119:
	s_and_b32 vcc_lo, exec_lo, s14
	s_mov_b32 s14, 0
	s_cbranch_vccz .LBB71_2121
; %bb.2120:
	s_cmp_lg_u32 s13, 11
	s_mov_b32 s14, -1
	s_cselect_b32 s0, -1, 0
.LBB71_2121:
	s_delay_alu instid0(SALU_CYCLE_1)
	s_and_b32 vcc_lo, exec_lo, s0
	s_cbranch_vccnz .LBB71_2200
; %bb.2122:
	s_and_not1_b32 vcc_lo, exec_lo, s14
	s_cbranch_vccnz .LBB71_2124
.LBB71_2123:
	global_load_u8 v1, v[14:15], off
	s_mov_b32 s0, 0
	s_mov_b32 s15, -1
	s_wait_loadcnt 0x1
	s_wait_xcnt 0x1
	v_mov_b32_e32 v23, s0
	s_wait_loadcnt 0x0
	v_cmp_ne_u16_e32 vcc_lo, 0, v1
	v_cndmask_b32_e64 v22, 0, 1, vcc_lo
.LBB71_2124:
	s_mov_b32 s0, 0
.LBB71_2125:
	s_delay_alu instid0(SALU_CYCLE_1)
	s_and_b32 vcc_lo, exec_lo, s0
	s_cbranch_vccz .LBB71_2174
; %bb.2126:
	s_cmp_lt_i32 s13, 5
	s_cbranch_scc1 .LBB71_2131
; %bb.2127:
	s_cmp_lt_i32 s13, 8
	s_cbranch_scc1 .LBB71_2132
	;; [unrolled: 3-line block ×3, first 2 shown]
; %bb.2129:
	s_cmp_gt_i32 s13, 9
	s_cbranch_scc0 .LBB71_2134
; %bb.2130:
	s_wait_loadcnt 0x0
	global_load_b64 v[22:23], v[14:15], off
	s_mov_b32 s0, 0
	s_wait_loadcnt 0x0
	v_trunc_f64_e32 v[22:23], v[22:23]
	s_delay_alu instid0(VALU_DEP_1) | instskip(NEXT) | instid1(VALU_DEP_1)
	v_ldexp_f64 v[24:25], v[22:23], 0xffffffe0
	v_floor_f64_e32 v[24:25], v[24:25]
	s_delay_alu instid0(VALU_DEP_1) | instskip(SKIP_1) | instid1(VALU_DEP_2)
	v_fmamk_f64 v[26:27], v[24:25], 0xc1f00000, v[22:23]
	v_cvt_i32_f64_e32 v23, v[24:25]
	v_cvt_u32_f64_e32 v22, v[26:27]
	s_branch .LBB71_2135
.LBB71_2131:
	s_mov_b32 s0, -1
                                        ; implicit-def: $vgpr22_vgpr23
	s_branch .LBB71_2153
.LBB71_2132:
	s_mov_b32 s0, -1
                                        ; implicit-def: $vgpr22_vgpr23
	s_branch .LBB71_2141
.LBB71_2133:
	s_mov_b32 s0, -1
                                        ; implicit-def: $vgpr22_vgpr23
	s_branch .LBB71_2138
.LBB71_2134:
	s_mov_b32 s0, -1
                                        ; implicit-def: $vgpr22_vgpr23
.LBB71_2135:
	s_delay_alu instid0(SALU_CYCLE_1)
	s_and_not1_b32 vcc_lo, exec_lo, s0
	s_cbranch_vccnz .LBB71_2137
; %bb.2136:
	global_load_b32 v1, v[14:15], off
	s_wait_loadcnt 0x0
	v_trunc_f32_e32 v1, v1
	s_delay_alu instid0(VALU_DEP_1) | instskip(SKIP_2) | instid1(VALU_DEP_2)
	v_mul_f32_e64 v3, 0x2f800000, |v1|
	s_wait_xcnt 0x1
	v_ashrrev_i32_e32 v22, 31, v1
	v_floor_f32_e32 v3, v3
	s_delay_alu instid0(VALU_DEP_1) | instskip(SKIP_1) | instid1(VALU_DEP_4)
	v_fma_f32 v5, 0xcf800000, v3, |v1|
	v_cvt_u32_f32_e32 v1, v3
	v_mov_b32_e32 v23, v22
	s_delay_alu instid0(VALU_DEP_3) | instskip(NEXT) | instid1(VALU_DEP_3)
	v_cvt_u32_f32_e32 v3, v5
	v_xor_b32_e32 v25, v1, v22
	s_delay_alu instid0(VALU_DEP_2) | instskip(NEXT) | instid1(VALU_DEP_1)
	v_xor_b32_e32 v24, v3, v22
	v_sub_nc_u64_e32 v[22:23], v[24:25], v[22:23]
.LBB71_2137:
	s_mov_b32 s0, 0
.LBB71_2138:
	s_delay_alu instid0(SALU_CYCLE_1)
	s_and_not1_b32 vcc_lo, exec_lo, s0
	s_cbranch_vccnz .LBB71_2140
; %bb.2139:
	global_load_b32 v1, v[14:15], off
	s_wait_loadcnt 0x0
	v_cvt_f32_f16_e32 v1, v1
	s_wait_xcnt 0x1
	s_delay_alu instid0(VALU_DEP_1) | instskip(NEXT) | instid1(VALU_DEP_1)
	v_cvt_i32_f32_e32 v22, v1
	v_ashrrev_i32_e32 v23, 31, v22
.LBB71_2140:
	s_mov_b32 s0, 0
.LBB71_2141:
	s_delay_alu instid0(SALU_CYCLE_1)
	s_and_not1_b32 vcc_lo, exec_lo, s0
	s_cbranch_vccnz .LBB71_2152
; %bb.2142:
	s_cmp_lt_i32 s13, 6
	s_cbranch_scc1 .LBB71_2145
; %bb.2143:
	s_cmp_gt_i32 s13, 6
	s_cbranch_scc0 .LBB71_2146
; %bb.2144:
	s_wait_loadcnt 0x0
	global_load_b64 v[22:23], v[14:15], off
	s_mov_b32 s0, 0
	s_wait_loadcnt 0x0
	v_trunc_f64_e32 v[22:23], v[22:23]
	s_delay_alu instid0(VALU_DEP_1) | instskip(NEXT) | instid1(VALU_DEP_1)
	v_ldexp_f64 v[24:25], v[22:23], 0xffffffe0
	v_floor_f64_e32 v[24:25], v[24:25]
	s_delay_alu instid0(VALU_DEP_1) | instskip(SKIP_1) | instid1(VALU_DEP_2)
	v_fmamk_f64 v[26:27], v[24:25], 0xc1f00000, v[22:23]
	v_cvt_i32_f64_e32 v23, v[24:25]
	v_cvt_u32_f64_e32 v22, v[26:27]
	s_branch .LBB71_2147
.LBB71_2145:
	s_mov_b32 s0, -1
                                        ; implicit-def: $vgpr22_vgpr23
	s_branch .LBB71_2150
.LBB71_2146:
	s_mov_b32 s0, -1
                                        ; implicit-def: $vgpr22_vgpr23
.LBB71_2147:
	s_delay_alu instid0(SALU_CYCLE_1)
	s_and_not1_b32 vcc_lo, exec_lo, s0
	s_cbranch_vccnz .LBB71_2149
; %bb.2148:
	global_load_b32 v1, v[14:15], off
	s_wait_loadcnt 0x0
	v_trunc_f32_e32 v1, v1
	s_delay_alu instid0(VALU_DEP_1) | instskip(SKIP_2) | instid1(VALU_DEP_2)
	v_mul_f32_e64 v3, 0x2f800000, |v1|
	s_wait_xcnt 0x1
	v_ashrrev_i32_e32 v22, 31, v1
	v_floor_f32_e32 v3, v3
	s_delay_alu instid0(VALU_DEP_1) | instskip(SKIP_1) | instid1(VALU_DEP_4)
	v_fma_f32 v5, 0xcf800000, v3, |v1|
	v_cvt_u32_f32_e32 v1, v3
	v_mov_b32_e32 v23, v22
	s_delay_alu instid0(VALU_DEP_3) | instskip(NEXT) | instid1(VALU_DEP_3)
	v_cvt_u32_f32_e32 v3, v5
	v_xor_b32_e32 v25, v1, v22
	s_delay_alu instid0(VALU_DEP_2) | instskip(NEXT) | instid1(VALU_DEP_1)
	v_xor_b32_e32 v24, v3, v22
	v_sub_nc_u64_e32 v[22:23], v[24:25], v[22:23]
.LBB71_2149:
	s_mov_b32 s0, 0
.LBB71_2150:
	s_delay_alu instid0(SALU_CYCLE_1)
	s_and_not1_b32 vcc_lo, exec_lo, s0
	s_cbranch_vccnz .LBB71_2152
; %bb.2151:
	global_load_u16 v1, v[14:15], off
	s_wait_loadcnt 0x0
	v_cvt_f32_f16_e32 v1, v1
	s_wait_xcnt 0x1
	s_delay_alu instid0(VALU_DEP_1) | instskip(NEXT) | instid1(VALU_DEP_1)
	v_cvt_i32_f32_e32 v22, v1
	v_ashrrev_i32_e32 v23, 31, v22
.LBB71_2152:
	s_mov_b32 s0, 0
.LBB71_2153:
	s_delay_alu instid0(SALU_CYCLE_1)
	s_and_not1_b32 vcc_lo, exec_lo, s0
	s_cbranch_vccnz .LBB71_2173
; %bb.2154:
	s_cmp_lt_i32 s13, 2
	s_cbranch_scc1 .LBB71_2158
; %bb.2155:
	s_cmp_lt_i32 s13, 3
	s_cbranch_scc1 .LBB71_2159
; %bb.2156:
	s_cmp_gt_i32 s13, 3
	s_cbranch_scc0 .LBB71_2160
; %bb.2157:
	s_wait_loadcnt 0x0
	global_load_b64 v[22:23], v[14:15], off
	s_mov_b32 s0, 0
	s_branch .LBB71_2161
.LBB71_2158:
	s_mov_b32 s0, -1
                                        ; implicit-def: $vgpr22_vgpr23
	s_branch .LBB71_2167
.LBB71_2159:
	s_mov_b32 s0, -1
                                        ; implicit-def: $vgpr22_vgpr23
	s_branch .LBB71_2164
.LBB71_2160:
	s_mov_b32 s0, -1
                                        ; implicit-def: $vgpr22_vgpr23
.LBB71_2161:
	s_delay_alu instid0(SALU_CYCLE_1)
	s_and_not1_b32 vcc_lo, exec_lo, s0
	s_cbranch_vccnz .LBB71_2163
; %bb.2162:
	s_wait_loadcnt 0x0
	global_load_b32 v22, v[14:15], off
	s_wait_loadcnt 0x0
	v_ashrrev_i32_e32 v23, 31, v22
.LBB71_2163:
	s_mov_b32 s0, 0
.LBB71_2164:
	s_delay_alu instid0(SALU_CYCLE_1)
	s_and_not1_b32 vcc_lo, exec_lo, s0
	s_cbranch_vccnz .LBB71_2166
; %bb.2165:
	global_load_u16 v1, v[14:15], off
	s_wait_loadcnt 0x0
	s_wait_xcnt 0x1
	v_bfe_i32 v22, v1, 0, 16
	s_delay_alu instid0(VALU_DEP_1)
	v_ashrrev_i32_e32 v23, 31, v22
.LBB71_2166:
	s_mov_b32 s0, 0
.LBB71_2167:
	s_delay_alu instid0(SALU_CYCLE_1)
	s_and_not1_b32 vcc_lo, exec_lo, s0
	s_cbranch_vccnz .LBB71_2173
; %bb.2168:
	s_cmp_gt_i32 s13, 0
	s_mov_b32 s0, 0
	s_cbranch_scc0 .LBB71_2170
; %bb.2169:
	global_load_i8 v1, v[14:15], off
	s_wait_loadcnt 0x0
	s_wait_xcnt 0x1
	v_bfe_i32 v22, v1, 0, 16
	s_delay_alu instid0(VALU_DEP_1)
	v_ashrrev_i32_e32 v23, 31, v22
	s_branch .LBB71_2171
.LBB71_2170:
	s_mov_b32 s0, -1
                                        ; implicit-def: $vgpr22_vgpr23
.LBB71_2171:
	s_delay_alu instid0(SALU_CYCLE_1)
	s_and_not1_b32 vcc_lo, exec_lo, s0
	s_cbranch_vccnz .LBB71_2173
; %bb.2172:
	global_load_u8 v1, v[14:15], off
	s_mov_b32 s0, 0
	s_wait_loadcnt 0x1
	s_wait_xcnt 0x1
	v_mov_b32_e32 v23, s0
	s_wait_loadcnt 0x0
	v_and_b32_e32 v22, 0xffff, v1
.LBB71_2173:
	s_mov_b32 s15, -1
.LBB71_2174:
	s_delay_alu instid0(SALU_CYCLE_1)
	s_and_not1_b32 vcc_lo, exec_lo, s15
	s_cbranch_vccnz .LBB71_2715
; %bb.2175:
	s_wait_loadcnt 0x0
	s_delay_alu instid0(VALU_DEP_1) | instskip(SKIP_1) | instid1(VALU_DEP_1)
	v_sub_nc_u64_e32 v[14:15], 0, v[22:23]
	s_mov_b32 s14, exec_lo
	v_max_i64 v[24:25], v[22:23], v[14:15]
	v_cmpx_ne_u64_e32 0, v[20:21]
	s_cbranch_execz .LBB71_2183
; %bb.2176:
	v_sub_nc_u64_e32 v[14:15], 0, v[20:21]
	s_mov_b32 s15, 0
	s_delay_alu instid0(VALU_DEP_1)
	v_max_i64 v[28:29], v[20:21], v[14:15]
	v_mov_b32_e32 v14, 0
	s_branch .LBB71_2178
.LBB71_2177:                            ;   in Loop: Header=BB71_2178 Depth=1
	s_or_b32 exec_lo, exec_lo, s0
	s_delay_alu instid0(VALU_DEP_1) | instskip(SKIP_2) | instid1(SALU_CYCLE_1)
	v_cmp_eq_u64_e32 vcc_lo, 0, v[28:29]
	v_mov_b64_e32 v[24:25], v[26:27]
	s_or_b32 s15, vcc_lo, s15
	s_and_not1_b32 exec_lo, exec_lo, s15
	s_cbranch_execz .LBB71_2182
.LBB71_2178:                            ; =>This Inner Loop Header: Depth=1
	s_delay_alu instid0(VALU_DEP_2) | instskip(SKIP_1) | instid1(VALU_DEP_1)
	v_mov_b64_e32 v[26:27], v[28:29]
                                        ; implicit-def: $vgpr28_vgpr29
	s_mov_b32 s0, exec_lo
	v_or_b32_e32 v15, v25, v27
	s_delay_alu instid0(VALU_DEP_1)
	v_cmpx_ne_u64_e32 0, v[14:15]
	s_xor_b32 s16, exec_lo, s0
	s_cbranch_execz .LBB71_2180
; %bb.2179:                             ;   in Loop: Header=BB71_2178 Depth=1
	s_delay_alu instid0(VALU_DEP_3) | instskip(SKIP_4) | instid1(VALU_DEP_4)
	v_cvt_f32_u32_e32 v1, v26
	v_cvt_f32_u32_e32 v3, v27
	v_sub_nc_u64_e32 v[30:31], 0, v[26:27]
	v_dual_mov_b32 v29, v14 :: v_dual_mov_b32 v37, v14
	v_mov_b32_e32 v39, v14
	v_fmac_f32_e32 v1, 0x4f800000, v3
	s_delay_alu instid0(VALU_DEP_1) | instskip(SKIP_1) | instid1(TRANS32_DEP_1)
	v_rcp_f32_e32 v1, v1
	v_nop
	v_mul_f32_e32 v1, 0x5f7ffffc, v1
	s_delay_alu instid0(VALU_DEP_1) | instskip(NEXT) | instid1(VALU_DEP_1)
	v_mul_f32_e32 v3, 0x2f800000, v1
	v_trunc_f32_e32 v3, v3
	s_delay_alu instid0(VALU_DEP_1) | instskip(SKIP_1) | instid1(VALU_DEP_2)
	v_fmac_f32_e32 v1, 0xcf800000, v3
	v_cvt_u32_f32_e32 v33, v3
	v_cvt_u32_f32_e32 v28, v1
	s_delay_alu instid0(VALU_DEP_1) | instskip(NEXT) | instid1(VALU_DEP_1)
	v_dual_mov_b32 v38, v33 :: v_dual_mov_b32 v32, v28
	v_mul_u64_e32 v[34:35], v[30:31], v[32:33]
	s_delay_alu instid0(VALU_DEP_1) | instskip(NEXT) | instid1(VALU_DEP_1)
	v_dual_mov_b32 v36, v35 :: v_dual_mov_b32 v35, v14
	v_mul_u64_e32 v[40:41], v[28:29], v[36:37]
	s_delay_alu instid0(VALU_DEP_2) | instskip(SKIP_2) | instid1(VALU_DEP_1)
	v_mul_u64_e32 v[42:43], v[38:39], v[34:35]
	v_mul_u64_e32 v[36:37], v[38:39], v[36:37]
	v_mul_hi_u32 v34, v28, v34
	v_add_nc_u64_e32 v[34:35], v[34:35], v[40:41]
	s_delay_alu instid0(VALU_DEP_1) | instskip(NEXT) | instid1(VALU_DEP_2)
	v_add_co_u32 v1, vcc_lo, v34, v42
	v_add_co_ci_u32_e32 v38, vcc_lo, v35, v43, vcc_lo
	v_add_co_ci_u32_e32 v37, vcc_lo, 0, v37, vcc_lo
	s_delay_alu instid0(VALU_DEP_1) | instskip(NEXT) | instid1(VALU_DEP_1)
	v_add_nc_u64_e32 v[34:35], v[38:39], v[36:37]
	v_add_co_u32 v28, vcc_lo, v28, v34
	s_delay_alu instid0(VALU_DEP_1) | instskip(SKIP_1) | instid1(VALU_DEP_2)
	v_add_co_ci_u32_e64 v32, null, v33, v35, vcc_lo
	v_dual_mov_b32 v35, v14 :: v_dual_mov_b32 v33, v14
	v_mov_b32_e32 v29, v32
	s_delay_alu instid0(VALU_DEP_1) | instskip(NEXT) | instid1(VALU_DEP_1)
	v_mul_u64_e32 v[30:31], v[30:31], v[28:29]
	v_dual_mov_b32 v29, v14 :: v_dual_mov_b32 v34, v31
	s_delay_alu instid0(VALU_DEP_2) | instskip(SKIP_1) | instid1(VALU_DEP_3)
	v_dual_mov_b32 v38, v30 :: v_dual_mov_b32 v31, v14
	v_mul_hi_u32 v30, v28, v30
	v_mul_u64_e32 v[36:37], v[28:29], v[34:35]
	s_delay_alu instid0(VALU_DEP_3) | instskip(SKIP_1) | instid1(VALU_DEP_3)
	v_mul_u64_e32 v[38:39], v[32:33], v[38:39]
	v_mul_u64_e32 v[34:35], v[32:33], v[34:35]
	v_add_nc_u64_e32 v[30:31], v[30:31], v[36:37]
	v_mov_b32_e32 v37, v14
	s_delay_alu instid0(VALU_DEP_2) | instskip(NEXT) | instid1(VALU_DEP_3)
	v_add_co_u32 v1, vcc_lo, v30, v38
	v_add_co_ci_u32_e32 v36, vcc_lo, v31, v39, vcc_lo
	v_add_co_ci_u32_e32 v35, vcc_lo, 0, v35, vcc_lo
	s_delay_alu instid0(VALU_DEP_1) | instskip(SKIP_1) | instid1(VALU_DEP_2)
	v_add_nc_u64_e32 v[30:31], v[36:37], v[34:35]
	v_dual_mov_b32 v34, v24 :: v_dual_mov_b32 v35, v14
	v_add_co_u32 v30, vcc_lo, v28, v30
	s_delay_alu instid0(VALU_DEP_1) | instskip(SKIP_1) | instid1(VALU_DEP_2)
	v_add_co_ci_u32_e64 v28, null, v32, v31, vcc_lo
	v_dual_mov_b32 v32, v25 :: v_dual_mov_b32 v31, v14
	v_mul_u64_e32 v[34:35], v[34:35], v[28:29]
	s_delay_alu instid0(VALU_DEP_2) | instskip(NEXT) | instid1(VALU_DEP_3)
	v_mul_u64_e32 v[28:29], v[32:33], v[28:29]
	v_mul_u64_e32 v[36:37], v[32:33], v[30:31]
	v_mul_hi_u32 v30, v24, v30
	s_delay_alu instid0(VALU_DEP_1) | instskip(NEXT) | instid1(VALU_DEP_1)
	v_add_nc_u64_e32 v[30:31], v[30:31], v[34:35]
	v_add_co_u32 v1, vcc_lo, v30, v36
	s_delay_alu instid0(VALU_DEP_2) | instskip(SKIP_1) | instid1(VALU_DEP_1)
	v_add_co_ci_u32_e32 v32, vcc_lo, v31, v37, vcc_lo
	v_add_co_ci_u32_e32 v29, vcc_lo, 0, v29, vcc_lo
	v_add_nc_u64_e32 v[28:29], v[32:33], v[28:29]
	s_delay_alu instid0(VALU_DEP_1) | instskip(NEXT) | instid1(VALU_DEP_1)
	v_mul_u64_e32 v[28:29], v[26:27], v[28:29]
	v_sub_nc_u32_e32 v1, v25, v29
	s_delay_alu instid0(VALU_DEP_2) | instskip(NEXT) | instid1(VALU_DEP_1)
	v_sub_co_u32 v3, vcc_lo, v24, v28
	v_sub_co_ci_u32_e64 v5, null, v25, v29, vcc_lo
	s_delay_alu instid0(VALU_DEP_3) | instskip(NEXT) | instid1(VALU_DEP_3)
	v_sub_co_ci_u32_e64 v1, null, v1, v27, vcc_lo
	v_sub_co_u32 v7, vcc_lo, v3, v26
	v_cmp_ge_u32_e64 s0, v3, v26
	s_delay_alu instid0(VALU_DEP_3) | instskip(SKIP_1) | instid1(VALU_DEP_3)
	v_subrev_co_ci_u32_e64 v9, null, 0, v1, vcc_lo
	v_sub_co_ci_u32_e64 v1, null, v1, v27, vcc_lo
	v_cndmask_b32_e64 v13, 0, -1, s0
	v_cmp_ge_u32_e64 s0, v7, v26
	v_cmp_ge_u32_e32 vcc_lo, v5, v27
                                        ; implicit-def: $vgpr24_vgpr25
	s_delay_alu instid0(VALU_DEP_2) | instskip(SKIP_3) | instid1(VALU_DEP_3)
	v_cndmask_b32_e64 v15, 0, -1, s0
	v_cmp_ge_u32_e64 s0, v9, v27
	v_cndmask_b32_e64 v19, 0, -1, vcc_lo
	v_cmp_eq_u32_e32 vcc_lo, v9, v27
	v_cndmask_b32_e64 v17, 0, -1, s0
	v_cmp_eq_u32_e64 s0, v5, v27
	s_delay_alu instid0(VALU_DEP_1) | instskip(SKIP_1) | instid1(VALU_DEP_1)
	v_dual_cndmask_b32 v15, v17, v15, vcc_lo :: v_dual_cndmask_b32 v13, v19, v13, s0
	v_sub_co_u32 v17, vcc_lo, v7, v26
	v_subrev_co_ci_u32_e64 v1, null, 0, v1, vcc_lo
	s_delay_alu instid0(VALU_DEP_3) | instskip(NEXT) | instid1(VALU_DEP_3)
	v_cmp_ne_u32_e32 vcc_lo, 0, v15
	v_cndmask_b32_e32 v7, v7, v17, vcc_lo
	s_delay_alu instid0(VALU_DEP_3) | instskip(SKIP_1) | instid1(VALU_DEP_2)
	v_cndmask_b32_e32 v1, v9, v1, vcc_lo
	v_cmp_ne_u32_e32 vcc_lo, 0, v13
	v_dual_cndmask_b32 v28, v3, v7 :: v_dual_cndmask_b32 v29, v5, v1
.LBB71_2180:                            ;   in Loop: Header=BB71_2178 Depth=1
	s_and_not1_saveexec_b32 s0, s16
	s_cbranch_execz .LBB71_2177
; %bb.2181:                             ;   in Loop: Header=BB71_2178 Depth=1
	v_cvt_f32_u32_e32 v1, v26
	v_dual_sub_nc_u32 v3, 0, v26 :: v_dual_mov_b32 v29, v14
	s_delay_alu instid0(VALU_DEP_2) | instskip(SKIP_1) | instid1(TRANS32_DEP_1)
	v_rcp_iflag_f32_e32 v1, v1
	v_nop
	v_mul_f32_e32 v1, 0x4f7ffffe, v1
	s_delay_alu instid0(VALU_DEP_1) | instskip(NEXT) | instid1(VALU_DEP_1)
	v_cvt_u32_f32_e32 v1, v1
	v_mul_lo_u32 v3, v3, v1
	s_delay_alu instid0(VALU_DEP_1) | instskip(NEXT) | instid1(VALU_DEP_1)
	v_mul_hi_u32 v3, v1, v3
	v_add_nc_u32_e32 v1, v1, v3
	s_delay_alu instid0(VALU_DEP_1) | instskip(NEXT) | instid1(VALU_DEP_1)
	v_mul_hi_u32 v1, v24, v1
	v_mul_lo_u32 v1, v1, v26
	s_delay_alu instid0(VALU_DEP_1) | instskip(NEXT) | instid1(VALU_DEP_1)
	v_sub_nc_u32_e32 v1, v24, v1
	v_sub_nc_u32_e32 v3, v1, v26
	v_cmp_ge_u32_e32 vcc_lo, v1, v26
	s_delay_alu instid0(VALU_DEP_2) | instskip(NEXT) | instid1(VALU_DEP_1)
	v_cndmask_b32_e32 v1, v1, v3, vcc_lo
	v_sub_nc_u32_e32 v3, v1, v26
	v_cmp_ge_u32_e32 vcc_lo, v1, v26
	s_delay_alu instid0(VALU_DEP_2)
	v_cndmask_b32_e32 v28, v1, v3, vcc_lo
	s_branch .LBB71_2177
.LBB71_2182:
	s_or_b32 exec_lo, exec_lo, s15
	v_mov_b64_e32 v[24:25], v[26:27]
.LBB71_2183:
	s_or_b32 exec_lo, exec_lo, s14
	v_mov_b64_e32 v[14:15], 0
	s_mov_b32 s14, exec_lo
	s_delay_alu instid0(VALU_DEP_2)
	v_cmpx_ne_u64_e32 0, v[24:25]
	s_cbranch_execz .LBB71_2189
; %bb.2184:
	v_dual_mov_b32 v14, 0 :: v_dual_bitop2_b32 v15, v21, v25 bitop3:0x54
                                        ; implicit-def: $vgpr26_vgpr27
	s_mov_b32 s0, exec_lo
	s_delay_alu instid0(VALU_DEP_1)
	v_cmpx_ne_u64_e32 0, v[14:15]
	s_xor_b32 s15, exec_lo, s0
	s_cbranch_execz .LBB71_2186
; %bb.2185:
	v_dual_mov_b32 v29, v14 :: v_dual_ashrrev_i32 v26, 31, v25
	v_dual_mov_b32 v37, v14 :: v_dual_mov_b32 v39, v14
	s_delay_alu instid0(VALU_DEP_2) | instskip(NEXT) | instid1(VALU_DEP_1)
	v_dual_mov_b32 v15, v14 :: v_dual_mov_b32 v27, v26
	v_add_nc_u64_e32 v[24:25], v[24:25], v[26:27]
	s_delay_alu instid0(VALU_DEP_1) | instskip(NEXT) | instid1(VALU_DEP_2)
	v_xor_b32_e32 v24, v24, v26
	v_xor_b32_e32 v25, v25, v26
	s_delay_alu instid0(VALU_DEP_2) | instskip(NEXT) | instid1(VALU_DEP_2)
	v_cvt_f32_u32_e32 v1, v24
	v_cvt_f32_u32_e32 v3, v25
	s_delay_alu instid0(VALU_DEP_1) | instskip(NEXT) | instid1(VALU_DEP_1)
	v_fmamk_f32 v1, v3, 0x4f800000, v1
	v_rcp_f32_e32 v1, v1
	v_nop
	s_delay_alu instid0(TRANS32_DEP_1) | instskip(NEXT) | instid1(VALU_DEP_1)
	v_mul_f32_e32 v1, 0x5f7ffffc, v1
	v_mul_f32_e32 v3, 0x2f800000, v1
	s_delay_alu instid0(VALU_DEP_1) | instskip(NEXT) | instid1(VALU_DEP_1)
	v_trunc_f32_e32 v3, v3
	v_fmamk_f32 v1, v3, 0xcf800000, v1
	v_cvt_u32_f32_e32 v33, v3
	s_delay_alu instid0(VALU_DEP_2) | instskip(NEXT) | instid1(VALU_DEP_1)
	v_cvt_u32_f32_e32 v28, v1
	v_dual_mov_b32 v38, v33 :: v_dual_mov_b32 v32, v28
	v_sub_nc_u64_e32 v[30:31], 0, v[24:25]
	s_delay_alu instid0(VALU_DEP_1) | instskip(NEXT) | instid1(VALU_DEP_1)
	v_mul_u64_e32 v[34:35], v[30:31], v[32:33]
	v_dual_mov_b32 v36, v35 :: v_dual_mov_b32 v35, v14
	s_delay_alu instid0(VALU_DEP_1) | instskip(NEXT) | instid1(VALU_DEP_2)
	v_mul_u64_e32 v[40:41], v[28:29], v[36:37]
	v_mul_u64_e32 v[42:43], v[38:39], v[34:35]
	;; [unrolled: 1-line block ×3, first 2 shown]
	v_mul_hi_u32 v34, v28, v34
	s_delay_alu instid0(VALU_DEP_1) | instskip(SKIP_1) | instid1(VALU_DEP_2)
	v_add_nc_u64_e32 v[34:35], v[34:35], v[40:41]
	v_ashrrev_i32_e32 v40, 31, v21
	v_add_co_u32 v1, vcc_lo, v34, v42
	s_delay_alu instid0(VALU_DEP_3) | instskip(SKIP_1) | instid1(VALU_DEP_1)
	v_add_co_ci_u32_e32 v38, vcc_lo, v35, v43, vcc_lo
	v_add_co_ci_u32_e32 v37, vcc_lo, 0, v37, vcc_lo
	v_add_nc_u64_e32 v[34:35], v[38:39], v[36:37]
	s_delay_alu instid0(VALU_DEP_1) | instskip(NEXT) | instid1(VALU_DEP_1)
	v_add_co_u32 v28, vcc_lo, v28, v34
	v_add_co_ci_u32_e64 v32, null, v33, v35, vcc_lo
	v_dual_mov_b32 v35, v14 :: v_dual_mov_b32 v33, v14
	s_delay_alu instid0(VALU_DEP_2) | instskip(NEXT) | instid1(VALU_DEP_1)
	v_mov_b32_e32 v29, v32
	v_mul_u64_e32 v[30:31], v[30:31], v[28:29]
	s_delay_alu instid0(VALU_DEP_1) | instskip(NEXT) | instid1(VALU_DEP_2)
	v_dual_mov_b32 v29, v14 :: v_dual_mov_b32 v34, v31
	v_dual_mov_b32 v38, v30 :: v_dual_mov_b32 v31, v14
	v_mul_hi_u32 v30, v28, v30
	s_delay_alu instid0(VALU_DEP_3) | instskip(NEXT) | instid1(VALU_DEP_3)
	v_mul_u64_e32 v[36:37], v[28:29], v[34:35]
	v_mul_u64_e32 v[38:39], v[32:33], v[38:39]
	;; [unrolled: 1-line block ×3, first 2 shown]
	s_delay_alu instid0(VALU_DEP_3) | instskip(SKIP_1) | instid1(VALU_DEP_2)
	v_add_nc_u64_e32 v[30:31], v[30:31], v[36:37]
	v_dual_mov_b32 v37, v14 :: v_dual_mov_b32 v41, v40
	v_add_co_u32 v1, vcc_lo, v30, v38
	s_delay_alu instid0(VALU_DEP_3) | instskip(SKIP_1) | instid1(VALU_DEP_1)
	v_add_co_ci_u32_e32 v36, vcc_lo, v31, v39, vcc_lo
	v_add_co_ci_u32_e32 v35, vcc_lo, 0, v35, vcc_lo
	v_add_nc_u64_e32 v[30:31], v[36:37], v[34:35]
	v_mov_b32_e32 v35, v14
	v_add_nc_u64_e32 v[20:21], v[20:21], v[40:41]
	s_delay_alu instid0(VALU_DEP_3) | instskip(NEXT) | instid1(VALU_DEP_2)
	v_add_co_u32 v30, vcc_lo, v28, v30
	v_xor_b32_e32 v34, v20, v40
	v_add_co_ci_u32_e64 v28, null, v32, v31, vcc_lo
	s_delay_alu instid0(VALU_DEP_4) | instskip(NEXT) | instid1(VALU_DEP_2)
	v_dual_mov_b32 v31, v14 :: v_dual_bitop2_b32 v32, v21, v40 bitop3:0x14
	v_mul_u64_e32 v[36:37], v[34:35], v[28:29]
	s_delay_alu instid0(VALU_DEP_2) | instskip(SKIP_2) | instid1(VALU_DEP_1)
	v_mul_u64_e32 v[20:21], v[32:33], v[30:31]
	v_mul_u64_e32 v[28:29], v[32:33], v[28:29]
	v_mul_hi_u32 v30, v34, v30
	v_add_nc_u64_e32 v[30:31], v[30:31], v[36:37]
	s_delay_alu instid0(VALU_DEP_1) | instskip(NEXT) | instid1(VALU_DEP_2)
	v_add_co_u32 v1, vcc_lo, v30, v20
	v_add_co_ci_u32_e32 v14, vcc_lo, v31, v21, vcc_lo
	v_add_co_ci_u32_e32 v29, vcc_lo, 0, v29, vcc_lo
	s_delay_alu instid0(VALU_DEP_1) | instskip(NEXT) | instid1(VALU_DEP_1)
	v_add_nc_u64_e32 v[14:15], v[14:15], v[28:29]
	v_mul_u64_e32 v[20:21], v[24:25], v[14:15]
	v_add_nc_u64_e32 v[28:29], 1, v[14:15]
	s_delay_alu instid0(VALU_DEP_2) | instskip(NEXT) | instid1(VALU_DEP_3)
	v_sub_nc_u32_e32 v1, v32, v21
	v_sub_co_u32 v3, vcc_lo, v34, v20
	s_delay_alu instid0(VALU_DEP_1) | instskip(NEXT) | instid1(VALU_DEP_3)
	v_sub_co_ci_u32_e64 v7, null, v32, v21, vcc_lo
	v_sub_co_ci_u32_e64 v1, null, v1, v25, vcc_lo
	s_delay_alu instid0(VALU_DEP_3) | instskip(SKIP_1) | instid1(VALU_DEP_3)
	v_sub_co_u32 v5, s0, v3, v24
	v_add_nc_u64_e32 v[20:21], 2, v[14:15]
	v_subrev_co_ci_u32_e64 v1, null, 0, v1, s0
	s_delay_alu instid0(VALU_DEP_3) | instskip(SKIP_1) | instid1(VALU_DEP_3)
	v_cmp_ge_u32_e32 vcc_lo, v5, v24
	v_cndmask_b32_e64 v5, 0, -1, vcc_lo
	v_cmp_ge_u32_e32 vcc_lo, v1, v25
	v_cndmask_b32_e64 v9, 0, -1, vcc_lo
	v_cmp_ge_u32_e32 vcc_lo, v3, v24
	v_cndmask_b32_e64 v3, 0, -1, vcc_lo
	v_cmp_ge_u32_e32 vcc_lo, v7, v25
	v_cndmask_b32_e64 v13, 0, -1, vcc_lo
	v_cmp_eq_u32_e32 vcc_lo, v1, v25
	v_cndmask_b32_e32 v1, v9, v5, vcc_lo
	v_cmp_eq_u32_e32 vcc_lo, v7, v25
                                        ; implicit-def: $vgpr24_vgpr25
	s_delay_alu instid0(VALU_DEP_4) | instskip(NEXT) | instid1(VALU_DEP_3)
	v_cndmask_b32_e32 v3, v13, v3, vcc_lo
	v_cmp_ne_u32_e32 vcc_lo, 0, v1
	s_delay_alu instid0(VALU_DEP_2) | instskip(SKIP_1) | instid1(VALU_DEP_1)
	v_cmp_ne_u32_e64 s0, 0, v3
	v_dual_cndmask_b32 v1, v29, v21, vcc_lo :: v_dual_cndmask_b32 v3, v28, v20, vcc_lo
	v_dual_cndmask_b32 v1, v15, v1, s0 :: v_dual_bitop2_b32 v20, v40, v26 bitop3:0x14
	s_delay_alu instid0(VALU_DEP_1) | instskip(NEXT) | instid1(VALU_DEP_2)
	v_dual_cndmask_b32 v3, v14, v3, s0 :: v_dual_mov_b32 v21, v20
	v_xor_b32_e32 v15, v1, v20
	s_delay_alu instid0(VALU_DEP_2) | instskip(NEXT) | instid1(VALU_DEP_1)
	v_xor_b32_e32 v14, v3, v20
	v_sub_nc_u64_e32 v[26:27], v[14:15], v[20:21]
                                        ; implicit-def: $vgpr20_vgpr21
.LBB71_2186:
	s_and_not1_saveexec_b32 s0, s15
	s_cbranch_execz .LBB71_2188
; %bb.2187:
	v_cvt_f32_u32_e32 v1, v24
	v_dual_sub_nc_u32 v3, 0, v24 :: v_dual_mov_b32 v27, 0
	s_delay_alu instid0(VALU_DEP_2) | instskip(SKIP_1) | instid1(TRANS32_DEP_1)
	v_rcp_iflag_f32_e32 v1, v1
	v_nop
	v_mul_f32_e32 v1, 0x4f7ffffe, v1
	s_delay_alu instid0(VALU_DEP_1) | instskip(NEXT) | instid1(VALU_DEP_1)
	v_cvt_u32_f32_e32 v1, v1
	v_mul_lo_u32 v3, v3, v1
	s_delay_alu instid0(VALU_DEP_1) | instskip(NEXT) | instid1(VALU_DEP_1)
	v_mul_hi_u32 v3, v1, v3
	v_add_nc_u32_e32 v1, v1, v3
	s_delay_alu instid0(VALU_DEP_1) | instskip(NEXT) | instid1(VALU_DEP_1)
	v_mul_hi_u32 v1, v20, v1
	v_mul_lo_u32 v3, v1, v24
	s_delay_alu instid0(VALU_DEP_1) | instskip(NEXT) | instid1(VALU_DEP_1)
	v_dual_add_nc_u32 v5, 1, v1 :: v_dual_sub_nc_u32 v3, v20, v3
	v_cmp_ge_u32_e32 vcc_lo, v3, v24
	s_delay_alu instid0(VALU_DEP_2) | instskip(NEXT) | instid1(VALU_DEP_1)
	v_dual_sub_nc_u32 v7, v3, v24 :: v_dual_cndmask_b32 v1, v1, v5, vcc_lo
	v_dual_cndmask_b32 v3, v3, v7, vcc_lo :: v_dual_add_nc_u32 v5, 1, v1
	s_delay_alu instid0(VALU_DEP_1) | instskip(NEXT) | instid1(VALU_DEP_2)
	v_cmp_ge_u32_e32 vcc_lo, v3, v24
	v_cndmask_b32_e32 v26, v1, v5, vcc_lo
.LBB71_2188:
	s_or_b32 exec_lo, exec_lo, s0
	s_delay_alu instid0(VALU_DEP_1) | instskip(NEXT) | instid1(VALU_DEP_1)
	v_mul_u64_e32 v[14:15], v[26:27], v[22:23]
	v_sub_nc_u64_e32 v[20:21], 0, v[14:15]
	s_delay_alu instid0(VALU_DEP_1)
	v_max_i64 v[14:15], v[14:15], v[20:21]
.LBB71_2189:
	s_or_b32 exec_lo, exec_lo, s14
	v_mov_b32_e32 v19, 0
	s_cmp_lt_i32 s12, 11
	s_delay_alu instid0(VALU_DEP_1)
	v_add_nc_u64_e32 v[20:21], s[6:7], v[18:19]
	s_cbranch_scc1 .LBB71_2196
; %bb.2190:
	s_cmp_gt_i32 s12, 25
	s_mov_b32 s14, 0
	s_cbranch_scc0 .LBB71_2197
; %bb.2191:
	s_cmp_gt_i32 s12, 28
	s_cbranch_scc0 .LBB71_2198
; %bb.2192:
	s_cmp_gt_i32 s12, 43
	;; [unrolled: 3-line block ×3, first 2 shown]
	s_cbranch_scc0 .LBB71_2201
; %bb.2194:
	s_cmp_eq_u32 s12, 46
	s_mov_b32 s16, 0
	s_cbranch_scc0 .LBB71_2202
; %bb.2195:
	global_load_b32 v1, v[20:21], off
	s_mov_b32 s0, 0
	s_mov_b32 s15, -1
	s_wait_loadcnt 0x0
	v_lshlrev_b32_e32 v1, 16, v1
	s_delay_alu instid0(VALU_DEP_1) | instskip(NEXT) | instid1(VALU_DEP_1)
	v_trunc_f32_e32 v1, v1
	v_mul_f32_e64 v3, 0x2f800000, |v1|
	v_ashrrev_i32_e32 v18, 31, v1
	s_delay_alu instid0(VALU_DEP_2) | instskip(NEXT) | instid1(VALU_DEP_2)
	v_floor_f32_e32 v3, v3
	v_mov_b32_e32 v19, v18
	s_delay_alu instid0(VALU_DEP_2) | instskip(SKIP_1) | instid1(VALU_DEP_2)
	v_fma_f32 v5, 0xcf800000, v3, |v1|
	v_cvt_u32_f32_e32 v1, v3
	v_cvt_u32_f32_e32 v3, v5
	s_delay_alu instid0(VALU_DEP_2) | instskip(NEXT) | instid1(VALU_DEP_2)
	v_xor_b32_e32 v23, v1, v18
	v_xor_b32_e32 v22, v3, v18
	s_delay_alu instid0(VALU_DEP_1)
	v_sub_nc_u64_e32 v[18:19], v[22:23], v[18:19]
	s_branch .LBB71_2204
.LBB71_2196:
	s_mov_b32 s0, -1
	s_mov_b32 s15, 0
                                        ; implicit-def: $vgpr18_vgpr19
	s_branch .LBB71_2266
.LBB71_2197:
	s_mov_b32 s16, -1
	s_mov_b32 s15, 0
	s_mov_b32 s0, 0
                                        ; implicit-def: $vgpr18_vgpr19
	s_branch .LBB71_2231
.LBB71_2198:
	s_mov_b32 s16, -1
	s_mov_b32 s15, 0
	s_mov_b32 s0, 0
                                        ; implicit-def: $vgpr18_vgpr19
	s_branch .LBB71_2214
.LBB71_2199:
	s_mov_b32 s16, -1
	s_mov_b32 s15, 0
	s_mov_b32 s0, 0
                                        ; implicit-def: $vgpr18_vgpr19
	s_branch .LBB71_2209
.LBB71_2200:
	s_or_b32 s1, s1, exec_lo
	s_trap 2
	s_cbranch_execz .LBB71_2123
	s_branch .LBB71_2124
.LBB71_2201:
	s_mov_b32 s16, -1
	s_mov_b32 s15, 0
	s_mov_b32 s0, 0
	s_branch .LBB71_2203
.LBB71_2202:
	s_mov_b32 s0, -1
	s_mov_b32 s15, 0
.LBB71_2203:
                                        ; implicit-def: $vgpr18_vgpr19
.LBB71_2204:
	s_and_b32 vcc_lo, exec_lo, s16
	s_cbranch_vccz .LBB71_2208
; %bb.2205:
	s_cmp_eq_u32 s12, 44
	s_cbranch_scc0 .LBB71_2207
; %bb.2206:
	global_load_u8 v1, v[20:21], off
	s_mov_b32 s0, 0
	s_mov_b32 s15, -1
	s_wait_loadcnt 0x0
	v_lshlrev_b32_e32 v3, 23, v1
	v_cmp_ne_u32_e32 vcc_lo, 0, v1
	s_delay_alu instid0(VALU_DEP_2) | instskip(NEXT) | instid1(VALU_DEP_1)
	v_trunc_f32_e32 v3, v3
	v_mul_f32_e64 v5, 0x2f800000, |v3|
	v_ashrrev_i32_e32 v18, 31, v3
	s_delay_alu instid0(VALU_DEP_2) | instskip(NEXT) | instid1(VALU_DEP_2)
	v_floor_f32_e32 v5, v5
	v_mov_b32_e32 v19, v18
	s_delay_alu instid0(VALU_DEP_2) | instskip(SKIP_1) | instid1(VALU_DEP_2)
	v_fma_f32 v7, 0xcf800000, v5, |v3|
	v_cvt_u32_f32_e32 v3, v5
	v_cvt_u32_f32_e32 v5, v7
	s_delay_alu instid0(VALU_DEP_2) | instskip(NEXT) | instid1(VALU_DEP_2)
	v_xor_b32_e32 v23, v3, v18
	v_xor_b32_e32 v22, v5, v18
	s_delay_alu instid0(VALU_DEP_1) | instskip(NEXT) | instid1(VALU_DEP_1)
	v_sub_nc_u64_e32 v[18:19], v[22:23], v[18:19]
	v_dual_cndmask_b32 v19, 0, v19 :: v_dual_cndmask_b32 v18, 0, v18
	s_branch .LBB71_2208
.LBB71_2207:
	s_mov_b32 s0, -1
                                        ; implicit-def: $vgpr18_vgpr19
.LBB71_2208:
	s_mov_b32 s16, 0
.LBB71_2209:
	s_delay_alu instid0(SALU_CYCLE_1)
	s_and_b32 vcc_lo, exec_lo, s16
	s_cbranch_vccz .LBB71_2213
; %bb.2210:
	s_cmp_eq_u32 s12, 29
	s_cbranch_scc0 .LBB71_2212
; %bb.2211:
	global_load_b64 v[18:19], v[20:21], off
	s_mov_b32 s0, 0
	s_mov_b32 s15, -1
	s_branch .LBB71_2213
.LBB71_2212:
	s_mov_b32 s0, -1
                                        ; implicit-def: $vgpr18_vgpr19
.LBB71_2213:
	s_mov_b32 s16, 0
.LBB71_2214:
	s_delay_alu instid0(SALU_CYCLE_1)
	s_and_b32 vcc_lo, exec_lo, s16
	s_cbranch_vccz .LBB71_2230
; %bb.2215:
	s_cmp_lt_i32 s12, 27
	s_cbranch_scc1 .LBB71_2218
; %bb.2216:
	s_cmp_gt_i32 s12, 27
	s_cbranch_scc0 .LBB71_2219
; %bb.2217:
	s_wait_loadcnt 0x0
	global_load_b32 v18, v[20:21], off
	v_mov_b32_e32 v19, 0
	s_mov_b32 s15, 0
	s_branch .LBB71_2220
.LBB71_2218:
	s_mov_b32 s15, -1
                                        ; implicit-def: $vgpr18_vgpr19
	s_branch .LBB71_2223
.LBB71_2219:
	s_mov_b32 s15, -1
                                        ; implicit-def: $vgpr18_vgpr19
.LBB71_2220:
	s_delay_alu instid0(SALU_CYCLE_1)
	s_and_not1_b32 vcc_lo, exec_lo, s15
	s_cbranch_vccnz .LBB71_2222
; %bb.2221:
	global_load_u16 v1, v[20:21], off
	s_mov_b32 s15, 0
	s_wait_loadcnt 0x1
	v_mov_b32_e32 v19, s15
	s_wait_loadcnt 0x0
	v_and_b32_e32 v18, 0xffff, v1
.LBB71_2222:
	s_mov_b32 s15, 0
.LBB71_2223:
	s_delay_alu instid0(SALU_CYCLE_1)
	s_and_not1_b32 vcc_lo, exec_lo, s15
	s_cbranch_vccnz .LBB71_2229
; %bb.2224:
	global_load_u8 v1, v[20:21], off
	s_mov_b32 s16, 0
	s_mov_b32 s15, exec_lo
	s_wait_loadcnt 0x0
	v_cmpx_lt_i16_e32 0x7f, v1
	s_xor_b32 s15, exec_lo, s15
	s_cbranch_execz .LBB71_2241
; %bb.2225:
	v_cmp_ne_u16_e32 vcc_lo, 0x80, v1
	s_and_b32 s16, vcc_lo, exec_lo
	s_and_not1_saveexec_b32 s15, s15
	s_cbranch_execnz .LBB71_2242
.LBB71_2226:
	s_or_b32 exec_lo, exec_lo, s15
	v_mov_b64_e32 v[18:19], 0
	s_and_saveexec_b32 s15, s16
	s_cbranch_execz .LBB71_2228
.LBB71_2227:
	v_and_b32_e32 v3, 0xffff, v1
	s_delay_alu instid0(VALU_DEP_1) | instskip(SKIP_1) | instid1(VALU_DEP_2)
	v_dual_lshlrev_b32 v1, 24, v1 :: v_dual_bitop2_b32 v5, 7, v3 bitop3:0x40
	v_bfe_u32 v13, v3, 3, 4
	v_and_b32_e32 v1, 0x80000000, v1
	s_delay_alu instid0(VALU_DEP_3) | instskip(NEXT) | instid1(VALU_DEP_3)
	v_clz_i32_u32_e32 v7, v5
	v_cmp_eq_u32_e32 vcc_lo, 0, v13
	s_delay_alu instid0(VALU_DEP_2) | instskip(NEXT) | instid1(VALU_DEP_1)
	v_min_u32_e32 v7, 32, v7
	v_subrev_nc_u32_e32 v9, 28, v7
	v_sub_nc_u32_e32 v7, 29, v7
	s_delay_alu instid0(VALU_DEP_2) | instskip(NEXT) | instid1(VALU_DEP_2)
	v_lshlrev_b32_e32 v3, v9, v3
	v_cndmask_b32_e32 v7, v13, v7, vcc_lo
	s_delay_alu instid0(VALU_DEP_2) | instskip(NEXT) | instid1(VALU_DEP_1)
	v_and_b32_e32 v3, 7, v3
	v_cndmask_b32_e32 v3, v5, v3, vcc_lo
	s_delay_alu instid0(VALU_DEP_3) | instskip(NEXT) | instid1(VALU_DEP_2)
	v_lshl_add_u32 v5, v7, 23, 0x3b800000
	v_lshlrev_b32_e32 v3, 20, v3
	s_delay_alu instid0(VALU_DEP_1) | instskip(NEXT) | instid1(VALU_DEP_1)
	v_or3_b32 v1, v1, v5, v3
	v_trunc_f32_e32 v1, v1
	s_delay_alu instid0(VALU_DEP_1) | instskip(SKIP_1) | instid1(VALU_DEP_2)
	v_mul_f32_e64 v3, 0x2f800000, |v1|
	v_ashrrev_i32_e32 v18, 31, v1
	v_floor_f32_e32 v3, v3
	s_delay_alu instid0(VALU_DEP_2) | instskip(NEXT) | instid1(VALU_DEP_2)
	v_mov_b32_e32 v19, v18
	v_fma_f32 v5, 0xcf800000, v3, |v1|
	v_cvt_u32_f32_e32 v1, v3
	s_delay_alu instid0(VALU_DEP_2) | instskip(NEXT) | instid1(VALU_DEP_2)
	v_cvt_u32_f32_e32 v3, v5
	v_xor_b32_e32 v23, v1, v18
	s_delay_alu instid0(VALU_DEP_2) | instskip(NEXT) | instid1(VALU_DEP_1)
	v_xor_b32_e32 v22, v3, v18
	v_sub_nc_u64_e32 v[18:19], v[22:23], v[18:19]
.LBB71_2228:
	s_or_b32 exec_lo, exec_lo, s15
.LBB71_2229:
	s_mov_b32 s15, -1
.LBB71_2230:
	s_mov_b32 s16, 0
.LBB71_2231:
	s_delay_alu instid0(SALU_CYCLE_1)
	s_and_b32 vcc_lo, exec_lo, s16
	s_cbranch_vccz .LBB71_2262
; %bb.2232:
	s_cmp_gt_i32 s12, 22
	s_cbranch_scc0 .LBB71_2240
; %bb.2233:
	s_cmp_lt_i32 s12, 24
	s_cbranch_scc1 .LBB71_2243
; %bb.2234:
	s_cmp_gt_i32 s12, 24
	s_cbranch_scc0 .LBB71_2244
; %bb.2235:
	global_load_u8 v1, v[20:21], off
	s_mov_b32 s15, 0
	s_mov_b32 s14, exec_lo
	s_wait_loadcnt 0x0
	v_cmpx_lt_i16_e32 0x7f, v1
	s_xor_b32 s14, exec_lo, s14
	s_cbranch_execz .LBB71_2256
; %bb.2236:
	v_cmp_ne_u16_e32 vcc_lo, 0x80, v1
	s_and_b32 s15, vcc_lo, exec_lo
	s_and_not1_saveexec_b32 s14, s14
	s_cbranch_execnz .LBB71_2257
.LBB71_2237:
	s_or_b32 exec_lo, exec_lo, s14
	v_mov_b64_e32 v[18:19], 0
	s_and_saveexec_b32 s14, s15
	s_cbranch_execz .LBB71_2239
.LBB71_2238:
	v_and_b32_e32 v3, 0xffff, v1
	s_delay_alu instid0(VALU_DEP_1) | instskip(SKIP_1) | instid1(VALU_DEP_2)
	v_dual_lshlrev_b32 v1, 24, v1 :: v_dual_bitop2_b32 v5, 3, v3 bitop3:0x40
	v_bfe_u32 v13, v3, 2, 5
	v_and_b32_e32 v1, 0x80000000, v1
	s_delay_alu instid0(VALU_DEP_3) | instskip(NEXT) | instid1(VALU_DEP_3)
	v_clz_i32_u32_e32 v7, v5
	v_cmp_eq_u32_e32 vcc_lo, 0, v13
	s_delay_alu instid0(VALU_DEP_2) | instskip(NEXT) | instid1(VALU_DEP_1)
	v_min_u32_e32 v7, 32, v7
	v_subrev_nc_u32_e32 v9, 29, v7
	v_sub_nc_u32_e32 v7, 30, v7
	s_delay_alu instid0(VALU_DEP_2) | instskip(NEXT) | instid1(VALU_DEP_2)
	v_lshlrev_b32_e32 v3, v9, v3
	v_cndmask_b32_e32 v7, v13, v7, vcc_lo
	s_delay_alu instid0(VALU_DEP_2) | instskip(NEXT) | instid1(VALU_DEP_1)
	v_and_b32_e32 v3, 3, v3
	v_cndmask_b32_e32 v3, v5, v3, vcc_lo
	s_delay_alu instid0(VALU_DEP_3) | instskip(NEXT) | instid1(VALU_DEP_2)
	v_lshl_add_u32 v5, v7, 23, 0x37800000
	v_lshlrev_b32_e32 v3, 21, v3
	s_delay_alu instid0(VALU_DEP_1) | instskip(NEXT) | instid1(VALU_DEP_1)
	v_or3_b32 v1, v1, v5, v3
	v_trunc_f32_e32 v1, v1
	s_delay_alu instid0(VALU_DEP_1) | instskip(SKIP_1) | instid1(VALU_DEP_2)
	v_mul_f32_e64 v3, 0x2f800000, |v1|
	v_ashrrev_i32_e32 v18, 31, v1
	v_floor_f32_e32 v3, v3
	s_delay_alu instid0(VALU_DEP_2) | instskip(NEXT) | instid1(VALU_DEP_2)
	v_mov_b32_e32 v19, v18
	v_fma_f32 v5, 0xcf800000, v3, |v1|
	v_cvt_u32_f32_e32 v1, v3
	s_delay_alu instid0(VALU_DEP_2) | instskip(NEXT) | instid1(VALU_DEP_2)
	v_cvt_u32_f32_e32 v3, v5
	v_xor_b32_e32 v23, v1, v18
	s_delay_alu instid0(VALU_DEP_2) | instskip(NEXT) | instid1(VALU_DEP_1)
	v_xor_b32_e32 v22, v3, v18
	v_sub_nc_u64_e32 v[18:19], v[22:23], v[18:19]
.LBB71_2239:
	s_or_b32 exec_lo, exec_lo, s14
	s_mov_b32 s14, 0
	s_branch .LBB71_2245
.LBB71_2240:
	s_mov_b32 s14, -1
                                        ; implicit-def: $vgpr18_vgpr19
	s_branch .LBB71_2251
.LBB71_2241:
	s_and_not1_saveexec_b32 s15, s15
	s_cbranch_execz .LBB71_2226
.LBB71_2242:
	v_cmp_ne_u16_e32 vcc_lo, 0, v1
	s_and_not1_b32 s16, s16, exec_lo
	s_and_b32 s17, vcc_lo, exec_lo
	s_delay_alu instid0(SALU_CYCLE_1)
	s_or_b32 s16, s16, s17
	s_or_b32 exec_lo, exec_lo, s15
	v_mov_b64_e32 v[18:19], 0
	s_and_saveexec_b32 s15, s16
	s_cbranch_execnz .LBB71_2227
	s_branch .LBB71_2228
.LBB71_2243:
	s_mov_b32 s14, -1
                                        ; implicit-def: $vgpr18_vgpr19
	s_branch .LBB71_2248
.LBB71_2244:
	s_mov_b32 s14, -1
                                        ; implicit-def: $vgpr18_vgpr19
.LBB71_2245:
	s_delay_alu instid0(SALU_CYCLE_1)
	s_and_b32 vcc_lo, exec_lo, s14
	s_cbranch_vccz .LBB71_2247
; %bb.2246:
	global_load_u8 v1, v[20:21], off
	s_wait_loadcnt 0x0
	v_lshlrev_b32_e32 v1, 24, v1
	s_delay_alu instid0(VALU_DEP_1) | instskip(NEXT) | instid1(VALU_DEP_1)
	v_and_b32_e32 v3, 0x7f000000, v1
	v_clz_i32_u32_e32 v5, v3
	v_add_nc_u32_e32 v9, 0x1000000, v3
	v_cmp_ne_u32_e32 vcc_lo, 0, v3
	s_delay_alu instid0(VALU_DEP_3) | instskip(NEXT) | instid1(VALU_DEP_1)
	v_min_u32_e32 v5, 32, v5
	v_sub_nc_u32_e64 v5, v5, 4 clamp
	s_delay_alu instid0(VALU_DEP_1) | instskip(NEXT) | instid1(VALU_DEP_1)
	v_dual_lshlrev_b32 v7, v5, v3 :: v_dual_lshlrev_b32 v5, 23, v5
	v_lshrrev_b32_e32 v7, 4, v7
	s_delay_alu instid0(VALU_DEP_1) | instskip(SKIP_1) | instid1(VALU_DEP_2)
	v_sub_nc_u32_e32 v5, v7, v5
	v_ashrrev_i32_e32 v7, 8, v9
	v_add_nc_u32_e32 v5, 0x3c000000, v5
	s_delay_alu instid0(VALU_DEP_1) | instskip(NEXT) | instid1(VALU_DEP_1)
	v_and_or_b32 v5, 0x7f800000, v7, v5
	v_cndmask_b32_e32 v3, 0, v5, vcc_lo
	s_delay_alu instid0(VALU_DEP_1) | instskip(NEXT) | instid1(VALU_DEP_1)
	v_and_or_b32 v1, 0x80000000, v1, v3
	v_trunc_f32_e32 v1, v1
	s_delay_alu instid0(VALU_DEP_1) | instskip(SKIP_1) | instid1(VALU_DEP_2)
	v_mul_f32_e64 v3, 0x2f800000, |v1|
	v_ashrrev_i32_e32 v18, 31, v1
	v_floor_f32_e32 v3, v3
	s_delay_alu instid0(VALU_DEP_2) | instskip(NEXT) | instid1(VALU_DEP_2)
	v_mov_b32_e32 v19, v18
	v_fma_f32 v5, 0xcf800000, v3, |v1|
	v_cvt_u32_f32_e32 v1, v3
	s_delay_alu instid0(VALU_DEP_2) | instskip(NEXT) | instid1(VALU_DEP_2)
	v_cvt_u32_f32_e32 v3, v5
	v_xor_b32_e32 v23, v1, v18
	s_delay_alu instid0(VALU_DEP_2) | instskip(NEXT) | instid1(VALU_DEP_1)
	v_xor_b32_e32 v22, v3, v18
	v_sub_nc_u64_e32 v[18:19], v[22:23], v[18:19]
.LBB71_2247:
	s_mov_b32 s14, 0
.LBB71_2248:
	s_delay_alu instid0(SALU_CYCLE_1)
	s_and_not1_b32 vcc_lo, exec_lo, s14
	s_cbranch_vccnz .LBB71_2250
; %bb.2249:
	global_load_u8 v1, v[20:21], off
	s_wait_loadcnt 0x0
	v_lshlrev_b32_e32 v3, 25, v1
	v_lshlrev_b16 v1, 8, v1
	s_delay_alu instid0(VALU_DEP_1) | instskip(SKIP_1) | instid1(VALU_DEP_2)
	v_and_or_b32 v7, 0x7f00, v1, 0.5
	v_bfe_i32 v1, v1, 0, 16
	v_add_f32_e32 v7, -0.5, v7
	v_lshrrev_b32_e32 v5, 4, v3
	v_cmp_gt_u32_e32 vcc_lo, 0x8000000, v3
	s_delay_alu instid0(VALU_DEP_2) | instskip(NEXT) | instid1(VALU_DEP_1)
	v_or_b32_e32 v5, 0x70000000, v5
	v_mul_f32_e32 v5, 0x7800000, v5
	s_delay_alu instid0(VALU_DEP_1) | instskip(NEXT) | instid1(VALU_DEP_1)
	v_cndmask_b32_e32 v3, v5, v7, vcc_lo
	v_and_or_b32 v1, 0x80000000, v1, v3
	s_delay_alu instid0(VALU_DEP_1) | instskip(NEXT) | instid1(VALU_DEP_1)
	v_trunc_f32_e32 v1, v1
	v_mul_f32_e64 v3, 0x2f800000, |v1|
	v_ashrrev_i32_e32 v18, 31, v1
	s_delay_alu instid0(VALU_DEP_2) | instskip(NEXT) | instid1(VALU_DEP_2)
	v_floor_f32_e32 v3, v3
	v_mov_b32_e32 v19, v18
	s_delay_alu instid0(VALU_DEP_2) | instskip(SKIP_1) | instid1(VALU_DEP_2)
	v_fma_f32 v5, 0xcf800000, v3, |v1|
	v_cvt_u32_f32_e32 v1, v3
	v_cvt_u32_f32_e32 v3, v5
	s_delay_alu instid0(VALU_DEP_2) | instskip(NEXT) | instid1(VALU_DEP_2)
	v_xor_b32_e32 v23, v1, v18
	v_xor_b32_e32 v22, v3, v18
	s_delay_alu instid0(VALU_DEP_1)
	v_sub_nc_u64_e32 v[18:19], v[22:23], v[18:19]
.LBB71_2250:
	s_mov_b32 s14, 0
	s_mov_b32 s15, -1
.LBB71_2251:
	s_and_not1_b32 vcc_lo, exec_lo, s14
	s_mov_b32 s14, 0
	s_cbranch_vccnz .LBB71_2262
; %bb.2252:
	s_cmp_gt_i32 s12, 14
	s_cbranch_scc0 .LBB71_2255
; %bb.2253:
	s_cmp_eq_u32 s12, 15
	s_cbranch_scc0 .LBB71_2258
; %bb.2254:
	global_load_u16 v1, v[20:21], off
	s_mov_b32 s0, 0
	s_mov_b32 s15, -1
	s_wait_loadcnt 0x0
	v_lshlrev_b32_e32 v1, 16, v1
	s_delay_alu instid0(VALU_DEP_1) | instskip(NEXT) | instid1(VALU_DEP_1)
	v_trunc_f32_e32 v1, v1
	v_mul_f32_e64 v3, 0x2f800000, |v1|
	v_ashrrev_i32_e32 v18, 31, v1
	s_delay_alu instid0(VALU_DEP_2) | instskip(NEXT) | instid1(VALU_DEP_2)
	v_floor_f32_e32 v3, v3
	v_mov_b32_e32 v19, v18
	s_delay_alu instid0(VALU_DEP_2) | instskip(SKIP_1) | instid1(VALU_DEP_2)
	v_fma_f32 v5, 0xcf800000, v3, |v1|
	v_cvt_u32_f32_e32 v1, v3
	v_cvt_u32_f32_e32 v3, v5
	s_delay_alu instid0(VALU_DEP_2) | instskip(NEXT) | instid1(VALU_DEP_2)
	v_xor_b32_e32 v23, v1, v18
	v_xor_b32_e32 v22, v3, v18
	s_delay_alu instid0(VALU_DEP_1)
	v_sub_nc_u64_e32 v[18:19], v[22:23], v[18:19]
	s_branch .LBB71_2260
.LBB71_2255:
	s_mov_b32 s14, -1
	s_branch .LBB71_2259
.LBB71_2256:
	s_and_not1_saveexec_b32 s14, s14
	s_cbranch_execz .LBB71_2237
.LBB71_2257:
	v_cmp_ne_u16_e32 vcc_lo, 0, v1
	s_and_not1_b32 s15, s15, exec_lo
	s_and_b32 s16, vcc_lo, exec_lo
	s_delay_alu instid0(SALU_CYCLE_1)
	s_or_b32 s15, s15, s16
	s_or_b32 exec_lo, exec_lo, s14
	v_mov_b64_e32 v[18:19], 0
	s_and_saveexec_b32 s14, s15
	s_cbranch_execnz .LBB71_2238
	s_branch .LBB71_2239
.LBB71_2258:
	s_mov_b32 s0, -1
.LBB71_2259:
                                        ; implicit-def: $vgpr18_vgpr19
.LBB71_2260:
	s_and_b32 vcc_lo, exec_lo, s14
	s_mov_b32 s14, 0
	s_cbranch_vccz .LBB71_2262
; %bb.2261:
	s_cmp_lg_u32 s12, 11
	s_mov_b32 s14, -1
	s_cselect_b32 s0, -1, 0
.LBB71_2262:
	s_delay_alu instid0(SALU_CYCLE_1)
	s_and_b32 vcc_lo, exec_lo, s0
	s_cbranch_vccnz .LBB71_2327
; %bb.2263:
	s_and_not1_b32 vcc_lo, exec_lo, s14
	s_cbranch_vccnz .LBB71_2265
.LBB71_2264:
	global_load_u8 v1, v[20:21], off
	s_mov_b32 s0, 0
	s_mov_b32 s15, -1
	s_wait_loadcnt 0x1
	v_mov_b32_e32 v19, s0
	s_wait_loadcnt 0x0
	v_cmp_ne_u16_e32 vcc_lo, 0, v1
	v_cndmask_b32_e64 v18, 0, 1, vcc_lo
.LBB71_2265:
	s_mov_b32 s0, 0
.LBB71_2266:
	s_delay_alu instid0(SALU_CYCLE_1)
	s_and_b32 vcc_lo, exec_lo, s0
	s_cbranch_vccz .LBB71_2315
; %bb.2267:
	s_cmp_lt_i32 s12, 5
	s_cbranch_scc1 .LBB71_2272
; %bb.2268:
	s_cmp_lt_i32 s12, 8
	s_cbranch_scc1 .LBB71_2273
	;; [unrolled: 3-line block ×3, first 2 shown]
; %bb.2270:
	s_cmp_gt_i32 s12, 9
	s_cbranch_scc0 .LBB71_2275
; %bb.2271:
	s_wait_loadcnt 0x0
	global_load_b64 v[18:19], v[20:21], off
	s_mov_b32 s0, 0
	s_wait_loadcnt 0x0
	v_trunc_f64_e32 v[18:19], v[18:19]
	s_delay_alu instid0(VALU_DEP_1) | instskip(NEXT) | instid1(VALU_DEP_1)
	v_ldexp_f64 v[22:23], v[18:19], 0xffffffe0
	v_floor_f64_e32 v[22:23], v[22:23]
	s_delay_alu instid0(VALU_DEP_1) | instskip(SKIP_1) | instid1(VALU_DEP_2)
	v_fmamk_f64 v[24:25], v[22:23], 0xc1f00000, v[18:19]
	v_cvt_i32_f64_e32 v19, v[22:23]
	v_cvt_u32_f64_e32 v18, v[24:25]
	s_branch .LBB71_2276
.LBB71_2272:
	s_mov_b32 s0, -1
                                        ; implicit-def: $vgpr18_vgpr19
	s_branch .LBB71_2294
.LBB71_2273:
	s_mov_b32 s0, -1
                                        ; implicit-def: $vgpr18_vgpr19
	s_branch .LBB71_2282
.LBB71_2274:
	s_mov_b32 s0, -1
                                        ; implicit-def: $vgpr18_vgpr19
	s_branch .LBB71_2279
.LBB71_2275:
	s_mov_b32 s0, -1
                                        ; implicit-def: $vgpr18_vgpr19
.LBB71_2276:
	s_delay_alu instid0(SALU_CYCLE_1)
	s_and_not1_b32 vcc_lo, exec_lo, s0
	s_cbranch_vccnz .LBB71_2278
; %bb.2277:
	global_load_b32 v1, v[20:21], off
	s_wait_loadcnt 0x0
	v_trunc_f32_e32 v1, v1
	s_delay_alu instid0(VALU_DEP_1) | instskip(SKIP_1) | instid1(VALU_DEP_2)
	v_mul_f32_e64 v3, 0x2f800000, |v1|
	v_ashrrev_i32_e32 v18, 31, v1
	v_floor_f32_e32 v3, v3
	s_delay_alu instid0(VALU_DEP_1) | instskip(SKIP_1) | instid1(VALU_DEP_4)
	v_fma_f32 v5, 0xcf800000, v3, |v1|
	v_cvt_u32_f32_e32 v1, v3
	v_mov_b32_e32 v19, v18
	s_delay_alu instid0(VALU_DEP_3) | instskip(NEXT) | instid1(VALU_DEP_3)
	v_cvt_u32_f32_e32 v3, v5
	v_xor_b32_e32 v23, v1, v18
	s_delay_alu instid0(VALU_DEP_2) | instskip(NEXT) | instid1(VALU_DEP_1)
	v_xor_b32_e32 v22, v3, v18
	v_sub_nc_u64_e32 v[18:19], v[22:23], v[18:19]
.LBB71_2278:
	s_mov_b32 s0, 0
.LBB71_2279:
	s_delay_alu instid0(SALU_CYCLE_1)
	s_and_not1_b32 vcc_lo, exec_lo, s0
	s_cbranch_vccnz .LBB71_2281
; %bb.2280:
	global_load_b32 v1, v[20:21], off
	s_wait_loadcnt 0x0
	v_cvt_f32_f16_e32 v1, v1
	s_delay_alu instid0(VALU_DEP_1) | instskip(NEXT) | instid1(VALU_DEP_1)
	v_cvt_i32_f32_e32 v18, v1
	v_ashrrev_i32_e32 v19, 31, v18
.LBB71_2281:
	s_mov_b32 s0, 0
.LBB71_2282:
	s_delay_alu instid0(SALU_CYCLE_1)
	s_and_not1_b32 vcc_lo, exec_lo, s0
	s_cbranch_vccnz .LBB71_2293
; %bb.2283:
	s_cmp_lt_i32 s12, 6
	s_cbranch_scc1 .LBB71_2286
; %bb.2284:
	s_cmp_gt_i32 s12, 6
	s_cbranch_scc0 .LBB71_2287
; %bb.2285:
	s_wait_loadcnt 0x0
	global_load_b64 v[18:19], v[20:21], off
	s_mov_b32 s0, 0
	s_wait_loadcnt 0x0
	v_trunc_f64_e32 v[18:19], v[18:19]
	s_delay_alu instid0(VALU_DEP_1) | instskip(NEXT) | instid1(VALU_DEP_1)
	v_ldexp_f64 v[22:23], v[18:19], 0xffffffe0
	v_floor_f64_e32 v[22:23], v[22:23]
	s_delay_alu instid0(VALU_DEP_1) | instskip(SKIP_1) | instid1(VALU_DEP_2)
	v_fmamk_f64 v[24:25], v[22:23], 0xc1f00000, v[18:19]
	v_cvt_i32_f64_e32 v19, v[22:23]
	v_cvt_u32_f64_e32 v18, v[24:25]
	s_branch .LBB71_2288
.LBB71_2286:
	s_mov_b32 s0, -1
                                        ; implicit-def: $vgpr18_vgpr19
	s_branch .LBB71_2291
.LBB71_2287:
	s_mov_b32 s0, -1
                                        ; implicit-def: $vgpr18_vgpr19
.LBB71_2288:
	s_delay_alu instid0(SALU_CYCLE_1)
	s_and_not1_b32 vcc_lo, exec_lo, s0
	s_cbranch_vccnz .LBB71_2290
; %bb.2289:
	global_load_b32 v1, v[20:21], off
	s_wait_loadcnt 0x0
	v_trunc_f32_e32 v1, v1
	s_delay_alu instid0(VALU_DEP_1) | instskip(SKIP_1) | instid1(VALU_DEP_2)
	v_mul_f32_e64 v3, 0x2f800000, |v1|
	v_ashrrev_i32_e32 v18, 31, v1
	v_floor_f32_e32 v3, v3
	s_delay_alu instid0(VALU_DEP_1) | instskip(SKIP_1) | instid1(VALU_DEP_4)
	v_fma_f32 v5, 0xcf800000, v3, |v1|
	v_cvt_u32_f32_e32 v1, v3
	v_mov_b32_e32 v19, v18
	s_delay_alu instid0(VALU_DEP_3) | instskip(NEXT) | instid1(VALU_DEP_3)
	v_cvt_u32_f32_e32 v3, v5
	v_xor_b32_e32 v23, v1, v18
	s_delay_alu instid0(VALU_DEP_2) | instskip(NEXT) | instid1(VALU_DEP_1)
	v_xor_b32_e32 v22, v3, v18
	v_sub_nc_u64_e32 v[18:19], v[22:23], v[18:19]
.LBB71_2290:
	s_mov_b32 s0, 0
.LBB71_2291:
	s_delay_alu instid0(SALU_CYCLE_1)
	s_and_not1_b32 vcc_lo, exec_lo, s0
	s_cbranch_vccnz .LBB71_2293
; %bb.2292:
	global_load_u16 v1, v[20:21], off
	s_wait_loadcnt 0x0
	v_cvt_f32_f16_e32 v1, v1
	s_delay_alu instid0(VALU_DEP_1) | instskip(NEXT) | instid1(VALU_DEP_1)
	v_cvt_i32_f32_e32 v18, v1
	v_ashrrev_i32_e32 v19, 31, v18
.LBB71_2293:
	s_mov_b32 s0, 0
.LBB71_2294:
	s_delay_alu instid0(SALU_CYCLE_1)
	s_and_not1_b32 vcc_lo, exec_lo, s0
	s_cbranch_vccnz .LBB71_2314
; %bb.2295:
	s_cmp_lt_i32 s12, 2
	s_cbranch_scc1 .LBB71_2299
; %bb.2296:
	s_cmp_lt_i32 s12, 3
	s_cbranch_scc1 .LBB71_2300
; %bb.2297:
	s_cmp_gt_i32 s12, 3
	s_cbranch_scc0 .LBB71_2301
; %bb.2298:
	s_wait_loadcnt 0x0
	global_load_b64 v[18:19], v[20:21], off
	s_mov_b32 s0, 0
	s_branch .LBB71_2302
.LBB71_2299:
	s_mov_b32 s0, -1
                                        ; implicit-def: $vgpr18_vgpr19
	s_branch .LBB71_2308
.LBB71_2300:
	s_mov_b32 s0, -1
                                        ; implicit-def: $vgpr18_vgpr19
	s_branch .LBB71_2305
.LBB71_2301:
	s_mov_b32 s0, -1
                                        ; implicit-def: $vgpr18_vgpr19
.LBB71_2302:
	s_delay_alu instid0(SALU_CYCLE_1)
	s_and_not1_b32 vcc_lo, exec_lo, s0
	s_cbranch_vccnz .LBB71_2304
; %bb.2303:
	s_wait_loadcnt 0x0
	global_load_b32 v18, v[20:21], off
	s_wait_loadcnt 0x0
	v_ashrrev_i32_e32 v19, 31, v18
.LBB71_2304:
	s_mov_b32 s0, 0
.LBB71_2305:
	s_delay_alu instid0(SALU_CYCLE_1)
	s_and_not1_b32 vcc_lo, exec_lo, s0
	s_cbranch_vccnz .LBB71_2307
; %bb.2306:
	global_load_u16 v1, v[20:21], off
	s_wait_loadcnt 0x0
	v_bfe_i32 v18, v1, 0, 16
	s_delay_alu instid0(VALU_DEP_1)
	v_ashrrev_i32_e32 v19, 31, v18
.LBB71_2307:
	s_mov_b32 s0, 0
.LBB71_2308:
	s_delay_alu instid0(SALU_CYCLE_1)
	s_and_not1_b32 vcc_lo, exec_lo, s0
	s_cbranch_vccnz .LBB71_2314
; %bb.2309:
	s_cmp_gt_i32 s12, 0
	s_mov_b32 s0, 0
	s_cbranch_scc0 .LBB71_2311
; %bb.2310:
	global_load_i8 v1, v[20:21], off
	s_wait_loadcnt 0x0
	v_bfe_i32 v18, v1, 0, 16
	s_delay_alu instid0(VALU_DEP_1)
	v_ashrrev_i32_e32 v19, 31, v18
	s_branch .LBB71_2312
.LBB71_2311:
	s_mov_b32 s0, -1
                                        ; implicit-def: $vgpr18_vgpr19
.LBB71_2312:
	s_delay_alu instid0(SALU_CYCLE_1)
	s_and_not1_b32 vcc_lo, exec_lo, s0
	s_cbranch_vccnz .LBB71_2314
; %bb.2313:
	global_load_u8 v1, v[20:21], off
	s_mov_b32 s0, 0
	s_wait_loadcnt 0x1
	v_mov_b32_e32 v19, s0
	s_wait_loadcnt 0x0
	v_and_b32_e32 v18, 0xffff, v1
.LBB71_2314:
	s_mov_b32 s15, -1
.LBB71_2315:
	s_delay_alu instid0(SALU_CYCLE_1)
	s_and_not1_b32 vcc_lo, exec_lo, s15
	s_cbranch_vccnz .LBB71_2715
; %bb.2316:
	v_mov_b32_e32 v17, 0
	s_cmp_lt_i32 s13, 11
	s_delay_alu instid0(VALU_DEP_1)
	v_add_nc_u64_e32 v[16:17], s[8:9], v[16:17]
	s_cbranch_scc1 .LBB71_2323
; %bb.2317:
	s_cmp_gt_i32 s13, 25
	s_mov_b32 s14, 0
	s_cbranch_scc0 .LBB71_2324
; %bb.2318:
	s_cmp_gt_i32 s13, 28
	s_cbranch_scc0 .LBB71_2325
; %bb.2319:
	s_cmp_gt_i32 s13, 43
	;; [unrolled: 3-line block ×3, first 2 shown]
	s_cbranch_scc0 .LBB71_2328
; %bb.2321:
	s_cmp_eq_u32 s13, 46
	s_mov_b32 s16, 0
	s_cbranch_scc0 .LBB71_2331
; %bb.2322:
	global_load_b32 v1, v[16:17], off
	s_mov_b32 s0, 0
	s_mov_b32 s15, -1
	s_wait_loadcnt 0x0
	v_lshlrev_b32_e32 v1, 16, v1
	s_delay_alu instid0(VALU_DEP_1) | instskip(NEXT) | instid1(VALU_DEP_1)
	v_trunc_f32_e32 v1, v1
	v_mul_f32_e64 v3, 0x2f800000, |v1|
	s_wait_xcnt 0x1
	v_ashrrev_i32_e32 v20, 31, v1
	s_delay_alu instid0(VALU_DEP_2) | instskip(NEXT) | instid1(VALU_DEP_2)
	v_floor_f32_e32 v3, v3
	v_mov_b32_e32 v21, v20
	s_delay_alu instid0(VALU_DEP_2) | instskip(SKIP_1) | instid1(VALU_DEP_2)
	v_fma_f32 v5, 0xcf800000, v3, |v1|
	v_cvt_u32_f32_e32 v1, v3
	v_cvt_u32_f32_e32 v3, v5
	s_delay_alu instid0(VALU_DEP_2) | instskip(NEXT) | instid1(VALU_DEP_2)
	v_xor_b32_e32 v23, v1, v20
	v_xor_b32_e32 v22, v3, v20
	s_delay_alu instid0(VALU_DEP_1)
	v_sub_nc_u64_e32 v[20:21], v[22:23], v[20:21]
	s_branch .LBB71_2333
.LBB71_2323:
	s_mov_b32 s0, -1
	s_mov_b32 s15, 0
                                        ; implicit-def: $vgpr20_vgpr21
	s_branch .LBB71_2395
.LBB71_2324:
	s_mov_b32 s16, -1
	s_mov_b32 s15, 0
	s_mov_b32 s0, 0
                                        ; implicit-def: $vgpr20_vgpr21
	s_branch .LBB71_2360
.LBB71_2325:
	s_mov_b32 s16, -1
	s_mov_b32 s15, 0
	s_mov_b32 s0, 0
                                        ; implicit-def: $vgpr20_vgpr21
	s_branch .LBB71_2343
.LBB71_2326:
	s_mov_b32 s16, -1
	s_mov_b32 s15, 0
	s_mov_b32 s0, 0
                                        ; implicit-def: $vgpr20_vgpr21
	s_branch .LBB71_2338
.LBB71_2327:
	s_or_b32 s1, s1, exec_lo
	s_trap 2
	s_cbranch_execz .LBB71_2264
	s_branch .LBB71_2265
.LBB71_2328:
	s_mov_b32 s16, -1
	s_mov_b32 s15, 0
	s_mov_b32 s0, 0
	s_branch .LBB71_2332
.LBB71_2329:
	s_and_not1_saveexec_b32 s51, s51
	s_cbranch_execz .LBB71_1139
.LBB71_2330:
	v_add_f32_e32 v1, 0x42800000, v4
	s_and_not1_b32 s50, s50, exec_lo
	s_delay_alu instid0(VALU_DEP_1) | instskip(NEXT) | instid1(VALU_DEP_1)
	v_and_b32_e32 v1, 0xff, v1
	v_cmp_ne_u32_e32 vcc_lo, 0, v1
	s_and_b32 s52, vcc_lo, exec_lo
	s_delay_alu instid0(SALU_CYCLE_1)
	s_or_b32 s50, s50, s52
	s_or_b32 exec_lo, exec_lo, s51
	v_mov_b32_e32 v5, 0
	s_and_saveexec_b32 s51, s50
	s_cbranch_execnz .LBB71_1140
	s_branch .LBB71_1141
.LBB71_2331:
	s_mov_b32 s0, -1
	s_mov_b32 s15, 0
.LBB71_2332:
                                        ; implicit-def: $vgpr20_vgpr21
.LBB71_2333:
	s_and_b32 vcc_lo, exec_lo, s16
	s_cbranch_vccz .LBB71_2337
; %bb.2334:
	s_cmp_eq_u32 s13, 44
	s_cbranch_scc0 .LBB71_2336
; %bb.2335:
	global_load_u8 v1, v[16:17], off
	s_mov_b32 s0, 0
	s_mov_b32 s15, -1
	s_wait_loadcnt 0x0
	v_lshlrev_b32_e32 v3, 23, v1
	v_cmp_ne_u32_e32 vcc_lo, 0, v1
	s_delay_alu instid0(VALU_DEP_2) | instskip(NEXT) | instid1(VALU_DEP_1)
	v_trunc_f32_e32 v3, v3
	v_mul_f32_e64 v5, 0x2f800000, |v3|
	s_wait_xcnt 0x1
	v_ashrrev_i32_e32 v20, 31, v3
	s_delay_alu instid0(VALU_DEP_2) | instskip(NEXT) | instid1(VALU_DEP_2)
	v_floor_f32_e32 v5, v5
	v_mov_b32_e32 v21, v20
	s_delay_alu instid0(VALU_DEP_2) | instskip(SKIP_1) | instid1(VALU_DEP_2)
	v_fma_f32 v7, 0xcf800000, v5, |v3|
	v_cvt_u32_f32_e32 v3, v5
	v_cvt_u32_f32_e32 v5, v7
	s_delay_alu instid0(VALU_DEP_2) | instskip(NEXT) | instid1(VALU_DEP_2)
	v_xor_b32_e32 v23, v3, v20
	v_xor_b32_e32 v22, v5, v20
	s_delay_alu instid0(VALU_DEP_1) | instskip(NEXT) | instid1(VALU_DEP_1)
	v_sub_nc_u64_e32 v[20:21], v[22:23], v[20:21]
	v_dual_cndmask_b32 v21, 0, v21 :: v_dual_cndmask_b32 v20, 0, v20
	s_branch .LBB71_2337
.LBB71_2336:
	s_mov_b32 s0, -1
                                        ; implicit-def: $vgpr20_vgpr21
.LBB71_2337:
	s_mov_b32 s16, 0
.LBB71_2338:
	s_delay_alu instid0(SALU_CYCLE_1)
	s_and_b32 vcc_lo, exec_lo, s16
	s_cbranch_vccz .LBB71_2342
; %bb.2339:
	s_cmp_eq_u32 s13, 29
	s_cbranch_scc0 .LBB71_2341
; %bb.2340:
	global_load_b64 v[20:21], v[16:17], off
	s_mov_b32 s0, 0
	s_mov_b32 s15, -1
	s_branch .LBB71_2342
.LBB71_2341:
	s_mov_b32 s0, -1
                                        ; implicit-def: $vgpr20_vgpr21
.LBB71_2342:
	s_mov_b32 s16, 0
.LBB71_2343:
	s_delay_alu instid0(SALU_CYCLE_1)
	s_and_b32 vcc_lo, exec_lo, s16
	s_cbranch_vccz .LBB71_2359
; %bb.2344:
	s_cmp_lt_i32 s13, 27
	s_cbranch_scc1 .LBB71_2347
; %bb.2345:
	s_cmp_gt_i32 s13, 27
	s_cbranch_scc0 .LBB71_2348
; %bb.2346:
	s_wait_loadcnt 0x0
	global_load_b32 v20, v[16:17], off
	v_mov_b32_e32 v21, 0
	s_mov_b32 s15, 0
	s_branch .LBB71_2349
.LBB71_2347:
	s_mov_b32 s15, -1
                                        ; implicit-def: $vgpr20_vgpr21
	s_branch .LBB71_2352
.LBB71_2348:
	s_mov_b32 s15, -1
                                        ; implicit-def: $vgpr20_vgpr21
.LBB71_2349:
	s_delay_alu instid0(SALU_CYCLE_1)
	s_and_not1_b32 vcc_lo, exec_lo, s15
	s_cbranch_vccnz .LBB71_2351
; %bb.2350:
	global_load_u16 v1, v[16:17], off
	s_mov_b32 s15, 0
	s_wait_loadcnt 0x1
	s_wait_xcnt 0x1
	v_mov_b32_e32 v21, s15
	s_wait_loadcnt 0x0
	v_and_b32_e32 v20, 0xffff, v1
.LBB71_2351:
	s_mov_b32 s15, 0
.LBB71_2352:
	s_delay_alu instid0(SALU_CYCLE_1)
	s_and_not1_b32 vcc_lo, exec_lo, s15
	s_cbranch_vccnz .LBB71_2358
; %bb.2353:
	global_load_u8 v1, v[16:17], off
	s_mov_b32 s16, 0
	s_mov_b32 s15, exec_lo
	s_wait_loadcnt 0x0
	v_cmpx_lt_i16_e32 0x7f, v1
	s_xor_b32 s15, exec_lo, s15
	s_cbranch_execz .LBB71_2370
; %bb.2354:
	v_cmp_ne_u16_e32 vcc_lo, 0x80, v1
	s_and_b32 s16, vcc_lo, exec_lo
	s_and_not1_saveexec_b32 s15, s15
	s_cbranch_execnz .LBB71_2371
.LBB71_2355:
	s_or_b32 exec_lo, exec_lo, s15
	v_mov_b64_e32 v[20:21], 0
	s_and_saveexec_b32 s15, s16
	s_cbranch_execz .LBB71_2357
.LBB71_2356:
	v_and_b32_e32 v3, 0xffff, v1
	s_delay_alu instid0(VALU_DEP_1) | instskip(SKIP_1) | instid1(VALU_DEP_2)
	v_dual_lshlrev_b32 v1, 24, v1 :: v_dual_bitop2_b32 v5, 7, v3 bitop3:0x40
	v_bfe_u32 v13, v3, 3, 4
	v_and_b32_e32 v1, 0x80000000, v1
	s_delay_alu instid0(VALU_DEP_3) | instskip(NEXT) | instid1(VALU_DEP_3)
	v_clz_i32_u32_e32 v7, v5
	v_cmp_eq_u32_e32 vcc_lo, 0, v13
	s_delay_alu instid0(VALU_DEP_2) | instskip(NEXT) | instid1(VALU_DEP_1)
	v_min_u32_e32 v7, 32, v7
	v_subrev_nc_u32_e32 v9, 28, v7
	v_sub_nc_u32_e32 v7, 29, v7
	s_delay_alu instid0(VALU_DEP_2) | instskip(NEXT) | instid1(VALU_DEP_2)
	v_lshlrev_b32_e32 v3, v9, v3
	v_cndmask_b32_e32 v7, v13, v7, vcc_lo
	s_delay_alu instid0(VALU_DEP_2) | instskip(NEXT) | instid1(VALU_DEP_1)
	v_and_b32_e32 v3, 7, v3
	v_cndmask_b32_e32 v3, v5, v3, vcc_lo
	s_delay_alu instid0(VALU_DEP_3) | instskip(NEXT) | instid1(VALU_DEP_2)
	v_lshl_add_u32 v5, v7, 23, 0x3b800000
	v_lshlrev_b32_e32 v3, 20, v3
	s_delay_alu instid0(VALU_DEP_1) | instskip(NEXT) | instid1(VALU_DEP_1)
	v_or3_b32 v1, v1, v5, v3
	v_trunc_f32_e32 v1, v1
	s_delay_alu instid0(VALU_DEP_1) | instskip(SKIP_1) | instid1(VALU_DEP_2)
	v_mul_f32_e64 v3, 0x2f800000, |v1|
	v_ashrrev_i32_e32 v20, 31, v1
	v_floor_f32_e32 v3, v3
	s_delay_alu instid0(VALU_DEP_2) | instskip(NEXT) | instid1(VALU_DEP_2)
	v_mov_b32_e32 v21, v20
	v_fma_f32 v5, 0xcf800000, v3, |v1|
	v_cvt_u32_f32_e32 v1, v3
	s_delay_alu instid0(VALU_DEP_2) | instskip(NEXT) | instid1(VALU_DEP_2)
	v_cvt_u32_f32_e32 v3, v5
	v_xor_b32_e32 v23, v1, v20
	s_delay_alu instid0(VALU_DEP_2) | instskip(NEXT) | instid1(VALU_DEP_1)
	v_xor_b32_e32 v22, v3, v20
	v_sub_nc_u64_e32 v[20:21], v[22:23], v[20:21]
.LBB71_2357:
	s_or_b32 exec_lo, exec_lo, s15
.LBB71_2358:
	s_mov_b32 s15, -1
.LBB71_2359:
	s_mov_b32 s16, 0
.LBB71_2360:
	s_delay_alu instid0(SALU_CYCLE_1)
	s_and_b32 vcc_lo, exec_lo, s16
	s_cbranch_vccz .LBB71_2391
; %bb.2361:
	s_cmp_gt_i32 s13, 22
	s_cbranch_scc0 .LBB71_2369
; %bb.2362:
	s_cmp_lt_i32 s13, 24
	s_cbranch_scc1 .LBB71_2372
; %bb.2363:
	s_cmp_gt_i32 s13, 24
	s_cbranch_scc0 .LBB71_2373
; %bb.2364:
	global_load_u8 v1, v[16:17], off
	s_mov_b32 s15, 0
	s_mov_b32 s14, exec_lo
	s_wait_loadcnt 0x0
	v_cmpx_lt_i16_e32 0x7f, v1
	s_xor_b32 s14, exec_lo, s14
	s_cbranch_execz .LBB71_2385
; %bb.2365:
	v_cmp_ne_u16_e32 vcc_lo, 0x80, v1
	s_and_b32 s15, vcc_lo, exec_lo
	s_and_not1_saveexec_b32 s14, s14
	s_cbranch_execnz .LBB71_2386
.LBB71_2366:
	s_or_b32 exec_lo, exec_lo, s14
	v_mov_b64_e32 v[20:21], 0
	s_and_saveexec_b32 s14, s15
	s_cbranch_execz .LBB71_2368
.LBB71_2367:
	v_and_b32_e32 v3, 0xffff, v1
	s_delay_alu instid0(VALU_DEP_1) | instskip(SKIP_1) | instid1(VALU_DEP_2)
	v_dual_lshlrev_b32 v1, 24, v1 :: v_dual_bitop2_b32 v5, 3, v3 bitop3:0x40
	v_bfe_u32 v13, v3, 2, 5
	v_and_b32_e32 v1, 0x80000000, v1
	s_delay_alu instid0(VALU_DEP_3) | instskip(NEXT) | instid1(VALU_DEP_3)
	v_clz_i32_u32_e32 v7, v5
	v_cmp_eq_u32_e32 vcc_lo, 0, v13
	s_delay_alu instid0(VALU_DEP_2) | instskip(NEXT) | instid1(VALU_DEP_1)
	v_min_u32_e32 v7, 32, v7
	v_subrev_nc_u32_e32 v9, 29, v7
	v_sub_nc_u32_e32 v7, 30, v7
	s_delay_alu instid0(VALU_DEP_2) | instskip(NEXT) | instid1(VALU_DEP_2)
	v_lshlrev_b32_e32 v3, v9, v3
	v_cndmask_b32_e32 v7, v13, v7, vcc_lo
	s_delay_alu instid0(VALU_DEP_2) | instskip(NEXT) | instid1(VALU_DEP_1)
	v_and_b32_e32 v3, 3, v3
	v_cndmask_b32_e32 v3, v5, v3, vcc_lo
	s_delay_alu instid0(VALU_DEP_3) | instskip(NEXT) | instid1(VALU_DEP_2)
	v_lshl_add_u32 v5, v7, 23, 0x37800000
	v_lshlrev_b32_e32 v3, 21, v3
	s_delay_alu instid0(VALU_DEP_1) | instskip(NEXT) | instid1(VALU_DEP_1)
	v_or3_b32 v1, v1, v5, v3
	v_trunc_f32_e32 v1, v1
	s_delay_alu instid0(VALU_DEP_1) | instskip(SKIP_1) | instid1(VALU_DEP_2)
	v_mul_f32_e64 v3, 0x2f800000, |v1|
	v_ashrrev_i32_e32 v20, 31, v1
	v_floor_f32_e32 v3, v3
	s_delay_alu instid0(VALU_DEP_2) | instskip(NEXT) | instid1(VALU_DEP_2)
	v_mov_b32_e32 v21, v20
	v_fma_f32 v5, 0xcf800000, v3, |v1|
	v_cvt_u32_f32_e32 v1, v3
	s_delay_alu instid0(VALU_DEP_2) | instskip(NEXT) | instid1(VALU_DEP_2)
	v_cvt_u32_f32_e32 v3, v5
	v_xor_b32_e32 v23, v1, v20
	s_delay_alu instid0(VALU_DEP_2) | instskip(NEXT) | instid1(VALU_DEP_1)
	v_xor_b32_e32 v22, v3, v20
	v_sub_nc_u64_e32 v[20:21], v[22:23], v[20:21]
.LBB71_2368:
	s_or_b32 exec_lo, exec_lo, s14
	s_mov_b32 s14, 0
	s_branch .LBB71_2374
.LBB71_2369:
	s_mov_b32 s14, -1
                                        ; implicit-def: $vgpr20_vgpr21
	s_branch .LBB71_2380
.LBB71_2370:
	s_and_not1_saveexec_b32 s15, s15
	s_cbranch_execz .LBB71_2355
.LBB71_2371:
	v_cmp_ne_u16_e32 vcc_lo, 0, v1
	s_and_not1_b32 s16, s16, exec_lo
	s_and_b32 s17, vcc_lo, exec_lo
	s_delay_alu instid0(SALU_CYCLE_1)
	s_or_b32 s16, s16, s17
	s_or_b32 exec_lo, exec_lo, s15
	v_mov_b64_e32 v[20:21], 0
	s_and_saveexec_b32 s15, s16
	s_cbranch_execnz .LBB71_2356
	s_branch .LBB71_2357
.LBB71_2372:
	s_mov_b32 s14, -1
                                        ; implicit-def: $vgpr20_vgpr21
	s_branch .LBB71_2377
.LBB71_2373:
	s_mov_b32 s14, -1
                                        ; implicit-def: $vgpr20_vgpr21
.LBB71_2374:
	s_delay_alu instid0(SALU_CYCLE_1)
	s_and_b32 vcc_lo, exec_lo, s14
	s_cbranch_vccz .LBB71_2376
; %bb.2375:
	global_load_u8 v1, v[16:17], off
	s_wait_loadcnt 0x0
	v_lshlrev_b32_e32 v1, 24, v1
	s_delay_alu instid0(VALU_DEP_1) | instskip(NEXT) | instid1(VALU_DEP_1)
	v_and_b32_e32 v3, 0x7f000000, v1
	v_clz_i32_u32_e32 v5, v3
	v_add_nc_u32_e32 v9, 0x1000000, v3
	v_cmp_ne_u32_e32 vcc_lo, 0, v3
	s_delay_alu instid0(VALU_DEP_3) | instskip(NEXT) | instid1(VALU_DEP_1)
	v_min_u32_e32 v5, 32, v5
	v_sub_nc_u32_e64 v5, v5, 4 clamp
	s_delay_alu instid0(VALU_DEP_1) | instskip(NEXT) | instid1(VALU_DEP_1)
	v_dual_lshlrev_b32 v7, v5, v3 :: v_dual_lshlrev_b32 v5, 23, v5
	v_lshrrev_b32_e32 v7, 4, v7
	s_delay_alu instid0(VALU_DEP_1) | instskip(SKIP_1) | instid1(VALU_DEP_2)
	v_sub_nc_u32_e32 v5, v7, v5
	v_ashrrev_i32_e32 v7, 8, v9
	v_add_nc_u32_e32 v5, 0x3c000000, v5
	s_delay_alu instid0(VALU_DEP_1) | instskip(NEXT) | instid1(VALU_DEP_1)
	v_and_or_b32 v5, 0x7f800000, v7, v5
	v_cndmask_b32_e32 v3, 0, v5, vcc_lo
	s_delay_alu instid0(VALU_DEP_1) | instskip(NEXT) | instid1(VALU_DEP_1)
	v_and_or_b32 v1, 0x80000000, v1, v3
	v_trunc_f32_e32 v1, v1
	s_delay_alu instid0(VALU_DEP_1) | instskip(SKIP_2) | instid1(VALU_DEP_2)
	v_mul_f32_e64 v3, 0x2f800000, |v1|
	s_wait_xcnt 0x1
	v_ashrrev_i32_e32 v20, 31, v1
	v_floor_f32_e32 v3, v3
	s_delay_alu instid0(VALU_DEP_2) | instskip(NEXT) | instid1(VALU_DEP_2)
	v_mov_b32_e32 v21, v20
	v_fma_f32 v5, 0xcf800000, v3, |v1|
	v_cvt_u32_f32_e32 v1, v3
	s_delay_alu instid0(VALU_DEP_2) | instskip(NEXT) | instid1(VALU_DEP_2)
	v_cvt_u32_f32_e32 v3, v5
	v_xor_b32_e32 v23, v1, v20
	s_delay_alu instid0(VALU_DEP_2) | instskip(NEXT) | instid1(VALU_DEP_1)
	v_xor_b32_e32 v22, v3, v20
	v_sub_nc_u64_e32 v[20:21], v[22:23], v[20:21]
.LBB71_2376:
	s_mov_b32 s14, 0
.LBB71_2377:
	s_delay_alu instid0(SALU_CYCLE_1)
	s_and_not1_b32 vcc_lo, exec_lo, s14
	s_cbranch_vccnz .LBB71_2379
; %bb.2378:
	global_load_u8 v1, v[16:17], off
	s_wait_loadcnt 0x0
	v_lshlrev_b32_e32 v3, 25, v1
	v_lshlrev_b16 v1, 8, v1
	s_delay_alu instid0(VALU_DEP_1) | instskip(SKIP_1) | instid1(VALU_DEP_2)
	v_and_or_b32 v7, 0x7f00, v1, 0.5
	v_bfe_i32 v1, v1, 0, 16
	v_add_f32_e32 v7, -0.5, v7
	v_lshrrev_b32_e32 v5, 4, v3
	v_cmp_gt_u32_e32 vcc_lo, 0x8000000, v3
	s_delay_alu instid0(VALU_DEP_2) | instskip(NEXT) | instid1(VALU_DEP_1)
	v_or_b32_e32 v5, 0x70000000, v5
	v_mul_f32_e32 v5, 0x7800000, v5
	s_delay_alu instid0(VALU_DEP_1) | instskip(NEXT) | instid1(VALU_DEP_1)
	v_cndmask_b32_e32 v3, v5, v7, vcc_lo
	v_and_or_b32 v1, 0x80000000, v1, v3
	s_delay_alu instid0(VALU_DEP_1) | instskip(NEXT) | instid1(VALU_DEP_1)
	v_trunc_f32_e32 v1, v1
	v_mul_f32_e64 v3, 0x2f800000, |v1|
	s_wait_xcnt 0x1
	v_ashrrev_i32_e32 v20, 31, v1
	s_delay_alu instid0(VALU_DEP_2) | instskip(NEXT) | instid1(VALU_DEP_2)
	v_floor_f32_e32 v3, v3
	v_mov_b32_e32 v21, v20
	s_delay_alu instid0(VALU_DEP_2) | instskip(SKIP_1) | instid1(VALU_DEP_2)
	v_fma_f32 v5, 0xcf800000, v3, |v1|
	v_cvt_u32_f32_e32 v1, v3
	v_cvt_u32_f32_e32 v3, v5
	s_delay_alu instid0(VALU_DEP_2) | instskip(NEXT) | instid1(VALU_DEP_2)
	v_xor_b32_e32 v23, v1, v20
	v_xor_b32_e32 v22, v3, v20
	s_delay_alu instid0(VALU_DEP_1)
	v_sub_nc_u64_e32 v[20:21], v[22:23], v[20:21]
.LBB71_2379:
	s_mov_b32 s14, 0
	s_mov_b32 s15, -1
.LBB71_2380:
	s_and_not1_b32 vcc_lo, exec_lo, s14
	s_mov_b32 s14, 0
	s_cbranch_vccnz .LBB71_2391
; %bb.2381:
	s_cmp_gt_i32 s13, 14
	s_cbranch_scc0 .LBB71_2384
; %bb.2382:
	s_cmp_eq_u32 s13, 15
	s_cbranch_scc0 .LBB71_2387
; %bb.2383:
	global_load_u16 v1, v[16:17], off
	s_mov_b32 s0, 0
	s_mov_b32 s15, -1
	s_wait_loadcnt 0x0
	v_lshlrev_b32_e32 v1, 16, v1
	s_delay_alu instid0(VALU_DEP_1) | instskip(NEXT) | instid1(VALU_DEP_1)
	v_trunc_f32_e32 v1, v1
	v_mul_f32_e64 v3, 0x2f800000, |v1|
	s_wait_xcnt 0x1
	v_ashrrev_i32_e32 v20, 31, v1
	s_delay_alu instid0(VALU_DEP_2) | instskip(NEXT) | instid1(VALU_DEP_2)
	v_floor_f32_e32 v3, v3
	v_mov_b32_e32 v21, v20
	s_delay_alu instid0(VALU_DEP_2) | instskip(SKIP_1) | instid1(VALU_DEP_2)
	v_fma_f32 v5, 0xcf800000, v3, |v1|
	v_cvt_u32_f32_e32 v1, v3
	v_cvt_u32_f32_e32 v3, v5
	s_delay_alu instid0(VALU_DEP_2) | instskip(NEXT) | instid1(VALU_DEP_2)
	v_xor_b32_e32 v23, v1, v20
	v_xor_b32_e32 v22, v3, v20
	s_delay_alu instid0(VALU_DEP_1)
	v_sub_nc_u64_e32 v[20:21], v[22:23], v[20:21]
	s_branch .LBB71_2389
.LBB71_2384:
	s_mov_b32 s14, -1
	s_branch .LBB71_2388
.LBB71_2385:
	s_and_not1_saveexec_b32 s14, s14
	s_cbranch_execz .LBB71_2366
.LBB71_2386:
	v_cmp_ne_u16_e32 vcc_lo, 0, v1
	s_and_not1_b32 s15, s15, exec_lo
	s_and_b32 s16, vcc_lo, exec_lo
	s_delay_alu instid0(SALU_CYCLE_1)
	s_or_b32 s15, s15, s16
	s_or_b32 exec_lo, exec_lo, s14
	v_mov_b64_e32 v[20:21], 0
	s_and_saveexec_b32 s14, s15
	s_cbranch_execnz .LBB71_2367
	s_branch .LBB71_2368
.LBB71_2387:
	s_mov_b32 s0, -1
.LBB71_2388:
                                        ; implicit-def: $vgpr20_vgpr21
.LBB71_2389:
	s_and_b32 vcc_lo, exec_lo, s14
	s_mov_b32 s14, 0
	s_cbranch_vccz .LBB71_2391
; %bb.2390:
	s_cmp_lg_u32 s13, 11
	s_mov_b32 s14, -1
	s_cselect_b32 s0, -1, 0
.LBB71_2391:
	s_delay_alu instid0(SALU_CYCLE_1)
	s_and_b32 vcc_lo, exec_lo, s0
	s_cbranch_vccnz .LBB71_2470
; %bb.2392:
	s_and_not1_b32 vcc_lo, exec_lo, s14
	s_cbranch_vccnz .LBB71_2394
.LBB71_2393:
	global_load_u8 v1, v[16:17], off
	s_mov_b32 s0, 0
	s_mov_b32 s15, -1
	s_wait_loadcnt 0x1
	s_wait_xcnt 0x1
	v_mov_b32_e32 v21, s0
	s_wait_loadcnt 0x0
	v_cmp_ne_u16_e32 vcc_lo, 0, v1
	v_cndmask_b32_e64 v20, 0, 1, vcc_lo
.LBB71_2394:
	s_mov_b32 s0, 0
.LBB71_2395:
	s_delay_alu instid0(SALU_CYCLE_1)
	s_and_b32 vcc_lo, exec_lo, s0
	s_cbranch_vccz .LBB71_2444
; %bb.2396:
	s_cmp_lt_i32 s13, 5
	s_cbranch_scc1 .LBB71_2401
; %bb.2397:
	s_cmp_lt_i32 s13, 8
	s_cbranch_scc1 .LBB71_2402
	;; [unrolled: 3-line block ×3, first 2 shown]
; %bb.2399:
	s_cmp_gt_i32 s13, 9
	s_cbranch_scc0 .LBB71_2404
; %bb.2400:
	s_wait_loadcnt 0x0
	global_load_b64 v[20:21], v[16:17], off
	s_mov_b32 s0, 0
	s_wait_loadcnt 0x0
	v_trunc_f64_e32 v[20:21], v[20:21]
	s_delay_alu instid0(VALU_DEP_1) | instskip(NEXT) | instid1(VALU_DEP_1)
	v_ldexp_f64 v[22:23], v[20:21], 0xffffffe0
	v_floor_f64_e32 v[22:23], v[22:23]
	s_delay_alu instid0(VALU_DEP_1) | instskip(SKIP_1) | instid1(VALU_DEP_2)
	v_fmamk_f64 v[24:25], v[22:23], 0xc1f00000, v[20:21]
	v_cvt_i32_f64_e32 v21, v[22:23]
	v_cvt_u32_f64_e32 v20, v[24:25]
	s_branch .LBB71_2405
.LBB71_2401:
	s_mov_b32 s0, -1
                                        ; implicit-def: $vgpr20_vgpr21
	s_branch .LBB71_2423
.LBB71_2402:
	s_mov_b32 s0, -1
                                        ; implicit-def: $vgpr20_vgpr21
	s_branch .LBB71_2411
.LBB71_2403:
	s_mov_b32 s0, -1
                                        ; implicit-def: $vgpr20_vgpr21
	s_branch .LBB71_2408
.LBB71_2404:
	s_mov_b32 s0, -1
                                        ; implicit-def: $vgpr20_vgpr21
.LBB71_2405:
	s_delay_alu instid0(SALU_CYCLE_1)
	s_and_not1_b32 vcc_lo, exec_lo, s0
	s_cbranch_vccnz .LBB71_2407
; %bb.2406:
	global_load_b32 v1, v[16:17], off
	s_wait_loadcnt 0x0
	v_trunc_f32_e32 v1, v1
	s_delay_alu instid0(VALU_DEP_1) | instskip(SKIP_2) | instid1(VALU_DEP_2)
	v_mul_f32_e64 v3, 0x2f800000, |v1|
	s_wait_xcnt 0x1
	v_ashrrev_i32_e32 v20, 31, v1
	v_floor_f32_e32 v3, v3
	s_delay_alu instid0(VALU_DEP_1) | instskip(SKIP_1) | instid1(VALU_DEP_4)
	v_fma_f32 v5, 0xcf800000, v3, |v1|
	v_cvt_u32_f32_e32 v1, v3
	v_mov_b32_e32 v21, v20
	s_delay_alu instid0(VALU_DEP_3) | instskip(NEXT) | instid1(VALU_DEP_3)
	v_cvt_u32_f32_e32 v3, v5
	v_xor_b32_e32 v23, v1, v20
	s_delay_alu instid0(VALU_DEP_2) | instskip(NEXT) | instid1(VALU_DEP_1)
	v_xor_b32_e32 v22, v3, v20
	v_sub_nc_u64_e32 v[20:21], v[22:23], v[20:21]
.LBB71_2407:
	s_mov_b32 s0, 0
.LBB71_2408:
	s_delay_alu instid0(SALU_CYCLE_1)
	s_and_not1_b32 vcc_lo, exec_lo, s0
	s_cbranch_vccnz .LBB71_2410
; %bb.2409:
	global_load_b32 v1, v[16:17], off
	s_wait_loadcnt 0x0
	v_cvt_f32_f16_e32 v1, v1
	s_wait_xcnt 0x1
	s_delay_alu instid0(VALU_DEP_1) | instskip(NEXT) | instid1(VALU_DEP_1)
	v_cvt_i32_f32_e32 v20, v1
	v_ashrrev_i32_e32 v21, 31, v20
.LBB71_2410:
	s_mov_b32 s0, 0
.LBB71_2411:
	s_delay_alu instid0(SALU_CYCLE_1)
	s_and_not1_b32 vcc_lo, exec_lo, s0
	s_cbranch_vccnz .LBB71_2422
; %bb.2412:
	s_cmp_lt_i32 s13, 6
	s_cbranch_scc1 .LBB71_2415
; %bb.2413:
	s_cmp_gt_i32 s13, 6
	s_cbranch_scc0 .LBB71_2416
; %bb.2414:
	s_wait_loadcnt 0x0
	global_load_b64 v[20:21], v[16:17], off
	s_mov_b32 s0, 0
	s_wait_loadcnt 0x0
	v_trunc_f64_e32 v[20:21], v[20:21]
	s_delay_alu instid0(VALU_DEP_1) | instskip(NEXT) | instid1(VALU_DEP_1)
	v_ldexp_f64 v[22:23], v[20:21], 0xffffffe0
	v_floor_f64_e32 v[22:23], v[22:23]
	s_delay_alu instid0(VALU_DEP_1) | instskip(SKIP_1) | instid1(VALU_DEP_2)
	v_fmamk_f64 v[24:25], v[22:23], 0xc1f00000, v[20:21]
	v_cvt_i32_f64_e32 v21, v[22:23]
	v_cvt_u32_f64_e32 v20, v[24:25]
	s_branch .LBB71_2417
.LBB71_2415:
	s_mov_b32 s0, -1
                                        ; implicit-def: $vgpr20_vgpr21
	s_branch .LBB71_2420
.LBB71_2416:
	s_mov_b32 s0, -1
                                        ; implicit-def: $vgpr20_vgpr21
.LBB71_2417:
	s_delay_alu instid0(SALU_CYCLE_1)
	s_and_not1_b32 vcc_lo, exec_lo, s0
	s_cbranch_vccnz .LBB71_2419
; %bb.2418:
	global_load_b32 v1, v[16:17], off
	s_wait_loadcnt 0x0
	v_trunc_f32_e32 v1, v1
	s_delay_alu instid0(VALU_DEP_1) | instskip(SKIP_2) | instid1(VALU_DEP_2)
	v_mul_f32_e64 v3, 0x2f800000, |v1|
	s_wait_xcnt 0x1
	v_ashrrev_i32_e32 v20, 31, v1
	v_floor_f32_e32 v3, v3
	s_delay_alu instid0(VALU_DEP_1) | instskip(SKIP_1) | instid1(VALU_DEP_4)
	v_fma_f32 v5, 0xcf800000, v3, |v1|
	v_cvt_u32_f32_e32 v1, v3
	v_mov_b32_e32 v21, v20
	s_delay_alu instid0(VALU_DEP_3) | instskip(NEXT) | instid1(VALU_DEP_3)
	v_cvt_u32_f32_e32 v3, v5
	v_xor_b32_e32 v23, v1, v20
	s_delay_alu instid0(VALU_DEP_2) | instskip(NEXT) | instid1(VALU_DEP_1)
	v_xor_b32_e32 v22, v3, v20
	v_sub_nc_u64_e32 v[20:21], v[22:23], v[20:21]
.LBB71_2419:
	s_mov_b32 s0, 0
.LBB71_2420:
	s_delay_alu instid0(SALU_CYCLE_1)
	s_and_not1_b32 vcc_lo, exec_lo, s0
	s_cbranch_vccnz .LBB71_2422
; %bb.2421:
	global_load_u16 v1, v[16:17], off
	s_wait_loadcnt 0x0
	v_cvt_f32_f16_e32 v1, v1
	s_wait_xcnt 0x1
	s_delay_alu instid0(VALU_DEP_1) | instskip(NEXT) | instid1(VALU_DEP_1)
	v_cvt_i32_f32_e32 v20, v1
	v_ashrrev_i32_e32 v21, 31, v20
.LBB71_2422:
	s_mov_b32 s0, 0
.LBB71_2423:
	s_delay_alu instid0(SALU_CYCLE_1)
	s_and_not1_b32 vcc_lo, exec_lo, s0
	s_cbranch_vccnz .LBB71_2443
; %bb.2424:
	s_cmp_lt_i32 s13, 2
	s_cbranch_scc1 .LBB71_2428
; %bb.2425:
	s_cmp_lt_i32 s13, 3
	s_cbranch_scc1 .LBB71_2429
; %bb.2426:
	s_cmp_gt_i32 s13, 3
	s_cbranch_scc0 .LBB71_2430
; %bb.2427:
	s_wait_loadcnt 0x0
	global_load_b64 v[20:21], v[16:17], off
	s_mov_b32 s0, 0
	s_branch .LBB71_2431
.LBB71_2428:
	s_mov_b32 s0, -1
                                        ; implicit-def: $vgpr20_vgpr21
	s_branch .LBB71_2437
.LBB71_2429:
	s_mov_b32 s0, -1
                                        ; implicit-def: $vgpr20_vgpr21
	s_branch .LBB71_2434
.LBB71_2430:
	s_mov_b32 s0, -1
                                        ; implicit-def: $vgpr20_vgpr21
.LBB71_2431:
	s_delay_alu instid0(SALU_CYCLE_1)
	s_and_not1_b32 vcc_lo, exec_lo, s0
	s_cbranch_vccnz .LBB71_2433
; %bb.2432:
	s_wait_loadcnt 0x0
	global_load_b32 v20, v[16:17], off
	s_wait_loadcnt 0x0
	v_ashrrev_i32_e32 v21, 31, v20
.LBB71_2433:
	s_mov_b32 s0, 0
.LBB71_2434:
	s_delay_alu instid0(SALU_CYCLE_1)
	s_and_not1_b32 vcc_lo, exec_lo, s0
	s_cbranch_vccnz .LBB71_2436
; %bb.2435:
	global_load_u16 v1, v[16:17], off
	s_wait_loadcnt 0x0
	s_wait_xcnt 0x1
	v_bfe_i32 v20, v1, 0, 16
	s_delay_alu instid0(VALU_DEP_1)
	v_ashrrev_i32_e32 v21, 31, v20
.LBB71_2436:
	s_mov_b32 s0, 0
.LBB71_2437:
	s_delay_alu instid0(SALU_CYCLE_1)
	s_and_not1_b32 vcc_lo, exec_lo, s0
	s_cbranch_vccnz .LBB71_2443
; %bb.2438:
	s_cmp_gt_i32 s13, 0
	s_mov_b32 s0, 0
	s_cbranch_scc0 .LBB71_2440
; %bb.2439:
	global_load_i8 v1, v[16:17], off
	s_wait_loadcnt 0x0
	s_wait_xcnt 0x1
	v_bfe_i32 v20, v1, 0, 16
	s_delay_alu instid0(VALU_DEP_1)
	v_ashrrev_i32_e32 v21, 31, v20
	s_branch .LBB71_2441
.LBB71_2440:
	s_mov_b32 s0, -1
                                        ; implicit-def: $vgpr20_vgpr21
.LBB71_2441:
	s_delay_alu instid0(SALU_CYCLE_1)
	s_and_not1_b32 vcc_lo, exec_lo, s0
	s_cbranch_vccnz .LBB71_2443
; %bb.2442:
	global_load_u8 v1, v[16:17], off
	s_mov_b32 s0, 0
	s_wait_loadcnt 0x1
	s_wait_xcnt 0x1
	v_mov_b32_e32 v21, s0
	s_wait_loadcnt 0x0
	v_and_b32_e32 v20, 0xffff, v1
.LBB71_2443:
	s_mov_b32 s15, -1
.LBB71_2444:
	s_delay_alu instid0(SALU_CYCLE_1)
	s_and_not1_b32 vcc_lo, exec_lo, s15
	s_cbranch_vccnz .LBB71_2715
; %bb.2445:
	s_wait_loadcnt 0x0
	s_delay_alu instid0(VALU_DEP_1) | instskip(SKIP_1) | instid1(VALU_DEP_1)
	v_sub_nc_u64_e32 v[16:17], 0, v[20:21]
	s_mov_b32 s14, exec_lo
	v_max_i64 v[22:23], v[20:21], v[16:17]
	v_cmpx_ne_u64_e32 0, v[18:19]
	s_cbranch_execz .LBB71_2453
; %bb.2446:
	v_sub_nc_u64_e32 v[16:17], 0, v[18:19]
	s_mov_b32 s15, 0
	s_delay_alu instid0(VALU_DEP_1)
	v_max_i64 v[26:27], v[18:19], v[16:17]
	v_mov_b32_e32 v16, 0
	s_branch .LBB71_2448
.LBB71_2447:                            ;   in Loop: Header=BB71_2448 Depth=1
	s_or_b32 exec_lo, exec_lo, s0
	s_delay_alu instid0(VALU_DEP_1) | instskip(SKIP_2) | instid1(SALU_CYCLE_1)
	v_cmp_eq_u64_e32 vcc_lo, 0, v[26:27]
	v_mov_b64_e32 v[22:23], v[24:25]
	s_or_b32 s15, vcc_lo, s15
	s_and_not1_b32 exec_lo, exec_lo, s15
	s_cbranch_execz .LBB71_2452
.LBB71_2448:                            ; =>This Inner Loop Header: Depth=1
	s_delay_alu instid0(VALU_DEP_2) | instskip(SKIP_1) | instid1(VALU_DEP_1)
	v_mov_b64_e32 v[24:25], v[26:27]
                                        ; implicit-def: $vgpr26_vgpr27
	s_mov_b32 s0, exec_lo
	v_or_b32_e32 v17, v23, v25
	s_delay_alu instid0(VALU_DEP_1)
	v_cmpx_ne_u64_e32 0, v[16:17]
	s_xor_b32 s16, exec_lo, s0
	s_cbranch_execz .LBB71_2450
; %bb.2449:                             ;   in Loop: Header=BB71_2448 Depth=1
	s_delay_alu instid0(VALU_DEP_3) | instskip(SKIP_4) | instid1(VALU_DEP_4)
	v_cvt_f32_u32_e32 v1, v24
	v_cvt_f32_u32_e32 v3, v25
	v_sub_nc_u64_e32 v[28:29], 0, v[24:25]
	v_dual_mov_b32 v27, v16 :: v_dual_mov_b32 v35, v16
	v_mov_b32_e32 v37, v16
	v_fmac_f32_e32 v1, 0x4f800000, v3
	s_delay_alu instid0(VALU_DEP_1) | instskip(SKIP_1) | instid1(TRANS32_DEP_1)
	v_rcp_f32_e32 v1, v1
	v_nop
	v_mul_f32_e32 v1, 0x5f7ffffc, v1
	s_delay_alu instid0(VALU_DEP_1) | instskip(NEXT) | instid1(VALU_DEP_1)
	v_mul_f32_e32 v3, 0x2f800000, v1
	v_trunc_f32_e32 v3, v3
	s_delay_alu instid0(VALU_DEP_1) | instskip(SKIP_1) | instid1(VALU_DEP_2)
	v_fmac_f32_e32 v1, 0xcf800000, v3
	v_cvt_u32_f32_e32 v31, v3
	v_cvt_u32_f32_e32 v26, v1
	s_delay_alu instid0(VALU_DEP_1) | instskip(NEXT) | instid1(VALU_DEP_1)
	v_dual_mov_b32 v36, v31 :: v_dual_mov_b32 v30, v26
	v_mul_u64_e32 v[32:33], v[28:29], v[30:31]
	s_delay_alu instid0(VALU_DEP_1) | instskip(NEXT) | instid1(VALU_DEP_1)
	v_dual_mov_b32 v34, v33 :: v_dual_mov_b32 v33, v16
	v_mul_u64_e32 v[38:39], v[26:27], v[34:35]
	s_delay_alu instid0(VALU_DEP_2) | instskip(SKIP_2) | instid1(VALU_DEP_1)
	v_mul_u64_e32 v[40:41], v[36:37], v[32:33]
	v_mul_u64_e32 v[34:35], v[36:37], v[34:35]
	v_mul_hi_u32 v32, v26, v32
	v_add_nc_u64_e32 v[32:33], v[32:33], v[38:39]
	s_delay_alu instid0(VALU_DEP_1) | instskip(NEXT) | instid1(VALU_DEP_2)
	v_add_co_u32 v1, vcc_lo, v32, v40
	v_add_co_ci_u32_e32 v36, vcc_lo, v33, v41, vcc_lo
	v_add_co_ci_u32_e32 v35, vcc_lo, 0, v35, vcc_lo
	s_delay_alu instid0(VALU_DEP_1) | instskip(NEXT) | instid1(VALU_DEP_1)
	v_add_nc_u64_e32 v[32:33], v[36:37], v[34:35]
	v_add_co_u32 v26, vcc_lo, v26, v32
	s_delay_alu instid0(VALU_DEP_1) | instskip(SKIP_1) | instid1(VALU_DEP_2)
	v_add_co_ci_u32_e64 v30, null, v31, v33, vcc_lo
	v_dual_mov_b32 v33, v16 :: v_dual_mov_b32 v31, v16
	v_mov_b32_e32 v27, v30
	s_delay_alu instid0(VALU_DEP_1) | instskip(NEXT) | instid1(VALU_DEP_1)
	v_mul_u64_e32 v[28:29], v[28:29], v[26:27]
	v_dual_mov_b32 v27, v16 :: v_dual_mov_b32 v32, v29
	s_delay_alu instid0(VALU_DEP_2) | instskip(SKIP_1) | instid1(VALU_DEP_3)
	v_dual_mov_b32 v36, v28 :: v_dual_mov_b32 v29, v16
	v_mul_hi_u32 v28, v26, v28
	v_mul_u64_e32 v[34:35], v[26:27], v[32:33]
	s_delay_alu instid0(VALU_DEP_3) | instskip(SKIP_1) | instid1(VALU_DEP_3)
	v_mul_u64_e32 v[36:37], v[30:31], v[36:37]
	v_mul_u64_e32 v[32:33], v[30:31], v[32:33]
	v_add_nc_u64_e32 v[28:29], v[28:29], v[34:35]
	v_mov_b32_e32 v35, v16
	s_delay_alu instid0(VALU_DEP_2) | instskip(NEXT) | instid1(VALU_DEP_3)
	v_add_co_u32 v1, vcc_lo, v28, v36
	v_add_co_ci_u32_e32 v34, vcc_lo, v29, v37, vcc_lo
	v_add_co_ci_u32_e32 v33, vcc_lo, 0, v33, vcc_lo
	s_delay_alu instid0(VALU_DEP_1) | instskip(SKIP_1) | instid1(VALU_DEP_2)
	v_add_nc_u64_e32 v[28:29], v[34:35], v[32:33]
	v_dual_mov_b32 v32, v22 :: v_dual_mov_b32 v33, v16
	v_add_co_u32 v28, vcc_lo, v26, v28
	s_delay_alu instid0(VALU_DEP_1) | instskip(SKIP_1) | instid1(VALU_DEP_2)
	v_add_co_ci_u32_e64 v26, null, v30, v29, vcc_lo
	v_dual_mov_b32 v30, v23 :: v_dual_mov_b32 v29, v16
	v_mul_u64_e32 v[32:33], v[32:33], v[26:27]
	s_delay_alu instid0(VALU_DEP_2) | instskip(NEXT) | instid1(VALU_DEP_3)
	v_mul_u64_e32 v[26:27], v[30:31], v[26:27]
	v_mul_u64_e32 v[34:35], v[30:31], v[28:29]
	v_mul_hi_u32 v28, v22, v28
	s_delay_alu instid0(VALU_DEP_1) | instskip(NEXT) | instid1(VALU_DEP_1)
	v_add_nc_u64_e32 v[28:29], v[28:29], v[32:33]
	v_add_co_u32 v1, vcc_lo, v28, v34
	s_delay_alu instid0(VALU_DEP_2) | instskip(SKIP_1) | instid1(VALU_DEP_1)
	v_add_co_ci_u32_e32 v30, vcc_lo, v29, v35, vcc_lo
	v_add_co_ci_u32_e32 v27, vcc_lo, 0, v27, vcc_lo
	v_add_nc_u64_e32 v[26:27], v[30:31], v[26:27]
	s_delay_alu instid0(VALU_DEP_1) | instskip(NEXT) | instid1(VALU_DEP_1)
	v_mul_u64_e32 v[26:27], v[24:25], v[26:27]
	v_sub_nc_u32_e32 v1, v23, v27
	s_delay_alu instid0(VALU_DEP_2) | instskip(NEXT) | instid1(VALU_DEP_1)
	v_sub_co_u32 v3, vcc_lo, v22, v26
	v_sub_co_ci_u32_e64 v5, null, v23, v27, vcc_lo
	s_delay_alu instid0(VALU_DEP_3) | instskip(NEXT) | instid1(VALU_DEP_3)
	v_sub_co_ci_u32_e64 v1, null, v1, v25, vcc_lo
	v_sub_co_u32 v7, vcc_lo, v3, v24
	v_cmp_ge_u32_e64 s0, v3, v24
	s_delay_alu instid0(VALU_DEP_3) | instskip(SKIP_1) | instid1(VALU_DEP_3)
	v_subrev_co_ci_u32_e64 v9, null, 0, v1, vcc_lo
	v_sub_co_ci_u32_e64 v1, null, v1, v25, vcc_lo
	v_cndmask_b32_e64 v13, 0, -1, s0
	v_cmp_ge_u32_e64 s0, v7, v24
	v_cmp_ge_u32_e32 vcc_lo, v5, v25
	s_delay_alu instid0(VALU_DEP_2) | instskip(SKIP_3) | instid1(VALU_DEP_3)
	v_cndmask_b32_e64 v17, 0, -1, s0
	v_cmp_ge_u32_e64 s0, v9, v25
	v_cndmask_b32_e64 v23, 0, -1, vcc_lo
	v_cmp_eq_u32_e32 vcc_lo, v9, v25
	v_cndmask_b32_e64 v22, 0, -1, s0
	v_cmp_eq_u32_e64 s0, v5, v25
	s_delay_alu instid0(VALU_DEP_2) | instskip(SKIP_1) | instid1(VALU_DEP_1)
	v_cndmask_b32_e32 v17, v22, v17, vcc_lo
	v_sub_co_u32 v22, vcc_lo, v7, v24
	v_subrev_co_ci_u32_e64 v1, null, 0, v1, vcc_lo
	s_delay_alu instid0(VALU_DEP_3) | instskip(SKIP_1) | instid1(VALU_DEP_3)
	v_cmp_ne_u32_e32 vcc_lo, 0, v17
	v_cndmask_b32_e64 v13, v23, v13, s0
	v_dual_cndmask_b32 v7, v7, v22, vcc_lo :: v_dual_cndmask_b32 v1, v9, v1, vcc_lo
	s_delay_alu instid0(VALU_DEP_2) | instskip(NEXT) | instid1(VALU_DEP_2)
	v_cmp_ne_u32_e32 vcc_lo, 0, v13
                                        ; implicit-def: $vgpr22_vgpr23
	v_dual_cndmask_b32 v26, v3, v7 :: v_dual_cndmask_b32 v27, v5, v1
.LBB71_2450:                            ;   in Loop: Header=BB71_2448 Depth=1
	s_and_not1_saveexec_b32 s0, s16
	s_cbranch_execz .LBB71_2447
; %bb.2451:                             ;   in Loop: Header=BB71_2448 Depth=1
	v_cvt_f32_u32_e32 v1, v24
	v_dual_sub_nc_u32 v3, 0, v24 :: v_dual_mov_b32 v27, v16
	s_delay_alu instid0(VALU_DEP_2) | instskip(SKIP_1) | instid1(TRANS32_DEP_1)
	v_rcp_iflag_f32_e32 v1, v1
	v_nop
	v_mul_f32_e32 v1, 0x4f7ffffe, v1
	s_delay_alu instid0(VALU_DEP_1) | instskip(NEXT) | instid1(VALU_DEP_1)
	v_cvt_u32_f32_e32 v1, v1
	v_mul_lo_u32 v3, v3, v1
	s_delay_alu instid0(VALU_DEP_1) | instskip(NEXT) | instid1(VALU_DEP_1)
	v_mul_hi_u32 v3, v1, v3
	v_add_nc_u32_e32 v1, v1, v3
	s_delay_alu instid0(VALU_DEP_1) | instskip(NEXT) | instid1(VALU_DEP_1)
	v_mul_hi_u32 v1, v22, v1
	v_mul_lo_u32 v1, v1, v24
	s_delay_alu instid0(VALU_DEP_1) | instskip(NEXT) | instid1(VALU_DEP_1)
	v_sub_nc_u32_e32 v1, v22, v1
	v_sub_nc_u32_e32 v3, v1, v24
	v_cmp_ge_u32_e32 vcc_lo, v1, v24
	s_delay_alu instid0(VALU_DEP_2) | instskip(NEXT) | instid1(VALU_DEP_1)
	v_cndmask_b32_e32 v1, v1, v3, vcc_lo
	v_sub_nc_u32_e32 v3, v1, v24
	v_cmp_ge_u32_e32 vcc_lo, v1, v24
	s_delay_alu instid0(VALU_DEP_2)
	v_cndmask_b32_e32 v26, v1, v3, vcc_lo
	s_branch .LBB71_2447
.LBB71_2452:
	s_or_b32 exec_lo, exec_lo, s15
	v_mov_b64_e32 v[22:23], v[24:25]
.LBB71_2453:
	s_or_b32 exec_lo, exec_lo, s14
	v_mov_b64_e32 v[16:17], 0
	s_mov_b32 s14, exec_lo
	s_delay_alu instid0(VALU_DEP_2)
	v_cmpx_ne_u64_e32 0, v[22:23]
	s_cbranch_execz .LBB71_2459
; %bb.2454:
	v_dual_mov_b32 v16, 0 :: v_dual_bitop2_b32 v17, v19, v23 bitop3:0x54
                                        ; implicit-def: $vgpr24_vgpr25
	s_mov_b32 s0, exec_lo
	s_delay_alu instid0(VALU_DEP_1)
	v_cmpx_ne_u64_e32 0, v[16:17]
	s_xor_b32 s15, exec_lo, s0
	s_cbranch_execz .LBB71_2456
; %bb.2455:
	v_dual_mov_b32 v27, v16 :: v_dual_ashrrev_i32 v24, 31, v23
	v_dual_mov_b32 v35, v16 :: v_dual_mov_b32 v37, v16
	s_delay_alu instid0(VALU_DEP_2) | instskip(NEXT) | instid1(VALU_DEP_1)
	v_dual_mov_b32 v17, v16 :: v_dual_mov_b32 v25, v24
	v_add_nc_u64_e32 v[22:23], v[22:23], v[24:25]
	s_delay_alu instid0(VALU_DEP_1) | instskip(NEXT) | instid1(VALU_DEP_2)
	v_xor_b32_e32 v22, v22, v24
	v_xor_b32_e32 v23, v23, v24
	s_delay_alu instid0(VALU_DEP_2) | instskip(NEXT) | instid1(VALU_DEP_2)
	v_cvt_f32_u32_e32 v1, v22
	v_cvt_f32_u32_e32 v3, v23
	s_delay_alu instid0(VALU_DEP_1) | instskip(NEXT) | instid1(VALU_DEP_1)
	v_fmamk_f32 v1, v3, 0x4f800000, v1
	v_rcp_f32_e32 v1, v1
	v_nop
	s_delay_alu instid0(TRANS32_DEP_1) | instskip(NEXT) | instid1(VALU_DEP_1)
	v_mul_f32_e32 v1, 0x5f7ffffc, v1
	v_mul_f32_e32 v3, 0x2f800000, v1
	s_delay_alu instid0(VALU_DEP_1) | instskip(NEXT) | instid1(VALU_DEP_1)
	v_trunc_f32_e32 v3, v3
	v_fmamk_f32 v1, v3, 0xcf800000, v1
	v_cvt_u32_f32_e32 v31, v3
	s_delay_alu instid0(VALU_DEP_2) | instskip(NEXT) | instid1(VALU_DEP_1)
	v_cvt_u32_f32_e32 v26, v1
	v_dual_mov_b32 v36, v31 :: v_dual_mov_b32 v30, v26
	v_sub_nc_u64_e32 v[28:29], 0, v[22:23]
	s_delay_alu instid0(VALU_DEP_1) | instskip(NEXT) | instid1(VALU_DEP_1)
	v_mul_u64_e32 v[32:33], v[28:29], v[30:31]
	v_dual_mov_b32 v34, v33 :: v_dual_mov_b32 v33, v16
	s_delay_alu instid0(VALU_DEP_1) | instskip(NEXT) | instid1(VALU_DEP_2)
	v_mul_u64_e32 v[38:39], v[26:27], v[34:35]
	v_mul_u64_e32 v[40:41], v[36:37], v[32:33]
	;; [unrolled: 1-line block ×3, first 2 shown]
	v_mul_hi_u32 v32, v26, v32
	s_delay_alu instid0(VALU_DEP_1) | instskip(SKIP_1) | instid1(VALU_DEP_2)
	v_add_nc_u64_e32 v[32:33], v[32:33], v[38:39]
	v_ashrrev_i32_e32 v38, 31, v19
	v_add_co_u32 v1, vcc_lo, v32, v40
	s_delay_alu instid0(VALU_DEP_3) | instskip(SKIP_1) | instid1(VALU_DEP_1)
	v_add_co_ci_u32_e32 v36, vcc_lo, v33, v41, vcc_lo
	v_add_co_ci_u32_e32 v35, vcc_lo, 0, v35, vcc_lo
	v_add_nc_u64_e32 v[32:33], v[36:37], v[34:35]
	s_delay_alu instid0(VALU_DEP_1) | instskip(NEXT) | instid1(VALU_DEP_1)
	v_add_co_u32 v26, vcc_lo, v26, v32
	v_add_co_ci_u32_e64 v30, null, v31, v33, vcc_lo
	v_dual_mov_b32 v33, v16 :: v_dual_mov_b32 v31, v16
	s_delay_alu instid0(VALU_DEP_2) | instskip(NEXT) | instid1(VALU_DEP_1)
	v_mov_b32_e32 v27, v30
	v_mul_u64_e32 v[28:29], v[28:29], v[26:27]
	s_delay_alu instid0(VALU_DEP_1) | instskip(NEXT) | instid1(VALU_DEP_2)
	v_dual_mov_b32 v27, v16 :: v_dual_mov_b32 v32, v29
	v_dual_mov_b32 v36, v28 :: v_dual_mov_b32 v29, v16
	v_mul_hi_u32 v28, v26, v28
	s_delay_alu instid0(VALU_DEP_3) | instskip(NEXT) | instid1(VALU_DEP_3)
	v_mul_u64_e32 v[34:35], v[26:27], v[32:33]
	v_mul_u64_e32 v[36:37], v[30:31], v[36:37]
	;; [unrolled: 1-line block ×3, first 2 shown]
	s_delay_alu instid0(VALU_DEP_3) | instskip(SKIP_1) | instid1(VALU_DEP_2)
	v_add_nc_u64_e32 v[28:29], v[28:29], v[34:35]
	v_dual_mov_b32 v35, v16 :: v_dual_mov_b32 v39, v38
	v_add_co_u32 v1, vcc_lo, v28, v36
	s_delay_alu instid0(VALU_DEP_3) | instskip(SKIP_1) | instid1(VALU_DEP_1)
	v_add_co_ci_u32_e32 v34, vcc_lo, v29, v37, vcc_lo
	v_add_co_ci_u32_e32 v33, vcc_lo, 0, v33, vcc_lo
	v_add_nc_u64_e32 v[28:29], v[34:35], v[32:33]
	v_mov_b32_e32 v33, v16
	v_add_nc_u64_e32 v[18:19], v[18:19], v[38:39]
	s_delay_alu instid0(VALU_DEP_3) | instskip(NEXT) | instid1(VALU_DEP_2)
	v_add_co_u32 v28, vcc_lo, v26, v28
	v_xor_b32_e32 v32, v18, v38
	v_add_co_ci_u32_e64 v26, null, v30, v29, vcc_lo
	s_delay_alu instid0(VALU_DEP_4) | instskip(NEXT) | instid1(VALU_DEP_2)
	v_dual_mov_b32 v29, v16 :: v_dual_bitop2_b32 v30, v19, v38 bitop3:0x14
	v_mul_u64_e32 v[34:35], v[32:33], v[26:27]
	s_delay_alu instid0(VALU_DEP_2) | instskip(SKIP_2) | instid1(VALU_DEP_1)
	v_mul_u64_e32 v[18:19], v[30:31], v[28:29]
	v_mul_u64_e32 v[26:27], v[30:31], v[26:27]
	v_mul_hi_u32 v28, v32, v28
	v_add_nc_u64_e32 v[28:29], v[28:29], v[34:35]
	s_delay_alu instid0(VALU_DEP_1) | instskip(NEXT) | instid1(VALU_DEP_2)
	v_add_co_u32 v1, vcc_lo, v28, v18
	v_add_co_ci_u32_e32 v16, vcc_lo, v29, v19, vcc_lo
	v_add_co_ci_u32_e32 v27, vcc_lo, 0, v27, vcc_lo
	s_delay_alu instid0(VALU_DEP_1) | instskip(NEXT) | instid1(VALU_DEP_1)
	v_add_nc_u64_e32 v[16:17], v[16:17], v[26:27]
	v_mul_u64_e32 v[18:19], v[22:23], v[16:17]
	v_add_nc_u64_e32 v[26:27], 1, v[16:17]
	s_delay_alu instid0(VALU_DEP_2) | instskip(NEXT) | instid1(VALU_DEP_3)
	v_sub_nc_u32_e32 v1, v30, v19
	v_sub_co_u32 v3, vcc_lo, v32, v18
	s_delay_alu instid0(VALU_DEP_1) | instskip(NEXT) | instid1(VALU_DEP_3)
	v_sub_co_ci_u32_e64 v7, null, v30, v19, vcc_lo
	v_sub_co_ci_u32_e64 v1, null, v1, v23, vcc_lo
	s_delay_alu instid0(VALU_DEP_3) | instskip(SKIP_1) | instid1(VALU_DEP_3)
	v_sub_co_u32 v5, s0, v3, v22
	v_add_nc_u64_e32 v[18:19], 2, v[16:17]
	v_subrev_co_ci_u32_e64 v1, null, 0, v1, s0
	s_delay_alu instid0(VALU_DEP_3) | instskip(SKIP_1) | instid1(VALU_DEP_3)
	v_cmp_ge_u32_e32 vcc_lo, v5, v22
	v_cndmask_b32_e64 v5, 0, -1, vcc_lo
	v_cmp_ge_u32_e32 vcc_lo, v1, v23
	v_cndmask_b32_e64 v9, 0, -1, vcc_lo
	;; [unrolled: 2-line block ×4, first 2 shown]
	v_cmp_eq_u32_e32 vcc_lo, v1, v23
	v_cndmask_b32_e32 v1, v9, v5, vcc_lo
	v_cmp_eq_u32_e32 vcc_lo, v7, v23
                                        ; implicit-def: $vgpr22_vgpr23
	s_delay_alu instid0(VALU_DEP_4) | instskip(NEXT) | instid1(VALU_DEP_3)
	v_cndmask_b32_e32 v3, v13, v3, vcc_lo
	v_cmp_ne_u32_e32 vcc_lo, 0, v1
	s_delay_alu instid0(VALU_DEP_2) | instskip(SKIP_2) | instid1(VALU_DEP_1)
	v_cmp_ne_u32_e64 s0, 0, v3
	v_cndmask_b32_e32 v3, v26, v18, vcc_lo
	v_dual_cndmask_b32 v1, v27, v19, vcc_lo :: v_dual_bitop2_b32 v18, v38, v24 bitop3:0x14
	v_dual_cndmask_b32 v3, v16, v3, s0 :: v_dual_mov_b32 v19, v18
	s_delay_alu instid0(VALU_DEP_1) | instskip(NEXT) | instid1(VALU_DEP_1)
	v_dual_cndmask_b32 v1, v17, v1, s0 :: v_dual_bitop2_b32 v16, v3, v18 bitop3:0x14
	v_xor_b32_e32 v17, v1, v18
	s_delay_alu instid0(VALU_DEP_1)
	v_sub_nc_u64_e32 v[24:25], v[16:17], v[18:19]
                                        ; implicit-def: $vgpr18_vgpr19
.LBB71_2456:
	s_and_not1_saveexec_b32 s0, s15
	s_cbranch_execz .LBB71_2458
; %bb.2457:
	v_cvt_f32_u32_e32 v1, v22
	v_dual_sub_nc_u32 v3, 0, v22 :: v_dual_mov_b32 v25, 0
	s_delay_alu instid0(VALU_DEP_2) | instskip(SKIP_1) | instid1(TRANS32_DEP_1)
	v_rcp_iflag_f32_e32 v1, v1
	v_nop
	v_mul_f32_e32 v1, 0x4f7ffffe, v1
	s_delay_alu instid0(VALU_DEP_1) | instskip(NEXT) | instid1(VALU_DEP_1)
	v_cvt_u32_f32_e32 v1, v1
	v_mul_lo_u32 v3, v3, v1
	s_delay_alu instid0(VALU_DEP_1) | instskip(NEXT) | instid1(VALU_DEP_1)
	v_mul_hi_u32 v3, v1, v3
	v_add_nc_u32_e32 v1, v1, v3
	s_delay_alu instid0(VALU_DEP_1) | instskip(NEXT) | instid1(VALU_DEP_1)
	v_mul_hi_u32 v1, v18, v1
	v_mul_lo_u32 v3, v1, v22
	s_delay_alu instid0(VALU_DEP_1) | instskip(NEXT) | instid1(VALU_DEP_1)
	v_dual_add_nc_u32 v5, 1, v1 :: v_dual_sub_nc_u32 v3, v18, v3
	v_cmp_ge_u32_e32 vcc_lo, v3, v22
	s_delay_alu instid0(VALU_DEP_2) | instskip(NEXT) | instid1(VALU_DEP_1)
	v_dual_sub_nc_u32 v7, v3, v22 :: v_dual_cndmask_b32 v1, v1, v5, vcc_lo
	v_dual_cndmask_b32 v3, v3, v7, vcc_lo :: v_dual_add_nc_u32 v5, 1, v1
	s_delay_alu instid0(VALU_DEP_1) | instskip(NEXT) | instid1(VALU_DEP_2)
	v_cmp_ge_u32_e32 vcc_lo, v3, v22
	v_cndmask_b32_e32 v24, v1, v5, vcc_lo
.LBB71_2458:
	s_or_b32 exec_lo, exec_lo, s0
	s_delay_alu instid0(VALU_DEP_1) | instskip(NEXT) | instid1(VALU_DEP_1)
	v_mul_u64_e32 v[16:17], v[24:25], v[20:21]
	v_sub_nc_u64_e32 v[18:19], 0, v[16:17]
	s_delay_alu instid0(VALU_DEP_1)
	v_max_i64 v[16:17], v[16:17], v[18:19]
.LBB71_2459:
	s_or_b32 exec_lo, exec_lo, s14
	v_mov_b32_e32 v13, 0
	s_cmp_lt_i32 s12, 11
	s_delay_alu instid0(VALU_DEP_1)
	v_add_nc_u64_e32 v[18:19], s[6:7], v[12:13]
	s_cbranch_scc1 .LBB71_2466
; %bb.2460:
	s_cmp_gt_i32 s12, 25
	s_mov_b32 s6, 0
	s_cbranch_scc0 .LBB71_2467
; %bb.2461:
	s_cmp_gt_i32 s12, 28
	s_cbranch_scc0 .LBB71_2468
; %bb.2462:
	s_cmp_gt_i32 s12, 43
	;; [unrolled: 3-line block ×3, first 2 shown]
	s_cbranch_scc0 .LBB71_2471
; %bb.2464:
	s_cmp_eq_u32 s12, 46
	s_mov_b32 s14, 0
	s_cbranch_scc0 .LBB71_2472
; %bb.2465:
	global_load_b32 v1, v[18:19], off
	s_mov_b32 s0, 0
	s_mov_b32 s7, -1
	s_wait_loadcnt 0x0
	v_lshlrev_b32_e32 v1, 16, v1
	s_delay_alu instid0(VALU_DEP_1) | instskip(NEXT) | instid1(VALU_DEP_1)
	v_trunc_f32_e32 v1, v1
	v_mul_f32_e64 v3, 0x2f800000, |v1|
	v_ashrrev_i32_e32 v12, 31, v1
	s_delay_alu instid0(VALU_DEP_2) | instskip(NEXT) | instid1(VALU_DEP_2)
	v_floor_f32_e32 v3, v3
	v_mov_b32_e32 v13, v12
	s_delay_alu instid0(VALU_DEP_2) | instskip(SKIP_1) | instid1(VALU_DEP_2)
	v_fma_f32 v5, 0xcf800000, v3, |v1|
	v_cvt_u32_f32_e32 v1, v3
	v_cvt_u32_f32_e32 v3, v5
	s_delay_alu instid0(VALU_DEP_2) | instskip(NEXT) | instid1(VALU_DEP_2)
	v_xor_b32_e32 v21, v1, v12
	v_xor_b32_e32 v20, v3, v12
	s_delay_alu instid0(VALU_DEP_1)
	v_sub_nc_u64_e32 v[12:13], v[20:21], v[12:13]
	s_branch .LBB71_2474
.LBB71_2466:
	s_mov_b32 s0, -1
	s_mov_b32 s7, 0
                                        ; implicit-def: $vgpr12_vgpr13
	s_branch .LBB71_2536
.LBB71_2467:
	s_mov_b32 s14, -1
	s_mov_b32 s7, 0
	s_mov_b32 s0, 0
                                        ; implicit-def: $vgpr12_vgpr13
	s_branch .LBB71_2501
.LBB71_2468:
	s_mov_b32 s14, -1
	s_mov_b32 s7, 0
	s_mov_b32 s0, 0
                                        ; implicit-def: $vgpr12_vgpr13
	s_branch .LBB71_2484
.LBB71_2469:
	s_mov_b32 s14, -1
	s_mov_b32 s7, 0
	s_mov_b32 s0, 0
                                        ; implicit-def: $vgpr12_vgpr13
	s_branch .LBB71_2479
.LBB71_2470:
	s_or_b32 s1, s1, exec_lo
	s_trap 2
	s_cbranch_execz .LBB71_2393
	s_branch .LBB71_2394
.LBB71_2471:
	s_mov_b32 s14, -1
	s_mov_b32 s7, 0
	s_mov_b32 s0, 0
	s_branch .LBB71_2473
.LBB71_2472:
	s_mov_b32 s0, -1
	s_mov_b32 s7, 0
.LBB71_2473:
                                        ; implicit-def: $vgpr12_vgpr13
.LBB71_2474:
	s_and_b32 vcc_lo, exec_lo, s14
	s_cbranch_vccz .LBB71_2478
; %bb.2475:
	s_cmp_eq_u32 s12, 44
	s_cbranch_scc0 .LBB71_2477
; %bb.2476:
	global_load_u8 v1, v[18:19], off
	s_mov_b32 s0, 0
	s_mov_b32 s7, -1
	s_wait_loadcnt 0x0
	v_lshlrev_b32_e32 v3, 23, v1
	v_cmp_ne_u32_e32 vcc_lo, 0, v1
	s_delay_alu instid0(VALU_DEP_2) | instskip(NEXT) | instid1(VALU_DEP_1)
	v_trunc_f32_e32 v3, v3
	v_mul_f32_e64 v5, 0x2f800000, |v3|
	v_ashrrev_i32_e32 v12, 31, v3
	s_delay_alu instid0(VALU_DEP_2) | instskip(NEXT) | instid1(VALU_DEP_2)
	v_floor_f32_e32 v5, v5
	v_mov_b32_e32 v13, v12
	s_delay_alu instid0(VALU_DEP_2) | instskip(SKIP_1) | instid1(VALU_DEP_2)
	v_fma_f32 v7, 0xcf800000, v5, |v3|
	v_cvt_u32_f32_e32 v3, v5
	v_cvt_u32_f32_e32 v5, v7
	s_delay_alu instid0(VALU_DEP_2) | instskip(NEXT) | instid1(VALU_DEP_2)
	v_xor_b32_e32 v21, v3, v12
	v_xor_b32_e32 v20, v5, v12
	s_delay_alu instid0(VALU_DEP_1) | instskip(NEXT) | instid1(VALU_DEP_1)
	v_sub_nc_u64_e32 v[12:13], v[20:21], v[12:13]
	v_dual_cndmask_b32 v13, 0, v13 :: v_dual_cndmask_b32 v12, 0, v12
	s_branch .LBB71_2478
.LBB71_2477:
	s_mov_b32 s0, -1
                                        ; implicit-def: $vgpr12_vgpr13
.LBB71_2478:
	s_mov_b32 s14, 0
.LBB71_2479:
	s_delay_alu instid0(SALU_CYCLE_1)
	s_and_b32 vcc_lo, exec_lo, s14
	s_cbranch_vccz .LBB71_2483
; %bb.2480:
	s_cmp_eq_u32 s12, 29
	s_cbranch_scc0 .LBB71_2482
; %bb.2481:
	global_load_b64 v[12:13], v[18:19], off
	s_mov_b32 s0, 0
	s_mov_b32 s7, -1
	s_branch .LBB71_2483
.LBB71_2482:
	s_mov_b32 s0, -1
                                        ; implicit-def: $vgpr12_vgpr13
.LBB71_2483:
	s_mov_b32 s14, 0
.LBB71_2484:
	s_delay_alu instid0(SALU_CYCLE_1)
	s_and_b32 vcc_lo, exec_lo, s14
	s_cbranch_vccz .LBB71_2500
; %bb.2485:
	s_cmp_lt_i32 s12, 27
	s_cbranch_scc1 .LBB71_2488
; %bb.2486:
	s_cmp_gt_i32 s12, 27
	s_cbranch_scc0 .LBB71_2489
; %bb.2487:
	s_wait_loadcnt 0x0
	global_load_b32 v12, v[18:19], off
	v_mov_b32_e32 v13, 0
	s_mov_b32 s7, 0
	s_branch .LBB71_2490
.LBB71_2488:
	s_mov_b32 s7, -1
                                        ; implicit-def: $vgpr12_vgpr13
	s_branch .LBB71_2493
.LBB71_2489:
	s_mov_b32 s7, -1
                                        ; implicit-def: $vgpr12_vgpr13
.LBB71_2490:
	s_delay_alu instid0(SALU_CYCLE_1)
	s_and_not1_b32 vcc_lo, exec_lo, s7
	s_cbranch_vccnz .LBB71_2492
; %bb.2491:
	global_load_u16 v1, v[18:19], off
	s_mov_b32 s7, 0
	s_wait_loadcnt 0x1
	v_mov_b32_e32 v13, s7
	s_wait_loadcnt 0x0
	v_and_b32_e32 v12, 0xffff, v1
.LBB71_2492:
	s_mov_b32 s7, 0
.LBB71_2493:
	s_delay_alu instid0(SALU_CYCLE_1)
	s_and_not1_b32 vcc_lo, exec_lo, s7
	s_cbranch_vccnz .LBB71_2499
; %bb.2494:
	global_load_u8 v1, v[18:19], off
	s_mov_b32 s14, 0
	s_mov_b32 s7, exec_lo
	s_wait_loadcnt 0x0
	v_cmpx_lt_i16_e32 0x7f, v1
	s_xor_b32 s7, exec_lo, s7
	s_cbranch_execz .LBB71_2511
; %bb.2495:
	v_cmp_ne_u16_e32 vcc_lo, 0x80, v1
	s_and_b32 s14, vcc_lo, exec_lo
	s_and_not1_saveexec_b32 s7, s7
	s_cbranch_execnz .LBB71_2512
.LBB71_2496:
	s_or_b32 exec_lo, exec_lo, s7
	v_mov_b64_e32 v[12:13], 0
	s_and_saveexec_b32 s7, s14
	s_cbranch_execz .LBB71_2498
.LBB71_2497:
	v_and_b32_e32 v3, 0xffff, v1
	s_delay_alu instid0(VALU_DEP_1) | instskip(SKIP_1) | instid1(VALU_DEP_2)
	v_dual_lshlrev_b32 v1, 24, v1 :: v_dual_bitop2_b32 v5, 7, v3 bitop3:0x40
	v_bfe_u32 v12, v3, 3, 4
	v_and_b32_e32 v1, 0x80000000, v1
	s_delay_alu instid0(VALU_DEP_3) | instskip(NEXT) | instid1(VALU_DEP_3)
	v_clz_i32_u32_e32 v7, v5
	v_cmp_eq_u32_e32 vcc_lo, 0, v12
	s_delay_alu instid0(VALU_DEP_2) | instskip(NEXT) | instid1(VALU_DEP_1)
	v_min_u32_e32 v7, 32, v7
	v_subrev_nc_u32_e32 v9, 28, v7
	v_sub_nc_u32_e32 v7, 29, v7
	s_delay_alu instid0(VALU_DEP_2) | instskip(NEXT) | instid1(VALU_DEP_2)
	v_lshlrev_b32_e32 v3, v9, v3
	v_cndmask_b32_e32 v7, v12, v7, vcc_lo
	s_delay_alu instid0(VALU_DEP_2) | instskip(NEXT) | instid1(VALU_DEP_1)
	v_and_b32_e32 v3, 7, v3
	v_cndmask_b32_e32 v3, v5, v3, vcc_lo
	s_delay_alu instid0(VALU_DEP_3) | instskip(NEXT) | instid1(VALU_DEP_2)
	v_lshl_add_u32 v5, v7, 23, 0x3b800000
	v_lshlrev_b32_e32 v3, 20, v3
	s_delay_alu instid0(VALU_DEP_1) | instskip(NEXT) | instid1(VALU_DEP_1)
	v_or3_b32 v1, v1, v5, v3
	v_trunc_f32_e32 v1, v1
	s_delay_alu instid0(VALU_DEP_1) | instskip(SKIP_1) | instid1(VALU_DEP_2)
	v_mul_f32_e64 v3, 0x2f800000, |v1|
	v_ashrrev_i32_e32 v12, 31, v1
	v_floor_f32_e32 v3, v3
	s_delay_alu instid0(VALU_DEP_2) | instskip(NEXT) | instid1(VALU_DEP_2)
	v_mov_b32_e32 v13, v12
	v_fma_f32 v5, 0xcf800000, v3, |v1|
	v_cvt_u32_f32_e32 v1, v3
	s_delay_alu instid0(VALU_DEP_2) | instskip(NEXT) | instid1(VALU_DEP_2)
	v_cvt_u32_f32_e32 v3, v5
	v_xor_b32_e32 v21, v1, v12
	s_delay_alu instid0(VALU_DEP_2) | instskip(NEXT) | instid1(VALU_DEP_1)
	v_xor_b32_e32 v20, v3, v12
	v_sub_nc_u64_e32 v[12:13], v[20:21], v[12:13]
.LBB71_2498:
	s_or_b32 exec_lo, exec_lo, s7
.LBB71_2499:
	s_mov_b32 s7, -1
.LBB71_2500:
	s_mov_b32 s14, 0
.LBB71_2501:
	s_delay_alu instid0(SALU_CYCLE_1)
	s_and_b32 vcc_lo, exec_lo, s14
	s_cbranch_vccz .LBB71_2532
; %bb.2502:
	s_cmp_gt_i32 s12, 22
	s_cbranch_scc0 .LBB71_2510
; %bb.2503:
	s_cmp_lt_i32 s12, 24
	s_cbranch_scc1 .LBB71_2513
; %bb.2504:
	s_cmp_gt_i32 s12, 24
	s_cbranch_scc0 .LBB71_2514
; %bb.2505:
	global_load_u8 v1, v[18:19], off
	s_mov_b32 s7, 0
	s_mov_b32 s6, exec_lo
	s_wait_loadcnt 0x0
	v_cmpx_lt_i16_e32 0x7f, v1
	s_xor_b32 s6, exec_lo, s6
	s_cbranch_execz .LBB71_2526
; %bb.2506:
	v_cmp_ne_u16_e32 vcc_lo, 0x80, v1
	s_and_b32 s7, vcc_lo, exec_lo
	s_and_not1_saveexec_b32 s6, s6
	s_cbranch_execnz .LBB71_2527
.LBB71_2507:
	s_or_b32 exec_lo, exec_lo, s6
	v_mov_b64_e32 v[12:13], 0
	s_and_saveexec_b32 s6, s7
	s_cbranch_execz .LBB71_2509
.LBB71_2508:
	v_and_b32_e32 v3, 0xffff, v1
	s_delay_alu instid0(VALU_DEP_1) | instskip(SKIP_1) | instid1(VALU_DEP_2)
	v_dual_lshlrev_b32 v1, 24, v1 :: v_dual_bitop2_b32 v5, 3, v3 bitop3:0x40
	v_bfe_u32 v12, v3, 2, 5
	v_and_b32_e32 v1, 0x80000000, v1
	s_delay_alu instid0(VALU_DEP_3) | instskip(NEXT) | instid1(VALU_DEP_3)
	v_clz_i32_u32_e32 v7, v5
	v_cmp_eq_u32_e32 vcc_lo, 0, v12
	s_delay_alu instid0(VALU_DEP_2) | instskip(NEXT) | instid1(VALU_DEP_1)
	v_min_u32_e32 v7, 32, v7
	v_subrev_nc_u32_e32 v9, 29, v7
	v_sub_nc_u32_e32 v7, 30, v7
	s_delay_alu instid0(VALU_DEP_2) | instskip(NEXT) | instid1(VALU_DEP_2)
	v_lshlrev_b32_e32 v3, v9, v3
	v_cndmask_b32_e32 v7, v12, v7, vcc_lo
	s_delay_alu instid0(VALU_DEP_2) | instskip(NEXT) | instid1(VALU_DEP_1)
	v_and_b32_e32 v3, 3, v3
	v_cndmask_b32_e32 v3, v5, v3, vcc_lo
	s_delay_alu instid0(VALU_DEP_3) | instskip(NEXT) | instid1(VALU_DEP_2)
	v_lshl_add_u32 v5, v7, 23, 0x37800000
	v_lshlrev_b32_e32 v3, 21, v3
	s_delay_alu instid0(VALU_DEP_1) | instskip(NEXT) | instid1(VALU_DEP_1)
	v_or3_b32 v1, v1, v5, v3
	v_trunc_f32_e32 v1, v1
	s_delay_alu instid0(VALU_DEP_1) | instskip(SKIP_1) | instid1(VALU_DEP_2)
	v_mul_f32_e64 v3, 0x2f800000, |v1|
	v_ashrrev_i32_e32 v12, 31, v1
	v_floor_f32_e32 v3, v3
	s_delay_alu instid0(VALU_DEP_2) | instskip(NEXT) | instid1(VALU_DEP_2)
	v_mov_b32_e32 v13, v12
	v_fma_f32 v5, 0xcf800000, v3, |v1|
	v_cvt_u32_f32_e32 v1, v3
	s_delay_alu instid0(VALU_DEP_2) | instskip(NEXT) | instid1(VALU_DEP_2)
	v_cvt_u32_f32_e32 v3, v5
	v_xor_b32_e32 v21, v1, v12
	s_delay_alu instid0(VALU_DEP_2) | instskip(NEXT) | instid1(VALU_DEP_1)
	v_xor_b32_e32 v20, v3, v12
	v_sub_nc_u64_e32 v[12:13], v[20:21], v[12:13]
.LBB71_2509:
	s_or_b32 exec_lo, exec_lo, s6
	s_mov_b32 s6, 0
	s_branch .LBB71_2515
.LBB71_2510:
	s_mov_b32 s6, -1
                                        ; implicit-def: $vgpr12_vgpr13
	s_branch .LBB71_2521
.LBB71_2511:
	s_and_not1_saveexec_b32 s7, s7
	s_cbranch_execz .LBB71_2496
.LBB71_2512:
	v_cmp_ne_u16_e32 vcc_lo, 0, v1
	s_and_not1_b32 s14, s14, exec_lo
	s_and_b32 s15, vcc_lo, exec_lo
	s_delay_alu instid0(SALU_CYCLE_1)
	s_or_b32 s14, s14, s15
	s_or_b32 exec_lo, exec_lo, s7
	v_mov_b64_e32 v[12:13], 0
	s_and_saveexec_b32 s7, s14
	s_cbranch_execnz .LBB71_2497
	s_branch .LBB71_2498
.LBB71_2513:
	s_mov_b32 s6, -1
                                        ; implicit-def: $vgpr12_vgpr13
	s_branch .LBB71_2518
.LBB71_2514:
	s_mov_b32 s6, -1
                                        ; implicit-def: $vgpr12_vgpr13
.LBB71_2515:
	s_delay_alu instid0(SALU_CYCLE_1)
	s_and_b32 vcc_lo, exec_lo, s6
	s_cbranch_vccz .LBB71_2517
; %bb.2516:
	global_load_u8 v1, v[18:19], off
	s_wait_loadcnt 0x0
	v_lshlrev_b32_e32 v1, 24, v1
	s_delay_alu instid0(VALU_DEP_1) | instskip(NEXT) | instid1(VALU_DEP_1)
	v_and_b32_e32 v3, 0x7f000000, v1
	v_clz_i32_u32_e32 v5, v3
	v_add_nc_u32_e32 v9, 0x1000000, v3
	v_cmp_ne_u32_e32 vcc_lo, 0, v3
	s_delay_alu instid0(VALU_DEP_3) | instskip(NEXT) | instid1(VALU_DEP_1)
	v_min_u32_e32 v5, 32, v5
	v_sub_nc_u32_e64 v5, v5, 4 clamp
	s_delay_alu instid0(VALU_DEP_1) | instskip(NEXT) | instid1(VALU_DEP_1)
	v_dual_lshlrev_b32 v7, v5, v3 :: v_dual_lshlrev_b32 v5, 23, v5
	v_lshrrev_b32_e32 v7, 4, v7
	s_delay_alu instid0(VALU_DEP_1) | instskip(SKIP_1) | instid1(VALU_DEP_2)
	v_sub_nc_u32_e32 v5, v7, v5
	v_ashrrev_i32_e32 v7, 8, v9
	v_add_nc_u32_e32 v5, 0x3c000000, v5
	s_delay_alu instid0(VALU_DEP_1) | instskip(NEXT) | instid1(VALU_DEP_1)
	v_and_or_b32 v5, 0x7f800000, v7, v5
	v_cndmask_b32_e32 v3, 0, v5, vcc_lo
	s_delay_alu instid0(VALU_DEP_1) | instskip(NEXT) | instid1(VALU_DEP_1)
	v_and_or_b32 v1, 0x80000000, v1, v3
	v_trunc_f32_e32 v1, v1
	s_delay_alu instid0(VALU_DEP_1) | instskip(SKIP_1) | instid1(VALU_DEP_2)
	v_mul_f32_e64 v3, 0x2f800000, |v1|
	v_ashrrev_i32_e32 v12, 31, v1
	v_floor_f32_e32 v3, v3
	s_delay_alu instid0(VALU_DEP_2) | instskip(NEXT) | instid1(VALU_DEP_2)
	v_mov_b32_e32 v13, v12
	v_fma_f32 v5, 0xcf800000, v3, |v1|
	v_cvt_u32_f32_e32 v1, v3
	s_delay_alu instid0(VALU_DEP_2) | instskip(NEXT) | instid1(VALU_DEP_2)
	v_cvt_u32_f32_e32 v3, v5
	v_xor_b32_e32 v21, v1, v12
	s_delay_alu instid0(VALU_DEP_2) | instskip(NEXT) | instid1(VALU_DEP_1)
	v_xor_b32_e32 v20, v3, v12
	v_sub_nc_u64_e32 v[12:13], v[20:21], v[12:13]
.LBB71_2517:
	s_mov_b32 s6, 0
.LBB71_2518:
	s_delay_alu instid0(SALU_CYCLE_1)
	s_and_not1_b32 vcc_lo, exec_lo, s6
	s_cbranch_vccnz .LBB71_2520
; %bb.2519:
	global_load_u8 v1, v[18:19], off
	s_wait_loadcnt 0x0
	v_lshlrev_b32_e32 v3, 25, v1
	v_lshlrev_b16 v1, 8, v1
	s_delay_alu instid0(VALU_DEP_1) | instskip(SKIP_1) | instid1(VALU_DEP_2)
	v_and_or_b32 v7, 0x7f00, v1, 0.5
	v_bfe_i32 v1, v1, 0, 16
	v_add_f32_e32 v7, -0.5, v7
	v_lshrrev_b32_e32 v5, 4, v3
	v_cmp_gt_u32_e32 vcc_lo, 0x8000000, v3
	s_delay_alu instid0(VALU_DEP_2) | instskip(NEXT) | instid1(VALU_DEP_1)
	v_or_b32_e32 v5, 0x70000000, v5
	v_mul_f32_e32 v5, 0x7800000, v5
	s_delay_alu instid0(VALU_DEP_1) | instskip(NEXT) | instid1(VALU_DEP_1)
	v_cndmask_b32_e32 v3, v5, v7, vcc_lo
	v_and_or_b32 v1, 0x80000000, v1, v3
	s_delay_alu instid0(VALU_DEP_1) | instskip(NEXT) | instid1(VALU_DEP_1)
	v_trunc_f32_e32 v1, v1
	v_mul_f32_e64 v3, 0x2f800000, |v1|
	v_ashrrev_i32_e32 v12, 31, v1
	s_delay_alu instid0(VALU_DEP_2) | instskip(NEXT) | instid1(VALU_DEP_2)
	v_floor_f32_e32 v3, v3
	v_mov_b32_e32 v13, v12
	s_delay_alu instid0(VALU_DEP_2) | instskip(SKIP_1) | instid1(VALU_DEP_2)
	v_fma_f32 v5, 0xcf800000, v3, |v1|
	v_cvt_u32_f32_e32 v1, v3
	v_cvt_u32_f32_e32 v3, v5
	s_delay_alu instid0(VALU_DEP_2) | instskip(NEXT) | instid1(VALU_DEP_2)
	v_xor_b32_e32 v21, v1, v12
	v_xor_b32_e32 v20, v3, v12
	s_delay_alu instid0(VALU_DEP_1)
	v_sub_nc_u64_e32 v[12:13], v[20:21], v[12:13]
.LBB71_2520:
	s_mov_b32 s6, 0
	s_mov_b32 s7, -1
.LBB71_2521:
	s_and_not1_b32 vcc_lo, exec_lo, s6
	s_mov_b32 s6, 0
	s_cbranch_vccnz .LBB71_2532
; %bb.2522:
	s_cmp_gt_i32 s12, 14
	s_cbranch_scc0 .LBB71_2525
; %bb.2523:
	s_cmp_eq_u32 s12, 15
	s_cbranch_scc0 .LBB71_2528
; %bb.2524:
	global_load_u16 v1, v[18:19], off
	s_mov_b32 s0, 0
	s_mov_b32 s7, -1
	s_wait_loadcnt 0x0
	v_lshlrev_b32_e32 v1, 16, v1
	s_delay_alu instid0(VALU_DEP_1) | instskip(NEXT) | instid1(VALU_DEP_1)
	v_trunc_f32_e32 v1, v1
	v_mul_f32_e64 v3, 0x2f800000, |v1|
	v_ashrrev_i32_e32 v12, 31, v1
	s_delay_alu instid0(VALU_DEP_2) | instskip(NEXT) | instid1(VALU_DEP_2)
	v_floor_f32_e32 v3, v3
	v_mov_b32_e32 v13, v12
	s_delay_alu instid0(VALU_DEP_2) | instskip(SKIP_1) | instid1(VALU_DEP_2)
	v_fma_f32 v5, 0xcf800000, v3, |v1|
	v_cvt_u32_f32_e32 v1, v3
	v_cvt_u32_f32_e32 v3, v5
	s_delay_alu instid0(VALU_DEP_2) | instskip(NEXT) | instid1(VALU_DEP_2)
	v_xor_b32_e32 v21, v1, v12
	v_xor_b32_e32 v20, v3, v12
	s_delay_alu instid0(VALU_DEP_1)
	v_sub_nc_u64_e32 v[12:13], v[20:21], v[12:13]
	s_branch .LBB71_2530
.LBB71_2525:
	s_mov_b32 s6, -1
	s_branch .LBB71_2529
.LBB71_2526:
	s_and_not1_saveexec_b32 s6, s6
	s_cbranch_execz .LBB71_2507
.LBB71_2527:
	v_cmp_ne_u16_e32 vcc_lo, 0, v1
	s_and_not1_b32 s7, s7, exec_lo
	s_and_b32 s14, vcc_lo, exec_lo
	s_delay_alu instid0(SALU_CYCLE_1)
	s_or_b32 s7, s7, s14
	s_or_b32 exec_lo, exec_lo, s6
	v_mov_b64_e32 v[12:13], 0
	s_and_saveexec_b32 s6, s7
	s_cbranch_execnz .LBB71_2508
	s_branch .LBB71_2509
.LBB71_2528:
	s_mov_b32 s0, -1
.LBB71_2529:
                                        ; implicit-def: $vgpr12_vgpr13
.LBB71_2530:
	s_and_b32 vcc_lo, exec_lo, s6
	s_mov_b32 s6, 0
	s_cbranch_vccz .LBB71_2532
; %bb.2531:
	s_cmp_lg_u32 s12, 11
	s_mov_b32 s6, -1
	s_cselect_b32 s0, -1, 0
.LBB71_2532:
	s_delay_alu instid0(SALU_CYCLE_1)
	s_and_b32 vcc_lo, exec_lo, s0
	s_cbranch_vccnz .LBB71_2597
; %bb.2533:
	s_and_not1_b32 vcc_lo, exec_lo, s6
	s_cbranch_vccnz .LBB71_2535
.LBB71_2534:
	global_load_u8 v1, v[18:19], off
	s_mov_b32 s0, 0
	s_mov_b32 s7, -1
	s_wait_loadcnt 0x1
	v_mov_b32_e32 v13, s0
	s_wait_loadcnt 0x0
	v_cmp_ne_u16_e32 vcc_lo, 0, v1
	v_cndmask_b32_e64 v12, 0, 1, vcc_lo
.LBB71_2535:
	s_mov_b32 s0, 0
.LBB71_2536:
	s_delay_alu instid0(SALU_CYCLE_1)
	s_and_b32 vcc_lo, exec_lo, s0
	s_cbranch_vccz .LBB71_2585
; %bb.2537:
	s_cmp_lt_i32 s12, 5
	s_cbranch_scc1 .LBB71_2542
; %bb.2538:
	s_cmp_lt_i32 s12, 8
	s_cbranch_scc1 .LBB71_2543
	;; [unrolled: 3-line block ×3, first 2 shown]
; %bb.2540:
	s_cmp_gt_i32 s12, 9
	s_cbranch_scc0 .LBB71_2545
; %bb.2541:
	s_wait_loadcnt 0x0
	global_load_b64 v[12:13], v[18:19], off
	s_mov_b32 s0, 0
	s_wait_loadcnt 0x0
	v_trunc_f64_e32 v[12:13], v[12:13]
	s_delay_alu instid0(VALU_DEP_1) | instskip(NEXT) | instid1(VALU_DEP_1)
	v_ldexp_f64 v[20:21], v[12:13], 0xffffffe0
	v_floor_f64_e32 v[20:21], v[20:21]
	s_delay_alu instid0(VALU_DEP_1) | instskip(SKIP_1) | instid1(VALU_DEP_2)
	v_fmamk_f64 v[22:23], v[20:21], 0xc1f00000, v[12:13]
	v_cvt_i32_f64_e32 v13, v[20:21]
	v_cvt_u32_f64_e32 v12, v[22:23]
	s_branch .LBB71_2546
.LBB71_2542:
	s_mov_b32 s0, -1
                                        ; implicit-def: $vgpr12_vgpr13
	s_branch .LBB71_2564
.LBB71_2543:
	s_mov_b32 s0, -1
                                        ; implicit-def: $vgpr12_vgpr13
	s_branch .LBB71_2552
.LBB71_2544:
	s_mov_b32 s0, -1
                                        ; implicit-def: $vgpr12_vgpr13
	s_branch .LBB71_2549
.LBB71_2545:
	s_mov_b32 s0, -1
                                        ; implicit-def: $vgpr12_vgpr13
.LBB71_2546:
	s_delay_alu instid0(SALU_CYCLE_1)
	s_and_not1_b32 vcc_lo, exec_lo, s0
	s_cbranch_vccnz .LBB71_2548
; %bb.2547:
	global_load_b32 v1, v[18:19], off
	s_wait_loadcnt 0x0
	v_trunc_f32_e32 v1, v1
	s_delay_alu instid0(VALU_DEP_1) | instskip(SKIP_1) | instid1(VALU_DEP_2)
	v_mul_f32_e64 v3, 0x2f800000, |v1|
	v_ashrrev_i32_e32 v12, 31, v1
	v_floor_f32_e32 v3, v3
	s_delay_alu instid0(VALU_DEP_1) | instskip(SKIP_1) | instid1(VALU_DEP_4)
	v_fma_f32 v5, 0xcf800000, v3, |v1|
	v_cvt_u32_f32_e32 v1, v3
	v_mov_b32_e32 v13, v12
	s_delay_alu instid0(VALU_DEP_3) | instskip(NEXT) | instid1(VALU_DEP_3)
	v_cvt_u32_f32_e32 v3, v5
	v_xor_b32_e32 v21, v1, v12
	s_delay_alu instid0(VALU_DEP_2) | instskip(NEXT) | instid1(VALU_DEP_1)
	v_xor_b32_e32 v20, v3, v12
	v_sub_nc_u64_e32 v[12:13], v[20:21], v[12:13]
.LBB71_2548:
	s_mov_b32 s0, 0
.LBB71_2549:
	s_delay_alu instid0(SALU_CYCLE_1)
	s_and_not1_b32 vcc_lo, exec_lo, s0
	s_cbranch_vccnz .LBB71_2551
; %bb.2550:
	global_load_b32 v1, v[18:19], off
	s_wait_loadcnt 0x0
	v_cvt_f32_f16_e32 v1, v1
	s_delay_alu instid0(VALU_DEP_1) | instskip(NEXT) | instid1(VALU_DEP_1)
	v_cvt_i32_f32_e32 v12, v1
	v_ashrrev_i32_e32 v13, 31, v12
.LBB71_2551:
	s_mov_b32 s0, 0
.LBB71_2552:
	s_delay_alu instid0(SALU_CYCLE_1)
	s_and_not1_b32 vcc_lo, exec_lo, s0
	s_cbranch_vccnz .LBB71_2563
; %bb.2553:
	s_cmp_lt_i32 s12, 6
	s_cbranch_scc1 .LBB71_2556
; %bb.2554:
	s_cmp_gt_i32 s12, 6
	s_cbranch_scc0 .LBB71_2557
; %bb.2555:
	s_wait_loadcnt 0x0
	global_load_b64 v[12:13], v[18:19], off
	s_mov_b32 s0, 0
	s_wait_loadcnt 0x0
	v_trunc_f64_e32 v[12:13], v[12:13]
	s_delay_alu instid0(VALU_DEP_1) | instskip(NEXT) | instid1(VALU_DEP_1)
	v_ldexp_f64 v[20:21], v[12:13], 0xffffffe0
	v_floor_f64_e32 v[20:21], v[20:21]
	s_delay_alu instid0(VALU_DEP_1) | instskip(SKIP_1) | instid1(VALU_DEP_2)
	v_fmamk_f64 v[22:23], v[20:21], 0xc1f00000, v[12:13]
	v_cvt_i32_f64_e32 v13, v[20:21]
	v_cvt_u32_f64_e32 v12, v[22:23]
	s_branch .LBB71_2558
.LBB71_2556:
	s_mov_b32 s0, -1
                                        ; implicit-def: $vgpr12_vgpr13
	s_branch .LBB71_2561
.LBB71_2557:
	s_mov_b32 s0, -1
                                        ; implicit-def: $vgpr12_vgpr13
.LBB71_2558:
	s_delay_alu instid0(SALU_CYCLE_1)
	s_and_not1_b32 vcc_lo, exec_lo, s0
	s_cbranch_vccnz .LBB71_2560
; %bb.2559:
	global_load_b32 v1, v[18:19], off
	s_wait_loadcnt 0x0
	v_trunc_f32_e32 v1, v1
	s_delay_alu instid0(VALU_DEP_1) | instskip(SKIP_1) | instid1(VALU_DEP_2)
	v_mul_f32_e64 v3, 0x2f800000, |v1|
	v_ashrrev_i32_e32 v12, 31, v1
	v_floor_f32_e32 v3, v3
	s_delay_alu instid0(VALU_DEP_1) | instskip(SKIP_1) | instid1(VALU_DEP_4)
	v_fma_f32 v5, 0xcf800000, v3, |v1|
	v_cvt_u32_f32_e32 v1, v3
	v_mov_b32_e32 v13, v12
	s_delay_alu instid0(VALU_DEP_3) | instskip(NEXT) | instid1(VALU_DEP_3)
	v_cvt_u32_f32_e32 v3, v5
	v_xor_b32_e32 v21, v1, v12
	s_delay_alu instid0(VALU_DEP_2) | instskip(NEXT) | instid1(VALU_DEP_1)
	v_xor_b32_e32 v20, v3, v12
	v_sub_nc_u64_e32 v[12:13], v[20:21], v[12:13]
.LBB71_2560:
	s_mov_b32 s0, 0
.LBB71_2561:
	s_delay_alu instid0(SALU_CYCLE_1)
	s_and_not1_b32 vcc_lo, exec_lo, s0
	s_cbranch_vccnz .LBB71_2563
; %bb.2562:
	global_load_u16 v1, v[18:19], off
	s_wait_loadcnt 0x0
	v_cvt_f32_f16_e32 v1, v1
	s_delay_alu instid0(VALU_DEP_1) | instskip(NEXT) | instid1(VALU_DEP_1)
	v_cvt_i32_f32_e32 v12, v1
	v_ashrrev_i32_e32 v13, 31, v12
.LBB71_2563:
	s_mov_b32 s0, 0
.LBB71_2564:
	s_delay_alu instid0(SALU_CYCLE_1)
	s_and_not1_b32 vcc_lo, exec_lo, s0
	s_cbranch_vccnz .LBB71_2584
; %bb.2565:
	s_cmp_lt_i32 s12, 2
	s_cbranch_scc1 .LBB71_2569
; %bb.2566:
	s_cmp_lt_i32 s12, 3
	s_cbranch_scc1 .LBB71_2570
; %bb.2567:
	s_cmp_gt_i32 s12, 3
	s_cbranch_scc0 .LBB71_2571
; %bb.2568:
	s_wait_loadcnt 0x0
	global_load_b64 v[12:13], v[18:19], off
	s_mov_b32 s0, 0
	s_branch .LBB71_2572
.LBB71_2569:
	s_mov_b32 s0, -1
                                        ; implicit-def: $vgpr12_vgpr13
	s_branch .LBB71_2578
.LBB71_2570:
	s_mov_b32 s0, -1
                                        ; implicit-def: $vgpr12_vgpr13
	s_branch .LBB71_2575
.LBB71_2571:
	s_mov_b32 s0, -1
                                        ; implicit-def: $vgpr12_vgpr13
.LBB71_2572:
	s_delay_alu instid0(SALU_CYCLE_1)
	s_and_not1_b32 vcc_lo, exec_lo, s0
	s_cbranch_vccnz .LBB71_2574
; %bb.2573:
	s_wait_loadcnt 0x0
	global_load_b32 v12, v[18:19], off
	s_wait_loadcnt 0x0
	v_ashrrev_i32_e32 v13, 31, v12
.LBB71_2574:
	s_mov_b32 s0, 0
.LBB71_2575:
	s_delay_alu instid0(SALU_CYCLE_1)
	s_and_not1_b32 vcc_lo, exec_lo, s0
	s_cbranch_vccnz .LBB71_2577
; %bb.2576:
	global_load_u16 v1, v[18:19], off
	s_wait_loadcnt 0x0
	v_bfe_i32 v12, v1, 0, 16
	s_delay_alu instid0(VALU_DEP_1)
	v_ashrrev_i32_e32 v13, 31, v12
.LBB71_2577:
	s_mov_b32 s0, 0
.LBB71_2578:
	s_delay_alu instid0(SALU_CYCLE_1)
	s_and_not1_b32 vcc_lo, exec_lo, s0
	s_cbranch_vccnz .LBB71_2584
; %bb.2579:
	s_cmp_gt_i32 s12, 0
	s_mov_b32 s0, 0
	s_cbranch_scc0 .LBB71_2581
; %bb.2580:
	global_load_i8 v1, v[18:19], off
	s_wait_loadcnt 0x0
	v_bfe_i32 v12, v1, 0, 16
	s_delay_alu instid0(VALU_DEP_1)
	v_ashrrev_i32_e32 v13, 31, v12
	s_branch .LBB71_2582
.LBB71_2581:
	s_mov_b32 s0, -1
                                        ; implicit-def: $vgpr12_vgpr13
.LBB71_2582:
	s_delay_alu instid0(SALU_CYCLE_1)
	s_and_not1_b32 vcc_lo, exec_lo, s0
	s_cbranch_vccnz .LBB71_2584
; %bb.2583:
	global_load_u8 v1, v[18:19], off
	s_mov_b32 s0, 0
	s_wait_loadcnt 0x1
	v_mov_b32_e32 v13, s0
	s_wait_loadcnt 0x0
	v_and_b32_e32 v12, 0xffff, v1
.LBB71_2584:
	s_mov_b32 s7, -1
.LBB71_2585:
	s_delay_alu instid0(SALU_CYCLE_1)
	s_and_not1_b32 vcc_lo, exec_lo, s7
	s_cbranch_vccnz .LBB71_2715
; %bb.2586:
	v_mov_b32_e32 v9, 0
	s_cmp_lt_i32 s13, 11
	s_delay_alu instid0(VALU_DEP_1)
	v_add_nc_u64_e32 v[8:9], s[8:9], v[8:9]
	s_cbranch_scc1 .LBB71_2593
; %bb.2587:
	s_cmp_gt_i32 s13, 25
	s_mov_b32 s6, 0
	s_cbranch_scc0 .LBB71_2594
; %bb.2588:
	s_cmp_gt_i32 s13, 28
	s_cbranch_scc0 .LBB71_2595
; %bb.2589:
	s_cmp_gt_i32 s13, 43
	;; [unrolled: 3-line block ×3, first 2 shown]
	s_cbranch_scc0 .LBB71_2598
; %bb.2591:
	s_cmp_eq_u32 s13, 46
	s_mov_b32 s8, 0
	s_cbranch_scc0 .LBB71_2599
; %bb.2592:
	global_load_b32 v1, v[8:9], off
	s_mov_b32 s0, 0
	s_mov_b32 s7, -1
	s_wait_loadcnt 0x0
	v_lshlrev_b32_e32 v1, 16, v1
	s_delay_alu instid0(VALU_DEP_1) | instskip(NEXT) | instid1(VALU_DEP_1)
	v_trunc_f32_e32 v1, v1
	v_mul_f32_e64 v3, 0x2f800000, |v1|
	s_wait_xcnt 0x1
	v_ashrrev_i32_e32 v18, 31, v1
	s_delay_alu instid0(VALU_DEP_2) | instskip(NEXT) | instid1(VALU_DEP_2)
	v_floor_f32_e32 v3, v3
	v_mov_b32_e32 v19, v18
	s_delay_alu instid0(VALU_DEP_2) | instskip(SKIP_1) | instid1(VALU_DEP_2)
	v_fma_f32 v5, 0xcf800000, v3, |v1|
	v_cvt_u32_f32_e32 v1, v3
	v_cvt_u32_f32_e32 v3, v5
	s_delay_alu instid0(VALU_DEP_2) | instskip(NEXT) | instid1(VALU_DEP_2)
	v_xor_b32_e32 v21, v1, v18
	v_xor_b32_e32 v20, v3, v18
	s_delay_alu instid0(VALU_DEP_1)
	v_sub_nc_u64_e32 v[18:19], v[20:21], v[18:19]
	s_branch .LBB71_2601
.LBB71_2593:
	s_mov_b32 s0, -1
	s_mov_b32 s7, 0
                                        ; implicit-def: $vgpr18_vgpr19
	s_branch .LBB71_2663
.LBB71_2594:
	s_mov_b32 s8, -1
	s_mov_b32 s7, 0
	s_mov_b32 s0, 0
                                        ; implicit-def: $vgpr18_vgpr19
	s_branch .LBB71_2628
.LBB71_2595:
	s_mov_b32 s8, -1
	s_mov_b32 s7, 0
	s_mov_b32 s0, 0
                                        ; implicit-def: $vgpr18_vgpr19
	s_branch .LBB71_2611
.LBB71_2596:
	s_mov_b32 s8, -1
	s_mov_b32 s7, 0
	s_mov_b32 s0, 0
                                        ; implicit-def: $vgpr18_vgpr19
	s_branch .LBB71_2606
.LBB71_2597:
	s_or_b32 s1, s1, exec_lo
	s_trap 2
	s_cbranch_execz .LBB71_2534
	s_branch .LBB71_2535
.LBB71_2598:
	s_mov_b32 s8, -1
	s_mov_b32 s7, 0
	s_mov_b32 s0, 0
	s_branch .LBB71_2600
.LBB71_2599:
	s_mov_b32 s0, -1
	s_mov_b32 s7, 0
.LBB71_2600:
                                        ; implicit-def: $vgpr18_vgpr19
.LBB71_2601:
	s_and_b32 vcc_lo, exec_lo, s8
	s_cbranch_vccz .LBB71_2605
; %bb.2602:
	s_cmp_eq_u32 s13, 44
	s_cbranch_scc0 .LBB71_2604
; %bb.2603:
	global_load_u8 v1, v[8:9], off
	s_mov_b32 s0, 0
	s_mov_b32 s7, -1
	s_wait_loadcnt 0x0
	v_lshlrev_b32_e32 v3, 23, v1
	v_cmp_ne_u32_e32 vcc_lo, 0, v1
	s_delay_alu instid0(VALU_DEP_2) | instskip(NEXT) | instid1(VALU_DEP_1)
	v_trunc_f32_e32 v3, v3
	v_mul_f32_e64 v5, 0x2f800000, |v3|
	s_wait_xcnt 0x1
	v_ashrrev_i32_e32 v18, 31, v3
	s_delay_alu instid0(VALU_DEP_2) | instskip(NEXT) | instid1(VALU_DEP_2)
	v_floor_f32_e32 v5, v5
	v_mov_b32_e32 v19, v18
	s_delay_alu instid0(VALU_DEP_2) | instskip(SKIP_1) | instid1(VALU_DEP_2)
	v_fma_f32 v7, 0xcf800000, v5, |v3|
	v_cvt_u32_f32_e32 v3, v5
	v_cvt_u32_f32_e32 v5, v7
	s_delay_alu instid0(VALU_DEP_2) | instskip(NEXT) | instid1(VALU_DEP_2)
	v_xor_b32_e32 v21, v3, v18
	v_xor_b32_e32 v20, v5, v18
	s_delay_alu instid0(VALU_DEP_1) | instskip(NEXT) | instid1(VALU_DEP_1)
	v_sub_nc_u64_e32 v[18:19], v[20:21], v[18:19]
	v_dual_cndmask_b32 v19, 0, v19 :: v_dual_cndmask_b32 v18, 0, v18
	s_branch .LBB71_2605
.LBB71_2604:
	s_mov_b32 s0, -1
                                        ; implicit-def: $vgpr18_vgpr19
.LBB71_2605:
	s_mov_b32 s8, 0
.LBB71_2606:
	s_delay_alu instid0(SALU_CYCLE_1)
	s_and_b32 vcc_lo, exec_lo, s8
	s_cbranch_vccz .LBB71_2610
; %bb.2607:
	s_cmp_eq_u32 s13, 29
	s_cbranch_scc0 .LBB71_2609
; %bb.2608:
	global_load_b64 v[18:19], v[8:9], off
	s_mov_b32 s0, 0
	s_mov_b32 s7, -1
	s_branch .LBB71_2610
.LBB71_2609:
	s_mov_b32 s0, -1
                                        ; implicit-def: $vgpr18_vgpr19
.LBB71_2610:
	s_mov_b32 s8, 0
.LBB71_2611:
	s_delay_alu instid0(SALU_CYCLE_1)
	s_and_b32 vcc_lo, exec_lo, s8
	s_cbranch_vccz .LBB71_2627
; %bb.2612:
	s_cmp_lt_i32 s13, 27
	s_cbranch_scc1 .LBB71_2615
; %bb.2613:
	s_cmp_gt_i32 s13, 27
	s_cbranch_scc0 .LBB71_2616
; %bb.2614:
	s_wait_loadcnt 0x0
	global_load_b32 v18, v[8:9], off
	v_mov_b32_e32 v19, 0
	s_mov_b32 s7, 0
	s_branch .LBB71_2617
.LBB71_2615:
	s_mov_b32 s7, -1
                                        ; implicit-def: $vgpr18_vgpr19
	s_branch .LBB71_2620
.LBB71_2616:
	s_mov_b32 s7, -1
                                        ; implicit-def: $vgpr18_vgpr19
.LBB71_2617:
	s_delay_alu instid0(SALU_CYCLE_1)
	s_and_not1_b32 vcc_lo, exec_lo, s7
	s_cbranch_vccnz .LBB71_2619
; %bb.2618:
	global_load_u16 v1, v[8:9], off
	s_mov_b32 s7, 0
	s_wait_loadcnt 0x1
	s_wait_xcnt 0x1
	v_mov_b32_e32 v19, s7
	s_wait_loadcnt 0x0
	v_and_b32_e32 v18, 0xffff, v1
.LBB71_2619:
	s_mov_b32 s7, 0
.LBB71_2620:
	s_delay_alu instid0(SALU_CYCLE_1)
	s_and_not1_b32 vcc_lo, exec_lo, s7
	s_cbranch_vccnz .LBB71_2626
; %bb.2621:
	global_load_u8 v1, v[8:9], off
	s_mov_b32 s8, 0
	s_mov_b32 s7, exec_lo
	s_wait_loadcnt 0x0
	v_cmpx_lt_i16_e32 0x7f, v1
	s_xor_b32 s7, exec_lo, s7
	s_cbranch_execz .LBB71_2638
; %bb.2622:
	v_cmp_ne_u16_e32 vcc_lo, 0x80, v1
	s_and_b32 s8, vcc_lo, exec_lo
	s_and_not1_saveexec_b32 s7, s7
	s_cbranch_execnz .LBB71_2639
.LBB71_2623:
	s_or_b32 exec_lo, exec_lo, s7
	v_mov_b64_e32 v[18:19], 0
	s_and_saveexec_b32 s7, s8
	s_cbranch_execz .LBB71_2625
.LBB71_2624:
	v_and_b32_e32 v3, 0xffff, v1
	s_delay_alu instid0(VALU_DEP_1) | instskip(SKIP_1) | instid1(VALU_DEP_2)
	v_dual_lshlrev_b32 v1, 24, v1 :: v_dual_bitop2_b32 v5, 7, v3 bitop3:0x40
	v_bfe_u32 v19, v3, 3, 4
	v_and_b32_e32 v1, 0x80000000, v1
	s_delay_alu instid0(VALU_DEP_3) | instskip(NEXT) | instid1(VALU_DEP_3)
	v_clz_i32_u32_e32 v7, v5
	v_cmp_eq_u32_e32 vcc_lo, 0, v19
	s_delay_alu instid0(VALU_DEP_2) | instskip(NEXT) | instid1(VALU_DEP_1)
	v_min_u32_e32 v7, 32, v7
	v_subrev_nc_u32_e32 v18, 28, v7
	v_sub_nc_u32_e32 v7, 29, v7
	s_delay_alu instid0(VALU_DEP_2) | instskip(NEXT) | instid1(VALU_DEP_2)
	v_lshlrev_b32_e32 v3, v18, v3
	v_cndmask_b32_e32 v7, v19, v7, vcc_lo
	s_delay_alu instid0(VALU_DEP_2) | instskip(NEXT) | instid1(VALU_DEP_1)
	v_and_b32_e32 v3, 7, v3
	v_cndmask_b32_e32 v3, v5, v3, vcc_lo
	s_delay_alu instid0(VALU_DEP_3) | instskip(NEXT) | instid1(VALU_DEP_2)
	v_lshl_add_u32 v5, v7, 23, 0x3b800000
	v_lshlrev_b32_e32 v3, 20, v3
	s_delay_alu instid0(VALU_DEP_1) | instskip(NEXT) | instid1(VALU_DEP_1)
	v_or3_b32 v1, v1, v5, v3
	v_trunc_f32_e32 v1, v1
	s_delay_alu instid0(VALU_DEP_1) | instskip(SKIP_1) | instid1(VALU_DEP_2)
	v_mul_f32_e64 v3, 0x2f800000, |v1|
	v_ashrrev_i32_e32 v18, 31, v1
	v_floor_f32_e32 v3, v3
	s_delay_alu instid0(VALU_DEP_2) | instskip(NEXT) | instid1(VALU_DEP_2)
	v_mov_b32_e32 v19, v18
	v_fma_f32 v5, 0xcf800000, v3, |v1|
	v_cvt_u32_f32_e32 v1, v3
	s_delay_alu instid0(VALU_DEP_2) | instskip(NEXT) | instid1(VALU_DEP_2)
	v_cvt_u32_f32_e32 v3, v5
	v_xor_b32_e32 v21, v1, v18
	s_delay_alu instid0(VALU_DEP_2) | instskip(NEXT) | instid1(VALU_DEP_1)
	v_xor_b32_e32 v20, v3, v18
	v_sub_nc_u64_e32 v[18:19], v[20:21], v[18:19]
.LBB71_2625:
	s_or_b32 exec_lo, exec_lo, s7
.LBB71_2626:
	s_mov_b32 s7, -1
.LBB71_2627:
	s_mov_b32 s8, 0
.LBB71_2628:
	s_delay_alu instid0(SALU_CYCLE_1)
	s_and_b32 vcc_lo, exec_lo, s8
	s_cbranch_vccz .LBB71_2659
; %bb.2629:
	s_cmp_gt_i32 s13, 22
	s_cbranch_scc0 .LBB71_2637
; %bb.2630:
	s_cmp_lt_i32 s13, 24
	s_cbranch_scc1 .LBB71_2640
; %bb.2631:
	s_cmp_gt_i32 s13, 24
	s_cbranch_scc0 .LBB71_2641
; %bb.2632:
	global_load_u8 v1, v[8:9], off
	s_mov_b32 s7, 0
	s_mov_b32 s6, exec_lo
	s_wait_loadcnt 0x0
	v_cmpx_lt_i16_e32 0x7f, v1
	s_xor_b32 s6, exec_lo, s6
	s_cbranch_execz .LBB71_2653
; %bb.2633:
	v_cmp_ne_u16_e32 vcc_lo, 0x80, v1
	s_and_b32 s7, vcc_lo, exec_lo
	s_and_not1_saveexec_b32 s6, s6
	s_cbranch_execnz .LBB71_2654
.LBB71_2634:
	s_or_b32 exec_lo, exec_lo, s6
	v_mov_b64_e32 v[18:19], 0
	s_and_saveexec_b32 s6, s7
	s_cbranch_execz .LBB71_2636
.LBB71_2635:
	v_and_b32_e32 v3, 0xffff, v1
	s_delay_alu instid0(VALU_DEP_1) | instskip(SKIP_1) | instid1(VALU_DEP_2)
	v_dual_lshlrev_b32 v1, 24, v1 :: v_dual_bitop2_b32 v5, 3, v3 bitop3:0x40
	v_bfe_u32 v19, v3, 2, 5
	v_and_b32_e32 v1, 0x80000000, v1
	s_delay_alu instid0(VALU_DEP_3) | instskip(NEXT) | instid1(VALU_DEP_3)
	v_clz_i32_u32_e32 v7, v5
	v_cmp_eq_u32_e32 vcc_lo, 0, v19
	s_delay_alu instid0(VALU_DEP_2) | instskip(NEXT) | instid1(VALU_DEP_1)
	v_min_u32_e32 v7, 32, v7
	v_subrev_nc_u32_e32 v18, 29, v7
	v_sub_nc_u32_e32 v7, 30, v7
	s_delay_alu instid0(VALU_DEP_2) | instskip(NEXT) | instid1(VALU_DEP_2)
	v_lshlrev_b32_e32 v3, v18, v3
	v_cndmask_b32_e32 v7, v19, v7, vcc_lo
	s_delay_alu instid0(VALU_DEP_2) | instskip(NEXT) | instid1(VALU_DEP_1)
	v_and_b32_e32 v3, 3, v3
	v_cndmask_b32_e32 v3, v5, v3, vcc_lo
	s_delay_alu instid0(VALU_DEP_3) | instskip(NEXT) | instid1(VALU_DEP_2)
	v_lshl_add_u32 v5, v7, 23, 0x37800000
	v_lshlrev_b32_e32 v3, 21, v3
	s_delay_alu instid0(VALU_DEP_1) | instskip(NEXT) | instid1(VALU_DEP_1)
	v_or3_b32 v1, v1, v5, v3
	v_trunc_f32_e32 v1, v1
	s_delay_alu instid0(VALU_DEP_1) | instskip(SKIP_1) | instid1(VALU_DEP_2)
	v_mul_f32_e64 v3, 0x2f800000, |v1|
	v_ashrrev_i32_e32 v18, 31, v1
	v_floor_f32_e32 v3, v3
	s_delay_alu instid0(VALU_DEP_2) | instskip(NEXT) | instid1(VALU_DEP_2)
	v_mov_b32_e32 v19, v18
	v_fma_f32 v5, 0xcf800000, v3, |v1|
	v_cvt_u32_f32_e32 v1, v3
	s_delay_alu instid0(VALU_DEP_2) | instskip(NEXT) | instid1(VALU_DEP_2)
	v_cvt_u32_f32_e32 v3, v5
	v_xor_b32_e32 v21, v1, v18
	s_delay_alu instid0(VALU_DEP_2) | instskip(NEXT) | instid1(VALU_DEP_1)
	v_xor_b32_e32 v20, v3, v18
	v_sub_nc_u64_e32 v[18:19], v[20:21], v[18:19]
.LBB71_2636:
	s_or_b32 exec_lo, exec_lo, s6
	s_mov_b32 s6, 0
	s_branch .LBB71_2642
.LBB71_2637:
	s_mov_b32 s6, -1
                                        ; implicit-def: $vgpr18_vgpr19
	s_branch .LBB71_2648
.LBB71_2638:
	s_and_not1_saveexec_b32 s7, s7
	s_cbranch_execz .LBB71_2623
.LBB71_2639:
	v_cmp_ne_u16_e32 vcc_lo, 0, v1
	s_and_not1_b32 s8, s8, exec_lo
	s_and_b32 s9, vcc_lo, exec_lo
	s_delay_alu instid0(SALU_CYCLE_1)
	s_or_b32 s8, s8, s9
	s_or_b32 exec_lo, exec_lo, s7
	v_mov_b64_e32 v[18:19], 0
	s_and_saveexec_b32 s7, s8
	s_cbranch_execnz .LBB71_2624
	s_branch .LBB71_2625
.LBB71_2640:
	s_mov_b32 s6, -1
                                        ; implicit-def: $vgpr18_vgpr19
	s_branch .LBB71_2645
.LBB71_2641:
	s_mov_b32 s6, -1
                                        ; implicit-def: $vgpr18_vgpr19
.LBB71_2642:
	s_delay_alu instid0(SALU_CYCLE_1)
	s_and_b32 vcc_lo, exec_lo, s6
	s_cbranch_vccz .LBB71_2644
; %bb.2643:
	global_load_u8 v1, v[8:9], off
	s_wait_loadcnt 0x0
	v_lshlrev_b32_e32 v1, 24, v1
	s_delay_alu instid0(VALU_DEP_1) | instskip(NEXT) | instid1(VALU_DEP_1)
	v_and_b32_e32 v3, 0x7f000000, v1
	v_clz_i32_u32_e32 v5, v3
	v_cmp_ne_u32_e32 vcc_lo, 0, v3
	s_wait_xcnt 0x1
	v_add_nc_u32_e32 v18, 0x1000000, v3
	s_delay_alu instid0(VALU_DEP_3) | instskip(NEXT) | instid1(VALU_DEP_1)
	v_min_u32_e32 v5, 32, v5
	v_sub_nc_u32_e64 v5, v5, 4 clamp
	s_delay_alu instid0(VALU_DEP_1) | instskip(NEXT) | instid1(VALU_DEP_1)
	v_dual_lshlrev_b32 v7, v5, v3 :: v_dual_lshlrev_b32 v5, 23, v5
	v_lshrrev_b32_e32 v7, 4, v7
	s_delay_alu instid0(VALU_DEP_1) | instskip(NEXT) | instid1(VALU_DEP_1)
	v_dual_sub_nc_u32 v5, v7, v5 :: v_dual_ashrrev_i32 v7, 8, v18
	v_add_nc_u32_e32 v5, 0x3c000000, v5
	s_delay_alu instid0(VALU_DEP_1) | instskip(NEXT) | instid1(VALU_DEP_1)
	v_and_or_b32 v5, 0x7f800000, v7, v5
	v_cndmask_b32_e32 v3, 0, v5, vcc_lo
	s_delay_alu instid0(VALU_DEP_1) | instskip(NEXT) | instid1(VALU_DEP_1)
	v_and_or_b32 v1, 0x80000000, v1, v3
	v_trunc_f32_e32 v1, v1
	s_delay_alu instid0(VALU_DEP_1) | instskip(SKIP_1) | instid1(VALU_DEP_2)
	v_mul_f32_e64 v3, 0x2f800000, |v1|
	v_ashrrev_i32_e32 v18, 31, v1
	v_floor_f32_e32 v3, v3
	s_delay_alu instid0(VALU_DEP_1) | instskip(SKIP_1) | instid1(VALU_DEP_4)
	v_fma_f32 v5, 0xcf800000, v3, |v1|
	v_cvt_u32_f32_e32 v1, v3
	v_mov_b32_e32 v19, v18
	s_delay_alu instid0(VALU_DEP_3) | instskip(NEXT) | instid1(VALU_DEP_3)
	v_cvt_u32_f32_e32 v3, v5
	v_xor_b32_e32 v21, v1, v18
	s_delay_alu instid0(VALU_DEP_2) | instskip(NEXT) | instid1(VALU_DEP_1)
	v_xor_b32_e32 v20, v3, v18
	v_sub_nc_u64_e32 v[18:19], v[20:21], v[18:19]
.LBB71_2644:
	s_mov_b32 s6, 0
.LBB71_2645:
	s_delay_alu instid0(SALU_CYCLE_1)
	s_and_not1_b32 vcc_lo, exec_lo, s6
	s_cbranch_vccnz .LBB71_2647
; %bb.2646:
	global_load_u8 v1, v[8:9], off
	s_wait_loadcnt 0x0
	v_lshlrev_b32_e32 v3, 25, v1
	v_lshlrev_b16 v1, 8, v1
	s_delay_alu instid0(VALU_DEP_1) | instskip(SKIP_1) | instid1(VALU_DEP_2)
	v_and_or_b32 v7, 0x7f00, v1, 0.5
	v_bfe_i32 v1, v1, 0, 16
	v_add_f32_e32 v7, -0.5, v7
	v_lshrrev_b32_e32 v5, 4, v3
	v_cmp_gt_u32_e32 vcc_lo, 0x8000000, v3
	s_delay_alu instid0(VALU_DEP_2) | instskip(NEXT) | instid1(VALU_DEP_1)
	v_or_b32_e32 v5, 0x70000000, v5
	v_mul_f32_e32 v5, 0x7800000, v5
	s_delay_alu instid0(VALU_DEP_1) | instskip(NEXT) | instid1(VALU_DEP_1)
	v_cndmask_b32_e32 v3, v5, v7, vcc_lo
	v_and_or_b32 v1, 0x80000000, v1, v3
	s_delay_alu instid0(VALU_DEP_1) | instskip(NEXT) | instid1(VALU_DEP_1)
	v_trunc_f32_e32 v1, v1
	v_mul_f32_e64 v3, 0x2f800000, |v1|
	s_wait_xcnt 0x1
	v_ashrrev_i32_e32 v18, 31, v1
	s_delay_alu instid0(VALU_DEP_2) | instskip(NEXT) | instid1(VALU_DEP_2)
	v_floor_f32_e32 v3, v3
	v_mov_b32_e32 v19, v18
	s_delay_alu instid0(VALU_DEP_2) | instskip(SKIP_1) | instid1(VALU_DEP_2)
	v_fma_f32 v5, 0xcf800000, v3, |v1|
	v_cvt_u32_f32_e32 v1, v3
	v_cvt_u32_f32_e32 v3, v5
	s_delay_alu instid0(VALU_DEP_2) | instskip(NEXT) | instid1(VALU_DEP_2)
	v_xor_b32_e32 v21, v1, v18
	v_xor_b32_e32 v20, v3, v18
	s_delay_alu instid0(VALU_DEP_1)
	v_sub_nc_u64_e32 v[18:19], v[20:21], v[18:19]
.LBB71_2647:
	s_mov_b32 s6, 0
	s_mov_b32 s7, -1
.LBB71_2648:
	s_and_not1_b32 vcc_lo, exec_lo, s6
	s_mov_b32 s6, 0
	s_cbranch_vccnz .LBB71_2659
; %bb.2649:
	s_cmp_gt_i32 s13, 14
	s_cbranch_scc0 .LBB71_2652
; %bb.2650:
	s_cmp_eq_u32 s13, 15
	s_cbranch_scc0 .LBB71_2655
; %bb.2651:
	global_load_u16 v1, v[8:9], off
	s_mov_b32 s0, 0
	s_mov_b32 s7, -1
	s_wait_loadcnt 0x0
	v_lshlrev_b32_e32 v1, 16, v1
	s_delay_alu instid0(VALU_DEP_1) | instskip(NEXT) | instid1(VALU_DEP_1)
	v_trunc_f32_e32 v1, v1
	v_mul_f32_e64 v3, 0x2f800000, |v1|
	s_wait_xcnt 0x1
	v_ashrrev_i32_e32 v18, 31, v1
	s_delay_alu instid0(VALU_DEP_2) | instskip(NEXT) | instid1(VALU_DEP_2)
	v_floor_f32_e32 v3, v3
	v_mov_b32_e32 v19, v18
	s_delay_alu instid0(VALU_DEP_2) | instskip(SKIP_1) | instid1(VALU_DEP_2)
	v_fma_f32 v5, 0xcf800000, v3, |v1|
	v_cvt_u32_f32_e32 v1, v3
	v_cvt_u32_f32_e32 v3, v5
	s_delay_alu instid0(VALU_DEP_2) | instskip(NEXT) | instid1(VALU_DEP_2)
	v_xor_b32_e32 v21, v1, v18
	v_xor_b32_e32 v20, v3, v18
	s_delay_alu instid0(VALU_DEP_1)
	v_sub_nc_u64_e32 v[18:19], v[20:21], v[18:19]
	s_branch .LBB71_2657
.LBB71_2652:
	s_mov_b32 s6, -1
	s_branch .LBB71_2656
.LBB71_2653:
	s_and_not1_saveexec_b32 s6, s6
	s_cbranch_execz .LBB71_2634
.LBB71_2654:
	v_cmp_ne_u16_e32 vcc_lo, 0, v1
	s_and_not1_b32 s7, s7, exec_lo
	s_and_b32 s8, vcc_lo, exec_lo
	s_delay_alu instid0(SALU_CYCLE_1)
	s_or_b32 s7, s7, s8
	s_or_b32 exec_lo, exec_lo, s6
	v_mov_b64_e32 v[18:19], 0
	s_and_saveexec_b32 s6, s7
	s_cbranch_execnz .LBB71_2635
	s_branch .LBB71_2636
.LBB71_2655:
	s_mov_b32 s0, -1
.LBB71_2656:
                                        ; implicit-def: $vgpr18_vgpr19
.LBB71_2657:
	s_and_b32 vcc_lo, exec_lo, s6
	s_mov_b32 s6, 0
	s_cbranch_vccz .LBB71_2659
; %bb.2658:
	s_cmp_lg_u32 s13, 11
	s_mov_b32 s6, -1
	s_cselect_b32 s0, -1, 0
.LBB71_2659:
	s_delay_alu instid0(SALU_CYCLE_1)
	s_and_b32 vcc_lo, exec_lo, s0
	s_cbranch_vccnz .LBB71_3207
; %bb.2660:
	s_and_not1_b32 vcc_lo, exec_lo, s6
	s_cbranch_vccnz .LBB71_2662
.LBB71_2661:
	global_load_u8 v1, v[8:9], off
	s_mov_b32 s0, 0
	s_mov_b32 s7, -1
	s_wait_loadcnt 0x1
	s_wait_xcnt 0x1
	v_mov_b32_e32 v19, s0
	s_wait_loadcnt 0x0
	v_cmp_ne_u16_e32 vcc_lo, 0, v1
	v_cndmask_b32_e64 v18, 0, 1, vcc_lo
.LBB71_2662:
	s_mov_b32 s0, 0
.LBB71_2663:
	s_delay_alu instid0(SALU_CYCLE_1)
	s_and_b32 vcc_lo, exec_lo, s0
	s_cbranch_vccz .LBB71_2712
; %bb.2664:
	s_cmp_lt_i32 s13, 5
	s_cbranch_scc1 .LBB71_2669
; %bb.2665:
	s_cmp_lt_i32 s13, 8
	s_cbranch_scc1 .LBB71_2670
	;; [unrolled: 3-line block ×3, first 2 shown]
; %bb.2667:
	s_cmp_gt_i32 s13, 9
	s_cbranch_scc0 .LBB71_2672
; %bb.2668:
	s_wait_loadcnt 0x0
	global_load_b64 v[18:19], v[8:9], off
	s_mov_b32 s0, 0
	s_wait_loadcnt 0x0
	v_trunc_f64_e32 v[18:19], v[18:19]
	s_delay_alu instid0(VALU_DEP_1) | instskip(NEXT) | instid1(VALU_DEP_1)
	v_ldexp_f64 v[20:21], v[18:19], 0xffffffe0
	v_floor_f64_e32 v[20:21], v[20:21]
	s_delay_alu instid0(VALU_DEP_1) | instskip(SKIP_1) | instid1(VALU_DEP_2)
	v_fmamk_f64 v[22:23], v[20:21], 0xc1f00000, v[18:19]
	v_cvt_i32_f64_e32 v19, v[20:21]
	v_cvt_u32_f64_e32 v18, v[22:23]
	s_branch .LBB71_2673
.LBB71_2669:
	s_mov_b32 s0, -1
                                        ; implicit-def: $vgpr18_vgpr19
	s_branch .LBB71_2691
.LBB71_2670:
	s_mov_b32 s0, -1
                                        ; implicit-def: $vgpr18_vgpr19
	s_branch .LBB71_2679
.LBB71_2671:
	s_mov_b32 s0, -1
                                        ; implicit-def: $vgpr18_vgpr19
	s_branch .LBB71_2676
.LBB71_2672:
	s_mov_b32 s0, -1
                                        ; implicit-def: $vgpr18_vgpr19
.LBB71_2673:
	s_delay_alu instid0(SALU_CYCLE_1)
	s_and_not1_b32 vcc_lo, exec_lo, s0
	s_cbranch_vccnz .LBB71_2675
; %bb.2674:
	global_load_b32 v1, v[8:9], off
	s_wait_loadcnt 0x0
	v_trunc_f32_e32 v1, v1
	s_delay_alu instid0(VALU_DEP_1) | instskip(SKIP_2) | instid1(VALU_DEP_2)
	v_mul_f32_e64 v3, 0x2f800000, |v1|
	s_wait_xcnt 0x1
	v_ashrrev_i32_e32 v18, 31, v1
	v_floor_f32_e32 v3, v3
	s_delay_alu instid0(VALU_DEP_1) | instskip(SKIP_1) | instid1(VALU_DEP_4)
	v_fma_f32 v5, 0xcf800000, v3, |v1|
	v_cvt_u32_f32_e32 v1, v3
	v_mov_b32_e32 v19, v18
	s_delay_alu instid0(VALU_DEP_3) | instskip(NEXT) | instid1(VALU_DEP_3)
	v_cvt_u32_f32_e32 v3, v5
	v_xor_b32_e32 v21, v1, v18
	s_delay_alu instid0(VALU_DEP_2) | instskip(NEXT) | instid1(VALU_DEP_1)
	v_xor_b32_e32 v20, v3, v18
	v_sub_nc_u64_e32 v[18:19], v[20:21], v[18:19]
.LBB71_2675:
	s_mov_b32 s0, 0
.LBB71_2676:
	s_delay_alu instid0(SALU_CYCLE_1)
	s_and_not1_b32 vcc_lo, exec_lo, s0
	s_cbranch_vccnz .LBB71_2678
; %bb.2677:
	global_load_b32 v1, v[8:9], off
	s_wait_loadcnt 0x0
	v_cvt_f32_f16_e32 v1, v1
	s_wait_xcnt 0x1
	s_delay_alu instid0(VALU_DEP_1) | instskip(NEXT) | instid1(VALU_DEP_1)
	v_cvt_i32_f32_e32 v18, v1
	v_ashrrev_i32_e32 v19, 31, v18
.LBB71_2678:
	s_mov_b32 s0, 0
.LBB71_2679:
	s_delay_alu instid0(SALU_CYCLE_1)
	s_and_not1_b32 vcc_lo, exec_lo, s0
	s_cbranch_vccnz .LBB71_2690
; %bb.2680:
	s_cmp_lt_i32 s13, 6
	s_cbranch_scc1 .LBB71_2683
; %bb.2681:
	s_cmp_gt_i32 s13, 6
	s_cbranch_scc0 .LBB71_2684
; %bb.2682:
	s_wait_loadcnt 0x0
	global_load_b64 v[18:19], v[8:9], off
	s_mov_b32 s0, 0
	s_wait_loadcnt 0x0
	v_trunc_f64_e32 v[18:19], v[18:19]
	s_delay_alu instid0(VALU_DEP_1) | instskip(NEXT) | instid1(VALU_DEP_1)
	v_ldexp_f64 v[20:21], v[18:19], 0xffffffe0
	v_floor_f64_e32 v[20:21], v[20:21]
	s_delay_alu instid0(VALU_DEP_1) | instskip(SKIP_1) | instid1(VALU_DEP_2)
	v_fmamk_f64 v[22:23], v[20:21], 0xc1f00000, v[18:19]
	v_cvt_i32_f64_e32 v19, v[20:21]
	v_cvt_u32_f64_e32 v18, v[22:23]
	s_branch .LBB71_2685
.LBB71_2683:
	s_mov_b32 s0, -1
                                        ; implicit-def: $vgpr18_vgpr19
	s_branch .LBB71_2688
.LBB71_2684:
	s_mov_b32 s0, -1
                                        ; implicit-def: $vgpr18_vgpr19
.LBB71_2685:
	s_delay_alu instid0(SALU_CYCLE_1)
	s_and_not1_b32 vcc_lo, exec_lo, s0
	s_cbranch_vccnz .LBB71_2687
; %bb.2686:
	global_load_b32 v1, v[8:9], off
	s_wait_loadcnt 0x0
	v_trunc_f32_e32 v1, v1
	s_delay_alu instid0(VALU_DEP_1) | instskip(SKIP_2) | instid1(VALU_DEP_2)
	v_mul_f32_e64 v3, 0x2f800000, |v1|
	s_wait_xcnt 0x1
	v_ashrrev_i32_e32 v18, 31, v1
	v_floor_f32_e32 v3, v3
	s_delay_alu instid0(VALU_DEP_1) | instskip(SKIP_1) | instid1(VALU_DEP_4)
	v_fma_f32 v5, 0xcf800000, v3, |v1|
	v_cvt_u32_f32_e32 v1, v3
	v_mov_b32_e32 v19, v18
	s_delay_alu instid0(VALU_DEP_3) | instskip(NEXT) | instid1(VALU_DEP_3)
	v_cvt_u32_f32_e32 v3, v5
	v_xor_b32_e32 v21, v1, v18
	s_delay_alu instid0(VALU_DEP_2) | instskip(NEXT) | instid1(VALU_DEP_1)
	v_xor_b32_e32 v20, v3, v18
	v_sub_nc_u64_e32 v[18:19], v[20:21], v[18:19]
.LBB71_2687:
	s_mov_b32 s0, 0
.LBB71_2688:
	s_delay_alu instid0(SALU_CYCLE_1)
	s_and_not1_b32 vcc_lo, exec_lo, s0
	s_cbranch_vccnz .LBB71_2690
; %bb.2689:
	global_load_u16 v1, v[8:9], off
	s_wait_loadcnt 0x0
	v_cvt_f32_f16_e32 v1, v1
	s_wait_xcnt 0x1
	s_delay_alu instid0(VALU_DEP_1) | instskip(NEXT) | instid1(VALU_DEP_1)
	v_cvt_i32_f32_e32 v18, v1
	v_ashrrev_i32_e32 v19, 31, v18
.LBB71_2690:
	s_mov_b32 s0, 0
.LBB71_2691:
	s_delay_alu instid0(SALU_CYCLE_1)
	s_and_not1_b32 vcc_lo, exec_lo, s0
	s_cbranch_vccnz .LBB71_2711
; %bb.2692:
	s_cmp_lt_i32 s13, 2
	s_cbranch_scc1 .LBB71_2696
; %bb.2693:
	s_cmp_lt_i32 s13, 3
	s_cbranch_scc1 .LBB71_2697
; %bb.2694:
	s_cmp_gt_i32 s13, 3
	s_cbranch_scc0 .LBB71_2698
; %bb.2695:
	s_wait_loadcnt 0x0
	global_load_b64 v[18:19], v[8:9], off
	s_mov_b32 s0, 0
	s_branch .LBB71_2699
.LBB71_2696:
	s_mov_b32 s0, -1
                                        ; implicit-def: $vgpr18_vgpr19
	s_branch .LBB71_2705
.LBB71_2697:
	s_mov_b32 s0, -1
                                        ; implicit-def: $vgpr18_vgpr19
	s_branch .LBB71_2702
.LBB71_2698:
	s_mov_b32 s0, -1
                                        ; implicit-def: $vgpr18_vgpr19
.LBB71_2699:
	s_delay_alu instid0(SALU_CYCLE_1)
	s_and_not1_b32 vcc_lo, exec_lo, s0
	s_cbranch_vccnz .LBB71_2701
; %bb.2700:
	s_wait_loadcnt 0x0
	global_load_b32 v18, v[8:9], off
	s_wait_loadcnt 0x0
	v_ashrrev_i32_e32 v19, 31, v18
.LBB71_2701:
	s_mov_b32 s0, 0
.LBB71_2702:
	s_delay_alu instid0(SALU_CYCLE_1)
	s_and_not1_b32 vcc_lo, exec_lo, s0
	s_cbranch_vccnz .LBB71_2704
; %bb.2703:
	global_load_u16 v1, v[8:9], off
	s_wait_loadcnt 0x0
	s_wait_xcnt 0x1
	v_bfe_i32 v18, v1, 0, 16
	s_delay_alu instid0(VALU_DEP_1)
	v_ashrrev_i32_e32 v19, 31, v18
.LBB71_2704:
	s_mov_b32 s0, 0
.LBB71_2705:
	s_delay_alu instid0(SALU_CYCLE_1)
	s_and_not1_b32 vcc_lo, exec_lo, s0
	s_cbranch_vccnz .LBB71_2711
; %bb.2706:
	s_cmp_gt_i32 s13, 0
	s_mov_b32 s0, 0
	s_cbranch_scc0 .LBB71_2708
; %bb.2707:
	global_load_i8 v1, v[8:9], off
	s_wait_loadcnt 0x0
	s_wait_xcnt 0x1
	v_bfe_i32 v18, v1, 0, 16
	s_delay_alu instid0(VALU_DEP_1)
	v_ashrrev_i32_e32 v19, 31, v18
	s_branch .LBB71_2709
.LBB71_2708:
	s_mov_b32 s0, -1
                                        ; implicit-def: $vgpr18_vgpr19
.LBB71_2709:
	s_delay_alu instid0(SALU_CYCLE_1)
	s_and_not1_b32 vcc_lo, exec_lo, s0
	s_cbranch_vccnz .LBB71_2711
; %bb.2710:
	global_load_u8 v1, v[8:9], off
	s_mov_b32 s0, 0
	s_wait_loadcnt 0x1
	s_wait_xcnt 0x1
	v_mov_b32_e32 v19, s0
	s_wait_loadcnt 0x0
	v_and_b32_e32 v18, 0xffff, v1
.LBB71_2711:
	s_mov_b32 s7, -1
.LBB71_2712:
	s_delay_alu instid0(SALU_CYCLE_1)
	s_and_not1_b32 vcc_lo, exec_lo, s7
	s_cbranch_vccnz .LBB71_2715
; %bb.2713:
	s_wait_loadcnt 0x0
	s_delay_alu instid0(VALU_DEP_1) | instskip(SKIP_1) | instid1(VALU_DEP_1)
	v_sub_nc_u64_e32 v[8:9], 0, v[18:19]
	s_mov_b32 s6, exec_lo
	v_max_i64 v[20:21], v[18:19], v[8:9]
	v_cmpx_ne_u64_e32 0, v[12:13]
	s_cbranch_execz .LBB71_2766
; %bb.2714:
	v_sub_nc_u64_e32 v[8:9], 0, v[12:13]
	s_mov_b32 s7, 0
	s_delay_alu instid0(VALU_DEP_1)
	v_max_i64 v[24:25], v[12:13], v[8:9]
	v_mov_b32_e32 v8, 0
	s_branch .LBB71_2761
.LBB71_2715:
	s_mov_b32 s0, 0
	s_wait_xcnt 0x0
	s_mov_b32 s3, 0
                                        ; implicit-def: $vgpr2_vgpr3
                                        ; implicit-def: $sgpr6
                                        ; implicit-def: $vgpr8_vgpr9
.LBB71_2716:
	s_and_not1_b32 s2, s10, exec_lo
	s_and_b32 s1, s1, exec_lo
	s_and_b32 s0, s0, exec_lo
	;; [unrolled: 1-line block ×3, first 2 shown]
	s_or_b32 s10, s2, s1
.LBB71_2717:
	s_wait_xcnt 0x0
	s_or_b32 exec_lo, exec_lo, s11
	s_and_saveexec_b32 s1, s10
	s_cbranch_execz .LBB71_2720
; %bb.2718:
	; divergent unreachable
	s_or_b32 exec_lo, exec_lo, s1
	s_and_saveexec_b32 s1, s28
	s_delay_alu instid0(SALU_CYCLE_1)
	s_xor_b32 s1, exec_lo, s1
	s_cbranch_execnz .LBB71_2721
.LBB71_2719:
	s_or_b32 exec_lo, exec_lo, s1
	s_and_saveexec_b32 s1, s0
	s_cbranch_execnz .LBB71_2722
	s_branch .LBB71_2759
.LBB71_2720:
	s_or_b32 exec_lo, exec_lo, s1
	s_and_saveexec_b32 s1, s28
	s_delay_alu instid0(SALU_CYCLE_1)
	s_xor_b32 s1, exec_lo, s1
	s_cbranch_execz .LBB71_2719
.LBB71_2721:
	v_cmp_ne_u64_e32 vcc_lo, 0, v[8:9]
	s_wait_loadcnt 0x0
	v_cndmask_b32_e64 v0, 0, 1, vcc_lo
	global_store_b8 v[2:3], v0, off
	s_wait_xcnt 0x0
	s_or_b32 exec_lo, exec_lo, s1
	s_and_saveexec_b32 s1, s0
	s_cbranch_execz .LBB71_2759
.LBB71_2722:
	s_sext_i32_i16 s1, s6
	s_mov_b32 s0, -1
	s_cmp_lt_i32 s1, 5
	s_cbranch_scc1 .LBB71_2743
; %bb.2723:
	s_cmp_lt_i32 s1, 8
	s_cbranch_scc1 .LBB71_2733
; %bb.2724:
	;; [unrolled: 3-line block ×3, first 2 shown]
	s_cmp_gt_i32 s1, 9
	s_cbranch_scc0 .LBB71_2727
; %bb.2726:
	s_wait_loadcnt 0x0
	v_cvt_f64_u32_e32 v[0:1], v9
	v_cvt_f64_u32_e32 v[4:5], v8
	s_mov_b32 s0, 0
	v_mov_b32_e32 v6, 0
	s_delay_alu instid0(VALU_DEP_1) | instskip(NEXT) | instid1(VALU_DEP_4)
	v_mov_b32_e32 v7, v6
	v_ldexp_f64 v[0:1], v[0:1], 32
	s_delay_alu instid0(VALU_DEP_1)
	v_add_f64_e32 v[4:5], v[0:1], v[4:5]
	global_store_b128 v[2:3], v[4:7], off
.LBB71_2727:
	s_and_not1_b32 vcc_lo, exec_lo, s0
	s_cbranch_vccnz .LBB71_2729
; %bb.2728:
	s_wait_loadcnt 0x0
	v_clz_i32_u32_e32 v0, v9
	s_wait_xcnt 0x0
	s_delay_alu instid0(VALU_DEP_1) | instskip(NEXT) | instid1(VALU_DEP_1)
	v_min_u32_e32 v4, 32, v0
	v_lshlrev_b64_e32 v[0:1], v4, v[8:9]
	s_delay_alu instid0(VALU_DEP_1) | instskip(NEXT) | instid1(VALU_DEP_1)
	v_min_u32_e32 v0, 1, v0
	v_or_b32_e32 v0, v1, v0
	v_sub_nc_u32_e32 v1, 32, v4
	s_delay_alu instid0(VALU_DEP_2) | instskip(NEXT) | instid1(VALU_DEP_1)
	v_cvt_f32_u32_e32 v0, v0
	v_ldexp_f32 v0, v0, v1
	v_mov_b32_e32 v1, 0
	global_store_b64 v[2:3], v[0:1], off
.LBB71_2729:
	s_mov_b32 s0, 0
.LBB71_2730:
	s_delay_alu instid0(SALU_CYCLE_1)
	s_and_not1_b32 vcc_lo, exec_lo, s0
	s_cbranch_vccnz .LBB71_2732
; %bb.2731:
	s_wait_loadcnt 0x0
	v_clz_i32_u32_e32 v0, v9
	s_delay_alu instid0(VALU_DEP_1) | instskip(NEXT) | instid1(VALU_DEP_1)
	v_min_u32_e32 v4, 32, v0
	v_lshlrev_b64_e32 v[0:1], v4, v[8:9]
	s_delay_alu instid0(VALU_DEP_1) | instskip(NEXT) | instid1(VALU_DEP_1)
	v_min_u32_e32 v0, 1, v0
	v_or_b32_e32 v0, v1, v0
	v_sub_nc_u32_e32 v1, 32, v4
	s_delay_alu instid0(VALU_DEP_2) | instskip(NEXT) | instid1(VALU_DEP_1)
	v_cvt_f32_u32_e32 v0, v0
	v_ldexp_f32 v0, v0, v1
	s_delay_alu instid0(VALU_DEP_1) | instskip(NEXT) | instid1(VALU_DEP_1)
	v_cvt_f16_f32_e32 v0, v0
	v_and_b32_e32 v0, 0xffff, v0
	global_store_b32 v[2:3], v0, off
.LBB71_2732:
	s_mov_b32 s0, 0
.LBB71_2733:
	s_delay_alu instid0(SALU_CYCLE_1)
	s_and_not1_b32 vcc_lo, exec_lo, s0
	s_cbranch_vccnz .LBB71_2742
; %bb.2734:
	s_sext_i32_i16 s1, s6
	s_mov_b32 s0, -1
	s_cmp_lt_i32 s1, 6
	s_cbranch_scc1 .LBB71_2740
; %bb.2735:
	s_cmp_gt_i32 s1, 6
	s_cbranch_scc0 .LBB71_2737
; %bb.2736:
	s_wait_loadcnt 0x0
	v_cvt_f64_u32_e32 v[0:1], v9
	v_cvt_f64_u32_e32 v[4:5], v8
	s_mov_b32 s0, 0
	s_delay_alu instid0(VALU_DEP_2) | instskip(NEXT) | instid1(VALU_DEP_1)
	v_ldexp_f64 v[0:1], v[0:1], 32
	v_add_f64_e32 v[0:1], v[0:1], v[4:5]
	global_store_b64 v[2:3], v[0:1], off
.LBB71_2737:
	s_and_not1_b32 vcc_lo, exec_lo, s0
	s_cbranch_vccnz .LBB71_2739
; %bb.2738:
	s_wait_loadcnt 0x0
	v_clz_i32_u32_e32 v0, v9
	s_delay_alu instid0(VALU_DEP_1) | instskip(NEXT) | instid1(VALU_DEP_1)
	v_min_u32_e32 v4, 32, v0
	v_lshlrev_b64_e32 v[0:1], v4, v[8:9]
	s_delay_alu instid0(VALU_DEP_1) | instskip(NEXT) | instid1(VALU_DEP_1)
	v_min_u32_e32 v0, 1, v0
	v_or_b32_e32 v0, v1, v0
	v_sub_nc_u32_e32 v1, 32, v4
	s_delay_alu instid0(VALU_DEP_2) | instskip(NEXT) | instid1(VALU_DEP_1)
	v_cvt_f32_u32_e32 v0, v0
	v_ldexp_f32 v0, v0, v1
	global_store_b32 v[2:3], v0, off
.LBB71_2739:
	s_mov_b32 s0, 0
.LBB71_2740:
	s_delay_alu instid0(SALU_CYCLE_1)
	s_and_not1_b32 vcc_lo, exec_lo, s0
	s_cbranch_vccnz .LBB71_2742
; %bb.2741:
	s_wait_loadcnt 0x0
	v_clz_i32_u32_e32 v0, v9
	s_delay_alu instid0(VALU_DEP_1) | instskip(NEXT) | instid1(VALU_DEP_1)
	v_min_u32_e32 v4, 32, v0
	v_lshlrev_b64_e32 v[0:1], v4, v[8:9]
	s_delay_alu instid0(VALU_DEP_1) | instskip(NEXT) | instid1(VALU_DEP_1)
	v_min_u32_e32 v0, 1, v0
	v_or_b32_e32 v0, v1, v0
	v_sub_nc_u32_e32 v1, 32, v4
	s_delay_alu instid0(VALU_DEP_2) | instskip(NEXT) | instid1(VALU_DEP_1)
	v_cvt_f32_u32_e32 v0, v0
	v_ldexp_f32 v0, v0, v1
	s_delay_alu instid0(VALU_DEP_1)
	v_cvt_f16_f32_e32 v0, v0
	global_store_b16 v[2:3], v0, off
.LBB71_2742:
	s_mov_b32 s0, 0
.LBB71_2743:
	s_delay_alu instid0(SALU_CYCLE_1)
	s_and_not1_b32 vcc_lo, exec_lo, s0
	s_cbranch_vccnz .LBB71_2759
; %bb.2744:
	s_sext_i32_i16 s1, s6
	s_mov_b32 s0, -1
	s_cmp_lt_i32 s1, 2
	s_cbranch_scc1 .LBB71_2754
; %bb.2745:
	s_cmp_lt_i32 s1, 3
	s_cbranch_scc1 .LBB71_2751
; %bb.2746:
	s_cmp_gt_i32 s1, 3
	s_cbranch_scc0 .LBB71_2748
; %bb.2747:
	s_mov_b32 s0, 0
	global_store_b64 v[2:3], v[8:9], off
.LBB71_2748:
	s_and_not1_b32 vcc_lo, exec_lo, s0
	s_cbranch_vccnz .LBB71_2750
; %bb.2749:
	global_store_b32 v[2:3], v8, off
.LBB71_2750:
	s_mov_b32 s0, 0
.LBB71_2751:
	s_delay_alu instid0(SALU_CYCLE_1)
	s_and_not1_b32 vcc_lo, exec_lo, s0
	s_cbranch_vccnz .LBB71_2753
; %bb.2752:
	global_store_b16 v[2:3], v8, off
.LBB71_2753:
	s_mov_b32 s0, 0
.LBB71_2754:
	s_delay_alu instid0(SALU_CYCLE_1)
	s_and_not1_b32 vcc_lo, exec_lo, s0
	s_cbranch_vccnz .LBB71_2759
; %bb.2755:
	s_sext_i32_i16 s0, s6
	s_delay_alu instid0(SALU_CYCLE_1)
	s_cmp_gt_i32 s0, 0
	s_mov_b32 s0, -1
	s_cbranch_scc0 .LBB71_2757
; %bb.2756:
	s_mov_b32 s0, 0
	global_store_b8 v[2:3], v8, off
.LBB71_2757:
	s_and_not1_b32 vcc_lo, exec_lo, s0
	s_cbranch_vccnz .LBB71_2759
; %bb.2758:
	global_store_b8 v[2:3], v8, off
	s_endpgm
.LBB71_2759:
	s_endpgm
.LBB71_2760:                            ;   in Loop: Header=BB71_2761 Depth=1
	s_or_b32 exec_lo, exec_lo, s0
	s_delay_alu instid0(VALU_DEP_1) | instskip(SKIP_2) | instid1(SALU_CYCLE_1)
	v_cmp_eq_u64_e32 vcc_lo, 0, v[24:25]
	v_mov_b64_e32 v[20:21], v[22:23]
	s_or_b32 s7, vcc_lo, s7
	s_and_not1_b32 exec_lo, exec_lo, s7
	s_cbranch_execz .LBB71_2765
.LBB71_2761:                            ; =>This Inner Loop Header: Depth=1
	s_delay_alu instid0(VALU_DEP_2) | instskip(SKIP_1) | instid1(VALU_DEP_1)
	v_mov_b64_e32 v[22:23], v[24:25]
                                        ; implicit-def: $vgpr24_vgpr25
	s_mov_b32 s0, exec_lo
	v_or_b32_e32 v9, v21, v23
	s_delay_alu instid0(VALU_DEP_1)
	v_cmpx_ne_u64_e32 0, v[8:9]
	s_xor_b32 s8, exec_lo, s0
	s_cbranch_execz .LBB71_2763
; %bb.2762:                             ;   in Loop: Header=BB71_2761 Depth=1
	s_delay_alu instid0(VALU_DEP_3) | instskip(SKIP_4) | instid1(VALU_DEP_4)
	v_cvt_f32_u32_e32 v1, v22
	v_cvt_f32_u32_e32 v3, v23
	v_sub_nc_u64_e32 v[26:27], 0, v[22:23]
	v_dual_mov_b32 v25, v8 :: v_dual_mov_b32 v33, v8
	v_mov_b32_e32 v35, v8
	v_fmac_f32_e32 v1, 0x4f800000, v3
	s_delay_alu instid0(VALU_DEP_1) | instskip(SKIP_1) | instid1(TRANS32_DEP_1)
	v_rcp_f32_e32 v1, v1
	v_nop
	v_mul_f32_e32 v1, 0x5f7ffffc, v1
	s_delay_alu instid0(VALU_DEP_1) | instskip(NEXT) | instid1(VALU_DEP_1)
	v_mul_f32_e32 v3, 0x2f800000, v1
	v_trunc_f32_e32 v3, v3
	s_delay_alu instid0(VALU_DEP_1) | instskip(SKIP_1) | instid1(VALU_DEP_2)
	v_fmac_f32_e32 v1, 0xcf800000, v3
	v_cvt_u32_f32_e32 v29, v3
	v_cvt_u32_f32_e32 v24, v1
	s_delay_alu instid0(VALU_DEP_1) | instskip(NEXT) | instid1(VALU_DEP_1)
	v_dual_mov_b32 v34, v29 :: v_dual_mov_b32 v28, v24
	v_mul_u64_e32 v[30:31], v[26:27], v[28:29]
	s_delay_alu instid0(VALU_DEP_1) | instskip(NEXT) | instid1(VALU_DEP_1)
	v_dual_mov_b32 v32, v31 :: v_dual_mov_b32 v31, v8
	v_mul_u64_e32 v[36:37], v[24:25], v[32:33]
	s_delay_alu instid0(VALU_DEP_2) | instskip(SKIP_2) | instid1(VALU_DEP_1)
	v_mul_u64_e32 v[38:39], v[34:35], v[30:31]
	v_mul_u64_e32 v[32:33], v[34:35], v[32:33]
	v_mul_hi_u32 v30, v24, v30
	v_add_nc_u64_e32 v[30:31], v[30:31], v[36:37]
	s_delay_alu instid0(VALU_DEP_1) | instskip(NEXT) | instid1(VALU_DEP_2)
	v_add_co_u32 v1, vcc_lo, v30, v38
	v_add_co_ci_u32_e32 v34, vcc_lo, v31, v39, vcc_lo
	v_add_co_ci_u32_e32 v33, vcc_lo, 0, v33, vcc_lo
	s_delay_alu instid0(VALU_DEP_1) | instskip(NEXT) | instid1(VALU_DEP_1)
	v_add_nc_u64_e32 v[30:31], v[34:35], v[32:33]
	v_add_co_u32 v24, vcc_lo, v24, v30
	s_delay_alu instid0(VALU_DEP_1) | instskip(SKIP_1) | instid1(VALU_DEP_2)
	v_add_co_ci_u32_e64 v28, null, v29, v31, vcc_lo
	v_dual_mov_b32 v31, v8 :: v_dual_mov_b32 v29, v8
	v_mov_b32_e32 v25, v28
	s_delay_alu instid0(VALU_DEP_1) | instskip(NEXT) | instid1(VALU_DEP_1)
	v_mul_u64_e32 v[26:27], v[26:27], v[24:25]
	v_dual_mov_b32 v25, v8 :: v_dual_mov_b32 v30, v27
	s_delay_alu instid0(VALU_DEP_2) | instskip(SKIP_1) | instid1(VALU_DEP_3)
	v_dual_mov_b32 v34, v26 :: v_dual_mov_b32 v27, v8
	v_mul_hi_u32 v26, v24, v26
	v_mul_u64_e32 v[32:33], v[24:25], v[30:31]
	s_delay_alu instid0(VALU_DEP_3) | instskip(SKIP_1) | instid1(VALU_DEP_3)
	v_mul_u64_e32 v[34:35], v[28:29], v[34:35]
	v_mul_u64_e32 v[30:31], v[28:29], v[30:31]
	v_add_nc_u64_e32 v[26:27], v[26:27], v[32:33]
	v_mov_b32_e32 v33, v8
	s_delay_alu instid0(VALU_DEP_2) | instskip(NEXT) | instid1(VALU_DEP_3)
	v_add_co_u32 v1, vcc_lo, v26, v34
	v_add_co_ci_u32_e32 v32, vcc_lo, v27, v35, vcc_lo
	v_add_co_ci_u32_e32 v31, vcc_lo, 0, v31, vcc_lo
	s_delay_alu instid0(VALU_DEP_1) | instskip(SKIP_1) | instid1(VALU_DEP_2)
	v_add_nc_u64_e32 v[26:27], v[32:33], v[30:31]
	v_dual_mov_b32 v30, v20 :: v_dual_mov_b32 v31, v8
	v_add_co_u32 v26, vcc_lo, v24, v26
	s_delay_alu instid0(VALU_DEP_1) | instskip(SKIP_1) | instid1(VALU_DEP_2)
	v_add_co_ci_u32_e64 v24, null, v28, v27, vcc_lo
	v_dual_mov_b32 v28, v21 :: v_dual_mov_b32 v27, v8
	v_mul_u64_e32 v[30:31], v[30:31], v[24:25]
	s_delay_alu instid0(VALU_DEP_2) | instskip(NEXT) | instid1(VALU_DEP_3)
	v_mul_u64_e32 v[24:25], v[28:29], v[24:25]
	v_mul_u64_e32 v[32:33], v[28:29], v[26:27]
	v_mul_hi_u32 v26, v20, v26
	s_delay_alu instid0(VALU_DEP_1) | instskip(NEXT) | instid1(VALU_DEP_1)
	v_add_nc_u64_e32 v[26:27], v[26:27], v[30:31]
	v_add_co_u32 v1, vcc_lo, v26, v32
	s_delay_alu instid0(VALU_DEP_2) | instskip(SKIP_1) | instid1(VALU_DEP_1)
	v_add_co_ci_u32_e32 v28, vcc_lo, v27, v33, vcc_lo
	v_add_co_ci_u32_e32 v25, vcc_lo, 0, v25, vcc_lo
	v_add_nc_u64_e32 v[24:25], v[28:29], v[24:25]
	s_delay_alu instid0(VALU_DEP_1) | instskip(NEXT) | instid1(VALU_DEP_1)
	v_mul_u64_e32 v[24:25], v[22:23], v[24:25]
	v_sub_nc_u32_e32 v1, v21, v25
	s_delay_alu instid0(VALU_DEP_2) | instskip(NEXT) | instid1(VALU_DEP_1)
	v_sub_co_u32 v3, vcc_lo, v20, v24
	v_sub_co_ci_u32_e64 v5, null, v21, v25, vcc_lo
	s_delay_alu instid0(VALU_DEP_3) | instskip(NEXT) | instid1(VALU_DEP_3)
	v_sub_co_ci_u32_e64 v1, null, v1, v23, vcc_lo
	v_sub_co_u32 v7, vcc_lo, v3, v22
	v_cmp_ge_u32_e64 s0, v3, v22
	s_delay_alu instid0(VALU_DEP_3) | instskip(SKIP_1) | instid1(VALU_DEP_3)
	v_subrev_co_ci_u32_e64 v9, null, 0, v1, vcc_lo
	v_sub_co_ci_u32_e64 v1, null, v1, v23, vcc_lo
	v_cndmask_b32_e64 v20, 0, -1, s0
	v_cmp_ge_u32_e64 s0, v7, v22
	v_cmp_ge_u32_e32 vcc_lo, v5, v23
	s_delay_alu instid0(VALU_DEP_2) | instskip(SKIP_3) | instid1(VALU_DEP_3)
	v_cndmask_b32_e64 v21, 0, -1, s0
	v_cmp_ge_u32_e64 s0, v9, v23
	v_cndmask_b32_e64 v25, 0, -1, vcc_lo
	v_cmp_eq_u32_e32 vcc_lo, v9, v23
	v_cndmask_b32_e64 v24, 0, -1, s0
	v_cmp_eq_u32_e64 s0, v5, v23
	s_delay_alu instid0(VALU_DEP_1) | instskip(SKIP_1) | instid1(VALU_DEP_1)
	v_dual_cndmask_b32 v21, v24, v21, vcc_lo :: v_dual_cndmask_b32 v20, v25, v20, s0
	v_sub_co_u32 v24, vcc_lo, v7, v22
	v_subrev_co_ci_u32_e64 v1, null, 0, v1, vcc_lo
	s_delay_alu instid0(VALU_DEP_3) | instskip(NEXT) | instid1(VALU_DEP_2)
	v_cmp_ne_u32_e32 vcc_lo, 0, v21
	v_dual_cndmask_b32 v1, v9, v1, vcc_lo :: v_dual_cndmask_b32 v7, v7, v24, vcc_lo
	v_cmp_ne_u32_e32 vcc_lo, 0, v20
                                        ; implicit-def: $vgpr20_vgpr21
	s_delay_alu instid0(VALU_DEP_2)
	v_dual_cndmask_b32 v25, v5, v1 :: v_dual_cndmask_b32 v24, v3, v7
.LBB71_2763:                            ;   in Loop: Header=BB71_2761 Depth=1
	s_and_not1_saveexec_b32 s0, s8
	s_cbranch_execz .LBB71_2760
; %bb.2764:                             ;   in Loop: Header=BB71_2761 Depth=1
	v_cvt_f32_u32_e32 v1, v22
	v_dual_sub_nc_u32 v3, 0, v22 :: v_dual_mov_b32 v25, v8
	s_delay_alu instid0(VALU_DEP_2) | instskip(SKIP_1) | instid1(TRANS32_DEP_1)
	v_rcp_iflag_f32_e32 v1, v1
	v_nop
	v_mul_f32_e32 v1, 0x4f7ffffe, v1
	s_delay_alu instid0(VALU_DEP_1) | instskip(NEXT) | instid1(VALU_DEP_1)
	v_cvt_u32_f32_e32 v1, v1
	v_mul_lo_u32 v3, v3, v1
	s_delay_alu instid0(VALU_DEP_1) | instskip(NEXT) | instid1(VALU_DEP_1)
	v_mul_hi_u32 v3, v1, v3
	v_add_nc_u32_e32 v1, v1, v3
	s_delay_alu instid0(VALU_DEP_1) | instskip(NEXT) | instid1(VALU_DEP_1)
	v_mul_hi_u32 v1, v20, v1
	v_mul_lo_u32 v1, v1, v22
	s_delay_alu instid0(VALU_DEP_1) | instskip(NEXT) | instid1(VALU_DEP_1)
	v_sub_nc_u32_e32 v1, v20, v1
	v_sub_nc_u32_e32 v3, v1, v22
	v_cmp_ge_u32_e32 vcc_lo, v1, v22
	s_delay_alu instid0(VALU_DEP_2) | instskip(NEXT) | instid1(VALU_DEP_1)
	v_cndmask_b32_e32 v1, v1, v3, vcc_lo
	v_sub_nc_u32_e32 v3, v1, v22
	v_cmp_ge_u32_e32 vcc_lo, v1, v22
	s_delay_alu instid0(VALU_DEP_2)
	v_cndmask_b32_e32 v24, v1, v3, vcc_lo
	s_branch .LBB71_2760
.LBB71_2765:
	s_or_b32 exec_lo, exec_lo, s7
	v_mov_b64_e32 v[20:21], v[22:23]
.LBB71_2766:
	s_or_b32 exec_lo, exec_lo, s6
	v_mov_b64_e32 v[8:9], 0
	s_mov_b32 s6, exec_lo
	s_delay_alu instid0(VALU_DEP_2)
	v_cmpx_ne_u64_e32 0, v[20:21]
	s_cbranch_execz .LBB71_2772
; %bb.2767:
	v_dual_mov_b32 v8, 0 :: v_dual_bitop2_b32 v9, v13, v21 bitop3:0x54
                                        ; implicit-def: $vgpr22_vgpr23
	s_mov_b32 s0, exec_lo
	s_delay_alu instid0(VALU_DEP_1)
	v_cmpx_ne_u64_e32 0, v[8:9]
	s_xor_b32 s7, exec_lo, s0
	s_cbranch_execz .LBB71_2769
; %bb.2768:
	v_dual_mov_b32 v25, v8 :: v_dual_ashrrev_i32 v22, 31, v21
	v_dual_mov_b32 v33, v8 :: v_dual_mov_b32 v35, v8
	s_delay_alu instid0(VALU_DEP_2) | instskip(NEXT) | instid1(VALU_DEP_1)
	v_dual_mov_b32 v9, v8 :: v_dual_mov_b32 v23, v22
	v_add_nc_u64_e32 v[20:21], v[20:21], v[22:23]
	s_delay_alu instid0(VALU_DEP_1) | instskip(NEXT) | instid1(VALU_DEP_2)
	v_xor_b32_e32 v20, v20, v22
	v_xor_b32_e32 v21, v21, v22
	s_delay_alu instid0(VALU_DEP_2) | instskip(NEXT) | instid1(VALU_DEP_2)
	v_cvt_f32_u32_e32 v1, v20
	v_cvt_f32_u32_e32 v3, v21
	s_delay_alu instid0(VALU_DEP_1) | instskip(NEXT) | instid1(VALU_DEP_1)
	v_fmamk_f32 v1, v3, 0x4f800000, v1
	v_rcp_f32_e32 v1, v1
	v_nop
	s_delay_alu instid0(TRANS32_DEP_1) | instskip(NEXT) | instid1(VALU_DEP_1)
	v_mul_f32_e32 v1, 0x5f7ffffc, v1
	v_mul_f32_e32 v3, 0x2f800000, v1
	s_delay_alu instid0(VALU_DEP_1) | instskip(NEXT) | instid1(VALU_DEP_1)
	v_trunc_f32_e32 v3, v3
	v_fmamk_f32 v1, v3, 0xcf800000, v1
	v_cvt_u32_f32_e32 v29, v3
	s_delay_alu instid0(VALU_DEP_2) | instskip(NEXT) | instid1(VALU_DEP_1)
	v_cvt_u32_f32_e32 v24, v1
	v_dual_mov_b32 v34, v29 :: v_dual_mov_b32 v28, v24
	v_sub_nc_u64_e32 v[26:27], 0, v[20:21]
	s_delay_alu instid0(VALU_DEP_1) | instskip(NEXT) | instid1(VALU_DEP_1)
	v_mul_u64_e32 v[30:31], v[26:27], v[28:29]
	v_dual_mov_b32 v32, v31 :: v_dual_mov_b32 v31, v8
	s_delay_alu instid0(VALU_DEP_1) | instskip(NEXT) | instid1(VALU_DEP_2)
	v_mul_u64_e32 v[36:37], v[24:25], v[32:33]
	v_mul_u64_e32 v[38:39], v[34:35], v[30:31]
	;; [unrolled: 1-line block ×3, first 2 shown]
	v_mul_hi_u32 v30, v24, v30
	s_delay_alu instid0(VALU_DEP_1) | instskip(SKIP_1) | instid1(VALU_DEP_2)
	v_add_nc_u64_e32 v[30:31], v[30:31], v[36:37]
	v_ashrrev_i32_e32 v36, 31, v13
	v_add_co_u32 v1, vcc_lo, v30, v38
	s_delay_alu instid0(VALU_DEP_3) | instskip(SKIP_1) | instid1(VALU_DEP_1)
	v_add_co_ci_u32_e32 v34, vcc_lo, v31, v39, vcc_lo
	v_add_co_ci_u32_e32 v33, vcc_lo, 0, v33, vcc_lo
	v_add_nc_u64_e32 v[30:31], v[34:35], v[32:33]
	s_delay_alu instid0(VALU_DEP_1) | instskip(NEXT) | instid1(VALU_DEP_1)
	v_add_co_u32 v24, vcc_lo, v24, v30
	v_add_co_ci_u32_e64 v28, null, v29, v31, vcc_lo
	v_dual_mov_b32 v29, v8 :: v_dual_mov_b32 v31, v8
	s_delay_alu instid0(VALU_DEP_2) | instskip(NEXT) | instid1(VALU_DEP_1)
	v_mov_b32_e32 v25, v28
	v_mul_u64_e32 v[26:27], v[26:27], v[24:25]
	s_delay_alu instid0(VALU_DEP_1) | instskip(NEXT) | instid1(VALU_DEP_2)
	v_dual_mov_b32 v25, v8 :: v_dual_mov_b32 v30, v27
	v_dual_mov_b32 v34, v26 :: v_dual_mov_b32 v27, v8
	v_mul_hi_u32 v26, v24, v26
	s_delay_alu instid0(VALU_DEP_3) | instskip(NEXT) | instid1(VALU_DEP_3)
	v_mul_u64_e32 v[32:33], v[24:25], v[30:31]
	v_mul_u64_e32 v[34:35], v[28:29], v[34:35]
	;; [unrolled: 1-line block ×3, first 2 shown]
	s_delay_alu instid0(VALU_DEP_3) | instskip(SKIP_1) | instid1(VALU_DEP_2)
	v_add_nc_u64_e32 v[26:27], v[26:27], v[32:33]
	v_dual_mov_b32 v33, v8 :: v_dual_mov_b32 v37, v36
	v_add_co_u32 v1, vcc_lo, v26, v34
	s_delay_alu instid0(VALU_DEP_3) | instskip(SKIP_1) | instid1(VALU_DEP_1)
	v_add_co_ci_u32_e32 v32, vcc_lo, v27, v35, vcc_lo
	v_add_co_ci_u32_e32 v31, vcc_lo, 0, v31, vcc_lo
	v_add_nc_u64_e32 v[26:27], v[32:33], v[30:31]
	v_mov_b32_e32 v31, v8
	v_add_nc_u64_e32 v[12:13], v[12:13], v[36:37]
	s_delay_alu instid0(VALU_DEP_3) | instskip(NEXT) | instid1(VALU_DEP_2)
	v_add_co_u32 v26, vcc_lo, v24, v26
	v_xor_b32_e32 v30, v12, v36
	v_add_co_ci_u32_e64 v24, null, v28, v27, vcc_lo
	s_delay_alu instid0(VALU_DEP_4) | instskip(NEXT) | instid1(VALU_DEP_2)
	v_dual_mov_b32 v27, v8 :: v_dual_bitop2_b32 v28, v13, v36 bitop3:0x14
	v_mul_u64_e32 v[32:33], v[30:31], v[24:25]
	s_delay_alu instid0(VALU_DEP_2) | instskip(SKIP_2) | instid1(VALU_DEP_1)
	v_mul_u64_e32 v[12:13], v[28:29], v[26:27]
	v_mul_u64_e32 v[24:25], v[28:29], v[24:25]
	v_mul_hi_u32 v26, v30, v26
	v_add_nc_u64_e32 v[26:27], v[26:27], v[32:33]
	s_delay_alu instid0(VALU_DEP_1) | instskip(NEXT) | instid1(VALU_DEP_2)
	v_add_co_u32 v1, vcc_lo, v26, v12
	v_add_co_ci_u32_e32 v8, vcc_lo, v27, v13, vcc_lo
	v_add_co_ci_u32_e32 v25, vcc_lo, 0, v25, vcc_lo
	s_delay_alu instid0(VALU_DEP_1) | instskip(NEXT) | instid1(VALU_DEP_1)
	v_add_nc_u64_e32 v[8:9], v[8:9], v[24:25]
	v_mul_u64_e32 v[12:13], v[20:21], v[8:9]
	v_add_nc_u64_e32 v[24:25], 1, v[8:9]
	s_delay_alu instid0(VALU_DEP_2) | instskip(NEXT) | instid1(VALU_DEP_3)
	v_sub_nc_u32_e32 v1, v28, v13
	v_sub_co_u32 v3, vcc_lo, v30, v12
	s_delay_alu instid0(VALU_DEP_1) | instskip(NEXT) | instid1(VALU_DEP_3)
	v_sub_co_ci_u32_e64 v7, null, v28, v13, vcc_lo
	v_sub_co_ci_u32_e64 v1, null, v1, v21, vcc_lo
	s_delay_alu instid0(VALU_DEP_3) | instskip(NEXT) | instid1(VALU_DEP_1)
	v_sub_co_u32 v5, s0, v3, v20
	v_subrev_co_ci_u32_e64 v1, null, 0, v1, s0
	s_delay_alu instid0(VALU_DEP_2) | instskip(SKIP_1) | instid1(VALU_DEP_3)
	v_cmp_ge_u32_e32 vcc_lo, v5, v20
	v_cndmask_b32_e64 v5, 0, -1, vcc_lo
	v_cmp_ge_u32_e32 vcc_lo, v1, v21
	v_cndmask_b32_e64 v12, 0, -1, vcc_lo
	;; [unrolled: 2-line block ×4, first 2 shown]
	v_cmp_eq_u32_e32 vcc_lo, v1, v21
	v_cndmask_b32_e32 v1, v12, v5, vcc_lo
	v_cmp_eq_u32_e32 vcc_lo, v7, v21
	v_add_nc_u64_e32 v[12:13], 2, v[8:9]
	v_cndmask_b32_e32 v3, v20, v3, vcc_lo
	s_delay_alu instid0(VALU_DEP_4) | instskip(NEXT) | instid1(VALU_DEP_2)
	v_cmp_ne_u32_e32 vcc_lo, 0, v1
                                        ; implicit-def: $vgpr20_vgpr21
	v_cmp_ne_u32_e64 s0, 0, v3
	s_delay_alu instid0(VALU_DEP_4) | instskip(NEXT) | instid1(VALU_DEP_1)
	v_cndmask_b32_e32 v1, v25, v13, vcc_lo
	v_dual_cndmask_b32 v1, v9, v1, s0 :: v_dual_cndmask_b32 v3, v24, v12, vcc_lo
	v_xor_b32_e32 v12, v36, v22
	s_delay_alu instid0(VALU_DEP_1) | instskip(NEXT) | instid1(VALU_DEP_1)
	v_dual_cndmask_b32 v3, v8, v3, s0 :: v_dual_bitop2_b32 v9, v1, v12 bitop3:0x14
	v_dual_mov_b32 v13, v12 :: v_dual_bitop2_b32 v8, v3, v12 bitop3:0x14
	s_delay_alu instid0(VALU_DEP_1)
	v_sub_nc_u64_e32 v[22:23], v[8:9], v[12:13]
                                        ; implicit-def: $vgpr12_vgpr13
.LBB71_2769:
	s_and_not1_saveexec_b32 s0, s7
	s_cbranch_execz .LBB71_2771
; %bb.2770:
	v_cvt_f32_u32_e32 v1, v20
	v_dual_sub_nc_u32 v3, 0, v20 :: v_dual_mov_b32 v23, 0
	s_delay_alu instid0(VALU_DEP_2) | instskip(SKIP_1) | instid1(TRANS32_DEP_1)
	v_rcp_iflag_f32_e32 v1, v1
	v_nop
	v_mul_f32_e32 v1, 0x4f7ffffe, v1
	s_delay_alu instid0(VALU_DEP_1) | instskip(NEXT) | instid1(VALU_DEP_1)
	v_cvt_u32_f32_e32 v1, v1
	v_mul_lo_u32 v3, v3, v1
	s_delay_alu instid0(VALU_DEP_1) | instskip(NEXT) | instid1(VALU_DEP_1)
	v_mul_hi_u32 v3, v1, v3
	v_add_nc_u32_e32 v1, v1, v3
	s_delay_alu instid0(VALU_DEP_1) | instskip(NEXT) | instid1(VALU_DEP_1)
	v_mul_hi_u32 v1, v12, v1
	v_mul_lo_u32 v3, v1, v20
	s_delay_alu instid0(VALU_DEP_1) | instskip(NEXT) | instid1(VALU_DEP_1)
	v_dual_add_nc_u32 v5, 1, v1 :: v_dual_sub_nc_u32 v3, v12, v3
	v_cmp_ge_u32_e32 vcc_lo, v3, v20
	s_delay_alu instid0(VALU_DEP_2) | instskip(NEXT) | instid1(VALU_DEP_1)
	v_dual_sub_nc_u32 v7, v3, v20 :: v_dual_cndmask_b32 v1, v1, v5, vcc_lo
	v_dual_cndmask_b32 v3, v3, v7, vcc_lo :: v_dual_add_nc_u32 v5, 1, v1
	s_delay_alu instid0(VALU_DEP_1) | instskip(NEXT) | instid1(VALU_DEP_2)
	v_cmp_ge_u32_e32 vcc_lo, v3, v20
	v_cndmask_b32_e32 v22, v1, v5, vcc_lo
.LBB71_2771:
	s_or_b32 exec_lo, exec_lo, s0
	s_delay_alu instid0(VALU_DEP_1) | instskip(NEXT) | instid1(VALU_DEP_1)
	v_mul_u64_e32 v[8:9], v[22:23], v[18:19]
	v_sub_nc_u64_e32 v[12:13], 0, v[8:9]
	s_delay_alu instid0(VALU_DEP_1)
	v_max_i64 v[8:9], v[8:9], v[12:13]
.LBB71_2772:
	s_or_b32 exec_lo, exec_lo, s6
	v_mov_b32_e32 v7, 0
	global_load_u8 v1, v7, s[2:3] offset:417
	s_wait_xcnt 0x0
	v_add_nc_u64_e32 v[6:7], s[4:5], v[6:7]
	s_wait_loadcnt 0x0
	v_and_b32_e32 v3, 0xffff, v1
	v_readfirstlane_b32 s6, v1
	s_delay_alu instid0(VALU_DEP_2)
	v_cmp_gt_i32_e32 vcc_lo, 11, v3
	s_cbranch_vccnz .LBB71_2850
; %bb.2773:
	s_and_b32 s2, 0xffff, s6
	s_mov_b32 s8, -1
	s_mov_b32 s3, 0
	s_cmp_gt_i32 s2, 25
	s_mov_b32 s7, 0
	s_mov_b32 s0, 0
	s_cbranch_scc0 .LBB71_2806
; %bb.2774:
	s_cmp_gt_i32 s2, 28
	s_cbranch_scc0 .LBB71_2789
; %bb.2775:
	s_cmp_gt_i32 s2, 43
	;; [unrolled: 3-line block ×3, first 2 shown]
	s_cbranch_scc0 .LBB71_2779
; %bb.2777:
	s_mov_b32 s0, -1
	s_mov_b32 s8, 0
	s_cmp_eq_u32 s2, 46
	s_cbranch_scc0 .LBB71_2779
; %bb.2778:
	v_clz_i32_u32_e32 v1, v11
	s_mov_b32 s0, 0
	s_mov_b32 s7, -1
	s_delay_alu instid0(VALU_DEP_1) | instskip(NEXT) | instid1(VALU_DEP_1)
	v_min_u32_e32 v1, 32, v1
	v_lshlrev_b64_e32 v[12:13], v1, v[10:11]
	v_sub_nc_u32_e32 v1, 32, v1
	s_delay_alu instid0(VALU_DEP_2) | instskip(NEXT) | instid1(VALU_DEP_1)
	v_min_u32_e32 v3, 1, v12
	v_or_b32_e32 v3, v13, v3
	s_delay_alu instid0(VALU_DEP_1) | instskip(NEXT) | instid1(VALU_DEP_1)
	v_cvt_f32_u32_e32 v3, v3
	v_ldexp_f32 v1, v3, v1
	s_delay_alu instid0(VALU_DEP_1) | instskip(NEXT) | instid1(VALU_DEP_1)
	v_bfe_u32 v3, v1, 16, 1
	v_add3_u32 v1, v1, v3, 0x7fff
	s_delay_alu instid0(VALU_DEP_1)
	v_lshrrev_b32_e32 v1, 16, v1
	global_store_b32 v[6:7], v1, off
.LBB71_2779:
	s_and_b32 vcc_lo, exec_lo, s8
	s_cbranch_vccz .LBB71_2784
; %bb.2780:
	s_cmp_eq_u32 s2, 44
	s_mov_b32 s0, -1
	s_cbranch_scc0 .LBB71_2784
; %bb.2781:
	s_wait_xcnt 0x0
	v_clz_i32_u32_e32 v1, v11
	s_mov_b32 s7, exec_lo
	s_delay_alu instid0(VALU_DEP_1) | instskip(NEXT) | instid1(VALU_DEP_1)
	v_min_u32_e32 v1, 32, v1
	v_lshlrev_b64_e32 v[12:13], v1, v[10:11]
	v_sub_nc_u32_e32 v1, 32, v1
	s_delay_alu instid0(VALU_DEP_2) | instskip(NEXT) | instid1(VALU_DEP_1)
	v_min_u32_e32 v3, 1, v12
	v_or_b32_e32 v3, v13, v3
	s_delay_alu instid0(VALU_DEP_1) | instskip(NEXT) | instid1(VALU_DEP_1)
	v_cvt_f32_u32_e32 v3, v3
	v_ldexp_f32 v5, v3, v1
	v_mov_b32_e32 v3, 0xff
	s_delay_alu instid0(VALU_DEP_2) | instskip(NEXT) | instid1(VALU_DEP_1)
	v_lshrrev_b32_e32 v1, 23, v5
	v_cmpx_ne_u32_e32 0xff, v1
; %bb.2782:
	v_and_b32_e32 v3, 0x400000, v5
	v_and_or_b32 v5, 0x3fffff, v5, v1
	s_delay_alu instid0(VALU_DEP_2) | instskip(NEXT) | instid1(VALU_DEP_2)
	v_cmp_ne_u32_e32 vcc_lo, 0, v3
	v_cmp_ne_u32_e64 s0, 0, v5
	s_and_b32 s0, vcc_lo, s0
	s_delay_alu instid0(SALU_CYCLE_1) | instskip(NEXT) | instid1(VALU_DEP_1)
	v_cndmask_b32_e64 v3, 0, 1, s0
	v_add_nc_u32_e32 v3, v1, v3
; %bb.2783:
	s_or_b32 exec_lo, exec_lo, s7
	s_mov_b32 s0, 0
	s_mov_b32 s7, -1
	global_store_b8 v[6:7], v3, off
.LBB71_2784:
	s_mov_b32 s8, 0
.LBB71_2785:
	s_delay_alu instid0(SALU_CYCLE_1)
	s_and_b32 vcc_lo, exec_lo, s8
	s_cbranch_vccz .LBB71_2788
; %bb.2786:
	s_cmp_eq_u32 s2, 29
	s_mov_b32 s0, -1
	s_cbranch_scc0 .LBB71_2788
; %bb.2787:
	s_mov_b32 s0, 0
	s_mov_b32 s7, -1
	global_store_b64 v[6:7], v[10:11], off
.LBB71_2788:
	s_mov_b32 s8, 0
.LBB71_2789:
	s_delay_alu instid0(SALU_CYCLE_1)
	s_and_b32 vcc_lo, exec_lo, s8
	s_cbranch_vccz .LBB71_2805
; %bb.2790:
	s_cmp_lt_i32 s2, 27
	s_mov_b32 s7, -1
	s_cbranch_scc1 .LBB71_2796
; %bb.2791:
	s_cmp_gt_i32 s2, 27
	s_cbranch_scc0 .LBB71_2793
; %bb.2792:
	s_mov_b32 s7, 0
	global_store_b32 v[6:7], v10, off
.LBB71_2793:
	s_and_not1_b32 vcc_lo, exec_lo, s7
	s_cbranch_vccnz .LBB71_2795
; %bb.2794:
	global_store_b16 v[6:7], v10, off
.LBB71_2795:
	s_mov_b32 s7, 0
.LBB71_2796:
	s_delay_alu instid0(SALU_CYCLE_1)
	s_and_not1_b32 vcc_lo, exec_lo, s7
	s_cbranch_vccnz .LBB71_2804
; %bb.2797:
	s_wait_xcnt 0x0
	v_clz_i32_u32_e32 v1, v11
	v_mov_b32_e32 v5, 0x80
	s_mov_b32 s7, exec_lo
	s_delay_alu instid0(VALU_DEP_2) | instskip(NEXT) | instid1(VALU_DEP_1)
	v_min_u32_e32 v1, 32, v1
	v_lshlrev_b64_e32 v[12:13], v1, v[10:11]
	v_sub_nc_u32_e32 v1, 32, v1
	s_delay_alu instid0(VALU_DEP_2) | instskip(NEXT) | instid1(VALU_DEP_1)
	v_min_u32_e32 v3, 1, v12
	v_or_b32_e32 v3, v13, v3
	s_delay_alu instid0(VALU_DEP_1) | instskip(NEXT) | instid1(VALU_DEP_1)
	v_cvt_f32_u32_e32 v3, v3
	v_ldexp_f32 v3, v3, v1
	s_delay_alu instid0(VALU_DEP_1)
	v_cmpx_gt_u32_e32 0x43800000, v3
	s_cbranch_execz .LBB71_2803
; %bb.2798:
	s_mov_b32 s8, 0
	s_mov_b32 s9, exec_lo
                                        ; implicit-def: $vgpr1
	v_cmpx_lt_u32_e32 0x3bffffff, v3
	s_xor_b32 s9, exec_lo, s9
	s_cbranch_execz .LBB71_3208
; %bb.2799:
	v_bfe_u32 v1, v3, 20, 1
	s_mov_b32 s8, exec_lo
	s_delay_alu instid0(VALU_DEP_1) | instskip(NEXT) | instid1(VALU_DEP_1)
	v_add3_u32 v1, v3, v1, 0x487ffff
                                        ; implicit-def: $vgpr3
	v_lshrrev_b32_e32 v1, 20, v1
	s_and_not1_saveexec_b32 s9, s9
	s_cbranch_execnz .LBB71_3209
.LBB71_2800:
	s_or_b32 exec_lo, exec_lo, s9
	v_mov_b32_e32 v5, 0
	s_and_saveexec_b32 s9, s8
.LBB71_2801:
	v_mov_b32_e32 v5, v1
.LBB71_2802:
	s_or_b32 exec_lo, exec_lo, s9
.LBB71_2803:
	s_delay_alu instid0(SALU_CYCLE_1)
	s_or_b32 exec_lo, exec_lo, s7
	global_store_b8 v[6:7], v5, off
.LBB71_2804:
	s_mov_b32 s7, -1
.LBB71_2805:
	s_mov_b32 s8, 0
.LBB71_2806:
	s_delay_alu instid0(SALU_CYCLE_1)
	s_and_b32 vcc_lo, exec_lo, s8
	s_cbranch_vccz .LBB71_2846
; %bb.2807:
	s_cmp_gt_i32 s2, 22
	s_mov_b32 s3, -1
	s_cbranch_scc0 .LBB71_2839
; %bb.2808:
	s_cmp_lt_i32 s2, 24
	s_cbranch_scc1 .LBB71_2828
; %bb.2809:
	s_cmp_gt_i32 s2, 24
	s_cbranch_scc0 .LBB71_2817
; %bb.2810:
	s_wait_xcnt 0x0
	v_clz_i32_u32_e32 v1, v11
	v_mov_b32_e32 v5, 0x80
	s_mov_b32 s3, exec_lo
	s_delay_alu instid0(VALU_DEP_2) | instskip(NEXT) | instid1(VALU_DEP_1)
	v_min_u32_e32 v1, 32, v1
	v_lshlrev_b64_e32 v[12:13], v1, v[10:11]
	v_sub_nc_u32_e32 v1, 32, v1
	s_delay_alu instid0(VALU_DEP_2) | instskip(NEXT) | instid1(VALU_DEP_1)
	v_min_u32_e32 v3, 1, v12
	v_or_b32_e32 v3, v13, v3
	s_delay_alu instid0(VALU_DEP_1) | instskip(NEXT) | instid1(VALU_DEP_1)
	v_cvt_f32_u32_e32 v3, v3
	v_ldexp_f32 v3, v3, v1
	s_delay_alu instid0(VALU_DEP_1)
	v_cmpx_gt_u32_e32 0x47800000, v3
	s_cbranch_execz .LBB71_2816
; %bb.2811:
	s_mov_b32 s7, 0
	s_mov_b32 s8, exec_lo
                                        ; implicit-def: $vgpr1
	v_cmpx_lt_u32_e32 0x37ffffff, v3
	s_xor_b32 s8, exec_lo, s8
	s_cbranch_execz .LBB71_3211
; %bb.2812:
	v_bfe_u32 v1, v3, 21, 1
	s_mov_b32 s7, exec_lo
	s_delay_alu instid0(VALU_DEP_1) | instskip(NEXT) | instid1(VALU_DEP_1)
	v_add3_u32 v1, v3, v1, 0x88fffff
                                        ; implicit-def: $vgpr3
	v_lshrrev_b32_e32 v1, 21, v1
	s_and_not1_saveexec_b32 s8, s8
	s_cbranch_execnz .LBB71_3212
.LBB71_2813:
	s_or_b32 exec_lo, exec_lo, s8
	v_mov_b32_e32 v5, 0
	s_and_saveexec_b32 s8, s7
.LBB71_2814:
	v_mov_b32_e32 v5, v1
.LBB71_2815:
	s_or_b32 exec_lo, exec_lo, s8
.LBB71_2816:
	s_delay_alu instid0(SALU_CYCLE_1)
	s_or_b32 exec_lo, exec_lo, s3
	s_mov_b32 s3, 0
	global_store_b8 v[6:7], v5, off
.LBB71_2817:
	s_and_b32 vcc_lo, exec_lo, s3
	s_cbranch_vccz .LBB71_2827
; %bb.2818:
	s_wait_xcnt 0x0
	v_clz_i32_u32_e32 v1, v11
	s_mov_b32 s3, exec_lo
	s_delay_alu instid0(VALU_DEP_1) | instskip(NEXT) | instid1(VALU_DEP_1)
	v_min_u32_e32 v1, 32, v1
	v_lshlrev_b64_e32 v[12:13], v1, v[10:11]
	v_sub_nc_u32_e32 v1, 32, v1
	s_delay_alu instid0(VALU_DEP_2) | instskip(NEXT) | instid1(VALU_DEP_1)
	v_min_u32_e32 v3, 1, v12
	v_or_b32_e32 v3, v13, v3
	s_delay_alu instid0(VALU_DEP_1) | instskip(NEXT) | instid1(VALU_DEP_1)
	v_cvt_f32_u32_e32 v3, v3
	v_ldexp_f32 v3, v3, v1
                                        ; implicit-def: $vgpr1
	s_delay_alu instid0(VALU_DEP_1)
	v_cmpx_gt_u32_e32 0x43f00000, v3
	s_xor_b32 s3, exec_lo, s3
	s_cbranch_execz .LBB71_2824
; %bb.2819:
	s_mov_b32 s7, exec_lo
                                        ; implicit-def: $vgpr1
	v_cmpx_lt_u32_e32 0x3c7fffff, v3
	s_xor_b32 s7, exec_lo, s7
; %bb.2820:
	v_bfe_u32 v1, v3, 20, 1
	s_delay_alu instid0(VALU_DEP_1) | instskip(NEXT) | instid1(VALU_DEP_1)
	v_add3_u32 v1, v3, v1, 0x407ffff
	v_and_b32_e32 v3, 0xff00000, v1
	v_lshrrev_b32_e32 v1, 20, v1
	s_delay_alu instid0(VALU_DEP_2) | instskip(NEXT) | instid1(VALU_DEP_2)
	v_cmp_ne_u32_e32 vcc_lo, 0x7f00000, v3
                                        ; implicit-def: $vgpr3
	v_cndmask_b32_e32 v1, 0x7e, v1, vcc_lo
; %bb.2821:
	s_and_not1_saveexec_b32 s7, s7
; %bb.2822:
	v_add_f32_e32 v1, 0x46800000, v3
; %bb.2823:
	s_or_b32 exec_lo, exec_lo, s7
                                        ; implicit-def: $vgpr3
.LBB71_2824:
	s_and_not1_saveexec_b32 s3, s3
; %bb.2825:
	v_mov_b32_e32 v1, 0x7f
	v_cmp_lt_u32_e32 vcc_lo, 0x7f800000, v3
	s_delay_alu instid0(VALU_DEP_2)
	v_cndmask_b32_e32 v1, 0x7e, v1, vcc_lo
; %bb.2826:
	s_or_b32 exec_lo, exec_lo, s3
	global_store_b8 v[6:7], v1, off
.LBB71_2827:
	s_mov_b32 s3, 0
.LBB71_2828:
	s_delay_alu instid0(SALU_CYCLE_1)
	s_and_not1_b32 vcc_lo, exec_lo, s3
	s_cbranch_vccnz .LBB71_2838
; %bb.2829:
	s_wait_xcnt 0x0
	v_clz_i32_u32_e32 v1, v11
	s_mov_b32 s3, exec_lo
	s_delay_alu instid0(VALU_DEP_1) | instskip(NEXT) | instid1(VALU_DEP_1)
	v_min_u32_e32 v1, 32, v1
	v_lshlrev_b64_e32 v[12:13], v1, v[10:11]
	v_sub_nc_u32_e32 v1, 32, v1
	s_delay_alu instid0(VALU_DEP_2) | instskip(NEXT) | instid1(VALU_DEP_1)
	v_min_u32_e32 v3, 1, v12
	v_or_b32_e32 v3, v13, v3
	s_delay_alu instid0(VALU_DEP_1) | instskip(NEXT) | instid1(VALU_DEP_1)
	v_cvt_f32_u32_e32 v3, v3
	v_ldexp_f32 v3, v3, v1
                                        ; implicit-def: $vgpr1
	s_delay_alu instid0(VALU_DEP_1)
	v_cmpx_gt_u32_e32 0x47800000, v3
	s_xor_b32 s3, exec_lo, s3
	s_cbranch_execz .LBB71_2835
; %bb.2830:
	s_mov_b32 s7, exec_lo
                                        ; implicit-def: $vgpr1
	v_cmpx_lt_u32_e32 0x387fffff, v3
	s_xor_b32 s7, exec_lo, s7
; %bb.2831:
	v_bfe_u32 v1, v3, 21, 1
	s_delay_alu instid0(VALU_DEP_1) | instskip(NEXT) | instid1(VALU_DEP_1)
	v_add3_u32 v1, v3, v1, 0x80fffff
                                        ; implicit-def: $vgpr3
	v_lshrrev_b32_e32 v1, 21, v1
; %bb.2832:
	s_and_not1_saveexec_b32 s7, s7
; %bb.2833:
	v_add_f32_e32 v1, 0x43000000, v3
; %bb.2834:
	s_or_b32 exec_lo, exec_lo, s7
                                        ; implicit-def: $vgpr3
.LBB71_2835:
	s_and_not1_saveexec_b32 s3, s3
; %bb.2836:
	v_mov_b32_e32 v1, 0x7f
	v_cmp_lt_u32_e32 vcc_lo, 0x7f800000, v3
	s_delay_alu instid0(VALU_DEP_2)
	v_cndmask_b32_e32 v1, 0x7c, v1, vcc_lo
; %bb.2837:
	s_or_b32 exec_lo, exec_lo, s3
	global_store_b8 v[6:7], v1, off
.LBB71_2838:
	s_mov_b32 s3, 0
	s_mov_b32 s7, -1
.LBB71_2839:
	s_and_not1_b32 vcc_lo, exec_lo, s3
	s_mov_b32 s3, 0
	s_cbranch_vccnz .LBB71_2846
; %bb.2840:
	s_cmp_gt_i32 s2, 14
	s_mov_b32 s3, -1
	s_cbranch_scc0 .LBB71_2844
; %bb.2841:
	s_cmp_eq_u32 s2, 15
	s_mov_b32 s0, -1
	s_cbranch_scc0 .LBB71_2843
; %bb.2842:
	s_wait_xcnt 0x0
	v_clz_i32_u32_e32 v1, v11
	s_mov_b32 s0, 0
	s_mov_b32 s7, -1
	s_delay_alu instid0(VALU_DEP_1) | instskip(NEXT) | instid1(VALU_DEP_1)
	v_min_u32_e32 v1, 32, v1
	v_lshlrev_b64_e32 v[12:13], v1, v[10:11]
	v_sub_nc_u32_e32 v1, 32, v1
	s_delay_alu instid0(VALU_DEP_2) | instskip(NEXT) | instid1(VALU_DEP_1)
	v_min_u32_e32 v3, 1, v12
	v_or_b32_e32 v3, v13, v3
	s_delay_alu instid0(VALU_DEP_1) | instskip(NEXT) | instid1(VALU_DEP_1)
	v_cvt_f32_u32_e32 v3, v3
	v_ldexp_f32 v1, v3, v1
	s_delay_alu instid0(VALU_DEP_1) | instskip(NEXT) | instid1(VALU_DEP_1)
	v_bfe_u32 v3, v1, 16, 1
	v_add3_u32 v1, v1, v3, 0x7fff
	global_store_d16_hi_b16 v[6:7], v1, off
.LBB71_2843:
	s_mov_b32 s3, 0
.LBB71_2844:
	s_delay_alu instid0(SALU_CYCLE_1)
	s_and_b32 vcc_lo, exec_lo, s3
	s_mov_b32 s3, 0
	s_cbranch_vccz .LBB71_2846
; %bb.2845:
	s_cmp_lg_u32 s2, 11
	s_mov_b32 s3, -1
	s_cselect_b32 s0, -1, 0
.LBB71_2846:
	s_delay_alu instid0(SALU_CYCLE_1)
	s_and_b32 vcc_lo, exec_lo, s0
	s_cbranch_vccnz .LBB71_3210
; %bb.2847:
	s_and_not1_b32 vcc_lo, exec_lo, s3
	s_cbranch_vccnz .LBB71_2849
.LBB71_2848:
	v_cmp_ne_u64_e32 vcc_lo, 0, v[10:11]
	s_mov_b32 s7, -1
	s_wait_xcnt 0x0
	v_cndmask_b32_e64 v1, 0, 1, vcc_lo
	global_store_b8 v[6:7], v1, off
.LBB71_2849:
	s_mov_b32 s0, 0
	s_branch .LBB71_2851
.LBB71_2850:
	s_mov_b32 s0, -1
	s_mov_b32 s7, 0
.LBB71_2851:
	s_and_b32 vcc_lo, exec_lo, s0
	s_cbranch_vccz .LBB71_2890
; %bb.2852:
	s_and_b32 s0, 0xffff, s6
	s_mov_b32 s2, -1
	s_cmp_lt_i32 s0, 5
	s_cbranch_scc1 .LBB71_2873
; %bb.2853:
	s_cmp_lt_i32 s0, 8
	s_cbranch_scc1 .LBB71_2863
; %bb.2854:
	;; [unrolled: 3-line block ×3, first 2 shown]
	s_cmp_gt_i32 s0, 9
	s_cbranch_scc0 .LBB71_2857
; %bb.2856:
	v_cvt_f64_u32_e32 v[12:13], v11
	v_cvt_f64_u32_e32 v[18:19], v10
	s_mov_b32 s2, 0
	v_mov_b32_e32 v20, 0
	s_delay_alu instid0(VALU_DEP_1) | instskip(NEXT) | instid1(VALU_DEP_4)
	v_mov_b32_e32 v21, v20
	v_ldexp_f64 v[12:13], v[12:13], 32
	s_delay_alu instid0(VALU_DEP_1)
	v_add_f64_e32 v[18:19], v[12:13], v[18:19]
	global_store_b128 v[6:7], v[18:21], off
.LBB71_2857:
	s_and_not1_b32 vcc_lo, exec_lo, s2
	s_cbranch_vccnz .LBB71_2859
; %bb.2858:
	s_wait_xcnt 0x0
	v_clz_i32_u32_e32 v1, v11
	s_delay_alu instid0(VALU_DEP_1) | instskip(NEXT) | instid1(VALU_DEP_1)
	v_min_u32_e32 v1, 32, v1
	v_lshlrev_b64_e32 v[12:13], v1, v[10:11]
	v_sub_nc_u32_e32 v1, 32, v1
	s_delay_alu instid0(VALU_DEP_2) | instskip(NEXT) | instid1(VALU_DEP_1)
	v_min_u32_e32 v3, 1, v12
	v_dual_mov_b32 v13, 0 :: v_dual_bitop2_b32 v3, v13, v3 bitop3:0x54
	s_delay_alu instid0(VALU_DEP_1) | instskip(NEXT) | instid1(VALU_DEP_1)
	v_cvt_f32_u32_e32 v3, v3
	v_ldexp_f32 v12, v3, v1
	global_store_b64 v[6:7], v[12:13], off
.LBB71_2859:
	s_mov_b32 s2, 0
.LBB71_2860:
	s_delay_alu instid0(SALU_CYCLE_1)
	s_and_not1_b32 vcc_lo, exec_lo, s2
	s_cbranch_vccnz .LBB71_2862
; %bb.2861:
	s_wait_xcnt 0x0
	v_clz_i32_u32_e32 v1, v11
	s_delay_alu instid0(VALU_DEP_1) | instskip(NEXT) | instid1(VALU_DEP_1)
	v_min_u32_e32 v1, 32, v1
	v_lshlrev_b64_e32 v[12:13], v1, v[10:11]
	v_sub_nc_u32_e32 v1, 32, v1
	s_delay_alu instid0(VALU_DEP_2) | instskip(NEXT) | instid1(VALU_DEP_1)
	v_min_u32_e32 v3, 1, v12
	v_or_b32_e32 v3, v13, v3
	s_delay_alu instid0(VALU_DEP_1) | instskip(NEXT) | instid1(VALU_DEP_1)
	v_cvt_f32_u32_e32 v3, v3
	v_ldexp_f32 v1, v3, v1
	s_delay_alu instid0(VALU_DEP_1) | instskip(NEXT) | instid1(VALU_DEP_1)
	v_cvt_f16_f32_e32 v1, v1
	v_and_b32_e32 v1, 0xffff, v1
	global_store_b32 v[6:7], v1, off
.LBB71_2862:
	s_mov_b32 s2, 0
.LBB71_2863:
	s_delay_alu instid0(SALU_CYCLE_1)
	s_and_not1_b32 vcc_lo, exec_lo, s2
	s_cbranch_vccnz .LBB71_2872
; %bb.2864:
	s_cmp_lt_i32 s0, 6
	s_mov_b32 s2, -1
	s_cbranch_scc1 .LBB71_2870
; %bb.2865:
	s_cmp_gt_i32 s0, 6
	s_cbranch_scc0 .LBB71_2867
; %bb.2866:
	s_wait_xcnt 0x0
	v_cvt_f64_u32_e32 v[12:13], v11
	v_cvt_f64_u32_e32 v[18:19], v10
	s_mov_b32 s2, 0
	s_delay_alu instid0(VALU_DEP_2) | instskip(NEXT) | instid1(VALU_DEP_1)
	v_ldexp_f64 v[12:13], v[12:13], 32
	v_add_f64_e32 v[12:13], v[12:13], v[18:19]
	global_store_b64 v[6:7], v[12:13], off
.LBB71_2867:
	s_and_not1_b32 vcc_lo, exec_lo, s2
	s_cbranch_vccnz .LBB71_2869
; %bb.2868:
	s_wait_xcnt 0x0
	v_clz_i32_u32_e32 v1, v11
	s_delay_alu instid0(VALU_DEP_1) | instskip(NEXT) | instid1(VALU_DEP_1)
	v_min_u32_e32 v1, 32, v1
	v_lshlrev_b64_e32 v[12:13], v1, v[10:11]
	v_sub_nc_u32_e32 v1, 32, v1
	s_delay_alu instid0(VALU_DEP_2) | instskip(NEXT) | instid1(VALU_DEP_1)
	v_min_u32_e32 v3, 1, v12
	v_or_b32_e32 v3, v13, v3
	s_delay_alu instid0(VALU_DEP_1) | instskip(NEXT) | instid1(VALU_DEP_1)
	v_cvt_f32_u32_e32 v3, v3
	v_ldexp_f32 v1, v3, v1
	global_store_b32 v[6:7], v1, off
.LBB71_2869:
	s_mov_b32 s2, 0
.LBB71_2870:
	s_delay_alu instid0(SALU_CYCLE_1)
	s_and_not1_b32 vcc_lo, exec_lo, s2
	s_cbranch_vccnz .LBB71_2872
; %bb.2871:
	s_wait_xcnt 0x0
	v_clz_i32_u32_e32 v1, v11
	s_delay_alu instid0(VALU_DEP_1) | instskip(NEXT) | instid1(VALU_DEP_1)
	v_min_u32_e32 v1, 32, v1
	v_lshlrev_b64_e32 v[12:13], v1, v[10:11]
	v_sub_nc_u32_e32 v1, 32, v1
	s_delay_alu instid0(VALU_DEP_2) | instskip(NEXT) | instid1(VALU_DEP_1)
	v_min_u32_e32 v3, 1, v12
	v_or_b32_e32 v3, v13, v3
	s_delay_alu instid0(VALU_DEP_1) | instskip(NEXT) | instid1(VALU_DEP_1)
	v_cvt_f32_u32_e32 v3, v3
	v_ldexp_f32 v1, v3, v1
	s_delay_alu instid0(VALU_DEP_1)
	v_cvt_f16_f32_e32 v1, v1
	global_store_b16 v[6:7], v1, off
.LBB71_2872:
	s_mov_b32 s2, 0
.LBB71_2873:
	s_delay_alu instid0(SALU_CYCLE_1)
	s_and_not1_b32 vcc_lo, exec_lo, s2
	s_cbranch_vccnz .LBB71_2889
; %bb.2874:
	s_cmp_lt_i32 s0, 2
	s_mov_b32 s2, -1
	s_cbranch_scc1 .LBB71_2884
; %bb.2875:
	s_cmp_lt_i32 s0, 3
	s_cbranch_scc1 .LBB71_2881
; %bb.2876:
	s_cmp_gt_i32 s0, 3
	s_cbranch_scc0 .LBB71_2878
; %bb.2877:
	s_mov_b32 s2, 0
	global_store_b64 v[6:7], v[10:11], off
.LBB71_2878:
	s_and_not1_b32 vcc_lo, exec_lo, s2
	s_cbranch_vccnz .LBB71_2880
; %bb.2879:
	global_store_b32 v[6:7], v10, off
.LBB71_2880:
	s_mov_b32 s2, 0
.LBB71_2881:
	s_delay_alu instid0(SALU_CYCLE_1)
	s_and_not1_b32 vcc_lo, exec_lo, s2
	s_cbranch_vccnz .LBB71_2883
; %bb.2882:
	global_store_b16 v[6:7], v10, off
.LBB71_2883:
	s_mov_b32 s2, 0
.LBB71_2884:
	s_delay_alu instid0(SALU_CYCLE_1)
	s_and_not1_b32 vcc_lo, exec_lo, s2
	s_cbranch_vccnz .LBB71_2889
; %bb.2885:
	s_cmp_gt_i32 s0, 0
	s_mov_b32 s0, -1
	s_cbranch_scc0 .LBB71_2887
; %bb.2886:
	s_mov_b32 s0, 0
	global_store_b8 v[6:7], v10, off
.LBB71_2887:
	s_and_not1_b32 vcc_lo, exec_lo, s0
	s_cbranch_vccnz .LBB71_2889
; %bb.2888:
	global_store_b8 v[6:7], v10, off
.LBB71_2889:
	s_mov_b32 s7, -1
.LBB71_2890:
	s_delay_alu instid0(SALU_CYCLE_1)
	s_and_not1_b32 vcc_lo, exec_lo, s7
	s_cbranch_vccnz .LBB71_3205
; %bb.2891:
	s_wait_xcnt 0x0
	v_mov_b32_e32 v5, 0
	s_and_b32 s2, 0xffff, s6
	s_delay_alu instid0(SALU_CYCLE_1) | instskip(NEXT) | instid1(VALU_DEP_1)
	s_cmp_lt_i32 s2, 11
	v_add_nc_u64_e32 v[4:5], s[4:5], v[4:5]
	s_cbranch_scc1 .LBB71_2969
; %bb.2892:
	s_mov_b32 s8, -1
	s_mov_b32 s3, 0
	s_cmp_gt_i32 s2, 25
	s_mov_b32 s7, 0
	s_mov_b32 s0, 0
	s_cbranch_scc0 .LBB71_2925
; %bb.2893:
	s_cmp_gt_i32 s2, 28
	s_cbranch_scc0 .LBB71_2908
; %bb.2894:
	s_cmp_gt_i32 s2, 43
	;; [unrolled: 3-line block ×3, first 2 shown]
	s_cbranch_scc0 .LBB71_2898
; %bb.2896:
	s_mov_b32 s0, -1
	s_mov_b32 s8, 0
	s_cmp_eq_u32 s2, 46
	s_cbranch_scc0 .LBB71_2898
; %bb.2897:
	v_clz_i32_u32_e32 v1, v15
	s_mov_b32 s0, 0
	s_mov_b32 s7, -1
	s_delay_alu instid0(VALU_DEP_1) | instskip(NEXT) | instid1(VALU_DEP_1)
	v_min_u32_e32 v1, 32, v1
	v_lshlrev_b64_e32 v[6:7], v1, v[14:15]
	v_sub_nc_u32_e32 v1, 32, v1
	s_delay_alu instid0(VALU_DEP_2) | instskip(NEXT) | instid1(VALU_DEP_1)
	v_min_u32_e32 v3, 1, v6
	v_or_b32_e32 v3, v7, v3
	s_delay_alu instid0(VALU_DEP_1) | instskip(NEXT) | instid1(VALU_DEP_1)
	v_cvt_f32_u32_e32 v3, v3
	v_ldexp_f32 v1, v3, v1
	s_delay_alu instid0(VALU_DEP_1) | instskip(NEXT) | instid1(VALU_DEP_1)
	v_bfe_u32 v3, v1, 16, 1
	v_add3_u32 v1, v1, v3, 0x7fff
	s_delay_alu instid0(VALU_DEP_1)
	v_lshrrev_b32_e32 v1, 16, v1
	global_store_b32 v[4:5], v1, off
.LBB71_2898:
	s_and_b32 vcc_lo, exec_lo, s8
	s_cbranch_vccz .LBB71_2903
; %bb.2899:
	s_cmp_eq_u32 s2, 44
	s_mov_b32 s0, -1
	s_cbranch_scc0 .LBB71_2903
; %bb.2900:
	s_wait_xcnt 0x0
	v_clz_i32_u32_e32 v1, v15
	s_mov_b32 s7, exec_lo
	s_delay_alu instid0(VALU_DEP_1) | instskip(NEXT) | instid1(VALU_DEP_1)
	v_min_u32_e32 v1, 32, v1
	v_lshlrev_b64_e32 v[6:7], v1, v[14:15]
	v_sub_nc_u32_e32 v1, 32, v1
	s_delay_alu instid0(VALU_DEP_2) | instskip(NEXT) | instid1(VALU_DEP_1)
	v_min_u32_e32 v3, 1, v6
	v_or_b32_e32 v3, v7, v3
	s_delay_alu instid0(VALU_DEP_1) | instskip(NEXT) | instid1(VALU_DEP_1)
	v_cvt_f32_u32_e32 v3, v3
	v_ldexp_f32 v6, v3, v1
	v_mov_b32_e32 v3, 0xff
	s_delay_alu instid0(VALU_DEP_2) | instskip(NEXT) | instid1(VALU_DEP_1)
	v_lshrrev_b32_e32 v1, 23, v6
	v_cmpx_ne_u32_e32 0xff, v1
; %bb.2901:
	v_and_b32_e32 v3, 0x400000, v6
	v_and_or_b32 v6, 0x3fffff, v6, v1
	s_delay_alu instid0(VALU_DEP_2) | instskip(NEXT) | instid1(VALU_DEP_2)
	v_cmp_ne_u32_e32 vcc_lo, 0, v3
	v_cmp_ne_u32_e64 s0, 0, v6
	s_and_b32 s0, vcc_lo, s0
	s_delay_alu instid0(SALU_CYCLE_1) | instskip(NEXT) | instid1(VALU_DEP_1)
	v_cndmask_b32_e64 v3, 0, 1, s0
	v_add_nc_u32_e32 v3, v1, v3
; %bb.2902:
	s_or_b32 exec_lo, exec_lo, s7
	s_mov_b32 s0, 0
	s_mov_b32 s7, -1
	global_store_b8 v[4:5], v3, off
.LBB71_2903:
	s_mov_b32 s8, 0
.LBB71_2904:
	s_delay_alu instid0(SALU_CYCLE_1)
	s_and_b32 vcc_lo, exec_lo, s8
	s_cbranch_vccz .LBB71_2907
; %bb.2905:
	s_cmp_eq_u32 s2, 29
	s_mov_b32 s0, -1
	s_cbranch_scc0 .LBB71_2907
; %bb.2906:
	s_mov_b32 s0, 0
	s_mov_b32 s7, -1
	global_store_b64 v[4:5], v[14:15], off
.LBB71_2907:
	s_mov_b32 s8, 0
.LBB71_2908:
	s_delay_alu instid0(SALU_CYCLE_1)
	s_and_b32 vcc_lo, exec_lo, s8
	s_cbranch_vccz .LBB71_2924
; %bb.2909:
	s_cmp_lt_i32 s2, 27
	s_mov_b32 s7, -1
	s_cbranch_scc1 .LBB71_2915
; %bb.2910:
	s_cmp_gt_i32 s2, 27
	s_cbranch_scc0 .LBB71_2912
; %bb.2911:
	s_mov_b32 s7, 0
	global_store_b32 v[4:5], v14, off
.LBB71_2912:
	s_and_not1_b32 vcc_lo, exec_lo, s7
	s_cbranch_vccnz .LBB71_2914
; %bb.2913:
	global_store_b16 v[4:5], v14, off
.LBB71_2914:
	s_mov_b32 s7, 0
.LBB71_2915:
	s_delay_alu instid0(SALU_CYCLE_1)
	s_and_not1_b32 vcc_lo, exec_lo, s7
	s_cbranch_vccnz .LBB71_2923
; %bb.2916:
	s_wait_xcnt 0x0
	v_clz_i32_u32_e32 v1, v15
	s_mov_b32 s7, exec_lo
	s_delay_alu instid0(VALU_DEP_1) | instskip(NEXT) | instid1(VALU_DEP_1)
	v_min_u32_e32 v1, 32, v1
	v_lshlrev_b64_e32 v[6:7], v1, v[14:15]
	v_sub_nc_u32_e32 v1, 32, v1
	s_delay_alu instid0(VALU_DEP_2) | instskip(SKIP_1) | instid1(VALU_DEP_2)
	v_min_u32_e32 v3, 1, v6
	v_mov_b32_e32 v6, 0x80
	v_or_b32_e32 v3, v7, v3
	s_delay_alu instid0(VALU_DEP_1) | instskip(NEXT) | instid1(VALU_DEP_1)
	v_cvt_f32_u32_e32 v3, v3
	v_ldexp_f32 v3, v3, v1
	s_delay_alu instid0(VALU_DEP_1)
	v_cmpx_gt_u32_e32 0x43800000, v3
	s_cbranch_execz .LBB71_2922
; %bb.2917:
	s_mov_b32 s8, 0
	s_mov_b32 s9, exec_lo
                                        ; implicit-def: $vgpr1
	v_cmpx_lt_u32_e32 0x3bffffff, v3
	s_xor_b32 s9, exec_lo, s9
	s_cbranch_execz .LBB71_3213
; %bb.2918:
	v_bfe_u32 v1, v3, 20, 1
	s_mov_b32 s8, exec_lo
	s_delay_alu instid0(VALU_DEP_1) | instskip(NEXT) | instid1(VALU_DEP_1)
	v_add3_u32 v1, v3, v1, 0x487ffff
                                        ; implicit-def: $vgpr3
	v_lshrrev_b32_e32 v1, 20, v1
	s_and_not1_saveexec_b32 s9, s9
	s_cbranch_execnz .LBB71_3214
.LBB71_2919:
	s_or_b32 exec_lo, exec_lo, s9
	v_mov_b32_e32 v6, 0
	s_and_saveexec_b32 s9, s8
.LBB71_2920:
	v_mov_b32_e32 v6, v1
.LBB71_2921:
	s_or_b32 exec_lo, exec_lo, s9
.LBB71_2922:
	s_delay_alu instid0(SALU_CYCLE_1)
	s_or_b32 exec_lo, exec_lo, s7
	global_store_b8 v[4:5], v6, off
.LBB71_2923:
	s_mov_b32 s7, -1
.LBB71_2924:
	s_mov_b32 s8, 0
.LBB71_2925:
	s_delay_alu instid0(SALU_CYCLE_1)
	s_and_b32 vcc_lo, exec_lo, s8
	s_cbranch_vccz .LBB71_2965
; %bb.2926:
	s_cmp_gt_i32 s2, 22
	s_mov_b32 s3, -1
	s_cbranch_scc0 .LBB71_2958
; %bb.2927:
	s_cmp_lt_i32 s2, 24
	s_cbranch_scc1 .LBB71_2947
; %bb.2928:
	s_cmp_gt_i32 s2, 24
	s_cbranch_scc0 .LBB71_2936
; %bb.2929:
	s_wait_xcnt 0x0
	v_clz_i32_u32_e32 v1, v15
	s_mov_b32 s3, exec_lo
	s_delay_alu instid0(VALU_DEP_1) | instskip(NEXT) | instid1(VALU_DEP_1)
	v_min_u32_e32 v1, 32, v1
	v_lshlrev_b64_e32 v[6:7], v1, v[14:15]
	v_sub_nc_u32_e32 v1, 32, v1
	s_delay_alu instid0(VALU_DEP_2) | instskip(SKIP_1) | instid1(VALU_DEP_2)
	v_min_u32_e32 v3, 1, v6
	v_mov_b32_e32 v6, 0x80
	v_or_b32_e32 v3, v7, v3
	s_delay_alu instid0(VALU_DEP_1) | instskip(NEXT) | instid1(VALU_DEP_1)
	v_cvt_f32_u32_e32 v3, v3
	v_ldexp_f32 v3, v3, v1
	s_delay_alu instid0(VALU_DEP_1)
	v_cmpx_gt_u32_e32 0x47800000, v3
	s_cbranch_execz .LBB71_2935
; %bb.2930:
	s_mov_b32 s7, 0
	s_mov_b32 s8, exec_lo
                                        ; implicit-def: $vgpr1
	v_cmpx_lt_u32_e32 0x37ffffff, v3
	s_xor_b32 s8, exec_lo, s8
	s_cbranch_execz .LBB71_3216
; %bb.2931:
	v_bfe_u32 v1, v3, 21, 1
	s_mov_b32 s7, exec_lo
	s_delay_alu instid0(VALU_DEP_1) | instskip(NEXT) | instid1(VALU_DEP_1)
	v_add3_u32 v1, v3, v1, 0x88fffff
                                        ; implicit-def: $vgpr3
	v_lshrrev_b32_e32 v1, 21, v1
	s_and_not1_saveexec_b32 s8, s8
	s_cbranch_execnz .LBB71_3217
.LBB71_2932:
	s_or_b32 exec_lo, exec_lo, s8
	v_mov_b32_e32 v6, 0
	s_and_saveexec_b32 s8, s7
.LBB71_2933:
	v_mov_b32_e32 v6, v1
.LBB71_2934:
	s_or_b32 exec_lo, exec_lo, s8
.LBB71_2935:
	s_delay_alu instid0(SALU_CYCLE_1)
	s_or_b32 exec_lo, exec_lo, s3
	s_mov_b32 s3, 0
	global_store_b8 v[4:5], v6, off
.LBB71_2936:
	s_and_b32 vcc_lo, exec_lo, s3
	s_cbranch_vccz .LBB71_2946
; %bb.2937:
	s_wait_xcnt 0x0
	v_clz_i32_u32_e32 v1, v15
	s_mov_b32 s3, exec_lo
	s_delay_alu instid0(VALU_DEP_1) | instskip(NEXT) | instid1(VALU_DEP_1)
	v_min_u32_e32 v1, 32, v1
	v_lshlrev_b64_e32 v[6:7], v1, v[14:15]
	v_sub_nc_u32_e32 v1, 32, v1
	s_delay_alu instid0(VALU_DEP_2) | instskip(NEXT) | instid1(VALU_DEP_1)
	v_min_u32_e32 v3, 1, v6
	v_or_b32_e32 v3, v7, v3
	s_delay_alu instid0(VALU_DEP_1) | instskip(NEXT) | instid1(VALU_DEP_1)
	v_cvt_f32_u32_e32 v3, v3
	v_ldexp_f32 v3, v3, v1
                                        ; implicit-def: $vgpr1
	s_delay_alu instid0(VALU_DEP_1)
	v_cmpx_gt_u32_e32 0x43f00000, v3
	s_xor_b32 s3, exec_lo, s3
	s_cbranch_execz .LBB71_2943
; %bb.2938:
	s_mov_b32 s7, exec_lo
                                        ; implicit-def: $vgpr1
	v_cmpx_lt_u32_e32 0x3c7fffff, v3
	s_xor_b32 s7, exec_lo, s7
; %bb.2939:
	v_bfe_u32 v1, v3, 20, 1
	s_delay_alu instid0(VALU_DEP_1) | instskip(NEXT) | instid1(VALU_DEP_1)
	v_add3_u32 v1, v3, v1, 0x407ffff
	v_and_b32_e32 v3, 0xff00000, v1
	v_lshrrev_b32_e32 v1, 20, v1
	s_delay_alu instid0(VALU_DEP_2) | instskip(NEXT) | instid1(VALU_DEP_2)
	v_cmp_ne_u32_e32 vcc_lo, 0x7f00000, v3
                                        ; implicit-def: $vgpr3
	v_cndmask_b32_e32 v1, 0x7e, v1, vcc_lo
; %bb.2940:
	s_and_not1_saveexec_b32 s7, s7
; %bb.2941:
	v_add_f32_e32 v1, 0x46800000, v3
; %bb.2942:
	s_or_b32 exec_lo, exec_lo, s7
                                        ; implicit-def: $vgpr3
.LBB71_2943:
	s_and_not1_saveexec_b32 s3, s3
; %bb.2944:
	v_mov_b32_e32 v1, 0x7f
	v_cmp_lt_u32_e32 vcc_lo, 0x7f800000, v3
	s_delay_alu instid0(VALU_DEP_2)
	v_cndmask_b32_e32 v1, 0x7e, v1, vcc_lo
; %bb.2945:
	s_or_b32 exec_lo, exec_lo, s3
	global_store_b8 v[4:5], v1, off
.LBB71_2946:
	s_mov_b32 s3, 0
.LBB71_2947:
	s_delay_alu instid0(SALU_CYCLE_1)
	s_and_not1_b32 vcc_lo, exec_lo, s3
	s_cbranch_vccnz .LBB71_2957
; %bb.2948:
	s_wait_xcnt 0x0
	v_clz_i32_u32_e32 v1, v15
	s_mov_b32 s3, exec_lo
	s_delay_alu instid0(VALU_DEP_1) | instskip(NEXT) | instid1(VALU_DEP_1)
	v_min_u32_e32 v1, 32, v1
	v_lshlrev_b64_e32 v[6:7], v1, v[14:15]
	v_sub_nc_u32_e32 v1, 32, v1
	s_delay_alu instid0(VALU_DEP_2) | instskip(NEXT) | instid1(VALU_DEP_1)
	v_min_u32_e32 v3, 1, v6
	v_or_b32_e32 v3, v7, v3
	s_delay_alu instid0(VALU_DEP_1) | instskip(NEXT) | instid1(VALU_DEP_1)
	v_cvt_f32_u32_e32 v3, v3
	v_ldexp_f32 v3, v3, v1
                                        ; implicit-def: $vgpr1
	s_delay_alu instid0(VALU_DEP_1)
	v_cmpx_gt_u32_e32 0x47800000, v3
	s_xor_b32 s3, exec_lo, s3
	s_cbranch_execz .LBB71_2954
; %bb.2949:
	s_mov_b32 s7, exec_lo
                                        ; implicit-def: $vgpr1
	v_cmpx_lt_u32_e32 0x387fffff, v3
	s_xor_b32 s7, exec_lo, s7
; %bb.2950:
	v_bfe_u32 v1, v3, 21, 1
	s_delay_alu instid0(VALU_DEP_1) | instskip(NEXT) | instid1(VALU_DEP_1)
	v_add3_u32 v1, v3, v1, 0x80fffff
                                        ; implicit-def: $vgpr3
	v_lshrrev_b32_e32 v1, 21, v1
; %bb.2951:
	s_and_not1_saveexec_b32 s7, s7
; %bb.2952:
	v_add_f32_e32 v1, 0x43000000, v3
; %bb.2953:
	s_or_b32 exec_lo, exec_lo, s7
                                        ; implicit-def: $vgpr3
.LBB71_2954:
	s_and_not1_saveexec_b32 s3, s3
; %bb.2955:
	v_mov_b32_e32 v1, 0x7f
	v_cmp_lt_u32_e32 vcc_lo, 0x7f800000, v3
	s_delay_alu instid0(VALU_DEP_2)
	v_cndmask_b32_e32 v1, 0x7c, v1, vcc_lo
; %bb.2956:
	s_or_b32 exec_lo, exec_lo, s3
	global_store_b8 v[4:5], v1, off
.LBB71_2957:
	s_mov_b32 s3, 0
	s_mov_b32 s7, -1
.LBB71_2958:
	s_and_not1_b32 vcc_lo, exec_lo, s3
	s_mov_b32 s3, 0
	s_cbranch_vccnz .LBB71_2965
; %bb.2959:
	s_cmp_gt_i32 s2, 14
	s_mov_b32 s3, -1
	s_cbranch_scc0 .LBB71_2963
; %bb.2960:
	s_cmp_eq_u32 s2, 15
	s_mov_b32 s0, -1
	s_cbranch_scc0 .LBB71_2962
; %bb.2961:
	s_wait_xcnt 0x0
	v_clz_i32_u32_e32 v1, v15
	s_mov_b32 s0, 0
	s_mov_b32 s7, -1
	s_delay_alu instid0(VALU_DEP_1) | instskip(NEXT) | instid1(VALU_DEP_1)
	v_min_u32_e32 v1, 32, v1
	v_lshlrev_b64_e32 v[6:7], v1, v[14:15]
	v_sub_nc_u32_e32 v1, 32, v1
	s_delay_alu instid0(VALU_DEP_2) | instskip(NEXT) | instid1(VALU_DEP_1)
	v_min_u32_e32 v3, 1, v6
	v_or_b32_e32 v3, v7, v3
	s_delay_alu instid0(VALU_DEP_1) | instskip(NEXT) | instid1(VALU_DEP_1)
	v_cvt_f32_u32_e32 v3, v3
	v_ldexp_f32 v1, v3, v1
	s_delay_alu instid0(VALU_DEP_1) | instskip(NEXT) | instid1(VALU_DEP_1)
	v_bfe_u32 v3, v1, 16, 1
	v_add3_u32 v1, v1, v3, 0x7fff
	global_store_d16_hi_b16 v[4:5], v1, off
.LBB71_2962:
	s_mov_b32 s3, 0
.LBB71_2963:
	s_delay_alu instid0(SALU_CYCLE_1)
	s_and_b32 vcc_lo, exec_lo, s3
	s_mov_b32 s3, 0
	s_cbranch_vccz .LBB71_2965
; %bb.2964:
	s_cmp_lg_u32 s2, 11
	s_mov_b32 s3, -1
	s_cselect_b32 s0, -1, 0
.LBB71_2965:
	s_delay_alu instid0(SALU_CYCLE_1)
	s_and_b32 vcc_lo, exec_lo, s0
	s_cbranch_vccnz .LBB71_3215
; %bb.2966:
	s_and_not1_b32 vcc_lo, exec_lo, s3
	s_cbranch_vccnz .LBB71_2968
.LBB71_2967:
	v_cmp_ne_u64_e32 vcc_lo, 0, v[14:15]
	s_mov_b32 s7, -1
	s_wait_xcnt 0x0
	v_cndmask_b32_e64 v1, 0, 1, vcc_lo
	global_store_b8 v[4:5], v1, off
.LBB71_2968:
	s_mov_b32 s0, 0
	s_branch .LBB71_2970
.LBB71_2969:
	s_mov_b32 s0, -1
	s_mov_b32 s7, 0
.LBB71_2970:
	s_and_b32 vcc_lo, exec_lo, s0
	s_cbranch_vccz .LBB71_3009
; %bb.2971:
	s_cmp_lt_i32 s2, 5
	s_mov_b32 s0, -1
	s_cbranch_scc1 .LBB71_2992
; %bb.2972:
	s_cmp_lt_i32 s2, 8
	s_cbranch_scc1 .LBB71_2982
; %bb.2973:
	s_cmp_lt_i32 s2, 9
	s_cbranch_scc1 .LBB71_2979
; %bb.2974:
	s_cmp_gt_i32 s2, 9
	s_cbranch_scc0 .LBB71_2976
; %bb.2975:
	s_wait_xcnt 0x0
	v_cvt_f64_u32_e32 v[6:7], v15
	v_cvt_f64_u32_e32 v[10:11], v14
	s_mov_b32 s0, 0
	v_mov_b32_e32 v12, 0
	s_delay_alu instid0(VALU_DEP_1) | instskip(NEXT) | instid1(VALU_DEP_4)
	v_mov_b32_e32 v13, v12
	v_ldexp_f64 v[6:7], v[6:7], 32
	s_delay_alu instid0(VALU_DEP_1)
	v_add_f64_e32 v[10:11], v[6:7], v[10:11]
	global_store_b128 v[4:5], v[10:13], off
.LBB71_2976:
	s_and_not1_b32 vcc_lo, exec_lo, s0
	s_cbranch_vccnz .LBB71_2978
; %bb.2977:
	s_wait_xcnt 0x0
	v_clz_i32_u32_e32 v1, v15
	s_delay_alu instid0(VALU_DEP_1) | instskip(NEXT) | instid1(VALU_DEP_1)
	v_min_u32_e32 v1, 32, v1
	v_lshlrev_b64_e32 v[6:7], v1, v[14:15]
	v_sub_nc_u32_e32 v1, 32, v1
	s_delay_alu instid0(VALU_DEP_2) | instskip(NEXT) | instid1(VALU_DEP_1)
	v_min_u32_e32 v3, 1, v6
	v_dual_mov_b32 v7, 0 :: v_dual_bitop2_b32 v3, v7, v3 bitop3:0x54
	s_delay_alu instid0(VALU_DEP_1) | instskip(NEXT) | instid1(VALU_DEP_1)
	v_cvt_f32_u32_e32 v3, v3
	v_ldexp_f32 v6, v3, v1
	global_store_b64 v[4:5], v[6:7], off
.LBB71_2978:
	s_mov_b32 s0, 0
.LBB71_2979:
	s_delay_alu instid0(SALU_CYCLE_1)
	s_and_not1_b32 vcc_lo, exec_lo, s0
	s_cbranch_vccnz .LBB71_2981
; %bb.2980:
	s_wait_xcnt 0x0
	v_clz_i32_u32_e32 v1, v15
	s_delay_alu instid0(VALU_DEP_1) | instskip(NEXT) | instid1(VALU_DEP_1)
	v_min_u32_e32 v1, 32, v1
	v_lshlrev_b64_e32 v[6:7], v1, v[14:15]
	v_sub_nc_u32_e32 v1, 32, v1
	s_delay_alu instid0(VALU_DEP_2) | instskip(NEXT) | instid1(VALU_DEP_1)
	v_min_u32_e32 v3, 1, v6
	v_or_b32_e32 v3, v7, v3
	s_delay_alu instid0(VALU_DEP_1) | instskip(NEXT) | instid1(VALU_DEP_1)
	v_cvt_f32_u32_e32 v3, v3
	v_ldexp_f32 v1, v3, v1
	s_delay_alu instid0(VALU_DEP_1) | instskip(NEXT) | instid1(VALU_DEP_1)
	v_cvt_f16_f32_e32 v1, v1
	v_and_b32_e32 v1, 0xffff, v1
	global_store_b32 v[4:5], v1, off
.LBB71_2981:
	s_mov_b32 s0, 0
.LBB71_2982:
	s_delay_alu instid0(SALU_CYCLE_1)
	s_and_not1_b32 vcc_lo, exec_lo, s0
	s_cbranch_vccnz .LBB71_2991
; %bb.2983:
	s_cmp_lt_i32 s2, 6
	s_mov_b32 s0, -1
	s_cbranch_scc1 .LBB71_2989
; %bb.2984:
	s_cmp_gt_i32 s2, 6
	s_cbranch_scc0 .LBB71_2986
; %bb.2985:
	s_wait_xcnt 0x0
	v_cvt_f64_u32_e32 v[6:7], v15
	v_cvt_f64_u32_e32 v[10:11], v14
	s_mov_b32 s0, 0
	s_delay_alu instid0(VALU_DEP_2) | instskip(NEXT) | instid1(VALU_DEP_1)
	v_ldexp_f64 v[6:7], v[6:7], 32
	v_add_f64_e32 v[6:7], v[6:7], v[10:11]
	global_store_b64 v[4:5], v[6:7], off
.LBB71_2986:
	s_and_not1_b32 vcc_lo, exec_lo, s0
	s_cbranch_vccnz .LBB71_2988
; %bb.2987:
	s_wait_xcnt 0x0
	v_clz_i32_u32_e32 v1, v15
	s_delay_alu instid0(VALU_DEP_1) | instskip(NEXT) | instid1(VALU_DEP_1)
	v_min_u32_e32 v1, 32, v1
	v_lshlrev_b64_e32 v[6:7], v1, v[14:15]
	v_sub_nc_u32_e32 v1, 32, v1
	s_delay_alu instid0(VALU_DEP_2) | instskip(NEXT) | instid1(VALU_DEP_1)
	v_min_u32_e32 v3, 1, v6
	v_or_b32_e32 v3, v7, v3
	s_delay_alu instid0(VALU_DEP_1) | instskip(NEXT) | instid1(VALU_DEP_1)
	v_cvt_f32_u32_e32 v3, v3
	v_ldexp_f32 v1, v3, v1
	global_store_b32 v[4:5], v1, off
.LBB71_2988:
	s_mov_b32 s0, 0
.LBB71_2989:
	s_delay_alu instid0(SALU_CYCLE_1)
	s_and_not1_b32 vcc_lo, exec_lo, s0
	s_cbranch_vccnz .LBB71_2991
; %bb.2990:
	s_wait_xcnt 0x0
	v_clz_i32_u32_e32 v1, v15
	s_delay_alu instid0(VALU_DEP_1) | instskip(NEXT) | instid1(VALU_DEP_1)
	v_min_u32_e32 v1, 32, v1
	v_lshlrev_b64_e32 v[6:7], v1, v[14:15]
	v_sub_nc_u32_e32 v1, 32, v1
	s_delay_alu instid0(VALU_DEP_2) | instskip(NEXT) | instid1(VALU_DEP_1)
	v_min_u32_e32 v3, 1, v6
	v_or_b32_e32 v3, v7, v3
	s_delay_alu instid0(VALU_DEP_1) | instskip(NEXT) | instid1(VALU_DEP_1)
	v_cvt_f32_u32_e32 v3, v3
	v_ldexp_f32 v1, v3, v1
	s_delay_alu instid0(VALU_DEP_1)
	v_cvt_f16_f32_e32 v1, v1
	global_store_b16 v[4:5], v1, off
.LBB71_2991:
	s_mov_b32 s0, 0
.LBB71_2992:
	s_delay_alu instid0(SALU_CYCLE_1)
	s_and_not1_b32 vcc_lo, exec_lo, s0
	s_cbranch_vccnz .LBB71_3008
; %bb.2993:
	s_cmp_lt_i32 s2, 2
	s_mov_b32 s0, -1
	s_cbranch_scc1 .LBB71_3003
; %bb.2994:
	s_cmp_lt_i32 s2, 3
	s_cbranch_scc1 .LBB71_3000
; %bb.2995:
	s_cmp_gt_i32 s2, 3
	s_cbranch_scc0 .LBB71_2997
; %bb.2996:
	s_mov_b32 s0, 0
	global_store_b64 v[4:5], v[14:15], off
.LBB71_2997:
	s_and_not1_b32 vcc_lo, exec_lo, s0
	s_cbranch_vccnz .LBB71_2999
; %bb.2998:
	global_store_b32 v[4:5], v14, off
.LBB71_2999:
	s_mov_b32 s0, 0
.LBB71_3000:
	s_delay_alu instid0(SALU_CYCLE_1)
	s_and_not1_b32 vcc_lo, exec_lo, s0
	s_cbranch_vccnz .LBB71_3002
; %bb.3001:
	global_store_b16 v[4:5], v14, off
.LBB71_3002:
	s_mov_b32 s0, 0
.LBB71_3003:
	s_delay_alu instid0(SALU_CYCLE_1)
	s_and_not1_b32 vcc_lo, exec_lo, s0
	s_cbranch_vccnz .LBB71_3008
; %bb.3004:
	s_cmp_gt_i32 s2, 0
	s_mov_b32 s0, -1
	s_cbranch_scc0 .LBB71_3006
; %bb.3005:
	s_mov_b32 s0, 0
	global_store_b8 v[4:5], v14, off
.LBB71_3006:
	s_and_not1_b32 vcc_lo, exec_lo, s0
	s_cbranch_vccnz .LBB71_3008
; %bb.3007:
	global_store_b8 v[4:5], v14, off
.LBB71_3008:
	s_mov_b32 s7, -1
.LBB71_3009:
	s_delay_alu instid0(SALU_CYCLE_1)
	s_and_not1_b32 vcc_lo, exec_lo, s7
	s_cbranch_vccnz .LBB71_3205
; %bb.3010:
	s_wait_xcnt 0x0
	v_mov_b32_e32 v3, 0
	s_cmp_lt_i32 s2, 11
	s_delay_alu instid0(VALU_DEP_1)
	v_add_nc_u64_e32 v[2:3], s[4:5], v[2:3]
	s_cbranch_scc1 .LBB71_3088
; %bb.3011:
	s_mov_b32 s8, -1
	s_mov_b32 s3, 0
	s_cmp_gt_i32 s2, 25
	s_mov_b32 s7, 0
	s_mov_b32 s0, 0
	s_cbranch_scc0 .LBB71_3044
; %bb.3012:
	s_cmp_gt_i32 s2, 28
	s_cbranch_scc0 .LBB71_3027
; %bb.3013:
	s_cmp_gt_i32 s2, 43
	;; [unrolled: 3-line block ×3, first 2 shown]
	s_cbranch_scc0 .LBB71_3017
; %bb.3015:
	s_mov_b32 s0, -1
	s_mov_b32 s8, 0
	s_cmp_eq_u32 s2, 46
	s_cbranch_scc0 .LBB71_3017
; %bb.3016:
	v_clz_i32_u32_e32 v1, v17
	s_mov_b32 s0, 0
	s_mov_b32 s7, -1
	s_delay_alu instid0(VALU_DEP_1) | instskip(NEXT) | instid1(VALU_DEP_1)
	v_min_u32_e32 v1, 32, v1
	v_lshlrev_b64_e32 v[4:5], v1, v[16:17]
	v_sub_nc_u32_e32 v1, 32, v1
	s_delay_alu instid0(VALU_DEP_2) | instskip(NEXT) | instid1(VALU_DEP_1)
	v_min_u32_e32 v4, 1, v4
	v_or_b32_e32 v4, v5, v4
	s_delay_alu instid0(VALU_DEP_1) | instskip(NEXT) | instid1(VALU_DEP_1)
	v_cvt_f32_u32_e32 v4, v4
	v_ldexp_f32 v1, v4, v1
	s_delay_alu instid0(VALU_DEP_1) | instskip(NEXT) | instid1(VALU_DEP_1)
	v_bfe_u32 v4, v1, 16, 1
	v_add3_u32 v1, v1, v4, 0x7fff
	s_delay_alu instid0(VALU_DEP_1)
	v_lshrrev_b32_e32 v1, 16, v1
	global_store_b32 v[2:3], v1, off
.LBB71_3017:
	s_and_b32 vcc_lo, exec_lo, s8
	s_cbranch_vccz .LBB71_3022
; %bb.3018:
	s_cmp_eq_u32 s2, 44
	s_mov_b32 s0, -1
	s_cbranch_scc0 .LBB71_3022
; %bb.3019:
	s_wait_xcnt 0x0
	v_clz_i32_u32_e32 v1, v17
	s_mov_b32 s7, exec_lo
	s_delay_alu instid0(VALU_DEP_1) | instskip(NEXT) | instid1(VALU_DEP_1)
	v_min_u32_e32 v1, 32, v1
	v_lshlrev_b64_e32 v[4:5], v1, v[16:17]
	v_sub_nc_u32_e32 v1, 32, v1
	s_delay_alu instid0(VALU_DEP_2) | instskip(NEXT) | instid1(VALU_DEP_1)
	v_min_u32_e32 v4, 1, v4
	v_or_b32_e32 v4, v5, v4
	s_delay_alu instid0(VALU_DEP_1) | instskip(NEXT) | instid1(VALU_DEP_1)
	v_cvt_f32_u32_e32 v4, v4
	v_ldexp_f32 v5, v4, v1
	s_delay_alu instid0(VALU_DEP_1) | instskip(NEXT) | instid1(VALU_DEP_1)
	v_dual_mov_b32 v4, 0xff :: v_dual_lshrrev_b32 v1, 23, v5
	v_cmpx_ne_u32_e32 0xff, v1
; %bb.3020:
	v_and_b32_e32 v4, 0x400000, v5
	v_and_or_b32 v5, 0x3fffff, v5, v1
	s_delay_alu instid0(VALU_DEP_2) | instskip(NEXT) | instid1(VALU_DEP_2)
	v_cmp_ne_u32_e32 vcc_lo, 0, v4
	v_cmp_ne_u32_e64 s0, 0, v5
	s_and_b32 s0, vcc_lo, s0
	s_delay_alu instid0(SALU_CYCLE_1) | instskip(NEXT) | instid1(VALU_DEP_1)
	v_cndmask_b32_e64 v4, 0, 1, s0
	v_add_nc_u32_e32 v4, v1, v4
; %bb.3021:
	s_or_b32 exec_lo, exec_lo, s7
	s_mov_b32 s0, 0
	s_mov_b32 s7, -1
	global_store_b8 v[2:3], v4, off
.LBB71_3022:
	s_mov_b32 s8, 0
.LBB71_3023:
	s_delay_alu instid0(SALU_CYCLE_1)
	s_and_b32 vcc_lo, exec_lo, s8
	s_cbranch_vccz .LBB71_3026
; %bb.3024:
	s_cmp_eq_u32 s2, 29
	s_mov_b32 s0, -1
	s_cbranch_scc0 .LBB71_3026
; %bb.3025:
	s_mov_b32 s0, 0
	s_mov_b32 s7, -1
	global_store_b64 v[2:3], v[16:17], off
.LBB71_3026:
	s_mov_b32 s8, 0
.LBB71_3027:
	s_delay_alu instid0(SALU_CYCLE_1)
	s_and_b32 vcc_lo, exec_lo, s8
	s_cbranch_vccz .LBB71_3043
; %bb.3028:
	s_cmp_lt_i32 s2, 27
	s_mov_b32 s7, -1
	s_cbranch_scc1 .LBB71_3034
; %bb.3029:
	s_cmp_gt_i32 s2, 27
	s_cbranch_scc0 .LBB71_3031
; %bb.3030:
	s_mov_b32 s7, 0
	global_store_b32 v[2:3], v16, off
.LBB71_3031:
	s_and_not1_b32 vcc_lo, exec_lo, s7
	s_cbranch_vccnz .LBB71_3033
; %bb.3032:
	global_store_b16 v[2:3], v16, off
.LBB71_3033:
	s_mov_b32 s7, 0
.LBB71_3034:
	s_delay_alu instid0(SALU_CYCLE_1)
	s_and_not1_b32 vcc_lo, exec_lo, s7
	s_cbranch_vccnz .LBB71_3042
; %bb.3035:
	s_wait_xcnt 0x0
	v_clz_i32_u32_e32 v1, v17
	s_mov_b32 s7, exec_lo
	s_delay_alu instid0(VALU_DEP_1) | instskip(NEXT) | instid1(VALU_DEP_1)
	v_min_u32_e32 v1, 32, v1
	v_lshlrev_b64_e32 v[4:5], v1, v[16:17]
	v_sub_nc_u32_e32 v1, 32, v1
	s_delay_alu instid0(VALU_DEP_2) | instskip(NEXT) | instid1(VALU_DEP_1)
	v_min_u32_e32 v4, 1, v4
	v_or_b32_e32 v4, v5, v4
	v_mov_b32_e32 v5, 0x80
	s_delay_alu instid0(VALU_DEP_2) | instskip(NEXT) | instid1(VALU_DEP_1)
	v_cvt_f32_u32_e32 v4, v4
	v_ldexp_f32 v4, v4, v1
	s_delay_alu instid0(VALU_DEP_1)
	v_cmpx_gt_u32_e32 0x43800000, v4
	s_cbranch_execz .LBB71_3041
; %bb.3036:
	s_mov_b32 s8, 0
	s_mov_b32 s9, exec_lo
                                        ; implicit-def: $vgpr1
	v_cmpx_lt_u32_e32 0x3bffffff, v4
	s_xor_b32 s9, exec_lo, s9
	s_cbranch_execz .LBB71_3218
; %bb.3037:
	v_bfe_u32 v1, v4, 20, 1
	s_mov_b32 s8, exec_lo
	s_delay_alu instid0(VALU_DEP_1) | instskip(NEXT) | instid1(VALU_DEP_1)
	v_add3_u32 v1, v4, v1, 0x487ffff
                                        ; implicit-def: $vgpr4
	v_lshrrev_b32_e32 v1, 20, v1
	s_and_not1_saveexec_b32 s9, s9
	s_cbranch_execnz .LBB71_3219
.LBB71_3038:
	s_or_b32 exec_lo, exec_lo, s9
	v_mov_b32_e32 v5, 0
	s_and_saveexec_b32 s9, s8
.LBB71_3039:
	v_mov_b32_e32 v5, v1
.LBB71_3040:
	s_or_b32 exec_lo, exec_lo, s9
.LBB71_3041:
	s_delay_alu instid0(SALU_CYCLE_1)
	s_or_b32 exec_lo, exec_lo, s7
	global_store_b8 v[2:3], v5, off
.LBB71_3042:
	s_mov_b32 s7, -1
.LBB71_3043:
	s_mov_b32 s8, 0
.LBB71_3044:
	s_delay_alu instid0(SALU_CYCLE_1)
	s_and_b32 vcc_lo, exec_lo, s8
	s_cbranch_vccz .LBB71_3084
; %bb.3045:
	s_cmp_gt_i32 s2, 22
	s_mov_b32 s3, -1
	s_cbranch_scc0 .LBB71_3077
; %bb.3046:
	s_cmp_lt_i32 s2, 24
	s_cbranch_scc1 .LBB71_3066
; %bb.3047:
	s_cmp_gt_i32 s2, 24
	s_cbranch_scc0 .LBB71_3055
; %bb.3048:
	s_wait_xcnt 0x0
	v_clz_i32_u32_e32 v1, v17
	s_mov_b32 s3, exec_lo
	s_delay_alu instid0(VALU_DEP_1) | instskip(NEXT) | instid1(VALU_DEP_1)
	v_min_u32_e32 v1, 32, v1
	v_lshlrev_b64_e32 v[4:5], v1, v[16:17]
	v_sub_nc_u32_e32 v1, 32, v1
	s_delay_alu instid0(VALU_DEP_2) | instskip(NEXT) | instid1(VALU_DEP_1)
	v_min_u32_e32 v4, 1, v4
	v_or_b32_e32 v4, v5, v4
	v_mov_b32_e32 v5, 0x80
	s_delay_alu instid0(VALU_DEP_2) | instskip(NEXT) | instid1(VALU_DEP_1)
	v_cvt_f32_u32_e32 v4, v4
	v_ldexp_f32 v4, v4, v1
	s_delay_alu instid0(VALU_DEP_1)
	v_cmpx_gt_u32_e32 0x47800000, v4
	s_cbranch_execz .LBB71_3054
; %bb.3049:
	s_mov_b32 s7, 0
	s_mov_b32 s8, exec_lo
                                        ; implicit-def: $vgpr1
	v_cmpx_lt_u32_e32 0x37ffffff, v4
	s_xor_b32 s8, exec_lo, s8
	s_cbranch_execz .LBB71_3221
; %bb.3050:
	v_bfe_u32 v1, v4, 21, 1
	s_mov_b32 s7, exec_lo
	s_delay_alu instid0(VALU_DEP_1) | instskip(NEXT) | instid1(VALU_DEP_1)
	v_add3_u32 v1, v4, v1, 0x88fffff
                                        ; implicit-def: $vgpr4
	v_lshrrev_b32_e32 v1, 21, v1
	s_and_not1_saveexec_b32 s8, s8
	s_cbranch_execnz .LBB71_3222
.LBB71_3051:
	s_or_b32 exec_lo, exec_lo, s8
	v_mov_b32_e32 v5, 0
	s_and_saveexec_b32 s8, s7
.LBB71_3052:
	v_mov_b32_e32 v5, v1
.LBB71_3053:
	s_or_b32 exec_lo, exec_lo, s8
.LBB71_3054:
	s_delay_alu instid0(SALU_CYCLE_1)
	s_or_b32 exec_lo, exec_lo, s3
	s_mov_b32 s3, 0
	global_store_b8 v[2:3], v5, off
.LBB71_3055:
	s_and_b32 vcc_lo, exec_lo, s3
	s_cbranch_vccz .LBB71_3065
; %bb.3056:
	s_wait_xcnt 0x0
	v_clz_i32_u32_e32 v1, v17
	s_mov_b32 s3, exec_lo
	s_delay_alu instid0(VALU_DEP_1) | instskip(NEXT) | instid1(VALU_DEP_1)
	v_min_u32_e32 v1, 32, v1
	v_lshlrev_b64_e32 v[4:5], v1, v[16:17]
	v_sub_nc_u32_e32 v1, 32, v1
	s_delay_alu instid0(VALU_DEP_2) | instskip(NEXT) | instid1(VALU_DEP_1)
	v_min_u32_e32 v4, 1, v4
	v_or_b32_e32 v4, v5, v4
	s_delay_alu instid0(VALU_DEP_1) | instskip(NEXT) | instid1(VALU_DEP_1)
	v_cvt_f32_u32_e32 v4, v4
	v_ldexp_f32 v4, v4, v1
                                        ; implicit-def: $vgpr1
	s_delay_alu instid0(VALU_DEP_1)
	v_cmpx_gt_u32_e32 0x43f00000, v4
	s_xor_b32 s3, exec_lo, s3
	s_cbranch_execz .LBB71_3062
; %bb.3057:
	s_mov_b32 s7, exec_lo
                                        ; implicit-def: $vgpr1
	v_cmpx_lt_u32_e32 0x3c7fffff, v4
	s_xor_b32 s7, exec_lo, s7
; %bb.3058:
	v_bfe_u32 v1, v4, 20, 1
	s_delay_alu instid0(VALU_DEP_1) | instskip(NEXT) | instid1(VALU_DEP_1)
	v_add3_u32 v1, v4, v1, 0x407ffff
	v_and_b32_e32 v4, 0xff00000, v1
	v_lshrrev_b32_e32 v1, 20, v1
	s_delay_alu instid0(VALU_DEP_2) | instskip(NEXT) | instid1(VALU_DEP_2)
	v_cmp_ne_u32_e32 vcc_lo, 0x7f00000, v4
                                        ; implicit-def: $vgpr4
	v_cndmask_b32_e32 v1, 0x7e, v1, vcc_lo
; %bb.3059:
	s_and_not1_saveexec_b32 s7, s7
; %bb.3060:
	v_add_f32_e32 v1, 0x46800000, v4
; %bb.3061:
	s_or_b32 exec_lo, exec_lo, s7
                                        ; implicit-def: $vgpr4
.LBB71_3062:
	s_and_not1_saveexec_b32 s3, s3
; %bb.3063:
	v_mov_b32_e32 v1, 0x7f
	v_cmp_lt_u32_e32 vcc_lo, 0x7f800000, v4
	s_delay_alu instid0(VALU_DEP_2)
	v_cndmask_b32_e32 v1, 0x7e, v1, vcc_lo
; %bb.3064:
	s_or_b32 exec_lo, exec_lo, s3
	global_store_b8 v[2:3], v1, off
.LBB71_3065:
	s_mov_b32 s3, 0
.LBB71_3066:
	s_delay_alu instid0(SALU_CYCLE_1)
	s_and_not1_b32 vcc_lo, exec_lo, s3
	s_cbranch_vccnz .LBB71_3076
; %bb.3067:
	s_wait_xcnt 0x0
	v_clz_i32_u32_e32 v1, v17
	s_mov_b32 s3, exec_lo
	s_delay_alu instid0(VALU_DEP_1) | instskip(NEXT) | instid1(VALU_DEP_1)
	v_min_u32_e32 v1, 32, v1
	v_lshlrev_b64_e32 v[4:5], v1, v[16:17]
	v_sub_nc_u32_e32 v1, 32, v1
	s_delay_alu instid0(VALU_DEP_2) | instskip(NEXT) | instid1(VALU_DEP_1)
	v_min_u32_e32 v4, 1, v4
	v_or_b32_e32 v4, v5, v4
	s_delay_alu instid0(VALU_DEP_1) | instskip(NEXT) | instid1(VALU_DEP_1)
	v_cvt_f32_u32_e32 v4, v4
	v_ldexp_f32 v4, v4, v1
                                        ; implicit-def: $vgpr1
	s_delay_alu instid0(VALU_DEP_1)
	v_cmpx_gt_u32_e32 0x47800000, v4
	s_xor_b32 s3, exec_lo, s3
	s_cbranch_execz .LBB71_3073
; %bb.3068:
	s_mov_b32 s7, exec_lo
                                        ; implicit-def: $vgpr1
	v_cmpx_lt_u32_e32 0x387fffff, v4
	s_xor_b32 s7, exec_lo, s7
; %bb.3069:
	v_bfe_u32 v1, v4, 21, 1
	s_delay_alu instid0(VALU_DEP_1) | instskip(NEXT) | instid1(VALU_DEP_1)
	v_add3_u32 v1, v4, v1, 0x80fffff
                                        ; implicit-def: $vgpr4
	v_lshrrev_b32_e32 v1, 21, v1
; %bb.3070:
	s_and_not1_saveexec_b32 s7, s7
; %bb.3071:
	v_add_f32_e32 v1, 0x43000000, v4
; %bb.3072:
	s_or_b32 exec_lo, exec_lo, s7
                                        ; implicit-def: $vgpr4
.LBB71_3073:
	s_and_not1_saveexec_b32 s3, s3
; %bb.3074:
	v_mov_b32_e32 v1, 0x7f
	v_cmp_lt_u32_e32 vcc_lo, 0x7f800000, v4
	s_delay_alu instid0(VALU_DEP_2)
	v_cndmask_b32_e32 v1, 0x7c, v1, vcc_lo
; %bb.3075:
	s_or_b32 exec_lo, exec_lo, s3
	global_store_b8 v[2:3], v1, off
.LBB71_3076:
	s_mov_b32 s3, 0
	s_mov_b32 s7, -1
.LBB71_3077:
	s_and_not1_b32 vcc_lo, exec_lo, s3
	s_mov_b32 s3, 0
	s_cbranch_vccnz .LBB71_3084
; %bb.3078:
	s_cmp_gt_i32 s2, 14
	s_mov_b32 s3, -1
	s_cbranch_scc0 .LBB71_3082
; %bb.3079:
	s_cmp_eq_u32 s2, 15
	s_mov_b32 s0, -1
	s_cbranch_scc0 .LBB71_3081
; %bb.3080:
	s_wait_xcnt 0x0
	v_clz_i32_u32_e32 v1, v17
	s_mov_b32 s0, 0
	s_mov_b32 s7, -1
	s_delay_alu instid0(VALU_DEP_1) | instskip(NEXT) | instid1(VALU_DEP_1)
	v_min_u32_e32 v1, 32, v1
	v_lshlrev_b64_e32 v[4:5], v1, v[16:17]
	v_sub_nc_u32_e32 v1, 32, v1
	s_delay_alu instid0(VALU_DEP_2) | instskip(NEXT) | instid1(VALU_DEP_1)
	v_min_u32_e32 v4, 1, v4
	v_or_b32_e32 v4, v5, v4
	s_delay_alu instid0(VALU_DEP_1) | instskip(NEXT) | instid1(VALU_DEP_1)
	v_cvt_f32_u32_e32 v4, v4
	v_ldexp_f32 v1, v4, v1
	s_delay_alu instid0(VALU_DEP_1) | instskip(NEXT) | instid1(VALU_DEP_1)
	v_bfe_u32 v4, v1, 16, 1
	v_add3_u32 v1, v1, v4, 0x7fff
	global_store_d16_hi_b16 v[2:3], v1, off
.LBB71_3081:
	s_mov_b32 s3, 0
.LBB71_3082:
	s_delay_alu instid0(SALU_CYCLE_1)
	s_and_b32 vcc_lo, exec_lo, s3
	s_mov_b32 s3, 0
	s_cbranch_vccz .LBB71_3084
; %bb.3083:
	s_cmp_lg_u32 s2, 11
	s_mov_b32 s3, -1
	s_cselect_b32 s0, -1, 0
.LBB71_3084:
	s_delay_alu instid0(SALU_CYCLE_1)
	s_and_b32 vcc_lo, exec_lo, s0
	s_cbranch_vccnz .LBB71_3220
; %bb.3085:
	s_and_not1_b32 vcc_lo, exec_lo, s3
	s_cbranch_vccnz .LBB71_3087
.LBB71_3086:
	v_cmp_ne_u64_e32 vcc_lo, 0, v[16:17]
	s_mov_b32 s7, -1
	s_wait_xcnt 0x0
	v_cndmask_b32_e64 v1, 0, 1, vcc_lo
	global_store_b8 v[2:3], v1, off
.LBB71_3087:
	s_mov_b32 s0, 0
	s_branch .LBB71_3089
.LBB71_3088:
	s_mov_b32 s0, -1
	s_mov_b32 s7, 0
.LBB71_3089:
	s_and_b32 vcc_lo, exec_lo, s0
	s_cbranch_vccz .LBB71_3128
; %bb.3090:
	s_cmp_lt_i32 s2, 5
	s_mov_b32 s0, -1
	s_cbranch_scc1 .LBB71_3111
; %bb.3091:
	s_cmp_lt_i32 s2, 8
	s_cbranch_scc1 .LBB71_3101
; %bb.3092:
	s_cmp_lt_i32 s2, 9
	s_cbranch_scc1 .LBB71_3098
; %bb.3093:
	s_cmp_gt_i32 s2, 9
	s_cbranch_scc0 .LBB71_3095
; %bb.3094:
	s_wait_xcnt 0x0
	v_cvt_f64_u32_e32 v[4:5], v17
	v_cvt_f64_u32_e32 v[6:7], v16
	s_mov_b32 s0, 0
	s_delay_alu instid0(VALU_DEP_2) | instskip(NEXT) | instid1(VALU_DEP_1)
	v_ldexp_f64 v[4:5], v[4:5], 32
	v_dual_add_f64 v[4:5], v[4:5], v[6:7] :: v_dual_mov_b32 v6, 0
	s_delay_alu instid0(VALU_DEP_1)
	v_mov_b32_e32 v7, v6
	global_store_b128 v[2:3], v[4:7], off
.LBB71_3095:
	s_and_not1_b32 vcc_lo, exec_lo, s0
	s_cbranch_vccnz .LBB71_3097
; %bb.3096:
	s_wait_xcnt 0x0
	v_clz_i32_u32_e32 v1, v17
	s_delay_alu instid0(VALU_DEP_1) | instskip(NEXT) | instid1(VALU_DEP_1)
	v_min_u32_e32 v1, 32, v1
	v_lshlrev_b64_e32 v[4:5], v1, v[16:17]
	v_sub_nc_u32_e32 v1, 32, v1
	s_delay_alu instid0(VALU_DEP_2) | instskip(NEXT) | instid1(VALU_DEP_1)
	v_min_u32_e32 v4, 1, v4
	v_dual_mov_b32 v5, 0 :: v_dual_bitop2_b32 v4, v5, v4 bitop3:0x54
	s_delay_alu instid0(VALU_DEP_1) | instskip(NEXT) | instid1(VALU_DEP_1)
	v_cvt_f32_u32_e32 v4, v4
	v_ldexp_f32 v4, v4, v1
	global_store_b64 v[2:3], v[4:5], off
.LBB71_3097:
	s_mov_b32 s0, 0
.LBB71_3098:
	s_delay_alu instid0(SALU_CYCLE_1)
	s_and_not1_b32 vcc_lo, exec_lo, s0
	s_cbranch_vccnz .LBB71_3100
; %bb.3099:
	s_wait_xcnt 0x0
	v_clz_i32_u32_e32 v1, v17
	s_delay_alu instid0(VALU_DEP_1) | instskip(NEXT) | instid1(VALU_DEP_1)
	v_min_u32_e32 v1, 32, v1
	v_lshlrev_b64_e32 v[4:5], v1, v[16:17]
	v_sub_nc_u32_e32 v1, 32, v1
	s_delay_alu instid0(VALU_DEP_2) | instskip(NEXT) | instid1(VALU_DEP_1)
	v_min_u32_e32 v4, 1, v4
	v_or_b32_e32 v4, v5, v4
	s_delay_alu instid0(VALU_DEP_1) | instskip(NEXT) | instid1(VALU_DEP_1)
	v_cvt_f32_u32_e32 v4, v4
	v_ldexp_f32 v1, v4, v1
	s_delay_alu instid0(VALU_DEP_1) | instskip(NEXT) | instid1(VALU_DEP_1)
	v_cvt_f16_f32_e32 v1, v1
	v_and_b32_e32 v1, 0xffff, v1
	global_store_b32 v[2:3], v1, off
.LBB71_3100:
	s_mov_b32 s0, 0
.LBB71_3101:
	s_delay_alu instid0(SALU_CYCLE_1)
	s_and_not1_b32 vcc_lo, exec_lo, s0
	s_cbranch_vccnz .LBB71_3110
; %bb.3102:
	s_cmp_lt_i32 s2, 6
	s_mov_b32 s0, -1
	s_cbranch_scc1 .LBB71_3108
; %bb.3103:
	s_cmp_gt_i32 s2, 6
	s_cbranch_scc0 .LBB71_3105
; %bb.3104:
	s_wait_xcnt 0x0
	v_cvt_f64_u32_e32 v[4:5], v17
	v_cvt_f64_u32_e32 v[6:7], v16
	s_mov_b32 s0, 0
	s_delay_alu instid0(VALU_DEP_2) | instskip(NEXT) | instid1(VALU_DEP_1)
	v_ldexp_f64 v[4:5], v[4:5], 32
	v_add_f64_e32 v[4:5], v[4:5], v[6:7]
	global_store_b64 v[2:3], v[4:5], off
.LBB71_3105:
	s_and_not1_b32 vcc_lo, exec_lo, s0
	s_cbranch_vccnz .LBB71_3107
; %bb.3106:
	s_wait_xcnt 0x0
	v_clz_i32_u32_e32 v1, v17
	s_delay_alu instid0(VALU_DEP_1) | instskip(NEXT) | instid1(VALU_DEP_1)
	v_min_u32_e32 v1, 32, v1
	v_lshlrev_b64_e32 v[4:5], v1, v[16:17]
	v_sub_nc_u32_e32 v1, 32, v1
	s_delay_alu instid0(VALU_DEP_2) | instskip(NEXT) | instid1(VALU_DEP_1)
	v_min_u32_e32 v4, 1, v4
	v_or_b32_e32 v4, v5, v4
	s_delay_alu instid0(VALU_DEP_1) | instskip(NEXT) | instid1(VALU_DEP_1)
	v_cvt_f32_u32_e32 v4, v4
	v_ldexp_f32 v1, v4, v1
	global_store_b32 v[2:3], v1, off
.LBB71_3107:
	s_mov_b32 s0, 0
.LBB71_3108:
	s_delay_alu instid0(SALU_CYCLE_1)
	s_and_not1_b32 vcc_lo, exec_lo, s0
	s_cbranch_vccnz .LBB71_3110
; %bb.3109:
	s_wait_xcnt 0x0
	v_clz_i32_u32_e32 v1, v17
	s_delay_alu instid0(VALU_DEP_1) | instskip(NEXT) | instid1(VALU_DEP_1)
	v_min_u32_e32 v1, 32, v1
	v_lshlrev_b64_e32 v[4:5], v1, v[16:17]
	v_sub_nc_u32_e32 v1, 32, v1
	s_delay_alu instid0(VALU_DEP_2) | instskip(NEXT) | instid1(VALU_DEP_1)
	v_min_u32_e32 v4, 1, v4
	v_or_b32_e32 v4, v5, v4
	s_delay_alu instid0(VALU_DEP_1) | instskip(NEXT) | instid1(VALU_DEP_1)
	v_cvt_f32_u32_e32 v4, v4
	v_ldexp_f32 v1, v4, v1
	s_delay_alu instid0(VALU_DEP_1)
	v_cvt_f16_f32_e32 v1, v1
	global_store_b16 v[2:3], v1, off
.LBB71_3110:
	s_mov_b32 s0, 0
.LBB71_3111:
	s_delay_alu instid0(SALU_CYCLE_1)
	s_and_not1_b32 vcc_lo, exec_lo, s0
	s_cbranch_vccnz .LBB71_3127
; %bb.3112:
	s_cmp_lt_i32 s2, 2
	s_mov_b32 s0, -1
	s_cbranch_scc1 .LBB71_3122
; %bb.3113:
	s_cmp_lt_i32 s2, 3
	s_cbranch_scc1 .LBB71_3119
; %bb.3114:
	s_cmp_gt_i32 s2, 3
	s_cbranch_scc0 .LBB71_3116
; %bb.3115:
	s_mov_b32 s0, 0
	global_store_b64 v[2:3], v[16:17], off
.LBB71_3116:
	s_and_not1_b32 vcc_lo, exec_lo, s0
	s_cbranch_vccnz .LBB71_3118
; %bb.3117:
	global_store_b32 v[2:3], v16, off
.LBB71_3118:
	s_mov_b32 s0, 0
.LBB71_3119:
	s_delay_alu instid0(SALU_CYCLE_1)
	s_and_not1_b32 vcc_lo, exec_lo, s0
	s_cbranch_vccnz .LBB71_3121
; %bb.3120:
	global_store_b16 v[2:3], v16, off
.LBB71_3121:
	s_mov_b32 s0, 0
.LBB71_3122:
	s_delay_alu instid0(SALU_CYCLE_1)
	s_and_not1_b32 vcc_lo, exec_lo, s0
	s_cbranch_vccnz .LBB71_3127
; %bb.3123:
	s_cmp_gt_i32 s2, 0
	s_mov_b32 s0, -1
	s_cbranch_scc0 .LBB71_3125
; %bb.3124:
	s_mov_b32 s0, 0
	global_store_b8 v[2:3], v16, off
.LBB71_3125:
	s_and_not1_b32 vcc_lo, exec_lo, s0
	s_cbranch_vccnz .LBB71_3127
; %bb.3126:
	global_store_b8 v[2:3], v16, off
.LBB71_3127:
	s_mov_b32 s7, -1
.LBB71_3128:
	s_delay_alu instid0(SALU_CYCLE_1)
	s_and_not1_b32 vcc_lo, exec_lo, s7
	s_cbranch_vccnz .LBB71_3205
; %bb.3129:
	s_wait_xcnt 0x0
	v_mov_b32_e32 v1, 0
	s_cmp_lt_i32 s2, 11
	s_delay_alu instid0(VALU_DEP_1)
	v_add_nc_u64_e32 v[2:3], s[4:5], v[0:1]
	s_cbranch_scc1 .LBB71_3206
; %bb.3130:
	s_mov_b32 s4, -1
	s_mov_b32 s3, 0
	s_cmp_gt_i32 s2, 25
	s_mov_b32 s0, 0
	s_cbranch_scc0 .LBB71_3163
; %bb.3131:
	s_cmp_gt_i32 s2, 28
	s_cbranch_scc0 .LBB71_3147
; %bb.3132:
	s_cmp_gt_i32 s2, 43
	s_cbranch_scc0 .LBB71_3143
; %bb.3133:
	s_cmp_gt_i32 s2, 45
	s_cbranch_scc0 .LBB71_3137
; %bb.3134:
	s_cmp_eq_u32 s2, 46
	s_mov_b32 s0, -1
	s_cbranch_scc0 .LBB71_3136
; %bb.3135:
	v_clz_i32_u32_e32 v0, v9
	s_mov_b32 s0, 0
	s_delay_alu instid0(VALU_DEP_1) | instskip(NEXT) | instid1(VALU_DEP_1)
	v_min_u32_e32 v4, 32, v0
	v_lshlrev_b64_e32 v[0:1], v4, v[8:9]
	s_delay_alu instid0(VALU_DEP_1) | instskip(NEXT) | instid1(VALU_DEP_1)
	v_min_u32_e32 v0, 1, v0
	v_or_b32_e32 v0, v1, v0
	v_sub_nc_u32_e32 v1, 32, v4
	s_delay_alu instid0(VALU_DEP_2) | instskip(NEXT) | instid1(VALU_DEP_1)
	v_cvt_f32_u32_e32 v0, v0
	v_ldexp_f32 v0, v0, v1
	s_delay_alu instid0(VALU_DEP_1) | instskip(NEXT) | instid1(VALU_DEP_1)
	v_bfe_u32 v1, v0, 16, 1
	v_add3_u32 v0, v0, v1, 0x7fff
	s_delay_alu instid0(VALU_DEP_1)
	v_lshrrev_b32_e32 v0, 16, v0
	global_store_b32 v[2:3], v0, off
.LBB71_3136:
	s_mov_b32 s4, 0
.LBB71_3137:
	s_delay_alu instid0(SALU_CYCLE_1)
	s_and_b32 vcc_lo, exec_lo, s4
	s_cbranch_vccz .LBB71_3142
; %bb.3138:
	s_cmp_eq_u32 s2, 44
	s_mov_b32 s0, -1
	s_cbranch_scc0 .LBB71_3142
; %bb.3139:
	s_wait_xcnt 0x0
	v_clz_i32_u32_e32 v0, v9
	s_mov_b32 s4, exec_lo
	s_delay_alu instid0(VALU_DEP_1) | instskip(NEXT) | instid1(VALU_DEP_1)
	v_min_u32_e32 v4, 32, v0
	v_lshlrev_b64_e32 v[0:1], v4, v[8:9]
	s_delay_alu instid0(VALU_DEP_1) | instskip(NEXT) | instid1(VALU_DEP_1)
	v_min_u32_e32 v0, 1, v0
	v_or_b32_e32 v0, v1, v0
	v_sub_nc_u32_e32 v1, 32, v4
	s_delay_alu instid0(VALU_DEP_2) | instskip(NEXT) | instid1(VALU_DEP_1)
	v_cvt_f32_u32_e32 v0, v0
	v_ldexp_f32 v4, v0, v1
	s_delay_alu instid0(VALU_DEP_1) | instskip(NEXT) | instid1(VALU_DEP_1)
	v_dual_mov_b32 v1, 0xff :: v_dual_lshrrev_b32 v0, 23, v4
	v_cmpx_ne_u32_e32 0xff, v0
; %bb.3140:
	v_and_b32_e32 v1, 0x400000, v4
	v_and_or_b32 v4, 0x3fffff, v4, v0
	s_delay_alu instid0(VALU_DEP_2) | instskip(NEXT) | instid1(VALU_DEP_2)
	v_cmp_ne_u32_e32 vcc_lo, 0, v1
	v_cmp_ne_u32_e64 s0, 0, v4
	s_and_b32 s0, vcc_lo, s0
	s_delay_alu instid0(SALU_CYCLE_1) | instskip(NEXT) | instid1(VALU_DEP_1)
	v_cndmask_b32_e64 v1, 0, 1, s0
	v_add_nc_u32_e32 v1, v0, v1
; %bb.3141:
	s_or_b32 exec_lo, exec_lo, s4
	s_mov_b32 s0, 0
	global_store_b8 v[2:3], v1, off
.LBB71_3142:
	s_mov_b32 s4, 0
.LBB71_3143:
	s_delay_alu instid0(SALU_CYCLE_1)
	s_and_b32 vcc_lo, exec_lo, s4
	s_cbranch_vccz .LBB71_3146
; %bb.3144:
	s_cmp_eq_u32 s2, 29
	s_mov_b32 s0, -1
	s_cbranch_scc0 .LBB71_3146
; %bb.3145:
	s_mov_b32 s0, 0
	global_store_b64 v[2:3], v[8:9], off
.LBB71_3146:
	s_mov_b32 s4, 0
.LBB71_3147:
	s_delay_alu instid0(SALU_CYCLE_1)
	s_and_b32 vcc_lo, exec_lo, s4
	s_cbranch_vccz .LBB71_3162
; %bb.3148:
	s_cmp_lt_i32 s2, 27
	s_mov_b32 s4, -1
	s_cbranch_scc1 .LBB71_3154
; %bb.3149:
	s_cmp_gt_i32 s2, 27
	s_cbranch_scc0 .LBB71_3151
; %bb.3150:
	s_mov_b32 s4, 0
	global_store_b32 v[2:3], v8, off
.LBB71_3151:
	s_and_not1_b32 vcc_lo, exec_lo, s4
	s_cbranch_vccnz .LBB71_3153
; %bb.3152:
	global_store_b16 v[2:3], v8, off
.LBB71_3153:
	s_mov_b32 s4, 0
.LBB71_3154:
	s_delay_alu instid0(SALU_CYCLE_1)
	s_and_not1_b32 vcc_lo, exec_lo, s4
	s_cbranch_vccnz .LBB71_3162
; %bb.3155:
	s_wait_xcnt 0x0
	v_clz_i32_u32_e32 v0, v9
	s_mov_b32 s4, exec_lo
	s_delay_alu instid0(VALU_DEP_1) | instskip(NEXT) | instid1(VALU_DEP_1)
	v_min_u32_e32 v4, 32, v0
	v_lshlrev_b64_e32 v[0:1], v4, v[8:9]
	s_delay_alu instid0(VALU_DEP_1) | instskip(NEXT) | instid1(VALU_DEP_1)
	v_min_u32_e32 v0, 1, v0
	v_or_b32_e32 v0, v1, v0
	v_dual_mov_b32 v4, 0x80 :: v_dual_sub_nc_u32 v1, 32, v4
	s_delay_alu instid0(VALU_DEP_2) | instskip(NEXT) | instid1(VALU_DEP_1)
	v_cvt_f32_u32_e32 v0, v0
	v_ldexp_f32 v1, v0, v1
	s_delay_alu instid0(VALU_DEP_1)
	v_cmpx_gt_u32_e32 0x43800000, v1
	s_cbranch_execz .LBB71_3161
; %bb.3156:
	s_mov_b32 s5, 0
	s_mov_b32 s7, exec_lo
                                        ; implicit-def: $vgpr0
	v_cmpx_lt_u32_e32 0x3bffffff, v1
	s_xor_b32 s7, exec_lo, s7
	s_cbranch_execz .LBB71_3223
; %bb.3157:
	v_bfe_u32 v0, v1, 20, 1
	s_mov_b32 s5, exec_lo
	s_delay_alu instid0(VALU_DEP_1) | instskip(NEXT) | instid1(VALU_DEP_1)
	v_add3_u32 v0, v1, v0, 0x487ffff
                                        ; implicit-def: $vgpr1
	v_lshrrev_b32_e32 v0, 20, v0
	s_and_not1_saveexec_b32 s7, s7
	s_cbranch_execnz .LBB71_3224
.LBB71_3158:
	s_or_b32 exec_lo, exec_lo, s7
	v_mov_b32_e32 v4, 0
	s_and_saveexec_b32 s7, s5
.LBB71_3159:
	v_mov_b32_e32 v4, v0
.LBB71_3160:
	s_or_b32 exec_lo, exec_lo, s7
.LBB71_3161:
	s_delay_alu instid0(SALU_CYCLE_1)
	s_or_b32 exec_lo, exec_lo, s4
	global_store_b8 v[2:3], v4, off
.LBB71_3162:
	s_mov_b32 s4, 0
.LBB71_3163:
	s_delay_alu instid0(SALU_CYCLE_1)
	s_and_b32 vcc_lo, exec_lo, s4
	s_cbranch_vccz .LBB71_3203
; %bb.3164:
	s_cmp_gt_i32 s2, 22
	s_mov_b32 s3, -1
	s_cbranch_scc0 .LBB71_3196
; %bb.3165:
	s_cmp_lt_i32 s2, 24
	s_cbranch_scc1 .LBB71_3185
; %bb.3166:
	s_cmp_gt_i32 s2, 24
	s_cbranch_scc0 .LBB71_3174
; %bb.3167:
	s_wait_xcnt 0x0
	v_clz_i32_u32_e32 v0, v9
	s_mov_b32 s3, exec_lo
	s_delay_alu instid0(VALU_DEP_1) | instskip(NEXT) | instid1(VALU_DEP_1)
	v_min_u32_e32 v4, 32, v0
	v_lshlrev_b64_e32 v[0:1], v4, v[8:9]
	s_delay_alu instid0(VALU_DEP_1) | instskip(NEXT) | instid1(VALU_DEP_1)
	v_min_u32_e32 v0, 1, v0
	v_or_b32_e32 v0, v1, v0
	v_dual_mov_b32 v4, 0x80 :: v_dual_sub_nc_u32 v1, 32, v4
	s_delay_alu instid0(VALU_DEP_2) | instskip(NEXT) | instid1(VALU_DEP_1)
	v_cvt_f32_u32_e32 v0, v0
	v_ldexp_f32 v1, v0, v1
	s_delay_alu instid0(VALU_DEP_1)
	v_cmpx_gt_u32_e32 0x47800000, v1
	s_cbranch_execz .LBB71_3173
; %bb.3168:
	s_mov_b32 s4, 0
	s_mov_b32 s5, exec_lo
                                        ; implicit-def: $vgpr0
	v_cmpx_lt_u32_e32 0x37ffffff, v1
	s_xor_b32 s5, exec_lo, s5
	s_cbranch_execz .LBB71_3226
; %bb.3169:
	v_bfe_u32 v0, v1, 21, 1
	s_mov_b32 s4, exec_lo
	s_delay_alu instid0(VALU_DEP_1) | instskip(NEXT) | instid1(VALU_DEP_1)
	v_add3_u32 v0, v1, v0, 0x88fffff
                                        ; implicit-def: $vgpr1
	v_lshrrev_b32_e32 v0, 21, v0
	s_and_not1_saveexec_b32 s5, s5
	s_cbranch_execnz .LBB71_3227
.LBB71_3170:
	s_or_b32 exec_lo, exec_lo, s5
	v_mov_b32_e32 v4, 0
	s_and_saveexec_b32 s5, s4
.LBB71_3171:
	v_mov_b32_e32 v4, v0
.LBB71_3172:
	s_or_b32 exec_lo, exec_lo, s5
.LBB71_3173:
	s_delay_alu instid0(SALU_CYCLE_1)
	s_or_b32 exec_lo, exec_lo, s3
	s_mov_b32 s3, 0
	global_store_b8 v[2:3], v4, off
.LBB71_3174:
	s_and_b32 vcc_lo, exec_lo, s3
	s_cbranch_vccz .LBB71_3184
; %bb.3175:
	s_wait_xcnt 0x0
	v_clz_i32_u32_e32 v0, v9
	s_mov_b32 s3, exec_lo
	s_delay_alu instid0(VALU_DEP_1) | instskip(NEXT) | instid1(VALU_DEP_1)
	v_min_u32_e32 v4, 32, v0
	v_lshlrev_b64_e32 v[0:1], v4, v[8:9]
	s_delay_alu instid0(VALU_DEP_1) | instskip(NEXT) | instid1(VALU_DEP_1)
	v_min_u32_e32 v0, 1, v0
	v_or_b32_e32 v0, v1, v0
	v_sub_nc_u32_e32 v1, 32, v4
	s_delay_alu instid0(VALU_DEP_2) | instskip(NEXT) | instid1(VALU_DEP_1)
	v_cvt_f32_u32_e32 v0, v0
	v_ldexp_f32 v1, v0, v1
                                        ; implicit-def: $vgpr0
	s_delay_alu instid0(VALU_DEP_1)
	v_cmpx_gt_u32_e32 0x43f00000, v1
	s_xor_b32 s3, exec_lo, s3
	s_cbranch_execz .LBB71_3181
; %bb.3176:
	s_mov_b32 s4, exec_lo
                                        ; implicit-def: $vgpr0
	v_cmpx_lt_u32_e32 0x3c7fffff, v1
	s_xor_b32 s4, exec_lo, s4
; %bb.3177:
	v_bfe_u32 v0, v1, 20, 1
	s_delay_alu instid0(VALU_DEP_1) | instskip(NEXT) | instid1(VALU_DEP_1)
	v_add3_u32 v0, v1, v0, 0x407ffff
	v_and_b32_e32 v1, 0xff00000, v0
	v_lshrrev_b32_e32 v0, 20, v0
	s_delay_alu instid0(VALU_DEP_2) | instskip(NEXT) | instid1(VALU_DEP_2)
	v_cmp_ne_u32_e32 vcc_lo, 0x7f00000, v1
                                        ; implicit-def: $vgpr1
	v_cndmask_b32_e32 v0, 0x7e, v0, vcc_lo
; %bb.3178:
	s_and_not1_saveexec_b32 s4, s4
; %bb.3179:
	v_add_f32_e32 v0, 0x46800000, v1
; %bb.3180:
	s_or_b32 exec_lo, exec_lo, s4
                                        ; implicit-def: $vgpr1
.LBB71_3181:
	s_and_not1_saveexec_b32 s3, s3
; %bb.3182:
	v_mov_b32_e32 v0, 0x7f
	v_cmp_lt_u32_e32 vcc_lo, 0x7f800000, v1
	s_delay_alu instid0(VALU_DEP_2)
	v_cndmask_b32_e32 v0, 0x7e, v0, vcc_lo
; %bb.3183:
	s_or_b32 exec_lo, exec_lo, s3
	global_store_b8 v[2:3], v0, off
.LBB71_3184:
	s_mov_b32 s3, 0
.LBB71_3185:
	s_delay_alu instid0(SALU_CYCLE_1)
	s_and_not1_b32 vcc_lo, exec_lo, s3
	s_cbranch_vccnz .LBB71_3195
; %bb.3186:
	s_wait_xcnt 0x0
	v_clz_i32_u32_e32 v0, v9
	s_mov_b32 s3, exec_lo
	s_delay_alu instid0(VALU_DEP_1) | instskip(NEXT) | instid1(VALU_DEP_1)
	v_min_u32_e32 v4, 32, v0
	v_lshlrev_b64_e32 v[0:1], v4, v[8:9]
	s_delay_alu instid0(VALU_DEP_1) | instskip(NEXT) | instid1(VALU_DEP_1)
	v_min_u32_e32 v0, 1, v0
	v_or_b32_e32 v0, v1, v0
	v_sub_nc_u32_e32 v1, 32, v4
	s_delay_alu instid0(VALU_DEP_2) | instskip(NEXT) | instid1(VALU_DEP_1)
	v_cvt_f32_u32_e32 v0, v0
	v_ldexp_f32 v1, v0, v1
                                        ; implicit-def: $vgpr0
	s_delay_alu instid0(VALU_DEP_1)
	v_cmpx_gt_u32_e32 0x47800000, v1
	s_xor_b32 s3, exec_lo, s3
	s_cbranch_execz .LBB71_3192
; %bb.3187:
	s_mov_b32 s4, exec_lo
                                        ; implicit-def: $vgpr0
	v_cmpx_lt_u32_e32 0x387fffff, v1
	s_xor_b32 s4, exec_lo, s4
; %bb.3188:
	v_bfe_u32 v0, v1, 21, 1
	s_delay_alu instid0(VALU_DEP_1) | instskip(NEXT) | instid1(VALU_DEP_1)
	v_add3_u32 v0, v1, v0, 0x80fffff
                                        ; implicit-def: $vgpr1
	v_lshrrev_b32_e32 v0, 21, v0
; %bb.3189:
	s_and_not1_saveexec_b32 s4, s4
; %bb.3190:
	v_add_f32_e32 v0, 0x43000000, v1
; %bb.3191:
	s_or_b32 exec_lo, exec_lo, s4
                                        ; implicit-def: $vgpr1
.LBB71_3192:
	s_and_not1_saveexec_b32 s3, s3
; %bb.3193:
	v_mov_b32_e32 v0, 0x7f
	v_cmp_lt_u32_e32 vcc_lo, 0x7f800000, v1
	s_delay_alu instid0(VALU_DEP_2)
	v_cndmask_b32_e32 v0, 0x7c, v0, vcc_lo
; %bb.3194:
	s_or_b32 exec_lo, exec_lo, s3
	global_store_b8 v[2:3], v0, off
.LBB71_3195:
	s_mov_b32 s3, 0
.LBB71_3196:
	s_delay_alu instid0(SALU_CYCLE_1)
	s_and_not1_b32 vcc_lo, exec_lo, s3
	s_mov_b32 s3, 0
	s_cbranch_vccnz .LBB71_3203
; %bb.3197:
	s_cmp_gt_i32 s2, 14
	s_mov_b32 s3, -1
	s_cbranch_scc0 .LBB71_3201
; %bb.3198:
	s_cmp_eq_u32 s2, 15
	s_mov_b32 s0, -1
	s_cbranch_scc0 .LBB71_3200
; %bb.3199:
	s_wait_xcnt 0x0
	v_clz_i32_u32_e32 v0, v9
	s_mov_b32 s0, 0
	s_delay_alu instid0(VALU_DEP_1) | instskip(NEXT) | instid1(VALU_DEP_1)
	v_min_u32_e32 v4, 32, v0
	v_lshlrev_b64_e32 v[0:1], v4, v[8:9]
	s_delay_alu instid0(VALU_DEP_1) | instskip(NEXT) | instid1(VALU_DEP_1)
	v_min_u32_e32 v0, 1, v0
	v_or_b32_e32 v0, v1, v0
	v_sub_nc_u32_e32 v1, 32, v4
	s_delay_alu instid0(VALU_DEP_2) | instskip(NEXT) | instid1(VALU_DEP_1)
	v_cvt_f32_u32_e32 v0, v0
	v_ldexp_f32 v0, v0, v1
	s_delay_alu instid0(VALU_DEP_1) | instskip(NEXT) | instid1(VALU_DEP_1)
	v_bfe_u32 v1, v0, 16, 1
	v_add3_u32 v0, v0, v1, 0x7fff
	global_store_d16_hi_b16 v[2:3], v0, off
.LBB71_3200:
	s_mov_b32 s3, 0
.LBB71_3201:
	s_delay_alu instid0(SALU_CYCLE_1)
	s_and_b32 vcc_lo, exec_lo, s3
	s_mov_b32 s3, 0
	s_cbranch_vccz .LBB71_3203
; %bb.3202:
	s_cmp_lg_u32 s2, 11
	s_mov_b32 s3, -1
	s_cselect_b32 s0, -1, 0
.LBB71_3203:
	s_delay_alu instid0(SALU_CYCLE_1)
	s_and_b32 vcc_lo, exec_lo, s0
	s_cbranch_vccnz .LBB71_3225
.LBB71_3204:
	s_mov_b32 s0, 0
	s_branch .LBB71_2716
.LBB71_3205:
	s_mov_b32 s0, 0
	s_mov_b32 s3, 0
                                        ; implicit-def: $vgpr2_vgpr3
                                        ; implicit-def: $sgpr6
	s_branch .LBB71_2716
.LBB71_3206:
	s_mov_b32 s3, 0
	s_mov_b32 s0, -1
	s_branch .LBB71_2716
.LBB71_3207:
	s_or_b32 s1, s1, exec_lo
	s_trap 2
	s_cbranch_execz .LBB71_2661
	s_branch .LBB71_2662
.LBB71_3208:
	s_and_not1_saveexec_b32 s9, s9
	s_cbranch_execz .LBB71_2800
.LBB71_3209:
	v_add_f32_e32 v1, 0x46000000, v3
	s_and_not1_b32 s8, s8, exec_lo
	s_delay_alu instid0(VALU_DEP_1) | instskip(NEXT) | instid1(VALU_DEP_1)
	v_and_b32_e32 v1, 0xff, v1
	v_cmp_ne_u32_e32 vcc_lo, 0, v1
	s_and_b32 s12, vcc_lo, exec_lo
	s_delay_alu instid0(SALU_CYCLE_1)
	s_or_b32 s8, s8, s12
	s_or_b32 exec_lo, exec_lo, s9
	v_mov_b32_e32 v5, 0
	s_and_saveexec_b32 s9, s8
	s_cbranch_execnz .LBB71_2801
	s_branch .LBB71_2802
.LBB71_3210:
	s_or_b32 s1, s1, exec_lo
	s_trap 2
	s_cbranch_execz .LBB71_2848
	s_branch .LBB71_2849
.LBB71_3211:
	s_and_not1_saveexec_b32 s8, s8
	s_cbranch_execz .LBB71_2813
.LBB71_3212:
	v_add_f32_e32 v1, 0x42800000, v3
	s_and_not1_b32 s7, s7, exec_lo
	s_delay_alu instid0(VALU_DEP_1) | instskip(NEXT) | instid1(VALU_DEP_1)
	v_and_b32_e32 v1, 0xff, v1
	v_cmp_ne_u32_e32 vcc_lo, 0, v1
	s_and_b32 s9, vcc_lo, exec_lo
	s_delay_alu instid0(SALU_CYCLE_1)
	s_or_b32 s7, s7, s9
	s_or_b32 exec_lo, exec_lo, s8
	v_mov_b32_e32 v5, 0
	s_and_saveexec_b32 s8, s7
	s_cbranch_execnz .LBB71_2814
	s_branch .LBB71_2815
.LBB71_3213:
	s_and_not1_saveexec_b32 s9, s9
	s_cbranch_execz .LBB71_2919
.LBB71_3214:
	v_add_f32_e32 v1, 0x46000000, v3
	s_and_not1_b32 s8, s8, exec_lo
	s_delay_alu instid0(VALU_DEP_1) | instskip(NEXT) | instid1(VALU_DEP_1)
	v_and_b32_e32 v1, 0xff, v1
	v_cmp_ne_u32_e32 vcc_lo, 0, v1
	s_and_b32 s12, vcc_lo, exec_lo
	s_delay_alu instid0(SALU_CYCLE_1)
	s_or_b32 s8, s8, s12
	s_or_b32 exec_lo, exec_lo, s9
	v_mov_b32_e32 v6, 0
	s_and_saveexec_b32 s9, s8
	s_cbranch_execnz .LBB71_2920
	s_branch .LBB71_2921
.LBB71_3215:
	s_or_b32 s1, s1, exec_lo
	s_trap 2
	s_cbranch_execz .LBB71_2967
	s_branch .LBB71_2968
.LBB71_3216:
	s_and_not1_saveexec_b32 s8, s8
	s_cbranch_execz .LBB71_2932
.LBB71_3217:
	v_add_f32_e32 v1, 0x42800000, v3
	s_and_not1_b32 s7, s7, exec_lo
	s_delay_alu instid0(VALU_DEP_1) | instskip(NEXT) | instid1(VALU_DEP_1)
	v_and_b32_e32 v1, 0xff, v1
	v_cmp_ne_u32_e32 vcc_lo, 0, v1
	s_and_b32 s9, vcc_lo, exec_lo
	s_delay_alu instid0(SALU_CYCLE_1)
	s_or_b32 s7, s7, s9
	s_or_b32 exec_lo, exec_lo, s8
	v_mov_b32_e32 v6, 0
	s_and_saveexec_b32 s8, s7
	s_cbranch_execnz .LBB71_2933
	s_branch .LBB71_2934
.LBB71_3218:
	s_and_not1_saveexec_b32 s9, s9
	s_cbranch_execz .LBB71_3038
.LBB71_3219:
	v_add_f32_e32 v1, 0x46000000, v4
	s_and_not1_b32 s8, s8, exec_lo
	s_delay_alu instid0(VALU_DEP_1) | instskip(NEXT) | instid1(VALU_DEP_1)
	v_and_b32_e32 v1, 0xff, v1
	v_cmp_ne_u32_e32 vcc_lo, 0, v1
	s_and_b32 s12, vcc_lo, exec_lo
	s_delay_alu instid0(SALU_CYCLE_1)
	s_or_b32 s8, s8, s12
	s_or_b32 exec_lo, exec_lo, s9
	v_mov_b32_e32 v5, 0
	s_and_saveexec_b32 s9, s8
	s_cbranch_execnz .LBB71_3039
	s_branch .LBB71_3040
.LBB71_3220:
	s_or_b32 s1, s1, exec_lo
	s_trap 2
	s_cbranch_execz .LBB71_3086
	s_branch .LBB71_3087
.LBB71_3221:
	s_and_not1_saveexec_b32 s8, s8
	s_cbranch_execz .LBB71_3051
.LBB71_3222:
	v_add_f32_e32 v1, 0x42800000, v4
	s_and_not1_b32 s7, s7, exec_lo
	s_delay_alu instid0(VALU_DEP_1) | instskip(NEXT) | instid1(VALU_DEP_1)
	v_and_b32_e32 v1, 0xff, v1
	v_cmp_ne_u32_e32 vcc_lo, 0, v1
	s_and_b32 s9, vcc_lo, exec_lo
	s_delay_alu instid0(SALU_CYCLE_1)
	s_or_b32 s7, s7, s9
	s_or_b32 exec_lo, exec_lo, s8
	v_mov_b32_e32 v5, 0
	s_and_saveexec_b32 s8, s7
	s_cbranch_execnz .LBB71_3052
	s_branch .LBB71_3053
.LBB71_3223:
	s_and_not1_saveexec_b32 s7, s7
	s_cbranch_execz .LBB71_3158
.LBB71_3224:
	v_add_f32_e32 v0, 0x46000000, v1
	s_and_not1_b32 s5, s5, exec_lo
	s_delay_alu instid0(VALU_DEP_1) | instskip(NEXT) | instid1(VALU_DEP_1)
	v_and_b32_e32 v0, 0xff, v0
	v_cmp_ne_u32_e32 vcc_lo, 0, v0
	s_and_b32 s8, vcc_lo, exec_lo
	s_delay_alu instid0(SALU_CYCLE_1)
	s_or_b32 s5, s5, s8
	s_or_b32 exec_lo, exec_lo, s7
	v_mov_b32_e32 v4, 0
	s_and_saveexec_b32 s7, s5
	s_cbranch_execnz .LBB71_3159
	s_branch .LBB71_3160
.LBB71_3225:
	s_mov_b32 s3, 0
	s_or_b32 s1, s1, exec_lo
	s_trap 2
	s_branch .LBB71_3204
.LBB71_3226:
	s_and_not1_saveexec_b32 s5, s5
	s_cbranch_execz .LBB71_3170
.LBB71_3227:
	v_add_f32_e32 v0, 0x42800000, v1
	s_and_not1_b32 s4, s4, exec_lo
	s_delay_alu instid0(VALU_DEP_1) | instskip(NEXT) | instid1(VALU_DEP_1)
	v_and_b32_e32 v0, 0xff, v0
	v_cmp_ne_u32_e32 vcc_lo, 0, v0
	s_and_b32 s7, vcc_lo, exec_lo
	s_delay_alu instid0(SALU_CYCLE_1)
	s_or_b32 s4, s4, s7
	s_or_b32 exec_lo, exec_lo, s5
	v_mov_b32_e32 v4, 0
	s_and_saveexec_b32 s5, s4
	s_cbranch_execnz .LBB71_3171
	s_branch .LBB71_3172
	.section	.rodata,"a",@progbits
	.p2align	6, 0x0
	.amdhsa_kernel _ZN2at6native32elementwise_kernel_manual_unrollILi128ELi4EZNS0_15gpu_kernel_implIZZZNS0_15lcm_kernel_cudaERNS_18TensorIteratorBaseEENKUlvE_clEvENKUlvE2_clEvEUlllE_EEvS4_RKT_EUlibE0_EEviT1_
		.amdhsa_group_segment_fixed_size 0
		.amdhsa_private_segment_fixed_size 0
		.amdhsa_kernarg_size 432
		.amdhsa_user_sgpr_count 2
		.amdhsa_user_sgpr_dispatch_ptr 0
		.amdhsa_user_sgpr_queue_ptr 0
		.amdhsa_user_sgpr_kernarg_segment_ptr 1
		.amdhsa_user_sgpr_dispatch_id 0
		.amdhsa_user_sgpr_kernarg_preload_length 0
		.amdhsa_user_sgpr_kernarg_preload_offset 0
		.amdhsa_user_sgpr_private_segment_size 0
		.amdhsa_wavefront_size32 1
		.amdhsa_uses_dynamic_stack 0
		.amdhsa_enable_private_segment 0
		.amdhsa_system_sgpr_workgroup_id_x 1
		.amdhsa_system_sgpr_workgroup_id_y 0
		.amdhsa_system_sgpr_workgroup_id_z 0
		.amdhsa_system_sgpr_workgroup_info 0
		.amdhsa_system_vgpr_workitem_id 0
		.amdhsa_next_free_vgpr 46
		.amdhsa_next_free_sgpr 60
		.amdhsa_named_barrier_count 0
		.amdhsa_reserve_vcc 1
		.amdhsa_float_round_mode_32 0
		.amdhsa_float_round_mode_16_64 0
		.amdhsa_float_denorm_mode_32 3
		.amdhsa_float_denorm_mode_16_64 3
		.amdhsa_fp16_overflow 0
		.amdhsa_memory_ordered 1
		.amdhsa_forward_progress 1
		.amdhsa_inst_pref_size 255
		.amdhsa_round_robin_scheduling 0
		.amdhsa_exception_fp_ieee_invalid_op 0
		.amdhsa_exception_fp_denorm_src 0
		.amdhsa_exception_fp_ieee_div_zero 0
		.amdhsa_exception_fp_ieee_overflow 0
		.amdhsa_exception_fp_ieee_underflow 0
		.amdhsa_exception_fp_ieee_inexact 0
		.amdhsa_exception_int_div_zero 0
	.end_amdhsa_kernel
	.section	.text._ZN2at6native32elementwise_kernel_manual_unrollILi128ELi4EZNS0_15gpu_kernel_implIZZZNS0_15lcm_kernel_cudaERNS_18TensorIteratorBaseEENKUlvE_clEvENKUlvE2_clEvEUlllE_EEvS4_RKT_EUlibE0_EEviT1_,"axG",@progbits,_ZN2at6native32elementwise_kernel_manual_unrollILi128ELi4EZNS0_15gpu_kernel_implIZZZNS0_15lcm_kernel_cudaERNS_18TensorIteratorBaseEENKUlvE_clEvENKUlvE2_clEvEUlllE_EEvS4_RKT_EUlibE0_EEviT1_,comdat
.Lfunc_end71:
	.size	_ZN2at6native32elementwise_kernel_manual_unrollILi128ELi4EZNS0_15gpu_kernel_implIZZZNS0_15lcm_kernel_cudaERNS_18TensorIteratorBaseEENKUlvE_clEvENKUlvE2_clEvEUlllE_EEvS4_RKT_EUlibE0_EEviT1_, .Lfunc_end71-_ZN2at6native32elementwise_kernel_manual_unrollILi128ELi4EZNS0_15gpu_kernel_implIZZZNS0_15lcm_kernel_cudaERNS_18TensorIteratorBaseEENKUlvE_clEvENKUlvE2_clEvEUlllE_EEvS4_RKT_EUlibE0_EEviT1_
                                        ; -- End function
	.set _ZN2at6native32elementwise_kernel_manual_unrollILi128ELi4EZNS0_15gpu_kernel_implIZZZNS0_15lcm_kernel_cudaERNS_18TensorIteratorBaseEENKUlvE_clEvENKUlvE2_clEvEUlllE_EEvS4_RKT_EUlibE0_EEviT1_.num_vgpr, 46
	.set _ZN2at6native32elementwise_kernel_manual_unrollILi128ELi4EZNS0_15gpu_kernel_implIZZZNS0_15lcm_kernel_cudaERNS_18TensorIteratorBaseEENKUlvE_clEvENKUlvE2_clEvEUlllE_EEvS4_RKT_EUlibE0_EEviT1_.num_agpr, 0
	.set _ZN2at6native32elementwise_kernel_manual_unrollILi128ELi4EZNS0_15gpu_kernel_implIZZZNS0_15lcm_kernel_cudaERNS_18TensorIteratorBaseEENKUlvE_clEvENKUlvE2_clEvEUlllE_EEvS4_RKT_EUlibE0_EEviT1_.numbered_sgpr, 60
	.set _ZN2at6native32elementwise_kernel_manual_unrollILi128ELi4EZNS0_15gpu_kernel_implIZZZNS0_15lcm_kernel_cudaERNS_18TensorIteratorBaseEENKUlvE_clEvENKUlvE2_clEvEUlllE_EEvS4_RKT_EUlibE0_EEviT1_.num_named_barrier, 0
	.set _ZN2at6native32elementwise_kernel_manual_unrollILi128ELi4EZNS0_15gpu_kernel_implIZZZNS0_15lcm_kernel_cudaERNS_18TensorIteratorBaseEENKUlvE_clEvENKUlvE2_clEvEUlllE_EEvS4_RKT_EUlibE0_EEviT1_.private_seg_size, 0
	.set _ZN2at6native32elementwise_kernel_manual_unrollILi128ELi4EZNS0_15gpu_kernel_implIZZZNS0_15lcm_kernel_cudaERNS_18TensorIteratorBaseEENKUlvE_clEvENKUlvE2_clEvEUlllE_EEvS4_RKT_EUlibE0_EEviT1_.uses_vcc, 1
	.set _ZN2at6native32elementwise_kernel_manual_unrollILi128ELi4EZNS0_15gpu_kernel_implIZZZNS0_15lcm_kernel_cudaERNS_18TensorIteratorBaseEENKUlvE_clEvENKUlvE2_clEvEUlllE_EEvS4_RKT_EUlibE0_EEviT1_.uses_flat_scratch, 0
	.set _ZN2at6native32elementwise_kernel_manual_unrollILi128ELi4EZNS0_15gpu_kernel_implIZZZNS0_15lcm_kernel_cudaERNS_18TensorIteratorBaseEENKUlvE_clEvENKUlvE2_clEvEUlllE_EEvS4_RKT_EUlibE0_EEviT1_.has_dyn_sized_stack, 0
	.set _ZN2at6native32elementwise_kernel_manual_unrollILi128ELi4EZNS0_15gpu_kernel_implIZZZNS0_15lcm_kernel_cudaERNS_18TensorIteratorBaseEENKUlvE_clEvENKUlvE2_clEvEUlllE_EEvS4_RKT_EUlibE0_EEviT1_.has_recursion, 0
	.set _ZN2at6native32elementwise_kernel_manual_unrollILi128ELi4EZNS0_15gpu_kernel_implIZZZNS0_15lcm_kernel_cudaERNS_18TensorIteratorBaseEENKUlvE_clEvENKUlvE2_clEvEUlllE_EEvS4_RKT_EUlibE0_EEviT1_.has_indirect_call, 0
	.section	.AMDGPU.csdata,"",@progbits
; Kernel info:
; codeLenInByte = 87000
; TotalNumSgprs: 62
; NumVgprs: 46
; ScratchSize: 0
; MemoryBound: 1
; FloatMode: 240
; IeeeMode: 1
; LDSByteSize: 0 bytes/workgroup (compile time only)
; SGPRBlocks: 0
; VGPRBlocks: 2
; NumSGPRsForWavesPerEU: 62
; NumVGPRsForWavesPerEU: 46
; NamedBarCnt: 0
; Occupancy: 16
; WaveLimiterHint : 1
; COMPUTE_PGM_RSRC2:SCRATCH_EN: 0
; COMPUTE_PGM_RSRC2:USER_SGPR: 2
; COMPUTE_PGM_RSRC2:TRAP_HANDLER: 0
; COMPUTE_PGM_RSRC2:TGID_X_EN: 1
; COMPUTE_PGM_RSRC2:TGID_Y_EN: 0
; COMPUTE_PGM_RSRC2:TGID_Z_EN: 0
; COMPUTE_PGM_RSRC2:TIDIG_COMP_CNT: 0
	.section	.text._ZN2at6native29vectorized_elementwise_kernelILi16EZZZNS0_15lcm_kernel_cudaERNS_18TensorIteratorBaseEENKUlvE_clEvENKUlvE3_clEvEUlssE_St5arrayIPcLm3EEEEviT0_T1_,"axG",@progbits,_ZN2at6native29vectorized_elementwise_kernelILi16EZZZNS0_15lcm_kernel_cudaERNS_18TensorIteratorBaseEENKUlvE_clEvENKUlvE3_clEvEUlssE_St5arrayIPcLm3EEEEviT0_T1_,comdat
	.globl	_ZN2at6native29vectorized_elementwise_kernelILi16EZZZNS0_15lcm_kernel_cudaERNS_18TensorIteratorBaseEENKUlvE_clEvENKUlvE3_clEvEUlssE_St5arrayIPcLm3EEEEviT0_T1_ ; -- Begin function _ZN2at6native29vectorized_elementwise_kernelILi16EZZZNS0_15lcm_kernel_cudaERNS_18TensorIteratorBaseEENKUlvE_clEvENKUlvE3_clEvEUlssE_St5arrayIPcLm3EEEEviT0_T1_
	.p2align	8
	.type	_ZN2at6native29vectorized_elementwise_kernelILi16EZZZNS0_15lcm_kernel_cudaERNS_18TensorIteratorBaseEENKUlvE_clEvENKUlvE3_clEvEUlssE_St5arrayIPcLm3EEEEviT0_T1_,@function
_ZN2at6native29vectorized_elementwise_kernelILi16EZZZNS0_15lcm_kernel_cudaERNS_18TensorIteratorBaseEENKUlvE_clEvENKUlvE3_clEvEUlssE_St5arrayIPcLm3EEEEviT0_T1_: ; @_ZN2at6native29vectorized_elementwise_kernelILi16EZZZNS0_15lcm_kernel_cudaERNS_18TensorIteratorBaseEENKUlvE_clEvENKUlvE3_clEvEUlssE_St5arrayIPcLm3EEEEviT0_T1_
; %bb.0:
	s_clause 0x2
	s_load_b32 s3, s[0:1], 0x0
	s_load_b128 s[4:7], s[0:1], 0x8
	s_load_b64 s[8:9], s[0:1], 0x18
	s_wait_xcnt 0x0
	s_bfe_u32 s0, ttmp6, 0x4000c
	s_and_b32 s1, ttmp6, 15
	s_add_co_i32 s0, s0, 1
	s_getreg_b32 s2, hwreg(HW_REG_IB_STS2, 6, 4)
	s_mul_i32 s0, ttmp9, s0
	s_delay_alu instid0(SALU_CYCLE_1) | instskip(SKIP_2) | instid1(SALU_CYCLE_1)
	s_add_co_i32 s1, s1, s0
	s_cmp_eq_u32 s2, 0
	s_cselect_b32 s0, ttmp9, s1
	s_lshl_b32 s2, s0, 11
	s_mov_b32 s0, -1
	s_wait_kmcnt 0x0
	s_sub_co_i32 s10, s3, s2
	s_delay_alu instid0(SALU_CYCLE_1)
	s_cmp_gt_i32 s10, 0x7ff
	s_cbranch_scc0 .LBB72_50
; %bb.1:
	s_ashr_i32 s3, s2, 31
	s_delay_alu instid0(SALU_CYCLE_1)
	s_lshl_b64 s[0:1], s[2:3], 1
	s_mov_b32 s3, exec_lo
	s_add_nc_u64 s[12:13], s[8:9], s[0:1]
	global_load_b128 v[2:5], v0, s[12:13] scale_offset
	s_wait_xcnt 0x0
	s_add_nc_u64 s[12:13], s[6:7], s[0:1]
	global_load_b128 v[6:9], v0, s[12:13] scale_offset
	s_wait_loadcnt 0x1
	v_sub_nc_u16 v1, 0, v2
	s_wait_loadcnt 0x0
	v_bfe_i32 v10, v6, 0, 16
	s_delay_alu instid0(VALU_DEP_2)
	v_max_i16 v11, v2, v1
	v_cmpx_ne_u16_e32 0, v6
	s_cbranch_execz .LBB72_5
; %bb.2:
	s_delay_alu instid0(VALU_DEP_3) | instskip(SKIP_1) | instid1(VALU_DEP_1)
	v_sub_nc_u16 v1, 0, v10
	s_mov_b32 s11, 0
	v_max_i16 v12, v10, v1
	v_and_b32_e32 v1, 0xffff, v11
	s_delay_alu instid0(VALU_DEP_2)
	v_and_b32_e32 v12, 0xffff, v12
.LBB72_3:                               ; =>This Inner Loop Header: Depth=1
	s_delay_alu instid0(VALU_DEP_1) | instskip(NEXT) | instid1(VALU_DEP_2)
	v_bfe_i32 v14, v1, 0, 16
	v_mov_b32_e32 v11, v12
	s_delay_alu instid0(VALU_DEP_2) | instskip(NEXT) | instid1(VALU_DEP_2)
	v_cvt_f32_i32_e32 v16, v14
	v_bfe_i32 v12, v11, 0, 16
	s_delay_alu instid0(VALU_DEP_1) | instskip(SKIP_1) | instid1(VALU_DEP_2)
	v_cvt_f32_i32_e32 v13, v12
	v_xor_b32_e32 v12, v14, v12
	v_rcp_iflag_f32_e32 v15, v13
	v_nop
	s_delay_alu instid0(TRANS32_DEP_1) | instskip(NEXT) | instid1(VALU_DEP_1)
	v_dual_ashrrev_i32 v12, 30, v12 :: v_dual_mul_f32 v14, v16, v15
	v_trunc_f32_e32 v14, v14
	s_delay_alu instid0(VALU_DEP_1) | instskip(SKIP_1) | instid1(VALU_DEP_2)
	v_dual_fma_f32 v15, -v14, v13, v16 :: v_dual_bitop2_b32 v12, 1, v12 bitop3:0x54
	v_cvt_i32_f32_e32 v14, v14
	v_cmp_ge_f32_e64 vcc_lo, |v15|, |v13|
	s_delay_alu instid0(VALU_DEP_3) | instskip(NEXT) | instid1(VALU_DEP_1)
	v_cndmask_b32_e32 v12, 0, v12, vcc_lo
	v_add_nc_u32_e32 v12, v14, v12
	s_delay_alu instid0(VALU_DEP_1) | instskip(NEXT) | instid1(VALU_DEP_1)
	v_mul_lo_u32 v12, v12, v11
	v_sub_nc_u32_e32 v12, v1, v12
	s_delay_alu instid0(VALU_DEP_1) | instskip(SKIP_1) | instid1(VALU_DEP_2)
	v_and_b32_e32 v1, 0xffff, v12
	v_bfe_i32 v12, v12, 0, 16
	v_cmp_eq_u32_e32 vcc_lo, 0, v1
	v_mov_b32_e32 v1, v11
	s_or_b32 s11, vcc_lo, s11
	s_delay_alu instid0(SALU_CYCLE_1)
	s_and_not1_b32 exec_lo, exec_lo, s11
	s_cbranch_execnz .LBB72_3
; %bb.4:
	s_or_b32 exec_lo, exec_lo, s11
.LBB72_5:
	s_delay_alu instid0(SALU_CYCLE_1)
	s_or_b32 exec_lo, exec_lo, s3
	v_mov_b32_e32 v1, 0
	s_mov_b32 s3, exec_lo
	v_cmpx_ne_u16_e32 0, v11
	s_cbranch_execz .LBB72_7
; %bb.6:
	v_bfe_i32 v1, v11, 0, 16
	v_cvt_f32_i32_e32 v13, v10
	s_delay_alu instid0(VALU_DEP_2) | instskip(SKIP_1) | instid1(VALU_DEP_2)
	v_cvt_f32_i32_e32 v11, v1
	v_xor_b32_e32 v1, v10, v1
	v_rcp_iflag_f32_e32 v12, v11
	v_nop
	s_delay_alu instid0(TRANS32_DEP_1) | instskip(NEXT) | instid1(VALU_DEP_1)
	v_mul_f32_e32 v12, v13, v12
	v_trunc_f32_e32 v10, v12
	s_delay_alu instid0(VALU_DEP_1) | instskip(NEXT) | instid1(VALU_DEP_1)
	v_dual_ashrrev_i32 v1, 30, v1 :: v_dual_fma_f32 v12, -v10, v11, v13
	v_or_b32_e32 v1, 1, v1
	v_cvt_i32_f32_e32 v10, v10
	s_delay_alu instid0(VALU_DEP_3) | instskip(NEXT) | instid1(VALU_DEP_3)
	v_cmp_ge_f32_e64 vcc_lo, |v12|, |v11|
	v_cndmask_b32_e32 v1, 0, v1, vcc_lo
	s_delay_alu instid0(VALU_DEP_1) | instskip(SKIP_1) | instid1(VALU_DEP_2)
	v_add_nc_u32_e32 v1, v10, v1
	v_bfe_i32 v10, v2, 0, 16
	v_bfe_i32 v1, v1, 0, 16
	s_delay_alu instid0(VALU_DEP_1) | instskip(NEXT) | instid1(VALU_DEP_1)
	v_mul_i32_i24_e32 v1, v1, v10
	v_sub_nc_u32_e32 v10, 0, v1
	s_delay_alu instid0(VALU_DEP_1)
	v_max_i32_e32 v1, v1, v10
.LBB72_7:
	s_or_b32 exec_lo, exec_lo, s3
	v_lshrrev_b32_e32 v10, 16, v2
	v_dual_lshrrev_b32 v12, 16, v6 :: v_dual_ashrrev_i32 v6, 16, v6
	s_mov_b32 s11, 0
	s_mov_b32 s3, exec_lo
	s_delay_alu instid0(VALU_DEP_2) | instskip(NEXT) | instid1(VALU_DEP_1)
	v_sub_nc_u16 v11, 0, v10
	v_max_i16 v10, v10, v11
	v_cmpx_ne_u16_e32 0, v12
	s_cbranch_execz .LBB72_11
; %bb.8:
	v_sub_nc_u16 v11, 0, v6
	s_delay_alu instid0(VALU_DEP_1) | instskip(SKIP_1) | instid1(VALU_DEP_2)
	v_max_i16 v12, v6, v11
	v_and_b32_e32 v11, 0xffff, v10
	v_and_b32_e32 v12, 0xffff, v12
.LBB72_9:                               ; =>This Inner Loop Header: Depth=1
	s_delay_alu instid0(VALU_DEP_1) | instskip(NEXT) | instid1(VALU_DEP_2)
	v_bfe_i32 v14, v11, 0, 16
	v_mov_b32_e32 v10, v12
	s_delay_alu instid0(VALU_DEP_2) | instskip(NEXT) | instid1(VALU_DEP_2)
	v_cvt_f32_i32_e32 v16, v14
	v_bfe_i32 v12, v10, 0, 16
	s_delay_alu instid0(VALU_DEP_1) | instskip(SKIP_1) | instid1(VALU_DEP_2)
	v_cvt_f32_i32_e32 v13, v12
	v_xor_b32_e32 v12, v14, v12
	v_rcp_iflag_f32_e32 v15, v13
	v_nop
	s_delay_alu instid0(TRANS32_DEP_1) | instskip(NEXT) | instid1(VALU_DEP_1)
	v_dual_ashrrev_i32 v12, 30, v12 :: v_dual_mul_f32 v14, v16, v15
	v_trunc_f32_e32 v14, v14
	s_delay_alu instid0(VALU_DEP_1) | instskip(SKIP_1) | instid1(VALU_DEP_2)
	v_dual_fma_f32 v15, -v14, v13, v16 :: v_dual_bitop2_b32 v12, 1, v12 bitop3:0x54
	v_cvt_i32_f32_e32 v14, v14
	v_cmp_ge_f32_e64 vcc_lo, |v15|, |v13|
	s_delay_alu instid0(VALU_DEP_3) | instskip(NEXT) | instid1(VALU_DEP_1)
	v_cndmask_b32_e32 v12, 0, v12, vcc_lo
	v_add_nc_u32_e32 v12, v14, v12
	s_delay_alu instid0(VALU_DEP_1) | instskip(NEXT) | instid1(VALU_DEP_1)
	v_mul_lo_u32 v12, v12, v10
	v_sub_nc_u32_e32 v12, v11, v12
	s_delay_alu instid0(VALU_DEP_1) | instskip(SKIP_1) | instid1(VALU_DEP_2)
	v_and_b32_e32 v11, 0xffff, v12
	v_bfe_i32 v12, v12, 0, 16
	v_cmp_eq_u32_e32 vcc_lo, 0, v11
	v_mov_b32_e32 v11, v10
	s_or_b32 s11, vcc_lo, s11
	s_delay_alu instid0(SALU_CYCLE_1)
	s_and_not1_b32 exec_lo, exec_lo, s11
	s_cbranch_execnz .LBB72_9
; %bb.10:
	s_or_b32 exec_lo, exec_lo, s11
.LBB72_11:
	s_delay_alu instid0(SALU_CYCLE_1)
	s_or_b32 exec_lo, exec_lo, s3
	v_dual_mov_b32 v2, 0 :: v_dual_ashrrev_i32 v11, 16, v2
	s_mov_b32 s3, exec_lo
	v_cmpx_ne_u16_e32 0, v10
	s_cbranch_execz .LBB72_13
; %bb.12:
	v_bfe_i32 v2, v10, 0, 16
	v_cvt_f32_i32_e32 v13, v6
	s_delay_alu instid0(VALU_DEP_2) | instskip(SKIP_1) | instid1(VALU_DEP_2)
	v_cvt_f32_i32_e32 v10, v2
	v_xor_b32_e32 v2, v6, v2
	v_rcp_iflag_f32_e32 v12, v10
	s_delay_alu instid0(VALU_DEP_1)
	v_ashrrev_i32_e32 v2, 30, v2
	s_delay_alu instid0(TRANS32_DEP_1) | instid1(VALU_DEP_1)
	v_dual_mul_f32 v12, v13, v12 :: v_dual_bitop2_b32 v2, 1, v2 bitop3:0x54
	s_delay_alu instid0(VALU_DEP_1) | instskip(NEXT) | instid1(VALU_DEP_1)
	v_trunc_f32_e32 v6, v12
	v_fma_f32 v12, -v6, v10, v13
	v_cvt_i32_f32_e32 v6, v6
	s_delay_alu instid0(VALU_DEP_2) | instskip(SKIP_1) | instid1(VALU_DEP_1)
	v_cmp_ge_f32_e64 vcc_lo, |v12|, |v10|
	v_cndmask_b32_e32 v2, 0, v2, vcc_lo
	v_add_nc_u32_e32 v2, v6, v2
	s_delay_alu instid0(VALU_DEP_1) | instskip(NEXT) | instid1(VALU_DEP_1)
	v_bfe_i32 v2, v2, 0, 16
	v_mul_i32_i24_e32 v2, v2, v11
	s_delay_alu instid0(VALU_DEP_1) | instskip(NEXT) | instid1(VALU_DEP_1)
	v_sub_nc_u32_e32 v6, 0, v2
	v_max_i32_e32 v2, v2, v6
.LBB72_13:
	s_or_b32 exec_lo, exec_lo, s3
	v_sub_nc_u16 v6, 0, v3
	v_bfe_i32 v10, v7, 0, 16
	s_mov_b32 s11, 0
	s_mov_b32 s3, exec_lo
	s_delay_alu instid0(VALU_DEP_2)
	v_max_i16 v11, v3, v6
	v_cmpx_ne_u16_e32 0, v7
	s_cbranch_execz .LBB72_17
; %bb.14:
	v_sub_nc_u16 v6, 0, v10
	s_delay_alu instid0(VALU_DEP_1) | instskip(SKIP_1) | instid1(VALU_DEP_2)
	v_max_i16 v12, v10, v6
	v_and_b32_e32 v6, 0xffff, v11
	v_and_b32_e32 v12, 0xffff, v12
.LBB72_15:                              ; =>This Inner Loop Header: Depth=1
	s_delay_alu instid0(VALU_DEP_1) | instskip(NEXT) | instid1(VALU_DEP_2)
	v_bfe_i32 v14, v6, 0, 16
	v_mov_b32_e32 v11, v12
	s_delay_alu instid0(VALU_DEP_2) | instskip(NEXT) | instid1(VALU_DEP_2)
	v_cvt_f32_i32_e32 v16, v14
	v_bfe_i32 v12, v11, 0, 16
	s_delay_alu instid0(VALU_DEP_1) | instskip(SKIP_1) | instid1(VALU_DEP_2)
	v_cvt_f32_i32_e32 v13, v12
	v_xor_b32_e32 v12, v14, v12
	v_rcp_iflag_f32_e32 v15, v13
	v_nop
	s_delay_alu instid0(TRANS32_DEP_1) | instskip(NEXT) | instid1(VALU_DEP_1)
	v_dual_ashrrev_i32 v12, 30, v12 :: v_dual_mul_f32 v14, v16, v15
	v_trunc_f32_e32 v14, v14
	s_delay_alu instid0(VALU_DEP_1) | instskip(SKIP_1) | instid1(VALU_DEP_2)
	v_dual_fma_f32 v15, -v14, v13, v16 :: v_dual_bitop2_b32 v12, 1, v12 bitop3:0x54
	v_cvt_i32_f32_e32 v14, v14
	v_cmp_ge_f32_e64 vcc_lo, |v15|, |v13|
	s_delay_alu instid0(VALU_DEP_3) | instskip(NEXT) | instid1(VALU_DEP_1)
	v_cndmask_b32_e32 v12, 0, v12, vcc_lo
	v_add_nc_u32_e32 v12, v14, v12
	s_delay_alu instid0(VALU_DEP_1) | instskip(NEXT) | instid1(VALU_DEP_1)
	v_mul_lo_u32 v12, v12, v11
	v_sub_nc_u32_e32 v12, v6, v12
	s_delay_alu instid0(VALU_DEP_1) | instskip(SKIP_1) | instid1(VALU_DEP_2)
	v_and_b32_e32 v6, 0xffff, v12
	v_bfe_i32 v12, v12, 0, 16
	v_cmp_eq_u32_e32 vcc_lo, 0, v6
	v_mov_b32_e32 v6, v11
	s_or_b32 s11, vcc_lo, s11
	s_delay_alu instid0(SALU_CYCLE_1)
	s_and_not1_b32 exec_lo, exec_lo, s11
	s_cbranch_execnz .LBB72_15
; %bb.16:
	s_or_b32 exec_lo, exec_lo, s11
.LBB72_17:
	s_delay_alu instid0(SALU_CYCLE_1)
	s_or_b32 exec_lo, exec_lo, s3
	v_bfe_i32 v12, v3, 0, 16
	v_mov_b32_e32 v6, 0
	s_mov_b32 s3, exec_lo
	v_cmpx_ne_u16_e32 0, v11
	s_cbranch_execz .LBB72_19
; %bb.18:
	v_bfe_i32 v6, v11, 0, 16
	v_cvt_f32_i32_e32 v14, v10
	s_delay_alu instid0(VALU_DEP_2) | instskip(SKIP_1) | instid1(VALU_DEP_2)
	v_cvt_f32_i32_e32 v11, v6
	v_xor_b32_e32 v6, v10, v6
	v_rcp_iflag_f32_e32 v13, v11
	s_delay_alu instid0(VALU_DEP_1)
	v_ashrrev_i32_e32 v6, 30, v6
	s_delay_alu instid0(TRANS32_DEP_1) | instid1(VALU_DEP_1)
	v_dual_mul_f32 v13, v14, v13 :: v_dual_bitop2_b32 v6, 1, v6 bitop3:0x54
	s_delay_alu instid0(VALU_DEP_1) | instskip(NEXT) | instid1(VALU_DEP_1)
	v_trunc_f32_e32 v10, v13
	v_fma_f32 v13, -v10, v11, v14
	v_cvt_i32_f32_e32 v10, v10
	s_delay_alu instid0(VALU_DEP_2) | instskip(SKIP_1) | instid1(VALU_DEP_1)
	v_cmp_ge_f32_e64 vcc_lo, |v13|, |v11|
	v_cndmask_b32_e32 v6, 0, v6, vcc_lo
	v_add_nc_u32_e32 v6, v10, v6
	s_delay_alu instid0(VALU_DEP_1) | instskip(NEXT) | instid1(VALU_DEP_1)
	v_bfe_i32 v6, v6, 0, 16
	v_mul_i32_i24_e32 v6, v6, v12
	s_delay_alu instid0(VALU_DEP_1) | instskip(NEXT) | instid1(VALU_DEP_1)
	v_sub_nc_u32_e32 v10, 0, v6
	v_max_i32_e32 v6, v6, v10
.LBB72_19:
	s_or_b32 exec_lo, exec_lo, s3
	v_lshrrev_b32_e32 v10, 16, v3
	v_dual_lshrrev_b32 v12, 16, v7 :: v_dual_ashrrev_i32 v7, 16, v7
	s_mov_b32 s11, 0
	s_mov_b32 s3, exec_lo
	s_delay_alu instid0(VALU_DEP_2) | instskip(NEXT) | instid1(VALU_DEP_1)
	v_sub_nc_u16 v11, 0, v10
	v_max_i16 v10, v10, v11
	v_cmpx_ne_u16_e32 0, v12
	s_cbranch_execz .LBB72_23
; %bb.20:
	v_sub_nc_u16 v11, 0, v7
	s_delay_alu instid0(VALU_DEP_1) | instskip(SKIP_1) | instid1(VALU_DEP_2)
	v_max_i16 v12, v7, v11
	v_and_b32_e32 v11, 0xffff, v10
	v_and_b32_e32 v12, 0xffff, v12
.LBB72_21:                              ; =>This Inner Loop Header: Depth=1
	s_delay_alu instid0(VALU_DEP_1) | instskip(NEXT) | instid1(VALU_DEP_2)
	v_bfe_i32 v14, v11, 0, 16
	v_mov_b32_e32 v10, v12
	s_delay_alu instid0(VALU_DEP_2) | instskip(NEXT) | instid1(VALU_DEP_2)
	v_cvt_f32_i32_e32 v16, v14
	v_bfe_i32 v12, v10, 0, 16
	s_delay_alu instid0(VALU_DEP_1) | instskip(SKIP_1) | instid1(VALU_DEP_2)
	v_cvt_f32_i32_e32 v13, v12
	v_xor_b32_e32 v12, v14, v12
	v_rcp_iflag_f32_e32 v15, v13
	v_nop
	s_delay_alu instid0(TRANS32_DEP_1) | instskip(NEXT) | instid1(VALU_DEP_1)
	v_dual_ashrrev_i32 v12, 30, v12 :: v_dual_mul_f32 v14, v16, v15
	v_trunc_f32_e32 v14, v14
	s_delay_alu instid0(VALU_DEP_1) | instskip(SKIP_1) | instid1(VALU_DEP_2)
	v_dual_fma_f32 v15, -v14, v13, v16 :: v_dual_bitop2_b32 v12, 1, v12 bitop3:0x54
	v_cvt_i32_f32_e32 v14, v14
	v_cmp_ge_f32_e64 vcc_lo, |v15|, |v13|
	s_delay_alu instid0(VALU_DEP_3) | instskip(NEXT) | instid1(VALU_DEP_1)
	v_cndmask_b32_e32 v12, 0, v12, vcc_lo
	v_add_nc_u32_e32 v12, v14, v12
	s_delay_alu instid0(VALU_DEP_1) | instskip(NEXT) | instid1(VALU_DEP_1)
	v_mul_lo_u32 v12, v12, v10
	v_sub_nc_u32_e32 v12, v11, v12
	s_delay_alu instid0(VALU_DEP_1) | instskip(SKIP_1) | instid1(VALU_DEP_2)
	v_and_b32_e32 v11, 0xffff, v12
	v_bfe_i32 v12, v12, 0, 16
	v_cmp_eq_u32_e32 vcc_lo, 0, v11
	v_mov_b32_e32 v11, v10
	s_or_b32 s11, vcc_lo, s11
	s_delay_alu instid0(SALU_CYCLE_1)
	s_and_not1_b32 exec_lo, exec_lo, s11
	s_cbranch_execnz .LBB72_21
; %bb.22:
	s_or_b32 exec_lo, exec_lo, s11
.LBB72_23:
	s_delay_alu instid0(SALU_CYCLE_1)
	s_or_b32 exec_lo, exec_lo, s3
	v_dual_ashrrev_i32 v11, 16, v3 :: v_dual_mov_b32 v3, 0
	s_mov_b32 s3, exec_lo
	v_cmpx_ne_u16_e32 0, v10
	s_cbranch_execz .LBB72_25
; %bb.24:
	v_bfe_i32 v3, v10, 0, 16
	v_cvt_f32_i32_e32 v13, v7
	s_delay_alu instid0(VALU_DEP_2) | instskip(SKIP_1) | instid1(VALU_DEP_2)
	v_cvt_f32_i32_e32 v10, v3
	v_xor_b32_e32 v3, v7, v3
	v_rcp_iflag_f32_e32 v12, v10
	v_nop
	s_delay_alu instid0(TRANS32_DEP_1) | instskip(NEXT) | instid1(VALU_DEP_1)
	v_mul_f32_e32 v12, v13, v12
	v_trunc_f32_e32 v7, v12
	s_delay_alu instid0(VALU_DEP_1) | instskip(NEXT) | instid1(VALU_DEP_1)
	v_dual_ashrrev_i32 v3, 30, v3 :: v_dual_fma_f32 v12, -v7, v10, v13
	v_or_b32_e32 v3, 1, v3
	v_cvt_i32_f32_e32 v7, v7
	s_delay_alu instid0(VALU_DEP_3) | instskip(NEXT) | instid1(VALU_DEP_3)
	v_cmp_ge_f32_e64 vcc_lo, |v12|, |v10|
	v_cndmask_b32_e32 v3, 0, v3, vcc_lo
	s_delay_alu instid0(VALU_DEP_1) | instskip(NEXT) | instid1(VALU_DEP_1)
	v_add_nc_u32_e32 v3, v7, v3
	v_bfe_i32 v3, v3, 0, 16
	s_delay_alu instid0(VALU_DEP_1) | instskip(NEXT) | instid1(VALU_DEP_1)
	v_mul_i32_i24_e32 v3, v3, v11
	v_sub_nc_u32_e32 v7, 0, v3
	s_delay_alu instid0(VALU_DEP_1)
	v_max_i32_e32 v3, v3, v7
.LBB72_25:
	s_or_b32 exec_lo, exec_lo, s3
	v_sub_nc_u16 v7, 0, v4
	v_bfe_i32 v10, v8, 0, 16
	s_mov_b32 s11, 0
	s_mov_b32 s3, exec_lo
	s_delay_alu instid0(VALU_DEP_2)
	v_max_i16 v11, v4, v7
	v_cmpx_ne_u16_e32 0, v8
	s_cbranch_execz .LBB72_29
; %bb.26:
	v_sub_nc_u16 v7, 0, v10
	s_delay_alu instid0(VALU_DEP_1) | instskip(SKIP_1) | instid1(VALU_DEP_2)
	v_max_i16 v12, v10, v7
	v_and_b32_e32 v7, 0xffff, v11
	v_and_b32_e32 v12, 0xffff, v12
.LBB72_27:                              ; =>This Inner Loop Header: Depth=1
	s_delay_alu instid0(VALU_DEP_1) | instskip(NEXT) | instid1(VALU_DEP_2)
	v_bfe_i32 v14, v7, 0, 16
	v_mov_b32_e32 v11, v12
	s_delay_alu instid0(VALU_DEP_2) | instskip(NEXT) | instid1(VALU_DEP_2)
	v_cvt_f32_i32_e32 v16, v14
	v_bfe_i32 v12, v11, 0, 16
	s_delay_alu instid0(VALU_DEP_1) | instskip(SKIP_1) | instid1(VALU_DEP_2)
	v_cvt_f32_i32_e32 v13, v12
	v_xor_b32_e32 v12, v14, v12
	v_rcp_iflag_f32_e32 v15, v13
	v_nop
	s_delay_alu instid0(TRANS32_DEP_1) | instskip(NEXT) | instid1(VALU_DEP_1)
	v_dual_ashrrev_i32 v12, 30, v12 :: v_dual_mul_f32 v14, v16, v15
	v_trunc_f32_e32 v14, v14
	s_delay_alu instid0(VALU_DEP_1) | instskip(SKIP_1) | instid1(VALU_DEP_2)
	v_dual_fma_f32 v15, -v14, v13, v16 :: v_dual_bitop2_b32 v12, 1, v12 bitop3:0x54
	v_cvt_i32_f32_e32 v14, v14
	v_cmp_ge_f32_e64 vcc_lo, |v15|, |v13|
	s_delay_alu instid0(VALU_DEP_3) | instskip(NEXT) | instid1(VALU_DEP_1)
	v_cndmask_b32_e32 v12, 0, v12, vcc_lo
	v_add_nc_u32_e32 v12, v14, v12
	s_delay_alu instid0(VALU_DEP_1) | instskip(NEXT) | instid1(VALU_DEP_1)
	v_mul_lo_u32 v12, v12, v11
	v_sub_nc_u32_e32 v12, v7, v12
	s_delay_alu instid0(VALU_DEP_1) | instskip(SKIP_1) | instid1(VALU_DEP_2)
	v_and_b32_e32 v7, 0xffff, v12
	v_bfe_i32 v12, v12, 0, 16
	v_cmp_eq_u32_e32 vcc_lo, 0, v7
	v_mov_b32_e32 v7, v11
	s_or_b32 s11, vcc_lo, s11
	s_delay_alu instid0(SALU_CYCLE_1)
	s_and_not1_b32 exec_lo, exec_lo, s11
	s_cbranch_execnz .LBB72_27
; %bb.28:
	s_or_b32 exec_lo, exec_lo, s11
.LBB72_29:
	s_delay_alu instid0(SALU_CYCLE_1)
	s_or_b32 exec_lo, exec_lo, s3
	v_bfe_i32 v12, v4, 0, 16
	v_mov_b32_e32 v7, 0
	s_mov_b32 s3, exec_lo
	v_cmpx_ne_u16_e32 0, v11
	s_cbranch_execz .LBB72_31
; %bb.30:
	v_bfe_i32 v7, v11, 0, 16
	v_cvt_f32_i32_e32 v14, v10
	s_delay_alu instid0(VALU_DEP_2) | instskip(SKIP_1) | instid1(VALU_DEP_2)
	v_cvt_f32_i32_e32 v11, v7
	v_xor_b32_e32 v7, v10, v7
	v_rcp_iflag_f32_e32 v13, v11
	s_delay_alu instid0(VALU_DEP_1)
	v_ashrrev_i32_e32 v7, 30, v7
	s_delay_alu instid0(TRANS32_DEP_1) | instid1(VALU_DEP_1)
	v_dual_mul_f32 v13, v14, v13 :: v_dual_bitop2_b32 v7, 1, v7 bitop3:0x54
	s_delay_alu instid0(VALU_DEP_1) | instskip(NEXT) | instid1(VALU_DEP_1)
	v_trunc_f32_e32 v10, v13
	v_fma_f32 v13, -v10, v11, v14
	v_cvt_i32_f32_e32 v10, v10
	s_delay_alu instid0(VALU_DEP_2) | instskip(SKIP_1) | instid1(VALU_DEP_1)
	v_cmp_ge_f32_e64 vcc_lo, |v13|, |v11|
	v_cndmask_b32_e32 v7, 0, v7, vcc_lo
	v_add_nc_u32_e32 v7, v10, v7
	s_delay_alu instid0(VALU_DEP_1) | instskip(NEXT) | instid1(VALU_DEP_1)
	v_bfe_i32 v7, v7, 0, 16
	v_mul_i32_i24_e32 v7, v7, v12
	s_delay_alu instid0(VALU_DEP_1) | instskip(NEXT) | instid1(VALU_DEP_1)
	v_sub_nc_u32_e32 v10, 0, v7
	v_max_i32_e32 v7, v7, v10
.LBB72_31:
	s_or_b32 exec_lo, exec_lo, s3
	v_lshrrev_b32_e32 v10, 16, v4
	v_dual_lshrrev_b32 v12, 16, v8 :: v_dual_ashrrev_i32 v8, 16, v8
	s_mov_b32 s11, 0
	s_mov_b32 s3, exec_lo
	s_delay_alu instid0(VALU_DEP_2) | instskip(NEXT) | instid1(VALU_DEP_1)
	v_sub_nc_u16 v11, 0, v10
	v_max_i16 v10, v10, v11
	v_cmpx_ne_u16_e32 0, v12
	s_cbranch_execz .LBB72_35
; %bb.32:
	v_sub_nc_u16 v11, 0, v8
	s_delay_alu instid0(VALU_DEP_1) | instskip(SKIP_1) | instid1(VALU_DEP_2)
	v_max_i16 v12, v8, v11
	v_and_b32_e32 v11, 0xffff, v10
	v_and_b32_e32 v12, 0xffff, v12
.LBB72_33:                              ; =>This Inner Loop Header: Depth=1
	s_delay_alu instid0(VALU_DEP_1) | instskip(NEXT) | instid1(VALU_DEP_2)
	v_bfe_i32 v14, v11, 0, 16
	v_mov_b32_e32 v10, v12
	s_delay_alu instid0(VALU_DEP_2) | instskip(NEXT) | instid1(VALU_DEP_2)
	v_cvt_f32_i32_e32 v16, v14
	v_bfe_i32 v12, v10, 0, 16
	s_delay_alu instid0(VALU_DEP_1) | instskip(SKIP_1) | instid1(VALU_DEP_2)
	v_cvt_f32_i32_e32 v13, v12
	v_xor_b32_e32 v12, v14, v12
	v_rcp_iflag_f32_e32 v15, v13
	v_nop
	s_delay_alu instid0(TRANS32_DEP_1) | instskip(NEXT) | instid1(VALU_DEP_1)
	v_dual_ashrrev_i32 v12, 30, v12 :: v_dual_mul_f32 v14, v16, v15
	v_trunc_f32_e32 v14, v14
	s_delay_alu instid0(VALU_DEP_1) | instskip(SKIP_1) | instid1(VALU_DEP_2)
	v_dual_fma_f32 v15, -v14, v13, v16 :: v_dual_bitop2_b32 v12, 1, v12 bitop3:0x54
	v_cvt_i32_f32_e32 v14, v14
	v_cmp_ge_f32_e64 vcc_lo, |v15|, |v13|
	s_delay_alu instid0(VALU_DEP_3) | instskip(NEXT) | instid1(VALU_DEP_1)
	v_cndmask_b32_e32 v12, 0, v12, vcc_lo
	v_add_nc_u32_e32 v12, v14, v12
	s_delay_alu instid0(VALU_DEP_1) | instskip(NEXT) | instid1(VALU_DEP_1)
	v_mul_lo_u32 v12, v12, v10
	v_sub_nc_u32_e32 v12, v11, v12
	s_delay_alu instid0(VALU_DEP_1) | instskip(SKIP_1) | instid1(VALU_DEP_2)
	v_and_b32_e32 v11, 0xffff, v12
	v_bfe_i32 v12, v12, 0, 16
	v_cmp_eq_u32_e32 vcc_lo, 0, v11
	v_mov_b32_e32 v11, v10
	s_or_b32 s11, vcc_lo, s11
	s_delay_alu instid0(SALU_CYCLE_1)
	s_and_not1_b32 exec_lo, exec_lo, s11
	s_cbranch_execnz .LBB72_33
; %bb.34:
	s_or_b32 exec_lo, exec_lo, s11
.LBB72_35:
	s_delay_alu instid0(SALU_CYCLE_1)
	s_or_b32 exec_lo, exec_lo, s3
	v_dual_mov_b32 v4, 0 :: v_dual_ashrrev_i32 v11, 16, v4
	s_mov_b32 s3, exec_lo
	v_cmpx_ne_u16_e32 0, v10
	s_cbranch_execz .LBB72_37
; %bb.36:
	v_bfe_i32 v4, v10, 0, 16
	v_cvt_f32_i32_e32 v13, v8
	s_delay_alu instid0(VALU_DEP_2) | instskip(SKIP_1) | instid1(VALU_DEP_2)
	v_cvt_f32_i32_e32 v10, v4
	v_xor_b32_e32 v4, v8, v4
	v_rcp_iflag_f32_e32 v12, v10
	v_nop
	s_delay_alu instid0(TRANS32_DEP_1) | instskip(NEXT) | instid1(VALU_DEP_1)
	v_mul_f32_e32 v12, v13, v12
	v_trunc_f32_e32 v8, v12
	s_delay_alu instid0(VALU_DEP_1) | instskip(SKIP_1) | instid1(VALU_DEP_2)
	v_dual_fma_f32 v12, -v8, v10, v13 :: v_dual_ashrrev_i32 v4, 30, v4
	v_cvt_i32_f32_e32 v8, v8
	v_cmp_ge_f32_e64 vcc_lo, |v12|, |v10|
	s_delay_alu instid0(VALU_DEP_3) | instskip(NEXT) | instid1(VALU_DEP_1)
	v_or_b32_e32 v4, 1, v4
	v_cndmask_b32_e32 v4, 0, v4, vcc_lo
	s_delay_alu instid0(VALU_DEP_1) | instskip(NEXT) | instid1(VALU_DEP_1)
	v_add_nc_u32_e32 v4, v8, v4
	v_bfe_i32 v4, v4, 0, 16
	s_delay_alu instid0(VALU_DEP_1) | instskip(NEXT) | instid1(VALU_DEP_1)
	v_mul_i32_i24_e32 v4, v4, v11
	v_sub_nc_u32_e32 v8, 0, v4
	s_delay_alu instid0(VALU_DEP_1)
	v_max_i32_e32 v4, v4, v8
.LBB72_37:
	s_or_b32 exec_lo, exec_lo, s3
	v_sub_nc_u16 v8, 0, v5
	v_bfe_i32 v10, v9, 0, 16
	s_mov_b32 s11, 0
	s_mov_b32 s3, exec_lo
	s_delay_alu instid0(VALU_DEP_2)
	v_max_i16 v11, v5, v8
	v_cmpx_ne_u16_e32 0, v9
	s_cbranch_execz .LBB72_41
; %bb.38:
	v_sub_nc_u16 v8, 0, v10
	s_delay_alu instid0(VALU_DEP_1) | instskip(SKIP_1) | instid1(VALU_DEP_2)
	v_max_i16 v12, v10, v8
	v_and_b32_e32 v8, 0xffff, v11
	v_and_b32_e32 v12, 0xffff, v12
.LBB72_39:                              ; =>This Inner Loop Header: Depth=1
	s_delay_alu instid0(VALU_DEP_1) | instskip(NEXT) | instid1(VALU_DEP_2)
	v_bfe_i32 v14, v8, 0, 16
	v_mov_b32_e32 v11, v12
	s_delay_alu instid0(VALU_DEP_2) | instskip(NEXT) | instid1(VALU_DEP_2)
	v_cvt_f32_i32_e32 v16, v14
	v_bfe_i32 v12, v11, 0, 16
	s_delay_alu instid0(VALU_DEP_1) | instskip(SKIP_1) | instid1(VALU_DEP_2)
	v_cvt_f32_i32_e32 v13, v12
	v_xor_b32_e32 v12, v14, v12
	v_rcp_iflag_f32_e32 v15, v13
	v_nop
	s_delay_alu instid0(TRANS32_DEP_1) | instskip(NEXT) | instid1(VALU_DEP_1)
	v_dual_ashrrev_i32 v12, 30, v12 :: v_dual_mul_f32 v14, v16, v15
	v_trunc_f32_e32 v14, v14
	s_delay_alu instid0(VALU_DEP_1) | instskip(SKIP_1) | instid1(VALU_DEP_2)
	v_dual_fma_f32 v15, -v14, v13, v16 :: v_dual_bitop2_b32 v12, 1, v12 bitop3:0x54
	v_cvt_i32_f32_e32 v14, v14
	v_cmp_ge_f32_e64 vcc_lo, |v15|, |v13|
	s_delay_alu instid0(VALU_DEP_3) | instskip(NEXT) | instid1(VALU_DEP_1)
	v_cndmask_b32_e32 v12, 0, v12, vcc_lo
	v_add_nc_u32_e32 v12, v14, v12
	s_delay_alu instid0(VALU_DEP_1) | instskip(NEXT) | instid1(VALU_DEP_1)
	v_mul_lo_u32 v12, v12, v11
	v_sub_nc_u32_e32 v12, v8, v12
	s_delay_alu instid0(VALU_DEP_1) | instskip(SKIP_1) | instid1(VALU_DEP_2)
	v_and_b32_e32 v8, 0xffff, v12
	v_bfe_i32 v12, v12, 0, 16
	v_cmp_eq_u32_e32 vcc_lo, 0, v8
	v_mov_b32_e32 v8, v11
	s_or_b32 s11, vcc_lo, s11
	s_delay_alu instid0(SALU_CYCLE_1)
	s_and_not1_b32 exec_lo, exec_lo, s11
	s_cbranch_execnz .LBB72_39
; %bb.40:
	s_or_b32 exec_lo, exec_lo, s11
.LBB72_41:
	s_delay_alu instid0(SALU_CYCLE_1)
	s_or_b32 exec_lo, exec_lo, s3
	v_bfe_i32 v12, v5, 0, 16
	v_mov_b32_e32 v8, 0
	s_mov_b32 s3, exec_lo
	v_cmpx_ne_u16_e32 0, v11
	s_cbranch_execz .LBB72_43
; %bb.42:
	v_bfe_i32 v8, v11, 0, 16
	v_cvt_f32_i32_e32 v14, v10
	s_delay_alu instid0(VALU_DEP_2) | instskip(SKIP_1) | instid1(VALU_DEP_2)
	v_cvt_f32_i32_e32 v11, v8
	v_xor_b32_e32 v8, v10, v8
	v_rcp_iflag_f32_e32 v13, v11
	s_delay_alu instid0(VALU_DEP_1)
	v_ashrrev_i32_e32 v8, 30, v8
	s_delay_alu instid0(TRANS32_DEP_1) | instid1(VALU_DEP_1)
	v_dual_mul_f32 v13, v14, v13 :: v_dual_bitop2_b32 v8, 1, v8 bitop3:0x54
	s_delay_alu instid0(VALU_DEP_1) | instskip(NEXT) | instid1(VALU_DEP_1)
	v_trunc_f32_e32 v10, v13
	v_fma_f32 v13, -v10, v11, v14
	v_cvt_i32_f32_e32 v10, v10
	s_delay_alu instid0(VALU_DEP_2) | instskip(SKIP_1) | instid1(VALU_DEP_1)
	v_cmp_ge_f32_e64 vcc_lo, |v13|, |v11|
	v_cndmask_b32_e32 v8, 0, v8, vcc_lo
	v_add_nc_u32_e32 v8, v10, v8
	s_delay_alu instid0(VALU_DEP_1) | instskip(NEXT) | instid1(VALU_DEP_1)
	v_bfe_i32 v8, v8, 0, 16
	v_mul_i32_i24_e32 v8, v8, v12
	s_delay_alu instid0(VALU_DEP_1) | instskip(NEXT) | instid1(VALU_DEP_1)
	v_sub_nc_u32_e32 v10, 0, v8
	v_max_i32_e32 v8, v8, v10
.LBB72_43:
	s_or_b32 exec_lo, exec_lo, s3
	v_lshrrev_b32_e32 v10, 16, v5
	v_dual_lshrrev_b32 v12, 16, v9 :: v_dual_ashrrev_i32 v9, 16, v9
	s_mov_b32 s11, 0
	s_mov_b32 s3, exec_lo
	s_delay_alu instid0(VALU_DEP_2) | instskip(NEXT) | instid1(VALU_DEP_1)
	v_sub_nc_u16 v11, 0, v10
	v_max_i16 v10, v10, v11
	v_cmpx_ne_u16_e32 0, v12
	s_cbranch_execz .LBB72_47
; %bb.44:
	v_sub_nc_u16 v11, 0, v9
	s_delay_alu instid0(VALU_DEP_1) | instskip(SKIP_1) | instid1(VALU_DEP_2)
	v_max_i16 v12, v9, v11
	v_and_b32_e32 v11, 0xffff, v10
	v_and_b32_e32 v12, 0xffff, v12
.LBB72_45:                              ; =>This Inner Loop Header: Depth=1
	s_delay_alu instid0(VALU_DEP_1) | instskip(NEXT) | instid1(VALU_DEP_2)
	v_bfe_i32 v14, v11, 0, 16
	v_mov_b32_e32 v10, v12
	s_delay_alu instid0(VALU_DEP_2) | instskip(NEXT) | instid1(VALU_DEP_2)
	v_cvt_f32_i32_e32 v16, v14
	v_bfe_i32 v12, v10, 0, 16
	s_delay_alu instid0(VALU_DEP_1) | instskip(SKIP_1) | instid1(VALU_DEP_2)
	v_cvt_f32_i32_e32 v13, v12
	v_xor_b32_e32 v12, v14, v12
	v_rcp_iflag_f32_e32 v15, v13
	v_nop
	s_delay_alu instid0(TRANS32_DEP_1) | instskip(NEXT) | instid1(VALU_DEP_1)
	v_dual_ashrrev_i32 v12, 30, v12 :: v_dual_mul_f32 v14, v16, v15
	v_trunc_f32_e32 v14, v14
	s_delay_alu instid0(VALU_DEP_1) | instskip(SKIP_1) | instid1(VALU_DEP_2)
	v_dual_fma_f32 v15, -v14, v13, v16 :: v_dual_bitop2_b32 v12, 1, v12 bitop3:0x54
	v_cvt_i32_f32_e32 v14, v14
	v_cmp_ge_f32_e64 vcc_lo, |v15|, |v13|
	s_delay_alu instid0(VALU_DEP_3) | instskip(NEXT) | instid1(VALU_DEP_1)
	v_cndmask_b32_e32 v12, 0, v12, vcc_lo
	v_add_nc_u32_e32 v12, v14, v12
	s_delay_alu instid0(VALU_DEP_1) | instskip(NEXT) | instid1(VALU_DEP_1)
	v_mul_lo_u32 v12, v12, v10
	v_sub_nc_u32_e32 v12, v11, v12
	s_delay_alu instid0(VALU_DEP_1) | instskip(SKIP_1) | instid1(VALU_DEP_2)
	v_and_b32_e32 v11, 0xffff, v12
	v_bfe_i32 v12, v12, 0, 16
	v_cmp_eq_u32_e32 vcc_lo, 0, v11
	v_mov_b32_e32 v11, v10
	s_or_b32 s11, vcc_lo, s11
	s_delay_alu instid0(SALU_CYCLE_1)
	s_and_not1_b32 exec_lo, exec_lo, s11
	s_cbranch_execnz .LBB72_45
; %bb.46:
	s_or_b32 exec_lo, exec_lo, s11
.LBB72_47:
	s_delay_alu instid0(SALU_CYCLE_1)
	s_or_b32 exec_lo, exec_lo, s3
	v_dual_ashrrev_i32 v5, 16, v5 :: v_dual_mov_b32 v11, 0
	s_mov_b32 s3, exec_lo
	v_cmpx_ne_u16_e32 0, v10
	s_cbranch_execz .LBB72_49
; %bb.48:
	v_bfe_i32 v10, v10, 0, 16
	v_cvt_f32_i32_e32 v13, v9
	s_delay_alu instid0(VALU_DEP_2) | instskip(SKIP_1) | instid1(VALU_DEP_2)
	v_cvt_f32_i32_e32 v11, v10
	v_xor_b32_e32 v9, v9, v10
	v_rcp_iflag_f32_e32 v12, v11
	s_delay_alu instid0(VALU_DEP_1)
	v_ashrrev_i32_e32 v9, 30, v9
	s_delay_alu instid0(TRANS32_DEP_1) | instid1(VALU_DEP_1)
	v_dual_mul_f32 v12, v13, v12 :: v_dual_bitop2_b32 v9, 1, v9 bitop3:0x54
	s_delay_alu instid0(VALU_DEP_1) | instskip(NEXT) | instid1(VALU_DEP_1)
	v_trunc_f32_e32 v10, v12
	v_fma_f32 v12, -v10, v11, v13
	v_cvt_i32_f32_e32 v10, v10
	s_delay_alu instid0(VALU_DEP_2) | instskip(SKIP_1) | instid1(VALU_DEP_1)
	v_cmp_ge_f32_e64 vcc_lo, |v12|, |v11|
	v_cndmask_b32_e32 v9, 0, v9, vcc_lo
	v_add_nc_u32_e32 v9, v10, v9
	s_delay_alu instid0(VALU_DEP_1) | instskip(NEXT) | instid1(VALU_DEP_1)
	v_bfe_i32 v9, v9, 0, 16
	v_mul_i32_i24_e32 v5, v9, v5
	s_delay_alu instid0(VALU_DEP_1) | instskip(NEXT) | instid1(VALU_DEP_1)
	v_sub_nc_u32_e32 v9, 0, v5
	v_max_i32_e32 v11, v5, v9
.LBB72_49:
	s_or_b32 exec_lo, exec_lo, s3
	s_delay_alu instid0(VALU_DEP_1)
	v_perm_b32 v5, v11, v8, 0x5040100
	v_perm_b32 v4, v4, v7, 0x5040100
	;; [unrolled: 1-line block ×4, first 2 shown]
	s_add_nc_u64 s[12:13], s[4:5], s[0:1]
	s_mov_b32 s0, 0
	global_store_b128 v0, v[2:5], s[12:13] scale_offset
.LBB72_50:
	s_and_b32 vcc_lo, exec_lo, s0
	s_cbranch_vccz .LBB72_133
; %bb.51:
	v_cmp_gt_i32_e32 vcc_lo, s10, v0
	s_wait_xcnt 0x0
	v_dual_mov_b32 v19, 0 :: v_dual_bitop2_b32 v5, s2, v0 bitop3:0x54
	v_or_b32_e32 v6, 0x100, v0
	v_dual_mov_b32 v22, 0 :: v_dual_mov_b32 v21, 0
	v_mov_b32_e32 v1, v0
	s_and_saveexec_b32 s0, vcc_lo
	s_cbranch_execz .LBB72_53
; %bb.52:
	s_clause 0x1
	global_load_u16 v22, v5, s[6:7] scale_offset
	global_load_u16 v21, v5, s[8:9] scale_offset
	v_or_b32_e32 v1, 0x100, v0
.LBB72_53:
	s_wait_xcnt 0x0
	s_or_b32 exec_lo, exec_lo, s0
	v_mov_b32_e32 v20, 0
	s_mov_b32 s1, exec_lo
	v_cmpx_gt_i32_e64 s10, v1
	s_cbranch_execz .LBB72_55
; %bb.54:
	v_add_nc_u32_e32 v2, s2, v1
	v_add_nc_u32_e32 v1, 0x100, v1
	s_clause 0x1
	global_load_u16 v19, v2, s[6:7] scale_offset
	global_load_u16 v20, v2, s[8:9] scale_offset
.LBB72_55:
	s_wait_xcnt 0x0
	s_or_b32 exec_lo, exec_lo, s1
	v_dual_mov_b32 v15, 0 :: v_dual_mov_b32 v18, 0
	v_mov_b32_e32 v17, 0
	s_mov_b32 s1, exec_lo
	v_cmpx_gt_i32_e64 s10, v1
	s_cbranch_execz .LBB72_57
; %bb.56:
	v_add_nc_u32_e32 v2, s2, v1
	v_add_nc_u32_e32 v1, 0x100, v1
	s_clause 0x1
	global_load_u16 v18, v2, s[6:7] scale_offset
	global_load_u16 v17, v2, s[8:9] scale_offset
.LBB72_57:
	s_wait_xcnt 0x0
	s_or_b32 exec_lo, exec_lo, s1
	v_mov_b32_e32 v16, 0
	s_mov_b32 s1, exec_lo
	v_cmpx_gt_i32_e64 s10, v1
	s_cbranch_execz .LBB72_59
; %bb.58:
	v_add_nc_u32_e32 v2, s2, v1
	v_add_nc_u32_e32 v1, 0x100, v1
	s_clause 0x1
	global_load_u16 v15, v2, s[6:7] scale_offset
	global_load_u16 v16, v2, s[8:9] scale_offset
.LBB72_59:
	s_wait_xcnt 0x0
	s_or_b32 exec_lo, exec_lo, s1
	v_dual_mov_b32 v11, 0 :: v_dual_mov_b32 v14, 0
	v_mov_b32_e32 v13, 0
	s_mov_b32 s1, exec_lo
	v_cmpx_gt_i32_e64 s10, v1
	s_cbranch_execz .LBB72_61
; %bb.60:
	v_add_nc_u32_e32 v2, s2, v1
	v_add_nc_u32_e32 v1, 0x100, v1
	s_clause 0x1
	global_load_u16 v14, v2, s[6:7] scale_offset
	global_load_u16 v13, v2, s[8:9] scale_offset
.LBB72_61:
	;; [unrolled: 27-line block ×3, first 2 shown]
	s_wait_xcnt 0x0
	s_or_b32 exec_lo, exec_lo, s1
	v_mov_b32_e32 v8, 0
	s_mov_b32 s1, exec_lo
	v_cmpx_gt_i32_e64 s10, v1
	s_cbranch_execz .LBB72_67
; %bb.66:
	v_add_nc_u32_e32 v1, s2, v1
	s_clause 0x1
	global_load_u16 v7, v1, s[6:7] scale_offset
	global_load_u16 v8, v1, s[8:9] scale_offset
.LBB72_67:
	s_wait_xcnt 0x0
	s_or_b32 exec_lo, exec_lo, s1
	v_mov_b32_e32 v4, 0
	s_delay_alu instid0(VALU_DEP_1)
	v_dual_mov_b32 v1, v4 :: v_dual_mov_b32 v2, v4
	v_mov_b32_e32 v3, v4
	s_and_saveexec_b32 s1, vcc_lo
	s_cbranch_execz .LBB72_75
; %bb.68:
	s_wait_loadcnt 0x0
	v_sub_nc_u16 v1, 0, v21
	s_mov_b32 s3, exec_lo
	s_delay_alu instid0(VALU_DEP_1)
	v_max_i16 v2, v21, v1
	v_cmpx_ne_u16_e32 0, v22
	s_cbranch_execz .LBB72_72
; %bb.69:
	v_sub_nc_u16 v1, 0, v22
	s_mov_b32 s6, 0
	s_delay_alu instid0(VALU_DEP_1) | instskip(SKIP_1) | instid1(VALU_DEP_2)
	v_max_i16 v3, v22, v1
	v_and_b32_e32 v1, 0xffff, v2
	v_and_b32_e32 v3, 0xffff, v3
.LBB72_70:                              ; =>This Inner Loop Header: Depth=1
	s_delay_alu instid0(VALU_DEP_1) | instskip(NEXT) | instid1(VALU_DEP_1)
	v_bfe_i32 v23, v1, 0, 16
	v_cvt_f32_i32_e32 v25, v23
	s_delay_alu instid0(VALU_DEP_3) | instskip(NEXT) | instid1(VALU_DEP_1)
	v_mov_b32_e32 v2, v3
	v_bfe_i32 v3, v2, 0, 16
	s_delay_alu instid0(VALU_DEP_1) | instskip(SKIP_1) | instid1(VALU_DEP_2)
	v_cvt_f32_i32_e32 v4, v3
	v_xor_b32_e32 v3, v23, v3
	v_rcp_iflag_f32_e32 v24, v4
	v_nop
	s_delay_alu instid0(TRANS32_DEP_1) | instskip(NEXT) | instid1(VALU_DEP_1)
	v_mul_f32_e32 v23, v25, v24
	v_trunc_f32_e32 v23, v23
	s_delay_alu instid0(VALU_DEP_1) | instskip(SKIP_1) | instid1(VALU_DEP_2)
	v_dual_fma_f32 v24, -v23, v4, v25 :: v_dual_ashrrev_i32 v3, 30, v3
	v_cvt_i32_f32_e32 v23, v23
	v_cmp_ge_f32_e64 s0, |v24|, |v4|
	s_delay_alu instid0(VALU_DEP_3) | instskip(NEXT) | instid1(VALU_DEP_1)
	v_or_b32_e32 v3, 1, v3
	v_cndmask_b32_e64 v3, 0, v3, s0
	s_delay_alu instid0(VALU_DEP_1) | instskip(NEXT) | instid1(VALU_DEP_1)
	v_add_nc_u32_e32 v3, v23, v3
	v_mul_lo_u32 v3, v3, v2
	s_delay_alu instid0(VALU_DEP_1) | instskip(NEXT) | instid1(VALU_DEP_1)
	v_sub_nc_u32_e32 v3, v1, v3
	v_and_b32_e32 v1, 0xffff, v3
	v_bfe_i32 v3, v3, 0, 16
	s_delay_alu instid0(VALU_DEP_2) | instskip(SKIP_2) | instid1(SALU_CYCLE_1)
	v_cmp_eq_u32_e64 s0, 0, v1
	v_mov_b32_e32 v1, v2
	s_or_b32 s6, s0, s6
	s_and_not1_b32 exec_lo, exec_lo, s6
	s_cbranch_execnz .LBB72_70
; %bb.71:
	s_or_b32 exec_lo, exec_lo, s6
.LBB72_72:
	s_delay_alu instid0(SALU_CYCLE_1)
	s_or_b32 exec_lo, exec_lo, s3
	v_dual_mov_b32 v1, 0 :: v_dual_mov_b32 v3, 0
	s_mov_b32 s3, exec_lo
	v_cmpx_ne_u16_e32 0, v2
	s_cbranch_execz .LBB72_74
; %bb.73:
	v_bfe_i32 v2, v2, 0, 16
	v_bfe_i32 v4, v22, 0, 16
	s_delay_alu instid0(VALU_DEP_2) | instskip(NEXT) | instid1(VALU_DEP_2)
	v_cvt_f32_i32_e32 v3, v2
	v_cvt_f32_i32_e32 v23, v4
	v_xor_b32_e32 v2, v4, v2
	s_delay_alu instid0(VALU_DEP_3) | instskip(SKIP_1) | instid1(TRANS32_DEP_1)
	v_rcp_iflag_f32_e32 v22, v3
	v_nop
	v_mul_f32_e32 v22, v23, v22
	s_delay_alu instid0(VALU_DEP_1) | instskip(NEXT) | instid1(VALU_DEP_1)
	v_trunc_f32_e32 v4, v22
	v_dual_fma_f32 v22, -v4, v3, v23 :: v_dual_ashrrev_i32 v2, 30, v2
	v_cvt_i32_f32_e32 v4, v4
	s_delay_alu instid0(VALU_DEP_2) | instskip(NEXT) | instid1(VALU_DEP_3)
	v_cmp_ge_f32_e64 s0, |v22|, |v3|
	v_or_b32_e32 v2, 1, v2
	v_bfe_i32 v3, v21, 0, 16
	s_delay_alu instid0(VALU_DEP_2) | instskip(NEXT) | instid1(VALU_DEP_1)
	v_cndmask_b32_e64 v2, 0, v2, s0
	v_add_nc_u32_e32 v2, v4, v2
	s_delay_alu instid0(VALU_DEP_1) | instskip(NEXT) | instid1(VALU_DEP_1)
	v_bfe_i32 v2, v2, 0, 16
	v_mul_i32_i24_e32 v2, v2, v3
	s_delay_alu instid0(VALU_DEP_1) | instskip(NEXT) | instid1(VALU_DEP_1)
	v_sub_nc_u32_e32 v3, 0, v2
	v_max_i32_e32 v3, v2, v3
.LBB72_74:
	s_or_b32 exec_lo, exec_lo, s3
	s_delay_alu instid0(VALU_DEP_1)
	v_and_b32_e32 v4, 0xffff, v3
	v_dual_mov_b32 v2, v1 :: v_dual_mov_b32 v3, v1
.LBB72_75:
	s_or_b32 exec_lo, exec_lo, s1
	s_delay_alu instid0(SALU_CYCLE_1)
	s_mov_b32 s1, exec_lo
	v_cmpx_gt_i32_e64 s10, v6
	s_cbranch_execz .LBB72_83
; %bb.76:
	s_wait_loadcnt 0x0
	v_sub_nc_u16 v21, 0, v20
	s_mov_b32 s6, 0
	s_mov_b32 s3, exec_lo
	s_delay_alu instid0(VALU_DEP_1)
	v_max_i16 v21, v20, v21
	v_cmpx_ne_u16_e32 0, v19
	s_cbranch_execz .LBB72_80
; %bb.77:
	v_sub_nc_u16 v22, 0, v19
	s_delay_alu instid0(VALU_DEP_1) | instskip(SKIP_1) | instid1(VALU_DEP_2)
	v_max_i16 v23, v19, v22
	v_and_b32_e32 v22, 0xffff, v21
	v_and_b32_e32 v23, 0xffff, v23
.LBB72_78:                              ; =>This Inner Loop Header: Depth=1
	s_delay_alu instid0(VALU_DEP_1) | instskip(NEXT) | instid1(VALU_DEP_2)
	v_bfe_i32 v25, v22, 0, 16
	v_mov_b32_e32 v21, v23
	s_delay_alu instid0(VALU_DEP_2) | instskip(NEXT) | instid1(VALU_DEP_2)
	v_cvt_f32_i32_e32 v27, v25
	v_bfe_i32 v23, v21, 0, 16
	s_delay_alu instid0(VALU_DEP_1) | instskip(SKIP_1) | instid1(VALU_DEP_2)
	v_cvt_f32_i32_e32 v24, v23
	v_xor_b32_e32 v23, v25, v23
	v_rcp_iflag_f32_e32 v26, v24
	v_nop
	s_delay_alu instid0(TRANS32_DEP_1) | instskip(NEXT) | instid1(VALU_DEP_1)
	v_dual_ashrrev_i32 v23, 30, v23 :: v_dual_mul_f32 v25, v27, v26
	v_trunc_f32_e32 v25, v25
	s_delay_alu instid0(VALU_DEP_1) | instskip(SKIP_1) | instid1(VALU_DEP_2)
	v_dual_fma_f32 v26, -v25, v24, v27 :: v_dual_bitop2_b32 v23, 1, v23 bitop3:0x54
	v_cvt_i32_f32_e32 v25, v25
	v_cmp_ge_f32_e64 s0, |v26|, |v24|
	s_delay_alu instid0(VALU_DEP_1) | instskip(NEXT) | instid1(VALU_DEP_1)
	v_cndmask_b32_e64 v23, 0, v23, s0
	v_add_nc_u32_e32 v23, v25, v23
	s_delay_alu instid0(VALU_DEP_1) | instskip(NEXT) | instid1(VALU_DEP_1)
	v_mul_lo_u32 v23, v23, v21
	v_sub_nc_u32_e32 v23, v22, v23
	s_delay_alu instid0(VALU_DEP_1) | instskip(SKIP_1) | instid1(VALU_DEP_2)
	v_and_b32_e32 v22, 0xffff, v23
	v_bfe_i32 v23, v23, 0, 16
	v_cmp_eq_u32_e64 s0, 0, v22
	v_mov_b32_e32 v22, v21
	s_or_b32 s6, s0, s6
	s_delay_alu instid0(SALU_CYCLE_1)
	s_and_not1_b32 exec_lo, exec_lo, s6
	s_cbranch_execnz .LBB72_78
; %bb.79:
	s_or_b32 exec_lo, exec_lo, s6
.LBB72_80:
	s_delay_alu instid0(SALU_CYCLE_1)
	s_or_b32 exec_lo, exec_lo, s3
	v_mov_b32_e32 v22, 0
	s_mov_b32 s3, exec_lo
	v_cmpx_ne_u16_e32 0, v21
	s_cbranch_execz .LBB72_82
; %bb.81:
	v_bfe_i32 v21, v21, 0, 16
	v_bfe_i32 v19, v19, 0, 16
	;; [unrolled: 1-line block ×3, first 2 shown]
	s_delay_alu instid0(VALU_DEP_3) | instskip(NEXT) | instid1(VALU_DEP_3)
	v_cvt_f32_i32_e32 v22, v21
	v_cvt_f32_i32_e32 v24, v19
	v_xor_b32_e32 v19, v19, v21
	s_delay_alu instid0(VALU_DEP_3) | instskip(SKIP_1) | instid1(TRANS32_DEP_1)
	v_rcp_iflag_f32_e32 v23, v22
	v_nop
	v_mul_f32_e32 v23, v24, v23
	s_delay_alu instid0(VALU_DEP_1) | instskip(NEXT) | instid1(VALU_DEP_1)
	v_trunc_f32_e32 v21, v23
	v_dual_ashrrev_i32 v19, 30, v19 :: v_dual_fma_f32 v23, -v21, v22, v24
	s_delay_alu instid0(VALU_DEP_1) | instskip(SKIP_1) | instid1(VALU_DEP_3)
	v_or_b32_e32 v19, 1, v19
	v_cvt_i32_f32_e32 v21, v21
	v_cmp_ge_f32_e64 s0, |v23|, |v22|
	s_delay_alu instid0(VALU_DEP_1) | instskip(NEXT) | instid1(VALU_DEP_1)
	v_cndmask_b32_e64 v19, 0, v19, s0
	v_add_nc_u32_e32 v19, v21, v19
	s_delay_alu instid0(VALU_DEP_1) | instskip(NEXT) | instid1(VALU_DEP_1)
	v_bfe_i32 v19, v19, 0, 16
	v_mul_i32_i24_e32 v19, v19, v20
	s_delay_alu instid0(VALU_DEP_1) | instskip(NEXT) | instid1(VALU_DEP_1)
	v_sub_nc_u32_e32 v20, 0, v19
	v_max_i32_e32 v22, v19, v20
.LBB72_82:
	s_or_b32 exec_lo, exec_lo, s3
	s_delay_alu instid0(VALU_DEP_1)
	v_perm_b32 v4, v22, v4, 0x5040100
.LBB72_83:
	s_or_b32 exec_lo, exec_lo, s1
	s_wait_loadcnt 0x1
	v_or_b32_e32 v19, 0x200, v0
	s_mov_b32 s1, exec_lo
	s_delay_alu instid0(VALU_DEP_1)
	v_cmpx_gt_i32_e64 s10, v19
	s_cbranch_execz .LBB72_91
; %bb.84:
	s_wait_loadcnt 0x0
	v_sub_nc_u16 v19, 0, v17
	s_mov_b32 s6, 0
	s_mov_b32 s3, exec_lo
	s_delay_alu instid0(VALU_DEP_1)
	v_max_i16 v19, v17, v19
	v_cmpx_ne_u16_e32 0, v18
	s_cbranch_execz .LBB72_88
; %bb.85:
	v_sub_nc_u16 v20, 0, v18
	s_delay_alu instid0(VALU_DEP_1) | instskip(SKIP_1) | instid1(VALU_DEP_2)
	v_max_i16 v21, v18, v20
	v_and_b32_e32 v20, 0xffff, v19
	v_and_b32_e32 v21, 0xffff, v21
.LBB72_86:                              ; =>This Inner Loop Header: Depth=1
	s_delay_alu instid0(VALU_DEP_1) | instskip(NEXT) | instid1(VALU_DEP_2)
	v_bfe_i32 v23, v20, 0, 16
	v_mov_b32_e32 v19, v21
	s_delay_alu instid0(VALU_DEP_2) | instskip(NEXT) | instid1(VALU_DEP_2)
	v_cvt_f32_i32_e32 v25, v23
	v_bfe_i32 v21, v19, 0, 16
	s_delay_alu instid0(VALU_DEP_1) | instskip(SKIP_1) | instid1(VALU_DEP_2)
	v_cvt_f32_i32_e32 v22, v21
	v_xor_b32_e32 v21, v23, v21
	v_rcp_iflag_f32_e32 v24, v22
	v_nop
	s_delay_alu instid0(TRANS32_DEP_1) | instskip(NEXT) | instid1(VALU_DEP_1)
	v_dual_ashrrev_i32 v21, 30, v21 :: v_dual_mul_f32 v23, v25, v24
	v_trunc_f32_e32 v23, v23
	s_delay_alu instid0(VALU_DEP_1) | instskip(SKIP_1) | instid1(VALU_DEP_2)
	v_dual_fma_f32 v24, -v23, v22, v25 :: v_dual_bitop2_b32 v21, 1, v21 bitop3:0x54
	v_cvt_i32_f32_e32 v23, v23
	v_cmp_ge_f32_e64 s0, |v24|, |v22|
	s_delay_alu instid0(VALU_DEP_1) | instskip(NEXT) | instid1(VALU_DEP_1)
	v_cndmask_b32_e64 v21, 0, v21, s0
	v_add_nc_u32_e32 v21, v23, v21
	s_delay_alu instid0(VALU_DEP_1) | instskip(NEXT) | instid1(VALU_DEP_1)
	v_mul_lo_u32 v21, v21, v19
	v_sub_nc_u32_e32 v21, v20, v21
	s_delay_alu instid0(VALU_DEP_1) | instskip(SKIP_1) | instid1(VALU_DEP_2)
	v_and_b32_e32 v20, 0xffff, v21
	v_bfe_i32 v21, v21, 0, 16
	v_cmp_eq_u32_e64 s0, 0, v20
	v_mov_b32_e32 v20, v19
	s_or_b32 s6, s0, s6
	s_delay_alu instid0(SALU_CYCLE_1)
	s_and_not1_b32 exec_lo, exec_lo, s6
	s_cbranch_execnz .LBB72_86
; %bb.87:
	s_or_b32 exec_lo, exec_lo, s6
.LBB72_88:
	s_delay_alu instid0(SALU_CYCLE_1)
	s_or_b32 exec_lo, exec_lo, s3
	v_mov_b32_e32 v20, 0
	s_mov_b32 s3, exec_lo
	v_cmpx_ne_u16_e32 0, v19
	s_cbranch_execz .LBB72_90
; %bb.89:
	v_bfe_i32 v19, v19, 0, 16
	v_bfe_i32 v18, v18, 0, 16
	;; [unrolled: 1-line block ×3, first 2 shown]
	s_delay_alu instid0(VALU_DEP_3) | instskip(NEXT) | instid1(VALU_DEP_3)
	v_cvt_f32_i32_e32 v20, v19
	v_cvt_f32_i32_e32 v22, v18
	v_xor_b32_e32 v18, v18, v19
	s_delay_alu instid0(VALU_DEP_3) | instskip(SKIP_1) | instid1(TRANS32_DEP_1)
	v_rcp_iflag_f32_e32 v21, v20
	v_nop
	v_dual_mul_f32 v21, v22, v21 :: v_dual_ashrrev_i32 v18, 30, v18
	s_delay_alu instid0(VALU_DEP_1) | instskip(NEXT) | instid1(VALU_DEP_2)
	v_or_b32_e32 v18, 1, v18
	v_trunc_f32_e32 v19, v21
	s_delay_alu instid0(VALU_DEP_1) | instskip(SKIP_1) | instid1(VALU_DEP_2)
	v_fma_f32 v21, -v19, v20, v22
	v_cvt_i32_f32_e32 v19, v19
	v_cmp_ge_f32_e64 s0, |v21|, |v20|
	s_delay_alu instid0(VALU_DEP_1) | instskip(NEXT) | instid1(VALU_DEP_1)
	v_cndmask_b32_e64 v18, 0, v18, s0
	v_add_nc_u32_e32 v18, v19, v18
	s_delay_alu instid0(VALU_DEP_1) | instskip(NEXT) | instid1(VALU_DEP_1)
	v_bfe_i32 v18, v18, 0, 16
	v_mul_i32_i24_e32 v17, v18, v17
	s_delay_alu instid0(VALU_DEP_1) | instskip(NEXT) | instid1(VALU_DEP_1)
	v_sub_nc_u32_e32 v18, 0, v17
	v_max_i32_e32 v20, v17, v18
.LBB72_90:
	s_or_b32 exec_lo, exec_lo, s3
	s_delay_alu instid0(VALU_DEP_1)
	v_bfi_b32 v1, 0xffff, v20, v1
.LBB72_91:
	s_or_b32 exec_lo, exec_lo, s1
	s_wait_loadcnt 0x0
	v_or_b32_e32 v17, 0x300, v0
	s_mov_b32 s1, exec_lo
	s_delay_alu instid0(VALU_DEP_1)
	v_cmpx_gt_i32_e64 s10, v17
	s_cbranch_execz .LBB72_99
; %bb.92:
	v_sub_nc_u16 v17, 0, v16
	s_mov_b32 s6, 0
	s_mov_b32 s3, exec_lo
	s_delay_alu instid0(VALU_DEP_1)
	v_max_i16 v17, v16, v17
	v_cmpx_ne_u16_e32 0, v15
	s_cbranch_execz .LBB72_96
; %bb.93:
	v_sub_nc_u16 v18, 0, v15
	s_delay_alu instid0(VALU_DEP_1) | instskip(SKIP_1) | instid1(VALU_DEP_2)
	v_max_i16 v19, v15, v18
	v_and_b32_e32 v18, 0xffff, v17
	v_and_b32_e32 v19, 0xffff, v19
.LBB72_94:                              ; =>This Inner Loop Header: Depth=1
	s_delay_alu instid0(VALU_DEP_1) | instskip(NEXT) | instid1(VALU_DEP_2)
	v_bfe_i32 v21, v18, 0, 16
	v_mov_b32_e32 v17, v19
	s_delay_alu instid0(VALU_DEP_2) | instskip(NEXT) | instid1(VALU_DEP_2)
	v_cvt_f32_i32_e32 v23, v21
	v_bfe_i32 v19, v17, 0, 16
	s_delay_alu instid0(VALU_DEP_1) | instskip(SKIP_1) | instid1(VALU_DEP_2)
	v_cvt_f32_i32_e32 v20, v19
	v_xor_b32_e32 v19, v21, v19
	v_rcp_iflag_f32_e32 v22, v20
	v_nop
	s_delay_alu instid0(TRANS32_DEP_1) | instskip(NEXT) | instid1(VALU_DEP_1)
	v_dual_ashrrev_i32 v19, 30, v19 :: v_dual_mul_f32 v21, v23, v22
	v_trunc_f32_e32 v21, v21
	s_delay_alu instid0(VALU_DEP_1) | instskip(SKIP_1) | instid1(VALU_DEP_2)
	v_dual_fma_f32 v22, -v21, v20, v23 :: v_dual_bitop2_b32 v19, 1, v19 bitop3:0x54
	v_cvt_i32_f32_e32 v21, v21
	v_cmp_ge_f32_e64 s0, |v22|, |v20|
	s_delay_alu instid0(VALU_DEP_1) | instskip(NEXT) | instid1(VALU_DEP_1)
	v_cndmask_b32_e64 v19, 0, v19, s0
	v_add_nc_u32_e32 v19, v21, v19
	s_delay_alu instid0(VALU_DEP_1) | instskip(NEXT) | instid1(VALU_DEP_1)
	v_mul_lo_u32 v19, v19, v17
	v_sub_nc_u32_e32 v19, v18, v19
	s_delay_alu instid0(VALU_DEP_1) | instskip(SKIP_1) | instid1(VALU_DEP_2)
	v_and_b32_e32 v18, 0xffff, v19
	v_bfe_i32 v19, v19, 0, 16
	v_cmp_eq_u32_e64 s0, 0, v18
	v_mov_b32_e32 v18, v17
	s_or_b32 s6, s0, s6
	s_delay_alu instid0(SALU_CYCLE_1)
	s_and_not1_b32 exec_lo, exec_lo, s6
	s_cbranch_execnz .LBB72_94
; %bb.95:
	s_or_b32 exec_lo, exec_lo, s6
.LBB72_96:
	s_delay_alu instid0(SALU_CYCLE_1)
	s_or_b32 exec_lo, exec_lo, s3
	v_mov_b32_e32 v18, 0
	s_mov_b32 s3, exec_lo
	v_cmpx_ne_u16_e32 0, v17
	s_cbranch_execz .LBB72_98
; %bb.97:
	v_bfe_i32 v17, v17, 0, 16
	v_bfe_i32 v15, v15, 0, 16
	;; [unrolled: 1-line block ×3, first 2 shown]
	s_delay_alu instid0(VALU_DEP_3) | instskip(NEXT) | instid1(VALU_DEP_3)
	v_cvt_f32_i32_e32 v18, v17
	v_cvt_f32_i32_e32 v20, v15
	v_xor_b32_e32 v15, v15, v17
	s_delay_alu instid0(VALU_DEP_3) | instskip(SKIP_1) | instid1(TRANS32_DEP_1)
	v_rcp_iflag_f32_e32 v19, v18
	v_nop
	v_mul_f32_e32 v19, v20, v19
	s_delay_alu instid0(VALU_DEP_1) | instskip(NEXT) | instid1(VALU_DEP_1)
	v_trunc_f32_e32 v17, v19
	v_dual_ashrrev_i32 v15, 30, v15 :: v_dual_fma_f32 v19, -v17, v18, v20
	s_delay_alu instid0(VALU_DEP_1) | instskip(SKIP_1) | instid1(VALU_DEP_3)
	v_or_b32_e32 v15, 1, v15
	v_cvt_i32_f32_e32 v17, v17
	v_cmp_ge_f32_e64 s0, |v19|, |v18|
	s_delay_alu instid0(VALU_DEP_1) | instskip(NEXT) | instid1(VALU_DEP_1)
	v_cndmask_b32_e64 v15, 0, v15, s0
	v_add_nc_u32_e32 v15, v17, v15
	s_delay_alu instid0(VALU_DEP_1) | instskip(NEXT) | instid1(VALU_DEP_1)
	v_bfe_i32 v15, v15, 0, 16
	v_mul_i32_i24_e32 v15, v15, v16
	s_delay_alu instid0(VALU_DEP_1) | instskip(NEXT) | instid1(VALU_DEP_1)
	v_sub_nc_u32_e32 v16, 0, v15
	v_max_i32_e32 v18, v15, v16
.LBB72_98:
	s_or_b32 exec_lo, exec_lo, s3
	s_delay_alu instid0(VALU_DEP_1)
	v_perm_b32 v1, v18, v1, 0x5040100
.LBB72_99:
	s_or_b32 exec_lo, exec_lo, s1
	v_or_b32_e32 v15, 0x400, v0
	s_mov_b32 s1, exec_lo
	s_delay_alu instid0(VALU_DEP_1)
	v_cmpx_gt_i32_e64 s10, v15
	s_cbranch_execz .LBB72_107
; %bb.100:
	v_sub_nc_u16 v15, 0, v13
	s_mov_b32 s6, 0
	s_mov_b32 s3, exec_lo
	s_delay_alu instid0(VALU_DEP_1)
	v_max_i16 v15, v13, v15
	v_cmpx_ne_u16_e32 0, v14
	s_cbranch_execz .LBB72_104
; %bb.101:
	v_sub_nc_u16 v16, 0, v14
	s_delay_alu instid0(VALU_DEP_1) | instskip(SKIP_1) | instid1(VALU_DEP_2)
	v_max_i16 v17, v14, v16
	v_and_b32_e32 v16, 0xffff, v15
	v_and_b32_e32 v17, 0xffff, v17
.LBB72_102:                             ; =>This Inner Loop Header: Depth=1
	s_delay_alu instid0(VALU_DEP_1) | instskip(NEXT) | instid1(VALU_DEP_2)
	v_bfe_i32 v19, v16, 0, 16
	v_mov_b32_e32 v15, v17
	s_delay_alu instid0(VALU_DEP_2) | instskip(NEXT) | instid1(VALU_DEP_2)
	v_cvt_f32_i32_e32 v21, v19
	v_bfe_i32 v17, v15, 0, 16
	s_delay_alu instid0(VALU_DEP_1) | instskip(SKIP_1) | instid1(VALU_DEP_2)
	v_cvt_f32_i32_e32 v18, v17
	v_xor_b32_e32 v17, v19, v17
	v_rcp_iflag_f32_e32 v20, v18
	v_nop
	s_delay_alu instid0(TRANS32_DEP_1) | instskip(NEXT) | instid1(VALU_DEP_1)
	v_dual_ashrrev_i32 v17, 30, v17 :: v_dual_mul_f32 v19, v21, v20
	v_trunc_f32_e32 v19, v19
	s_delay_alu instid0(VALU_DEP_1) | instskip(SKIP_1) | instid1(VALU_DEP_2)
	v_dual_fma_f32 v20, -v19, v18, v21 :: v_dual_bitop2_b32 v17, 1, v17 bitop3:0x54
	v_cvt_i32_f32_e32 v19, v19
	v_cmp_ge_f32_e64 s0, |v20|, |v18|
	s_delay_alu instid0(VALU_DEP_1) | instskip(NEXT) | instid1(VALU_DEP_1)
	v_cndmask_b32_e64 v17, 0, v17, s0
	v_add_nc_u32_e32 v17, v19, v17
	s_delay_alu instid0(VALU_DEP_1) | instskip(NEXT) | instid1(VALU_DEP_1)
	v_mul_lo_u32 v17, v17, v15
	v_sub_nc_u32_e32 v17, v16, v17
	s_delay_alu instid0(VALU_DEP_1) | instskip(SKIP_1) | instid1(VALU_DEP_2)
	v_and_b32_e32 v16, 0xffff, v17
	v_bfe_i32 v17, v17, 0, 16
	v_cmp_eq_u32_e64 s0, 0, v16
	v_mov_b32_e32 v16, v15
	s_or_b32 s6, s0, s6
	s_delay_alu instid0(SALU_CYCLE_1)
	s_and_not1_b32 exec_lo, exec_lo, s6
	s_cbranch_execnz .LBB72_102
; %bb.103:
	s_or_b32 exec_lo, exec_lo, s6
.LBB72_104:
	s_delay_alu instid0(SALU_CYCLE_1)
	s_or_b32 exec_lo, exec_lo, s3
	v_mov_b32_e32 v16, 0
	s_mov_b32 s3, exec_lo
	v_cmpx_ne_u16_e32 0, v15
	s_cbranch_execz .LBB72_106
; %bb.105:
	v_bfe_i32 v15, v15, 0, 16
	v_bfe_i32 v14, v14, 0, 16
	;; [unrolled: 1-line block ×3, first 2 shown]
	s_delay_alu instid0(VALU_DEP_3) | instskip(NEXT) | instid1(VALU_DEP_3)
	v_cvt_f32_i32_e32 v16, v15
	v_cvt_f32_i32_e32 v18, v14
	v_xor_b32_e32 v14, v14, v15
	s_delay_alu instid0(VALU_DEP_3) | instskip(SKIP_1) | instid1(TRANS32_DEP_1)
	v_rcp_iflag_f32_e32 v17, v16
	v_nop
	v_dual_mul_f32 v17, v18, v17 :: v_dual_ashrrev_i32 v14, 30, v14
	s_delay_alu instid0(VALU_DEP_1) | instskip(NEXT) | instid1(VALU_DEP_2)
	v_or_b32_e32 v14, 1, v14
	v_trunc_f32_e32 v15, v17
	s_delay_alu instid0(VALU_DEP_1) | instskip(SKIP_1) | instid1(VALU_DEP_2)
	v_fma_f32 v17, -v15, v16, v18
	v_cvt_i32_f32_e32 v15, v15
	v_cmp_ge_f32_e64 s0, |v17|, |v16|
	s_delay_alu instid0(VALU_DEP_1) | instskip(NEXT) | instid1(VALU_DEP_1)
	v_cndmask_b32_e64 v14, 0, v14, s0
	v_add_nc_u32_e32 v14, v15, v14
	s_delay_alu instid0(VALU_DEP_1) | instskip(NEXT) | instid1(VALU_DEP_1)
	v_bfe_i32 v14, v14, 0, 16
	v_mul_i32_i24_e32 v13, v14, v13
	s_delay_alu instid0(VALU_DEP_1) | instskip(NEXT) | instid1(VALU_DEP_1)
	v_sub_nc_u32_e32 v14, 0, v13
	v_max_i32_e32 v16, v13, v14
.LBB72_106:
	s_or_b32 exec_lo, exec_lo, s3
	s_delay_alu instid0(VALU_DEP_1)
	v_bfi_b32 v2, 0xffff, v16, v2
.LBB72_107:
	s_or_b32 exec_lo, exec_lo, s1
	v_or_b32_e32 v13, 0x500, v0
	s_mov_b32 s1, exec_lo
	s_delay_alu instid0(VALU_DEP_1)
	v_cmpx_gt_i32_e64 s10, v13
	s_cbranch_execz .LBB72_115
; %bb.108:
	v_sub_nc_u16 v13, 0, v12
	s_mov_b32 s6, 0
	s_mov_b32 s3, exec_lo
	s_delay_alu instid0(VALU_DEP_1)
	v_max_i16 v13, v12, v13
	v_cmpx_ne_u16_e32 0, v11
	s_cbranch_execz .LBB72_112
; %bb.109:
	v_sub_nc_u16 v14, 0, v11
	s_delay_alu instid0(VALU_DEP_1) | instskip(SKIP_1) | instid1(VALU_DEP_2)
	v_max_i16 v15, v11, v14
	v_and_b32_e32 v14, 0xffff, v13
	v_and_b32_e32 v15, 0xffff, v15
.LBB72_110:                             ; =>This Inner Loop Header: Depth=1
	s_delay_alu instid0(VALU_DEP_1) | instskip(NEXT) | instid1(VALU_DEP_2)
	v_bfe_i32 v17, v14, 0, 16
	v_mov_b32_e32 v13, v15
	s_delay_alu instid0(VALU_DEP_2) | instskip(NEXT) | instid1(VALU_DEP_2)
	v_cvt_f32_i32_e32 v19, v17
	v_bfe_i32 v15, v13, 0, 16
	s_delay_alu instid0(VALU_DEP_1) | instskip(SKIP_1) | instid1(VALU_DEP_2)
	v_cvt_f32_i32_e32 v16, v15
	v_xor_b32_e32 v15, v17, v15
	v_rcp_iflag_f32_e32 v18, v16
	v_nop
	s_delay_alu instid0(TRANS32_DEP_1) | instskip(NEXT) | instid1(VALU_DEP_1)
	v_dual_ashrrev_i32 v15, 30, v15 :: v_dual_mul_f32 v17, v19, v18
	v_trunc_f32_e32 v17, v17
	s_delay_alu instid0(VALU_DEP_1) | instskip(SKIP_1) | instid1(VALU_DEP_2)
	v_dual_fma_f32 v18, -v17, v16, v19 :: v_dual_bitop2_b32 v15, 1, v15 bitop3:0x54
	v_cvt_i32_f32_e32 v17, v17
	v_cmp_ge_f32_e64 s0, |v18|, |v16|
	s_delay_alu instid0(VALU_DEP_1) | instskip(NEXT) | instid1(VALU_DEP_1)
	v_cndmask_b32_e64 v15, 0, v15, s0
	v_add_nc_u32_e32 v15, v17, v15
	s_delay_alu instid0(VALU_DEP_1) | instskip(NEXT) | instid1(VALU_DEP_1)
	v_mul_lo_u32 v15, v15, v13
	v_sub_nc_u32_e32 v15, v14, v15
	s_delay_alu instid0(VALU_DEP_1) | instskip(SKIP_1) | instid1(VALU_DEP_2)
	v_and_b32_e32 v14, 0xffff, v15
	v_bfe_i32 v15, v15, 0, 16
	v_cmp_eq_u32_e64 s0, 0, v14
	v_mov_b32_e32 v14, v13
	s_or_b32 s6, s0, s6
	s_delay_alu instid0(SALU_CYCLE_1)
	s_and_not1_b32 exec_lo, exec_lo, s6
	s_cbranch_execnz .LBB72_110
; %bb.111:
	s_or_b32 exec_lo, exec_lo, s6
.LBB72_112:
	s_delay_alu instid0(SALU_CYCLE_1)
	s_or_b32 exec_lo, exec_lo, s3
	v_mov_b32_e32 v14, 0
	s_mov_b32 s3, exec_lo
	v_cmpx_ne_u16_e32 0, v13
	s_cbranch_execz .LBB72_114
; %bb.113:
	v_bfe_i32 v13, v13, 0, 16
	v_bfe_i32 v11, v11, 0, 16
	;; [unrolled: 1-line block ×3, first 2 shown]
	s_delay_alu instid0(VALU_DEP_3) | instskip(NEXT) | instid1(VALU_DEP_3)
	v_cvt_f32_i32_e32 v14, v13
	v_cvt_f32_i32_e32 v16, v11
	v_xor_b32_e32 v11, v11, v13
	s_delay_alu instid0(VALU_DEP_3) | instskip(SKIP_1) | instid1(TRANS32_DEP_1)
	v_rcp_iflag_f32_e32 v15, v14
	v_nop
	v_mul_f32_e32 v15, v16, v15
	s_delay_alu instid0(VALU_DEP_1) | instskip(NEXT) | instid1(VALU_DEP_1)
	v_trunc_f32_e32 v13, v15
	v_dual_ashrrev_i32 v11, 30, v11 :: v_dual_fma_f32 v15, -v13, v14, v16
	s_delay_alu instid0(VALU_DEP_1) | instskip(SKIP_1) | instid1(VALU_DEP_3)
	v_or_b32_e32 v11, 1, v11
	v_cvt_i32_f32_e32 v13, v13
	v_cmp_ge_f32_e64 s0, |v15|, |v14|
	s_delay_alu instid0(VALU_DEP_1) | instskip(NEXT) | instid1(VALU_DEP_1)
	v_cndmask_b32_e64 v11, 0, v11, s0
	v_add_nc_u32_e32 v11, v13, v11
	s_delay_alu instid0(VALU_DEP_1) | instskip(NEXT) | instid1(VALU_DEP_1)
	v_bfe_i32 v11, v11, 0, 16
	v_mul_i32_i24_e32 v11, v11, v12
	s_delay_alu instid0(VALU_DEP_1) | instskip(NEXT) | instid1(VALU_DEP_1)
	v_sub_nc_u32_e32 v12, 0, v11
	v_max_i32_e32 v14, v11, v12
.LBB72_114:
	s_or_b32 exec_lo, exec_lo, s3
	s_delay_alu instid0(VALU_DEP_1)
	v_perm_b32 v2, v14, v2, 0x5040100
.LBB72_115:
	s_or_b32 exec_lo, exec_lo, s1
	v_or_b32_e32 v11, 0x600, v0
	s_mov_b32 s1, exec_lo
	s_delay_alu instid0(VALU_DEP_1)
	v_cmpx_gt_i32_e64 s10, v11
	s_cbranch_execz .LBB72_123
; %bb.116:
	v_sub_nc_u16 v11, 0, v9
	s_mov_b32 s6, 0
	s_mov_b32 s3, exec_lo
	s_delay_alu instid0(VALU_DEP_1)
	v_max_i16 v11, v9, v11
	v_cmpx_ne_u16_e32 0, v10
	s_cbranch_execz .LBB72_120
; %bb.117:
	v_sub_nc_u16 v12, 0, v10
	s_delay_alu instid0(VALU_DEP_1) | instskip(SKIP_1) | instid1(VALU_DEP_2)
	v_max_i16 v13, v10, v12
	v_and_b32_e32 v12, 0xffff, v11
	v_and_b32_e32 v13, 0xffff, v13
.LBB72_118:                             ; =>This Inner Loop Header: Depth=1
	s_delay_alu instid0(VALU_DEP_1) | instskip(NEXT) | instid1(VALU_DEP_2)
	v_bfe_i32 v15, v12, 0, 16
	v_mov_b32_e32 v11, v13
	s_delay_alu instid0(VALU_DEP_2) | instskip(NEXT) | instid1(VALU_DEP_2)
	v_cvt_f32_i32_e32 v17, v15
	v_bfe_i32 v13, v11, 0, 16
	s_delay_alu instid0(VALU_DEP_1) | instskip(SKIP_1) | instid1(VALU_DEP_2)
	v_cvt_f32_i32_e32 v14, v13
	v_xor_b32_e32 v13, v15, v13
	v_rcp_iflag_f32_e32 v16, v14
	v_nop
	s_delay_alu instid0(TRANS32_DEP_1) | instskip(NEXT) | instid1(VALU_DEP_1)
	v_dual_ashrrev_i32 v13, 30, v13 :: v_dual_mul_f32 v15, v17, v16
	v_trunc_f32_e32 v15, v15
	s_delay_alu instid0(VALU_DEP_1) | instskip(SKIP_1) | instid1(VALU_DEP_2)
	v_dual_fma_f32 v16, -v15, v14, v17 :: v_dual_bitop2_b32 v13, 1, v13 bitop3:0x54
	v_cvt_i32_f32_e32 v15, v15
	v_cmp_ge_f32_e64 s0, |v16|, |v14|
	s_delay_alu instid0(VALU_DEP_1) | instskip(NEXT) | instid1(VALU_DEP_1)
	v_cndmask_b32_e64 v13, 0, v13, s0
	v_add_nc_u32_e32 v13, v15, v13
	s_delay_alu instid0(VALU_DEP_1) | instskip(NEXT) | instid1(VALU_DEP_1)
	v_mul_lo_u32 v13, v13, v11
	v_sub_nc_u32_e32 v13, v12, v13
	s_delay_alu instid0(VALU_DEP_1) | instskip(SKIP_1) | instid1(VALU_DEP_2)
	v_and_b32_e32 v12, 0xffff, v13
	v_bfe_i32 v13, v13, 0, 16
	v_cmp_eq_u32_e64 s0, 0, v12
	v_mov_b32_e32 v12, v11
	s_or_b32 s6, s0, s6
	s_delay_alu instid0(SALU_CYCLE_1)
	s_and_not1_b32 exec_lo, exec_lo, s6
	s_cbranch_execnz .LBB72_118
; %bb.119:
	s_or_b32 exec_lo, exec_lo, s6
.LBB72_120:
	s_delay_alu instid0(SALU_CYCLE_1)
	s_or_b32 exec_lo, exec_lo, s3
	v_mov_b32_e32 v12, 0
	s_mov_b32 s3, exec_lo
	v_cmpx_ne_u16_e32 0, v11
	s_cbranch_execz .LBB72_122
; %bb.121:
	v_bfe_i32 v11, v11, 0, 16
	v_bfe_i32 v10, v10, 0, 16
	;; [unrolled: 1-line block ×3, first 2 shown]
	s_delay_alu instid0(VALU_DEP_3) | instskip(NEXT) | instid1(VALU_DEP_3)
	v_cvt_f32_i32_e32 v12, v11
	v_cvt_f32_i32_e32 v14, v10
	v_xor_b32_e32 v10, v10, v11
	s_delay_alu instid0(VALU_DEP_3) | instskip(SKIP_1) | instid1(TRANS32_DEP_1)
	v_rcp_iflag_f32_e32 v13, v12
	v_nop
	v_dual_mul_f32 v13, v14, v13 :: v_dual_ashrrev_i32 v10, 30, v10
	s_delay_alu instid0(VALU_DEP_1) | instskip(NEXT) | instid1(VALU_DEP_2)
	v_or_b32_e32 v10, 1, v10
	v_trunc_f32_e32 v11, v13
	s_delay_alu instid0(VALU_DEP_1) | instskip(SKIP_1) | instid1(VALU_DEP_2)
	v_fma_f32 v13, -v11, v12, v14
	v_cvt_i32_f32_e32 v11, v11
	v_cmp_ge_f32_e64 s0, |v13|, |v12|
	s_delay_alu instid0(VALU_DEP_1) | instskip(NEXT) | instid1(VALU_DEP_1)
	v_cndmask_b32_e64 v10, 0, v10, s0
	v_add_nc_u32_e32 v10, v11, v10
	s_delay_alu instid0(VALU_DEP_1) | instskip(NEXT) | instid1(VALU_DEP_1)
	v_bfe_i32 v10, v10, 0, 16
	v_mul_i32_i24_e32 v9, v10, v9
	s_delay_alu instid0(VALU_DEP_1) | instskip(NEXT) | instid1(VALU_DEP_1)
	v_sub_nc_u32_e32 v10, 0, v9
	v_max_i32_e32 v12, v9, v10
.LBB72_122:
	s_or_b32 exec_lo, exec_lo, s3
	s_delay_alu instid0(VALU_DEP_1)
	v_bfi_b32 v3, 0xffff, v12, v3
.LBB72_123:
	s_or_b32 exec_lo, exec_lo, s1
	v_or_b32_e32 v9, 0x700, v0
	s_mov_b32 s1, exec_lo
	s_delay_alu instid0(VALU_DEP_1)
	v_cmpx_gt_i32_e64 s10, v9
	s_cbranch_execnz .LBB72_134
; %bb.124:
	s_or_b32 exec_lo, exec_lo, s1
	s_and_saveexec_b32 s0, vcc_lo
	s_delay_alu instid0(SALU_CYCLE_1)
	s_xor_b32 s0, exec_lo, s0
	s_cbranch_execnz .LBB72_141
.LBB72_125:
	s_or_b32 exec_lo, exec_lo, s0
	s_delay_alu instid0(SALU_CYCLE_1)
	s_mov_b32 s0, exec_lo
	v_cmpx_gt_i32_e64 s10, v0
	s_cbranch_execnz .LBB72_142
.LBB72_126:
	s_or_b32 exec_lo, exec_lo, s0
	s_delay_alu instid0(SALU_CYCLE_1)
	s_mov_b32 s0, exec_lo
	v_cmpx_gt_i32_e64 s10, v0
	s_cbranch_execnz .LBB72_143
.LBB72_127:
	s_or_b32 exec_lo, exec_lo, s0
	s_delay_alu instid0(SALU_CYCLE_1)
	s_mov_b32 s0, exec_lo
	v_cmpx_gt_i32_e64 s10, v0
	s_cbranch_execnz .LBB72_144
.LBB72_128:
	s_or_b32 exec_lo, exec_lo, s0
	s_delay_alu instid0(SALU_CYCLE_1)
	s_mov_b32 s0, exec_lo
	v_cmpx_gt_i32_e64 s10, v0
	s_cbranch_execnz .LBB72_145
.LBB72_129:
	s_or_b32 exec_lo, exec_lo, s0
	s_delay_alu instid0(SALU_CYCLE_1)
	s_mov_b32 s0, exec_lo
	v_cmpx_gt_i32_e64 s10, v0
	s_cbranch_execnz .LBB72_146
.LBB72_130:
	s_or_b32 exec_lo, exec_lo, s0
	s_delay_alu instid0(SALU_CYCLE_1)
	s_mov_b32 s0, exec_lo
	v_cmpx_gt_i32_e64 s10, v0
	s_cbranch_execnz .LBB72_147
.LBB72_131:
	s_or_b32 exec_lo, exec_lo, s0
	s_delay_alu instid0(SALU_CYCLE_1)
	s_mov_b32 s0, exec_lo
	v_cmpx_gt_i32_e64 s10, v0
	s_cbranch_execz .LBB72_133
.LBB72_132:
	v_add_nc_u32_e32 v0, s2, v0
	global_store_d16_hi_b16 v0, v3, s[4:5] scale_offset
.LBB72_133:
	s_endpgm
.LBB72_134:
	v_sub_nc_u16 v9, 0, v8
	s_mov_b32 s6, 0
	s_mov_b32 s3, exec_lo
	s_delay_alu instid0(VALU_DEP_1)
	v_max_i16 v9, v8, v9
	v_cmpx_ne_u16_e32 0, v7
	s_cbranch_execz .LBB72_138
; %bb.135:
	v_sub_nc_u16 v10, 0, v7
	s_delay_alu instid0(VALU_DEP_1) | instskip(SKIP_1) | instid1(VALU_DEP_2)
	v_max_i16 v11, v7, v10
	v_and_b32_e32 v10, 0xffff, v9
	v_and_b32_e32 v11, 0xffff, v11
.LBB72_136:                             ; =>This Inner Loop Header: Depth=1
	s_delay_alu instid0(VALU_DEP_1) | instskip(NEXT) | instid1(VALU_DEP_2)
	v_bfe_i32 v13, v10, 0, 16
	v_mov_b32_e32 v9, v11
	s_delay_alu instid0(VALU_DEP_2) | instskip(NEXT) | instid1(VALU_DEP_2)
	v_cvt_f32_i32_e32 v15, v13
	v_bfe_i32 v11, v9, 0, 16
	s_delay_alu instid0(VALU_DEP_1) | instskip(SKIP_1) | instid1(VALU_DEP_2)
	v_cvt_f32_i32_e32 v12, v11
	v_xor_b32_e32 v11, v13, v11
	v_rcp_iflag_f32_e32 v14, v12
	v_nop
	s_delay_alu instid0(TRANS32_DEP_1) | instskip(NEXT) | instid1(VALU_DEP_1)
	v_dual_ashrrev_i32 v11, 30, v11 :: v_dual_mul_f32 v13, v15, v14
	v_trunc_f32_e32 v13, v13
	s_delay_alu instid0(VALU_DEP_1) | instskip(SKIP_1) | instid1(VALU_DEP_2)
	v_dual_fma_f32 v14, -v13, v12, v15 :: v_dual_bitop2_b32 v11, 1, v11 bitop3:0x54
	v_cvt_i32_f32_e32 v13, v13
	v_cmp_ge_f32_e64 s0, |v14|, |v12|
	s_delay_alu instid0(VALU_DEP_1) | instskip(NEXT) | instid1(VALU_DEP_1)
	v_cndmask_b32_e64 v11, 0, v11, s0
	v_add_nc_u32_e32 v11, v13, v11
	s_delay_alu instid0(VALU_DEP_1) | instskip(NEXT) | instid1(VALU_DEP_1)
	v_mul_lo_u32 v11, v11, v9
	v_sub_nc_u32_e32 v11, v10, v11
	s_delay_alu instid0(VALU_DEP_1) | instskip(SKIP_1) | instid1(VALU_DEP_2)
	v_and_b32_e32 v10, 0xffff, v11
	v_bfe_i32 v11, v11, 0, 16
	v_cmp_eq_u32_e64 s0, 0, v10
	v_mov_b32_e32 v10, v9
	s_or_b32 s6, s0, s6
	s_delay_alu instid0(SALU_CYCLE_1)
	s_and_not1_b32 exec_lo, exec_lo, s6
	s_cbranch_execnz .LBB72_136
; %bb.137:
	s_or_b32 exec_lo, exec_lo, s6
.LBB72_138:
	s_delay_alu instid0(SALU_CYCLE_1)
	s_or_b32 exec_lo, exec_lo, s3
	v_mov_b32_e32 v10, 0
	s_mov_b32 s3, exec_lo
	v_cmpx_ne_u16_e32 0, v9
	s_cbranch_execz .LBB72_140
; %bb.139:
	v_bfe_i32 v9, v9, 0, 16
	v_bfe_i32 v7, v7, 0, 16
	;; [unrolled: 1-line block ×3, first 2 shown]
	s_delay_alu instid0(VALU_DEP_3) | instskip(NEXT) | instid1(VALU_DEP_3)
	v_cvt_f32_i32_e32 v10, v9
	v_cvt_f32_i32_e32 v12, v7
	v_xor_b32_e32 v7, v7, v9
	s_delay_alu instid0(VALU_DEP_3) | instskip(SKIP_1) | instid1(TRANS32_DEP_1)
	v_rcp_iflag_f32_e32 v11, v10
	v_nop
	v_mul_f32_e32 v11, v12, v11
	s_delay_alu instid0(VALU_DEP_1) | instskip(NEXT) | instid1(VALU_DEP_1)
	v_trunc_f32_e32 v9, v11
	v_dual_ashrrev_i32 v7, 30, v7 :: v_dual_fma_f32 v11, -v9, v10, v12
	s_delay_alu instid0(VALU_DEP_1) | instskip(SKIP_1) | instid1(VALU_DEP_3)
	v_or_b32_e32 v7, 1, v7
	v_cvt_i32_f32_e32 v9, v9
	v_cmp_ge_f32_e64 s0, |v11|, |v10|
	s_delay_alu instid0(VALU_DEP_1) | instskip(NEXT) | instid1(VALU_DEP_1)
	v_cndmask_b32_e64 v7, 0, v7, s0
	v_add_nc_u32_e32 v7, v9, v7
	s_delay_alu instid0(VALU_DEP_1) | instskip(NEXT) | instid1(VALU_DEP_1)
	v_bfe_i32 v7, v7, 0, 16
	v_mul_i32_i24_e32 v7, v7, v8
	s_delay_alu instid0(VALU_DEP_1) | instskip(NEXT) | instid1(VALU_DEP_1)
	v_sub_nc_u32_e32 v8, 0, v7
	v_max_i32_e32 v10, v7, v8
.LBB72_140:
	s_or_b32 exec_lo, exec_lo, s3
	s_delay_alu instid0(VALU_DEP_1) | instskip(SKIP_2) | instid1(SALU_CYCLE_1)
	v_perm_b32 v3, v10, v3, 0x5040100
	s_or_b32 exec_lo, exec_lo, s1
	s_and_saveexec_b32 s0, vcc_lo
	s_xor_b32 s0, exec_lo, s0
	s_cbranch_execz .LBB72_125
.LBB72_141:
	v_mov_b32_e32 v0, v6
	global_store_b16 v5, v4, s[4:5] scale_offset
	s_wait_xcnt 0x0
	s_or_b32 exec_lo, exec_lo, s0
	s_delay_alu instid0(SALU_CYCLE_1)
	s_mov_b32 s0, exec_lo
	v_cmpx_gt_i32_e64 s10, v0
	s_cbranch_execz .LBB72_126
.LBB72_142:
	v_add_nc_u32_e32 v5, s2, v0
	v_add_nc_u32_e32 v0, 0x100, v0
	global_store_d16_hi_b16 v5, v4, s[4:5] scale_offset
	s_wait_xcnt 0x0
	s_or_b32 exec_lo, exec_lo, s0
	s_delay_alu instid0(SALU_CYCLE_1)
	s_mov_b32 s0, exec_lo
	v_cmpx_gt_i32_e64 s10, v0
	s_cbranch_execz .LBB72_127
.LBB72_143:
	v_add_nc_u32_e32 v4, s2, v0
	v_add_nc_u32_e32 v0, 0x100, v0
	global_store_b16 v4, v1, s[4:5] scale_offset
	s_wait_xcnt 0x0
	s_or_b32 exec_lo, exec_lo, s0
	s_delay_alu instid0(SALU_CYCLE_1)
	s_mov_b32 s0, exec_lo
	v_cmpx_gt_i32_e64 s10, v0
	s_cbranch_execz .LBB72_128
.LBB72_144:
	v_add_nc_u32_e32 v4, s2, v0
	v_add_nc_u32_e32 v0, 0x100, v0
	global_store_d16_hi_b16 v4, v1, s[4:5] scale_offset
	s_wait_xcnt 0x0
	s_or_b32 exec_lo, exec_lo, s0
	s_delay_alu instid0(SALU_CYCLE_1)
	s_mov_b32 s0, exec_lo
	v_cmpx_gt_i32_e64 s10, v0
	s_cbranch_execz .LBB72_129
.LBB72_145:
	v_add_nc_u32_e32 v1, s2, v0
	v_add_nc_u32_e32 v0, 0x100, v0
	global_store_b16 v1, v2, s[4:5] scale_offset
	s_wait_xcnt 0x0
	s_or_b32 exec_lo, exec_lo, s0
	s_delay_alu instid0(SALU_CYCLE_1)
	s_mov_b32 s0, exec_lo
	v_cmpx_gt_i32_e64 s10, v0
	s_cbranch_execz .LBB72_130
.LBB72_146:
	v_add_nc_u32_e32 v1, s2, v0
	v_add_nc_u32_e32 v0, 0x100, v0
	global_store_d16_hi_b16 v1, v2, s[4:5] scale_offset
	s_wait_xcnt 0x0
	s_or_b32 exec_lo, exec_lo, s0
	s_delay_alu instid0(SALU_CYCLE_1)
	s_mov_b32 s0, exec_lo
	v_cmpx_gt_i32_e64 s10, v0
	s_cbranch_execz .LBB72_131
.LBB72_147:
	v_add_nc_u32_e32 v1, s2, v0
	v_add_nc_u32_e32 v0, 0x100, v0
	global_store_b16 v1, v3, s[4:5] scale_offset
	s_wait_xcnt 0x0
	s_or_b32 exec_lo, exec_lo, s0
	s_delay_alu instid0(SALU_CYCLE_1)
	s_mov_b32 s0, exec_lo
	v_cmpx_gt_i32_e64 s10, v0
	s_cbranch_execnz .LBB72_132
	s_branch .LBB72_133
	.section	.rodata,"a",@progbits
	.p2align	6, 0x0
	.amdhsa_kernel _ZN2at6native29vectorized_elementwise_kernelILi16EZZZNS0_15lcm_kernel_cudaERNS_18TensorIteratorBaseEENKUlvE_clEvENKUlvE3_clEvEUlssE_St5arrayIPcLm3EEEEviT0_T1_
		.amdhsa_group_segment_fixed_size 0
		.amdhsa_private_segment_fixed_size 0
		.amdhsa_kernarg_size 32
		.amdhsa_user_sgpr_count 2
		.amdhsa_user_sgpr_dispatch_ptr 0
		.amdhsa_user_sgpr_queue_ptr 0
		.amdhsa_user_sgpr_kernarg_segment_ptr 1
		.amdhsa_user_sgpr_dispatch_id 0
		.amdhsa_user_sgpr_kernarg_preload_length 0
		.amdhsa_user_sgpr_kernarg_preload_offset 0
		.amdhsa_user_sgpr_private_segment_size 0
		.amdhsa_wavefront_size32 1
		.amdhsa_uses_dynamic_stack 0
		.amdhsa_enable_private_segment 0
		.amdhsa_system_sgpr_workgroup_id_x 1
		.amdhsa_system_sgpr_workgroup_id_y 0
		.amdhsa_system_sgpr_workgroup_id_z 0
		.amdhsa_system_sgpr_workgroup_info 0
		.amdhsa_system_vgpr_workitem_id 0
		.amdhsa_next_free_vgpr 28
		.amdhsa_next_free_sgpr 14
		.amdhsa_named_barrier_count 0
		.amdhsa_reserve_vcc 1
		.amdhsa_float_round_mode_32 0
		.amdhsa_float_round_mode_16_64 0
		.amdhsa_float_denorm_mode_32 3
		.amdhsa_float_denorm_mode_16_64 3
		.amdhsa_fp16_overflow 0
		.amdhsa_memory_ordered 1
		.amdhsa_forward_progress 1
		.amdhsa_inst_pref_size 67
		.amdhsa_round_robin_scheduling 0
		.amdhsa_exception_fp_ieee_invalid_op 0
		.amdhsa_exception_fp_denorm_src 0
		.amdhsa_exception_fp_ieee_div_zero 0
		.amdhsa_exception_fp_ieee_overflow 0
		.amdhsa_exception_fp_ieee_underflow 0
		.amdhsa_exception_fp_ieee_inexact 0
		.amdhsa_exception_int_div_zero 0
	.end_amdhsa_kernel
	.section	.text._ZN2at6native29vectorized_elementwise_kernelILi16EZZZNS0_15lcm_kernel_cudaERNS_18TensorIteratorBaseEENKUlvE_clEvENKUlvE3_clEvEUlssE_St5arrayIPcLm3EEEEviT0_T1_,"axG",@progbits,_ZN2at6native29vectorized_elementwise_kernelILi16EZZZNS0_15lcm_kernel_cudaERNS_18TensorIteratorBaseEENKUlvE_clEvENKUlvE3_clEvEUlssE_St5arrayIPcLm3EEEEviT0_T1_,comdat
.Lfunc_end72:
	.size	_ZN2at6native29vectorized_elementwise_kernelILi16EZZZNS0_15lcm_kernel_cudaERNS_18TensorIteratorBaseEENKUlvE_clEvENKUlvE3_clEvEUlssE_St5arrayIPcLm3EEEEviT0_T1_, .Lfunc_end72-_ZN2at6native29vectorized_elementwise_kernelILi16EZZZNS0_15lcm_kernel_cudaERNS_18TensorIteratorBaseEENKUlvE_clEvENKUlvE3_clEvEUlssE_St5arrayIPcLm3EEEEviT0_T1_
                                        ; -- End function
	.set _ZN2at6native29vectorized_elementwise_kernelILi16EZZZNS0_15lcm_kernel_cudaERNS_18TensorIteratorBaseEENKUlvE_clEvENKUlvE3_clEvEUlssE_St5arrayIPcLm3EEEEviT0_T1_.num_vgpr, 28
	.set _ZN2at6native29vectorized_elementwise_kernelILi16EZZZNS0_15lcm_kernel_cudaERNS_18TensorIteratorBaseEENKUlvE_clEvENKUlvE3_clEvEUlssE_St5arrayIPcLm3EEEEviT0_T1_.num_agpr, 0
	.set _ZN2at6native29vectorized_elementwise_kernelILi16EZZZNS0_15lcm_kernel_cudaERNS_18TensorIteratorBaseEENKUlvE_clEvENKUlvE3_clEvEUlssE_St5arrayIPcLm3EEEEviT0_T1_.numbered_sgpr, 14
	.set _ZN2at6native29vectorized_elementwise_kernelILi16EZZZNS0_15lcm_kernel_cudaERNS_18TensorIteratorBaseEENKUlvE_clEvENKUlvE3_clEvEUlssE_St5arrayIPcLm3EEEEviT0_T1_.num_named_barrier, 0
	.set _ZN2at6native29vectorized_elementwise_kernelILi16EZZZNS0_15lcm_kernel_cudaERNS_18TensorIteratorBaseEENKUlvE_clEvENKUlvE3_clEvEUlssE_St5arrayIPcLm3EEEEviT0_T1_.private_seg_size, 0
	.set _ZN2at6native29vectorized_elementwise_kernelILi16EZZZNS0_15lcm_kernel_cudaERNS_18TensorIteratorBaseEENKUlvE_clEvENKUlvE3_clEvEUlssE_St5arrayIPcLm3EEEEviT0_T1_.uses_vcc, 1
	.set _ZN2at6native29vectorized_elementwise_kernelILi16EZZZNS0_15lcm_kernel_cudaERNS_18TensorIteratorBaseEENKUlvE_clEvENKUlvE3_clEvEUlssE_St5arrayIPcLm3EEEEviT0_T1_.uses_flat_scratch, 0
	.set _ZN2at6native29vectorized_elementwise_kernelILi16EZZZNS0_15lcm_kernel_cudaERNS_18TensorIteratorBaseEENKUlvE_clEvENKUlvE3_clEvEUlssE_St5arrayIPcLm3EEEEviT0_T1_.has_dyn_sized_stack, 0
	.set _ZN2at6native29vectorized_elementwise_kernelILi16EZZZNS0_15lcm_kernel_cudaERNS_18TensorIteratorBaseEENKUlvE_clEvENKUlvE3_clEvEUlssE_St5arrayIPcLm3EEEEviT0_T1_.has_recursion, 0
	.set _ZN2at6native29vectorized_elementwise_kernelILi16EZZZNS0_15lcm_kernel_cudaERNS_18TensorIteratorBaseEENKUlvE_clEvENKUlvE3_clEvEUlssE_St5arrayIPcLm3EEEEviT0_T1_.has_indirect_call, 0
	.section	.AMDGPU.csdata,"",@progbits
; Kernel info:
; codeLenInByte = 8524
; TotalNumSgprs: 16
; NumVgprs: 28
; ScratchSize: 0
; MemoryBound: 0
; FloatMode: 240
; IeeeMode: 1
; LDSByteSize: 0 bytes/workgroup (compile time only)
; SGPRBlocks: 0
; VGPRBlocks: 1
; NumSGPRsForWavesPerEU: 16
; NumVGPRsForWavesPerEU: 28
; NamedBarCnt: 0
; Occupancy: 16
; WaveLimiterHint : 0
; COMPUTE_PGM_RSRC2:SCRATCH_EN: 0
; COMPUTE_PGM_RSRC2:USER_SGPR: 2
; COMPUTE_PGM_RSRC2:TRAP_HANDLER: 0
; COMPUTE_PGM_RSRC2:TGID_X_EN: 1
; COMPUTE_PGM_RSRC2:TGID_Y_EN: 0
; COMPUTE_PGM_RSRC2:TGID_Z_EN: 0
; COMPUTE_PGM_RSRC2:TIDIG_COMP_CNT: 0
	.section	.text._ZN2at6native29vectorized_elementwise_kernelILi8EZZZNS0_15lcm_kernel_cudaERNS_18TensorIteratorBaseEENKUlvE_clEvENKUlvE3_clEvEUlssE_St5arrayIPcLm3EEEEviT0_T1_,"axG",@progbits,_ZN2at6native29vectorized_elementwise_kernelILi8EZZZNS0_15lcm_kernel_cudaERNS_18TensorIteratorBaseEENKUlvE_clEvENKUlvE3_clEvEUlssE_St5arrayIPcLm3EEEEviT0_T1_,comdat
	.globl	_ZN2at6native29vectorized_elementwise_kernelILi8EZZZNS0_15lcm_kernel_cudaERNS_18TensorIteratorBaseEENKUlvE_clEvENKUlvE3_clEvEUlssE_St5arrayIPcLm3EEEEviT0_T1_ ; -- Begin function _ZN2at6native29vectorized_elementwise_kernelILi8EZZZNS0_15lcm_kernel_cudaERNS_18TensorIteratorBaseEENKUlvE_clEvENKUlvE3_clEvEUlssE_St5arrayIPcLm3EEEEviT0_T1_
	.p2align	8
	.type	_ZN2at6native29vectorized_elementwise_kernelILi8EZZZNS0_15lcm_kernel_cudaERNS_18TensorIteratorBaseEENKUlvE_clEvENKUlvE3_clEvEUlssE_St5arrayIPcLm3EEEEviT0_T1_,@function
_ZN2at6native29vectorized_elementwise_kernelILi8EZZZNS0_15lcm_kernel_cudaERNS_18TensorIteratorBaseEENKUlvE_clEvENKUlvE3_clEvEUlssE_St5arrayIPcLm3EEEEviT0_T1_: ; @_ZN2at6native29vectorized_elementwise_kernelILi8EZZZNS0_15lcm_kernel_cudaERNS_18TensorIteratorBaseEENKUlvE_clEvENKUlvE3_clEvEUlssE_St5arrayIPcLm3EEEEviT0_T1_
; %bb.0:
	s_clause 0x2
	s_load_b32 s3, s[0:1], 0x0
	s_load_b128 s[4:7], s[0:1], 0x8
	s_load_b64 s[8:9], s[0:1], 0x18
	s_wait_xcnt 0x0
	s_bfe_u32 s0, ttmp6, 0x4000c
	s_and_b32 s1, ttmp6, 15
	s_add_co_i32 s0, s0, 1
	s_getreg_b32 s2, hwreg(HW_REG_IB_STS2, 6, 4)
	s_mul_i32 s0, ttmp9, s0
	s_delay_alu instid0(SALU_CYCLE_1) | instskip(SKIP_2) | instid1(SALU_CYCLE_1)
	s_add_co_i32 s1, s1, s0
	s_cmp_eq_u32 s2, 0
	s_cselect_b32 s0, ttmp9, s1
	s_lshl_b32 s2, s0, 11
	s_mov_b32 s0, -1
	s_wait_kmcnt 0x0
	s_sub_co_i32 s10, s3, s2
	s_delay_alu instid0(SALU_CYCLE_1)
	s_cmp_gt_i32 s10, 0x7ff
	s_cbranch_scc0 .LBB73_50
; %bb.1:
	s_ashr_i32 s3, s2, 31
	s_delay_alu instid0(SALU_CYCLE_1)
	s_lshl_b64 s[0:1], s[2:3], 1
	s_mov_b32 s3, exec_lo
	s_add_nc_u64 s[12:13], s[8:9], s[0:1]
	global_load_b128 v[2:5], v0, s[12:13] scale_offset
	s_wait_xcnt 0x0
	s_add_nc_u64 s[12:13], s[6:7], s[0:1]
	global_load_b128 v[6:9], v0, s[12:13] scale_offset
	s_wait_loadcnt 0x1
	v_sub_nc_u16 v1, 0, v2
	s_wait_loadcnt 0x0
	v_bfe_i32 v10, v6, 0, 16
	s_delay_alu instid0(VALU_DEP_2)
	v_max_i16 v11, v2, v1
	v_cmpx_ne_u16_e32 0, v6
	s_cbranch_execz .LBB73_5
; %bb.2:
	s_delay_alu instid0(VALU_DEP_3) | instskip(SKIP_1) | instid1(VALU_DEP_1)
	v_sub_nc_u16 v1, 0, v10
	s_mov_b32 s11, 0
	v_max_i16 v12, v10, v1
	v_and_b32_e32 v1, 0xffff, v11
	s_delay_alu instid0(VALU_DEP_2)
	v_and_b32_e32 v12, 0xffff, v12
.LBB73_3:                               ; =>This Inner Loop Header: Depth=1
	s_delay_alu instid0(VALU_DEP_1) | instskip(NEXT) | instid1(VALU_DEP_2)
	v_bfe_i32 v14, v1, 0, 16
	v_mov_b32_e32 v11, v12
	s_delay_alu instid0(VALU_DEP_2) | instskip(NEXT) | instid1(VALU_DEP_2)
	v_cvt_f32_i32_e32 v16, v14
	v_bfe_i32 v12, v11, 0, 16
	s_delay_alu instid0(VALU_DEP_1) | instskip(SKIP_1) | instid1(VALU_DEP_2)
	v_cvt_f32_i32_e32 v13, v12
	v_xor_b32_e32 v12, v14, v12
	v_rcp_iflag_f32_e32 v15, v13
	v_nop
	s_delay_alu instid0(TRANS32_DEP_1) | instskip(NEXT) | instid1(VALU_DEP_1)
	v_dual_ashrrev_i32 v12, 30, v12 :: v_dual_mul_f32 v14, v16, v15
	v_trunc_f32_e32 v14, v14
	s_delay_alu instid0(VALU_DEP_1) | instskip(SKIP_1) | instid1(VALU_DEP_2)
	v_dual_fma_f32 v15, -v14, v13, v16 :: v_dual_bitop2_b32 v12, 1, v12 bitop3:0x54
	v_cvt_i32_f32_e32 v14, v14
	v_cmp_ge_f32_e64 vcc_lo, |v15|, |v13|
	s_delay_alu instid0(VALU_DEP_3) | instskip(NEXT) | instid1(VALU_DEP_1)
	v_cndmask_b32_e32 v12, 0, v12, vcc_lo
	v_add_nc_u32_e32 v12, v14, v12
	s_delay_alu instid0(VALU_DEP_1) | instskip(NEXT) | instid1(VALU_DEP_1)
	v_mul_lo_u32 v12, v12, v11
	v_sub_nc_u32_e32 v12, v1, v12
	s_delay_alu instid0(VALU_DEP_1) | instskip(SKIP_1) | instid1(VALU_DEP_2)
	v_and_b32_e32 v1, 0xffff, v12
	v_bfe_i32 v12, v12, 0, 16
	v_cmp_eq_u32_e32 vcc_lo, 0, v1
	v_mov_b32_e32 v1, v11
	s_or_b32 s11, vcc_lo, s11
	s_delay_alu instid0(SALU_CYCLE_1)
	s_and_not1_b32 exec_lo, exec_lo, s11
	s_cbranch_execnz .LBB73_3
; %bb.4:
	s_or_b32 exec_lo, exec_lo, s11
.LBB73_5:
	s_delay_alu instid0(SALU_CYCLE_1)
	s_or_b32 exec_lo, exec_lo, s3
	v_mov_b32_e32 v1, 0
	s_mov_b32 s3, exec_lo
	v_cmpx_ne_u16_e32 0, v11
	s_cbranch_execz .LBB73_7
; %bb.6:
	v_bfe_i32 v1, v11, 0, 16
	v_cvt_f32_i32_e32 v13, v10
	s_delay_alu instid0(VALU_DEP_2) | instskip(SKIP_1) | instid1(VALU_DEP_2)
	v_cvt_f32_i32_e32 v11, v1
	v_xor_b32_e32 v1, v10, v1
	v_rcp_iflag_f32_e32 v12, v11
	v_nop
	s_delay_alu instid0(TRANS32_DEP_1) | instskip(NEXT) | instid1(VALU_DEP_1)
	v_mul_f32_e32 v12, v13, v12
	v_trunc_f32_e32 v10, v12
	s_delay_alu instid0(VALU_DEP_1) | instskip(NEXT) | instid1(VALU_DEP_1)
	v_dual_ashrrev_i32 v1, 30, v1 :: v_dual_fma_f32 v12, -v10, v11, v13
	v_or_b32_e32 v1, 1, v1
	v_cvt_i32_f32_e32 v10, v10
	s_delay_alu instid0(VALU_DEP_3) | instskip(NEXT) | instid1(VALU_DEP_3)
	v_cmp_ge_f32_e64 vcc_lo, |v12|, |v11|
	v_cndmask_b32_e32 v1, 0, v1, vcc_lo
	s_delay_alu instid0(VALU_DEP_1) | instskip(SKIP_1) | instid1(VALU_DEP_2)
	v_add_nc_u32_e32 v1, v10, v1
	v_bfe_i32 v10, v2, 0, 16
	v_bfe_i32 v1, v1, 0, 16
	s_delay_alu instid0(VALU_DEP_1) | instskip(NEXT) | instid1(VALU_DEP_1)
	v_mul_i32_i24_e32 v1, v1, v10
	v_sub_nc_u32_e32 v10, 0, v1
	s_delay_alu instid0(VALU_DEP_1)
	v_max_i32_e32 v1, v1, v10
.LBB73_7:
	s_or_b32 exec_lo, exec_lo, s3
	v_lshrrev_b32_e32 v10, 16, v2
	v_dual_lshrrev_b32 v12, 16, v6 :: v_dual_ashrrev_i32 v6, 16, v6
	s_mov_b32 s11, 0
	s_mov_b32 s3, exec_lo
	s_delay_alu instid0(VALU_DEP_2) | instskip(NEXT) | instid1(VALU_DEP_1)
	v_sub_nc_u16 v11, 0, v10
	v_max_i16 v10, v10, v11
	v_cmpx_ne_u16_e32 0, v12
	s_cbranch_execz .LBB73_11
; %bb.8:
	v_sub_nc_u16 v11, 0, v6
	s_delay_alu instid0(VALU_DEP_1) | instskip(SKIP_1) | instid1(VALU_DEP_2)
	v_max_i16 v12, v6, v11
	v_and_b32_e32 v11, 0xffff, v10
	v_and_b32_e32 v12, 0xffff, v12
.LBB73_9:                               ; =>This Inner Loop Header: Depth=1
	s_delay_alu instid0(VALU_DEP_1) | instskip(NEXT) | instid1(VALU_DEP_2)
	v_bfe_i32 v14, v11, 0, 16
	v_mov_b32_e32 v10, v12
	s_delay_alu instid0(VALU_DEP_2) | instskip(NEXT) | instid1(VALU_DEP_2)
	v_cvt_f32_i32_e32 v16, v14
	v_bfe_i32 v12, v10, 0, 16
	s_delay_alu instid0(VALU_DEP_1) | instskip(SKIP_1) | instid1(VALU_DEP_2)
	v_cvt_f32_i32_e32 v13, v12
	v_xor_b32_e32 v12, v14, v12
	v_rcp_iflag_f32_e32 v15, v13
	v_nop
	s_delay_alu instid0(TRANS32_DEP_1) | instskip(NEXT) | instid1(VALU_DEP_1)
	v_dual_ashrrev_i32 v12, 30, v12 :: v_dual_mul_f32 v14, v16, v15
	v_trunc_f32_e32 v14, v14
	s_delay_alu instid0(VALU_DEP_1) | instskip(SKIP_1) | instid1(VALU_DEP_2)
	v_dual_fma_f32 v15, -v14, v13, v16 :: v_dual_bitop2_b32 v12, 1, v12 bitop3:0x54
	v_cvt_i32_f32_e32 v14, v14
	v_cmp_ge_f32_e64 vcc_lo, |v15|, |v13|
	s_delay_alu instid0(VALU_DEP_3) | instskip(NEXT) | instid1(VALU_DEP_1)
	v_cndmask_b32_e32 v12, 0, v12, vcc_lo
	v_add_nc_u32_e32 v12, v14, v12
	s_delay_alu instid0(VALU_DEP_1) | instskip(NEXT) | instid1(VALU_DEP_1)
	v_mul_lo_u32 v12, v12, v10
	v_sub_nc_u32_e32 v12, v11, v12
	s_delay_alu instid0(VALU_DEP_1) | instskip(SKIP_1) | instid1(VALU_DEP_2)
	v_and_b32_e32 v11, 0xffff, v12
	v_bfe_i32 v12, v12, 0, 16
	v_cmp_eq_u32_e32 vcc_lo, 0, v11
	v_mov_b32_e32 v11, v10
	s_or_b32 s11, vcc_lo, s11
	s_delay_alu instid0(SALU_CYCLE_1)
	s_and_not1_b32 exec_lo, exec_lo, s11
	s_cbranch_execnz .LBB73_9
; %bb.10:
	s_or_b32 exec_lo, exec_lo, s11
.LBB73_11:
	s_delay_alu instid0(SALU_CYCLE_1)
	s_or_b32 exec_lo, exec_lo, s3
	v_dual_mov_b32 v2, 0 :: v_dual_ashrrev_i32 v11, 16, v2
	s_mov_b32 s3, exec_lo
	v_cmpx_ne_u16_e32 0, v10
	s_cbranch_execz .LBB73_13
; %bb.12:
	v_bfe_i32 v2, v10, 0, 16
	v_cvt_f32_i32_e32 v13, v6
	s_delay_alu instid0(VALU_DEP_2) | instskip(SKIP_1) | instid1(VALU_DEP_2)
	v_cvt_f32_i32_e32 v10, v2
	v_xor_b32_e32 v2, v6, v2
	v_rcp_iflag_f32_e32 v12, v10
	s_delay_alu instid0(VALU_DEP_1)
	v_ashrrev_i32_e32 v2, 30, v2
	s_delay_alu instid0(TRANS32_DEP_1) | instid1(VALU_DEP_1)
	v_dual_mul_f32 v12, v13, v12 :: v_dual_bitop2_b32 v2, 1, v2 bitop3:0x54
	s_delay_alu instid0(VALU_DEP_1) | instskip(NEXT) | instid1(VALU_DEP_1)
	v_trunc_f32_e32 v6, v12
	v_fma_f32 v12, -v6, v10, v13
	v_cvt_i32_f32_e32 v6, v6
	s_delay_alu instid0(VALU_DEP_2) | instskip(SKIP_1) | instid1(VALU_DEP_1)
	v_cmp_ge_f32_e64 vcc_lo, |v12|, |v10|
	v_cndmask_b32_e32 v2, 0, v2, vcc_lo
	v_add_nc_u32_e32 v2, v6, v2
	s_delay_alu instid0(VALU_DEP_1) | instskip(NEXT) | instid1(VALU_DEP_1)
	v_bfe_i32 v2, v2, 0, 16
	v_mul_i32_i24_e32 v2, v2, v11
	s_delay_alu instid0(VALU_DEP_1) | instskip(NEXT) | instid1(VALU_DEP_1)
	v_sub_nc_u32_e32 v6, 0, v2
	v_max_i32_e32 v2, v2, v6
.LBB73_13:
	s_or_b32 exec_lo, exec_lo, s3
	v_sub_nc_u16 v6, 0, v3
	v_bfe_i32 v10, v7, 0, 16
	s_mov_b32 s11, 0
	s_mov_b32 s3, exec_lo
	s_delay_alu instid0(VALU_DEP_2)
	v_max_i16 v11, v3, v6
	v_cmpx_ne_u16_e32 0, v7
	s_cbranch_execz .LBB73_17
; %bb.14:
	v_sub_nc_u16 v6, 0, v10
	s_delay_alu instid0(VALU_DEP_1) | instskip(SKIP_1) | instid1(VALU_DEP_2)
	v_max_i16 v12, v10, v6
	v_and_b32_e32 v6, 0xffff, v11
	v_and_b32_e32 v12, 0xffff, v12
.LBB73_15:                              ; =>This Inner Loop Header: Depth=1
	s_delay_alu instid0(VALU_DEP_1) | instskip(NEXT) | instid1(VALU_DEP_2)
	v_bfe_i32 v14, v6, 0, 16
	v_mov_b32_e32 v11, v12
	s_delay_alu instid0(VALU_DEP_2) | instskip(NEXT) | instid1(VALU_DEP_2)
	v_cvt_f32_i32_e32 v16, v14
	v_bfe_i32 v12, v11, 0, 16
	s_delay_alu instid0(VALU_DEP_1) | instskip(SKIP_1) | instid1(VALU_DEP_2)
	v_cvt_f32_i32_e32 v13, v12
	v_xor_b32_e32 v12, v14, v12
	v_rcp_iflag_f32_e32 v15, v13
	v_nop
	s_delay_alu instid0(TRANS32_DEP_1) | instskip(NEXT) | instid1(VALU_DEP_1)
	v_dual_ashrrev_i32 v12, 30, v12 :: v_dual_mul_f32 v14, v16, v15
	v_trunc_f32_e32 v14, v14
	s_delay_alu instid0(VALU_DEP_1) | instskip(SKIP_1) | instid1(VALU_DEP_2)
	v_dual_fma_f32 v15, -v14, v13, v16 :: v_dual_bitop2_b32 v12, 1, v12 bitop3:0x54
	v_cvt_i32_f32_e32 v14, v14
	v_cmp_ge_f32_e64 vcc_lo, |v15|, |v13|
	s_delay_alu instid0(VALU_DEP_3) | instskip(NEXT) | instid1(VALU_DEP_1)
	v_cndmask_b32_e32 v12, 0, v12, vcc_lo
	v_add_nc_u32_e32 v12, v14, v12
	s_delay_alu instid0(VALU_DEP_1) | instskip(NEXT) | instid1(VALU_DEP_1)
	v_mul_lo_u32 v12, v12, v11
	v_sub_nc_u32_e32 v12, v6, v12
	s_delay_alu instid0(VALU_DEP_1) | instskip(SKIP_1) | instid1(VALU_DEP_2)
	v_and_b32_e32 v6, 0xffff, v12
	v_bfe_i32 v12, v12, 0, 16
	v_cmp_eq_u32_e32 vcc_lo, 0, v6
	v_mov_b32_e32 v6, v11
	s_or_b32 s11, vcc_lo, s11
	s_delay_alu instid0(SALU_CYCLE_1)
	s_and_not1_b32 exec_lo, exec_lo, s11
	s_cbranch_execnz .LBB73_15
; %bb.16:
	s_or_b32 exec_lo, exec_lo, s11
.LBB73_17:
	s_delay_alu instid0(SALU_CYCLE_1)
	s_or_b32 exec_lo, exec_lo, s3
	v_bfe_i32 v12, v3, 0, 16
	v_mov_b32_e32 v6, 0
	s_mov_b32 s3, exec_lo
	v_cmpx_ne_u16_e32 0, v11
	s_cbranch_execz .LBB73_19
; %bb.18:
	v_bfe_i32 v6, v11, 0, 16
	v_cvt_f32_i32_e32 v14, v10
	s_delay_alu instid0(VALU_DEP_2) | instskip(SKIP_1) | instid1(VALU_DEP_2)
	v_cvt_f32_i32_e32 v11, v6
	v_xor_b32_e32 v6, v10, v6
	v_rcp_iflag_f32_e32 v13, v11
	s_delay_alu instid0(VALU_DEP_1)
	v_ashrrev_i32_e32 v6, 30, v6
	s_delay_alu instid0(TRANS32_DEP_1) | instid1(VALU_DEP_1)
	v_dual_mul_f32 v13, v14, v13 :: v_dual_bitop2_b32 v6, 1, v6 bitop3:0x54
	s_delay_alu instid0(VALU_DEP_1) | instskip(NEXT) | instid1(VALU_DEP_1)
	v_trunc_f32_e32 v10, v13
	v_fma_f32 v13, -v10, v11, v14
	v_cvt_i32_f32_e32 v10, v10
	s_delay_alu instid0(VALU_DEP_2) | instskip(SKIP_1) | instid1(VALU_DEP_1)
	v_cmp_ge_f32_e64 vcc_lo, |v13|, |v11|
	v_cndmask_b32_e32 v6, 0, v6, vcc_lo
	v_add_nc_u32_e32 v6, v10, v6
	s_delay_alu instid0(VALU_DEP_1) | instskip(NEXT) | instid1(VALU_DEP_1)
	v_bfe_i32 v6, v6, 0, 16
	v_mul_i32_i24_e32 v6, v6, v12
	s_delay_alu instid0(VALU_DEP_1) | instskip(NEXT) | instid1(VALU_DEP_1)
	v_sub_nc_u32_e32 v10, 0, v6
	v_max_i32_e32 v6, v6, v10
.LBB73_19:
	s_or_b32 exec_lo, exec_lo, s3
	v_lshrrev_b32_e32 v10, 16, v3
	v_dual_lshrrev_b32 v12, 16, v7 :: v_dual_ashrrev_i32 v7, 16, v7
	s_mov_b32 s11, 0
	s_mov_b32 s3, exec_lo
	s_delay_alu instid0(VALU_DEP_2) | instskip(NEXT) | instid1(VALU_DEP_1)
	v_sub_nc_u16 v11, 0, v10
	v_max_i16 v10, v10, v11
	v_cmpx_ne_u16_e32 0, v12
	s_cbranch_execz .LBB73_23
; %bb.20:
	v_sub_nc_u16 v11, 0, v7
	s_delay_alu instid0(VALU_DEP_1) | instskip(SKIP_1) | instid1(VALU_DEP_2)
	v_max_i16 v12, v7, v11
	v_and_b32_e32 v11, 0xffff, v10
	v_and_b32_e32 v12, 0xffff, v12
.LBB73_21:                              ; =>This Inner Loop Header: Depth=1
	s_delay_alu instid0(VALU_DEP_1) | instskip(NEXT) | instid1(VALU_DEP_2)
	v_bfe_i32 v14, v11, 0, 16
	v_mov_b32_e32 v10, v12
	s_delay_alu instid0(VALU_DEP_2) | instskip(NEXT) | instid1(VALU_DEP_2)
	v_cvt_f32_i32_e32 v16, v14
	v_bfe_i32 v12, v10, 0, 16
	s_delay_alu instid0(VALU_DEP_1) | instskip(SKIP_1) | instid1(VALU_DEP_2)
	v_cvt_f32_i32_e32 v13, v12
	v_xor_b32_e32 v12, v14, v12
	v_rcp_iflag_f32_e32 v15, v13
	v_nop
	s_delay_alu instid0(TRANS32_DEP_1) | instskip(NEXT) | instid1(VALU_DEP_1)
	v_dual_ashrrev_i32 v12, 30, v12 :: v_dual_mul_f32 v14, v16, v15
	v_trunc_f32_e32 v14, v14
	s_delay_alu instid0(VALU_DEP_1) | instskip(SKIP_1) | instid1(VALU_DEP_2)
	v_dual_fma_f32 v15, -v14, v13, v16 :: v_dual_bitop2_b32 v12, 1, v12 bitop3:0x54
	v_cvt_i32_f32_e32 v14, v14
	v_cmp_ge_f32_e64 vcc_lo, |v15|, |v13|
	s_delay_alu instid0(VALU_DEP_3) | instskip(NEXT) | instid1(VALU_DEP_1)
	v_cndmask_b32_e32 v12, 0, v12, vcc_lo
	v_add_nc_u32_e32 v12, v14, v12
	s_delay_alu instid0(VALU_DEP_1) | instskip(NEXT) | instid1(VALU_DEP_1)
	v_mul_lo_u32 v12, v12, v10
	v_sub_nc_u32_e32 v12, v11, v12
	s_delay_alu instid0(VALU_DEP_1) | instskip(SKIP_1) | instid1(VALU_DEP_2)
	v_and_b32_e32 v11, 0xffff, v12
	v_bfe_i32 v12, v12, 0, 16
	v_cmp_eq_u32_e32 vcc_lo, 0, v11
	v_mov_b32_e32 v11, v10
	s_or_b32 s11, vcc_lo, s11
	s_delay_alu instid0(SALU_CYCLE_1)
	s_and_not1_b32 exec_lo, exec_lo, s11
	s_cbranch_execnz .LBB73_21
; %bb.22:
	s_or_b32 exec_lo, exec_lo, s11
.LBB73_23:
	s_delay_alu instid0(SALU_CYCLE_1)
	s_or_b32 exec_lo, exec_lo, s3
	v_dual_ashrrev_i32 v11, 16, v3 :: v_dual_mov_b32 v3, 0
	s_mov_b32 s3, exec_lo
	v_cmpx_ne_u16_e32 0, v10
	s_cbranch_execz .LBB73_25
; %bb.24:
	v_bfe_i32 v3, v10, 0, 16
	v_cvt_f32_i32_e32 v13, v7
	s_delay_alu instid0(VALU_DEP_2) | instskip(SKIP_1) | instid1(VALU_DEP_2)
	v_cvt_f32_i32_e32 v10, v3
	v_xor_b32_e32 v3, v7, v3
	v_rcp_iflag_f32_e32 v12, v10
	v_nop
	s_delay_alu instid0(TRANS32_DEP_1) | instskip(NEXT) | instid1(VALU_DEP_1)
	v_mul_f32_e32 v12, v13, v12
	v_trunc_f32_e32 v7, v12
	s_delay_alu instid0(VALU_DEP_1) | instskip(NEXT) | instid1(VALU_DEP_1)
	v_dual_ashrrev_i32 v3, 30, v3 :: v_dual_fma_f32 v12, -v7, v10, v13
	v_or_b32_e32 v3, 1, v3
	v_cvt_i32_f32_e32 v7, v7
	s_delay_alu instid0(VALU_DEP_3) | instskip(NEXT) | instid1(VALU_DEP_3)
	v_cmp_ge_f32_e64 vcc_lo, |v12|, |v10|
	v_cndmask_b32_e32 v3, 0, v3, vcc_lo
	s_delay_alu instid0(VALU_DEP_1) | instskip(NEXT) | instid1(VALU_DEP_1)
	v_add_nc_u32_e32 v3, v7, v3
	v_bfe_i32 v3, v3, 0, 16
	s_delay_alu instid0(VALU_DEP_1) | instskip(NEXT) | instid1(VALU_DEP_1)
	v_mul_i32_i24_e32 v3, v3, v11
	v_sub_nc_u32_e32 v7, 0, v3
	s_delay_alu instid0(VALU_DEP_1)
	v_max_i32_e32 v3, v3, v7
.LBB73_25:
	s_or_b32 exec_lo, exec_lo, s3
	v_sub_nc_u16 v7, 0, v4
	v_bfe_i32 v10, v8, 0, 16
	s_mov_b32 s11, 0
	s_mov_b32 s3, exec_lo
	s_delay_alu instid0(VALU_DEP_2)
	v_max_i16 v11, v4, v7
	v_cmpx_ne_u16_e32 0, v8
	s_cbranch_execz .LBB73_29
; %bb.26:
	v_sub_nc_u16 v7, 0, v10
	s_delay_alu instid0(VALU_DEP_1) | instskip(SKIP_1) | instid1(VALU_DEP_2)
	v_max_i16 v12, v10, v7
	v_and_b32_e32 v7, 0xffff, v11
	v_and_b32_e32 v12, 0xffff, v12
.LBB73_27:                              ; =>This Inner Loop Header: Depth=1
	s_delay_alu instid0(VALU_DEP_1) | instskip(NEXT) | instid1(VALU_DEP_2)
	v_bfe_i32 v14, v7, 0, 16
	v_mov_b32_e32 v11, v12
	s_delay_alu instid0(VALU_DEP_2) | instskip(NEXT) | instid1(VALU_DEP_2)
	v_cvt_f32_i32_e32 v16, v14
	v_bfe_i32 v12, v11, 0, 16
	s_delay_alu instid0(VALU_DEP_1) | instskip(SKIP_1) | instid1(VALU_DEP_2)
	v_cvt_f32_i32_e32 v13, v12
	v_xor_b32_e32 v12, v14, v12
	v_rcp_iflag_f32_e32 v15, v13
	v_nop
	s_delay_alu instid0(TRANS32_DEP_1) | instskip(NEXT) | instid1(VALU_DEP_1)
	v_dual_ashrrev_i32 v12, 30, v12 :: v_dual_mul_f32 v14, v16, v15
	v_trunc_f32_e32 v14, v14
	s_delay_alu instid0(VALU_DEP_1) | instskip(SKIP_1) | instid1(VALU_DEP_2)
	v_dual_fma_f32 v15, -v14, v13, v16 :: v_dual_bitop2_b32 v12, 1, v12 bitop3:0x54
	v_cvt_i32_f32_e32 v14, v14
	v_cmp_ge_f32_e64 vcc_lo, |v15|, |v13|
	s_delay_alu instid0(VALU_DEP_3) | instskip(NEXT) | instid1(VALU_DEP_1)
	v_cndmask_b32_e32 v12, 0, v12, vcc_lo
	v_add_nc_u32_e32 v12, v14, v12
	s_delay_alu instid0(VALU_DEP_1) | instskip(NEXT) | instid1(VALU_DEP_1)
	v_mul_lo_u32 v12, v12, v11
	v_sub_nc_u32_e32 v12, v7, v12
	s_delay_alu instid0(VALU_DEP_1) | instskip(SKIP_1) | instid1(VALU_DEP_2)
	v_and_b32_e32 v7, 0xffff, v12
	v_bfe_i32 v12, v12, 0, 16
	v_cmp_eq_u32_e32 vcc_lo, 0, v7
	v_mov_b32_e32 v7, v11
	s_or_b32 s11, vcc_lo, s11
	s_delay_alu instid0(SALU_CYCLE_1)
	s_and_not1_b32 exec_lo, exec_lo, s11
	s_cbranch_execnz .LBB73_27
; %bb.28:
	s_or_b32 exec_lo, exec_lo, s11
.LBB73_29:
	s_delay_alu instid0(SALU_CYCLE_1)
	s_or_b32 exec_lo, exec_lo, s3
	v_bfe_i32 v12, v4, 0, 16
	v_mov_b32_e32 v7, 0
	s_mov_b32 s3, exec_lo
	v_cmpx_ne_u16_e32 0, v11
	s_cbranch_execz .LBB73_31
; %bb.30:
	v_bfe_i32 v7, v11, 0, 16
	v_cvt_f32_i32_e32 v14, v10
	s_delay_alu instid0(VALU_DEP_2) | instskip(SKIP_1) | instid1(VALU_DEP_2)
	v_cvt_f32_i32_e32 v11, v7
	v_xor_b32_e32 v7, v10, v7
	v_rcp_iflag_f32_e32 v13, v11
	s_delay_alu instid0(VALU_DEP_1)
	v_ashrrev_i32_e32 v7, 30, v7
	s_delay_alu instid0(TRANS32_DEP_1) | instid1(VALU_DEP_1)
	v_dual_mul_f32 v13, v14, v13 :: v_dual_bitop2_b32 v7, 1, v7 bitop3:0x54
	s_delay_alu instid0(VALU_DEP_1) | instskip(NEXT) | instid1(VALU_DEP_1)
	v_trunc_f32_e32 v10, v13
	v_fma_f32 v13, -v10, v11, v14
	v_cvt_i32_f32_e32 v10, v10
	s_delay_alu instid0(VALU_DEP_2) | instskip(SKIP_1) | instid1(VALU_DEP_1)
	v_cmp_ge_f32_e64 vcc_lo, |v13|, |v11|
	v_cndmask_b32_e32 v7, 0, v7, vcc_lo
	v_add_nc_u32_e32 v7, v10, v7
	s_delay_alu instid0(VALU_DEP_1) | instskip(NEXT) | instid1(VALU_DEP_1)
	v_bfe_i32 v7, v7, 0, 16
	v_mul_i32_i24_e32 v7, v7, v12
	s_delay_alu instid0(VALU_DEP_1) | instskip(NEXT) | instid1(VALU_DEP_1)
	v_sub_nc_u32_e32 v10, 0, v7
	v_max_i32_e32 v7, v7, v10
.LBB73_31:
	s_or_b32 exec_lo, exec_lo, s3
	v_lshrrev_b32_e32 v10, 16, v4
	v_dual_lshrrev_b32 v12, 16, v8 :: v_dual_ashrrev_i32 v8, 16, v8
	s_mov_b32 s11, 0
	s_mov_b32 s3, exec_lo
	s_delay_alu instid0(VALU_DEP_2) | instskip(NEXT) | instid1(VALU_DEP_1)
	v_sub_nc_u16 v11, 0, v10
	v_max_i16 v10, v10, v11
	v_cmpx_ne_u16_e32 0, v12
	s_cbranch_execz .LBB73_35
; %bb.32:
	v_sub_nc_u16 v11, 0, v8
	s_delay_alu instid0(VALU_DEP_1) | instskip(SKIP_1) | instid1(VALU_DEP_2)
	v_max_i16 v12, v8, v11
	v_and_b32_e32 v11, 0xffff, v10
	v_and_b32_e32 v12, 0xffff, v12
.LBB73_33:                              ; =>This Inner Loop Header: Depth=1
	s_delay_alu instid0(VALU_DEP_1) | instskip(NEXT) | instid1(VALU_DEP_2)
	v_bfe_i32 v14, v11, 0, 16
	v_mov_b32_e32 v10, v12
	s_delay_alu instid0(VALU_DEP_2) | instskip(NEXT) | instid1(VALU_DEP_2)
	v_cvt_f32_i32_e32 v16, v14
	v_bfe_i32 v12, v10, 0, 16
	s_delay_alu instid0(VALU_DEP_1) | instskip(SKIP_1) | instid1(VALU_DEP_2)
	v_cvt_f32_i32_e32 v13, v12
	v_xor_b32_e32 v12, v14, v12
	v_rcp_iflag_f32_e32 v15, v13
	v_nop
	s_delay_alu instid0(TRANS32_DEP_1) | instskip(NEXT) | instid1(VALU_DEP_1)
	v_dual_ashrrev_i32 v12, 30, v12 :: v_dual_mul_f32 v14, v16, v15
	v_trunc_f32_e32 v14, v14
	s_delay_alu instid0(VALU_DEP_1) | instskip(SKIP_1) | instid1(VALU_DEP_2)
	v_dual_fma_f32 v15, -v14, v13, v16 :: v_dual_bitop2_b32 v12, 1, v12 bitop3:0x54
	v_cvt_i32_f32_e32 v14, v14
	v_cmp_ge_f32_e64 vcc_lo, |v15|, |v13|
	s_delay_alu instid0(VALU_DEP_3) | instskip(NEXT) | instid1(VALU_DEP_1)
	v_cndmask_b32_e32 v12, 0, v12, vcc_lo
	v_add_nc_u32_e32 v12, v14, v12
	s_delay_alu instid0(VALU_DEP_1) | instskip(NEXT) | instid1(VALU_DEP_1)
	v_mul_lo_u32 v12, v12, v10
	v_sub_nc_u32_e32 v12, v11, v12
	s_delay_alu instid0(VALU_DEP_1) | instskip(SKIP_1) | instid1(VALU_DEP_2)
	v_and_b32_e32 v11, 0xffff, v12
	v_bfe_i32 v12, v12, 0, 16
	v_cmp_eq_u32_e32 vcc_lo, 0, v11
	v_mov_b32_e32 v11, v10
	s_or_b32 s11, vcc_lo, s11
	s_delay_alu instid0(SALU_CYCLE_1)
	s_and_not1_b32 exec_lo, exec_lo, s11
	s_cbranch_execnz .LBB73_33
; %bb.34:
	s_or_b32 exec_lo, exec_lo, s11
.LBB73_35:
	s_delay_alu instid0(SALU_CYCLE_1)
	s_or_b32 exec_lo, exec_lo, s3
	v_dual_mov_b32 v4, 0 :: v_dual_ashrrev_i32 v11, 16, v4
	s_mov_b32 s3, exec_lo
	v_cmpx_ne_u16_e32 0, v10
	s_cbranch_execz .LBB73_37
; %bb.36:
	v_bfe_i32 v4, v10, 0, 16
	v_cvt_f32_i32_e32 v13, v8
	s_delay_alu instid0(VALU_DEP_2) | instskip(SKIP_1) | instid1(VALU_DEP_2)
	v_cvt_f32_i32_e32 v10, v4
	v_xor_b32_e32 v4, v8, v4
	v_rcp_iflag_f32_e32 v12, v10
	v_nop
	s_delay_alu instid0(TRANS32_DEP_1) | instskip(NEXT) | instid1(VALU_DEP_1)
	v_mul_f32_e32 v12, v13, v12
	v_trunc_f32_e32 v8, v12
	s_delay_alu instid0(VALU_DEP_1) | instskip(SKIP_1) | instid1(VALU_DEP_2)
	v_dual_fma_f32 v12, -v8, v10, v13 :: v_dual_ashrrev_i32 v4, 30, v4
	v_cvt_i32_f32_e32 v8, v8
	v_cmp_ge_f32_e64 vcc_lo, |v12|, |v10|
	s_delay_alu instid0(VALU_DEP_3) | instskip(NEXT) | instid1(VALU_DEP_1)
	v_or_b32_e32 v4, 1, v4
	v_cndmask_b32_e32 v4, 0, v4, vcc_lo
	s_delay_alu instid0(VALU_DEP_1) | instskip(NEXT) | instid1(VALU_DEP_1)
	v_add_nc_u32_e32 v4, v8, v4
	v_bfe_i32 v4, v4, 0, 16
	s_delay_alu instid0(VALU_DEP_1) | instskip(NEXT) | instid1(VALU_DEP_1)
	v_mul_i32_i24_e32 v4, v4, v11
	v_sub_nc_u32_e32 v8, 0, v4
	s_delay_alu instid0(VALU_DEP_1)
	v_max_i32_e32 v4, v4, v8
.LBB73_37:
	s_or_b32 exec_lo, exec_lo, s3
	v_sub_nc_u16 v8, 0, v5
	v_bfe_i32 v10, v9, 0, 16
	s_mov_b32 s11, 0
	s_mov_b32 s3, exec_lo
	s_delay_alu instid0(VALU_DEP_2)
	v_max_i16 v11, v5, v8
	v_cmpx_ne_u16_e32 0, v9
	s_cbranch_execz .LBB73_41
; %bb.38:
	v_sub_nc_u16 v8, 0, v10
	s_delay_alu instid0(VALU_DEP_1) | instskip(SKIP_1) | instid1(VALU_DEP_2)
	v_max_i16 v12, v10, v8
	v_and_b32_e32 v8, 0xffff, v11
	v_and_b32_e32 v12, 0xffff, v12
.LBB73_39:                              ; =>This Inner Loop Header: Depth=1
	s_delay_alu instid0(VALU_DEP_1) | instskip(NEXT) | instid1(VALU_DEP_2)
	v_bfe_i32 v14, v8, 0, 16
	v_mov_b32_e32 v11, v12
	s_delay_alu instid0(VALU_DEP_2) | instskip(NEXT) | instid1(VALU_DEP_2)
	v_cvt_f32_i32_e32 v16, v14
	v_bfe_i32 v12, v11, 0, 16
	s_delay_alu instid0(VALU_DEP_1) | instskip(SKIP_1) | instid1(VALU_DEP_2)
	v_cvt_f32_i32_e32 v13, v12
	v_xor_b32_e32 v12, v14, v12
	v_rcp_iflag_f32_e32 v15, v13
	v_nop
	s_delay_alu instid0(TRANS32_DEP_1) | instskip(NEXT) | instid1(VALU_DEP_1)
	v_dual_ashrrev_i32 v12, 30, v12 :: v_dual_mul_f32 v14, v16, v15
	v_trunc_f32_e32 v14, v14
	s_delay_alu instid0(VALU_DEP_1) | instskip(SKIP_1) | instid1(VALU_DEP_2)
	v_dual_fma_f32 v15, -v14, v13, v16 :: v_dual_bitop2_b32 v12, 1, v12 bitop3:0x54
	v_cvt_i32_f32_e32 v14, v14
	v_cmp_ge_f32_e64 vcc_lo, |v15|, |v13|
	s_delay_alu instid0(VALU_DEP_3) | instskip(NEXT) | instid1(VALU_DEP_1)
	v_cndmask_b32_e32 v12, 0, v12, vcc_lo
	v_add_nc_u32_e32 v12, v14, v12
	s_delay_alu instid0(VALU_DEP_1) | instskip(NEXT) | instid1(VALU_DEP_1)
	v_mul_lo_u32 v12, v12, v11
	v_sub_nc_u32_e32 v12, v8, v12
	s_delay_alu instid0(VALU_DEP_1) | instskip(SKIP_1) | instid1(VALU_DEP_2)
	v_and_b32_e32 v8, 0xffff, v12
	v_bfe_i32 v12, v12, 0, 16
	v_cmp_eq_u32_e32 vcc_lo, 0, v8
	v_mov_b32_e32 v8, v11
	s_or_b32 s11, vcc_lo, s11
	s_delay_alu instid0(SALU_CYCLE_1)
	s_and_not1_b32 exec_lo, exec_lo, s11
	s_cbranch_execnz .LBB73_39
; %bb.40:
	s_or_b32 exec_lo, exec_lo, s11
.LBB73_41:
	s_delay_alu instid0(SALU_CYCLE_1)
	s_or_b32 exec_lo, exec_lo, s3
	v_bfe_i32 v12, v5, 0, 16
	v_mov_b32_e32 v8, 0
	s_mov_b32 s3, exec_lo
	v_cmpx_ne_u16_e32 0, v11
	s_cbranch_execz .LBB73_43
; %bb.42:
	v_bfe_i32 v8, v11, 0, 16
	v_cvt_f32_i32_e32 v14, v10
	s_delay_alu instid0(VALU_DEP_2) | instskip(SKIP_1) | instid1(VALU_DEP_2)
	v_cvt_f32_i32_e32 v11, v8
	v_xor_b32_e32 v8, v10, v8
	v_rcp_iflag_f32_e32 v13, v11
	s_delay_alu instid0(VALU_DEP_1)
	v_ashrrev_i32_e32 v8, 30, v8
	s_delay_alu instid0(TRANS32_DEP_1) | instid1(VALU_DEP_1)
	v_dual_mul_f32 v13, v14, v13 :: v_dual_bitop2_b32 v8, 1, v8 bitop3:0x54
	s_delay_alu instid0(VALU_DEP_1) | instskip(NEXT) | instid1(VALU_DEP_1)
	v_trunc_f32_e32 v10, v13
	v_fma_f32 v13, -v10, v11, v14
	v_cvt_i32_f32_e32 v10, v10
	s_delay_alu instid0(VALU_DEP_2) | instskip(SKIP_1) | instid1(VALU_DEP_1)
	v_cmp_ge_f32_e64 vcc_lo, |v13|, |v11|
	v_cndmask_b32_e32 v8, 0, v8, vcc_lo
	v_add_nc_u32_e32 v8, v10, v8
	s_delay_alu instid0(VALU_DEP_1) | instskip(NEXT) | instid1(VALU_DEP_1)
	v_bfe_i32 v8, v8, 0, 16
	v_mul_i32_i24_e32 v8, v8, v12
	s_delay_alu instid0(VALU_DEP_1) | instskip(NEXT) | instid1(VALU_DEP_1)
	v_sub_nc_u32_e32 v10, 0, v8
	v_max_i32_e32 v8, v8, v10
.LBB73_43:
	s_or_b32 exec_lo, exec_lo, s3
	v_lshrrev_b32_e32 v10, 16, v5
	v_dual_lshrrev_b32 v12, 16, v9 :: v_dual_ashrrev_i32 v9, 16, v9
	s_mov_b32 s11, 0
	s_mov_b32 s3, exec_lo
	s_delay_alu instid0(VALU_DEP_2) | instskip(NEXT) | instid1(VALU_DEP_1)
	v_sub_nc_u16 v11, 0, v10
	v_max_i16 v10, v10, v11
	v_cmpx_ne_u16_e32 0, v12
	s_cbranch_execz .LBB73_47
; %bb.44:
	v_sub_nc_u16 v11, 0, v9
	s_delay_alu instid0(VALU_DEP_1) | instskip(SKIP_1) | instid1(VALU_DEP_2)
	v_max_i16 v12, v9, v11
	v_and_b32_e32 v11, 0xffff, v10
	v_and_b32_e32 v12, 0xffff, v12
.LBB73_45:                              ; =>This Inner Loop Header: Depth=1
	s_delay_alu instid0(VALU_DEP_1) | instskip(NEXT) | instid1(VALU_DEP_2)
	v_bfe_i32 v14, v11, 0, 16
	v_mov_b32_e32 v10, v12
	s_delay_alu instid0(VALU_DEP_2) | instskip(NEXT) | instid1(VALU_DEP_2)
	v_cvt_f32_i32_e32 v16, v14
	v_bfe_i32 v12, v10, 0, 16
	s_delay_alu instid0(VALU_DEP_1) | instskip(SKIP_1) | instid1(VALU_DEP_2)
	v_cvt_f32_i32_e32 v13, v12
	v_xor_b32_e32 v12, v14, v12
	v_rcp_iflag_f32_e32 v15, v13
	v_nop
	s_delay_alu instid0(TRANS32_DEP_1) | instskip(NEXT) | instid1(VALU_DEP_1)
	v_dual_ashrrev_i32 v12, 30, v12 :: v_dual_mul_f32 v14, v16, v15
	v_trunc_f32_e32 v14, v14
	s_delay_alu instid0(VALU_DEP_1) | instskip(SKIP_1) | instid1(VALU_DEP_2)
	v_dual_fma_f32 v15, -v14, v13, v16 :: v_dual_bitop2_b32 v12, 1, v12 bitop3:0x54
	v_cvt_i32_f32_e32 v14, v14
	v_cmp_ge_f32_e64 vcc_lo, |v15|, |v13|
	s_delay_alu instid0(VALU_DEP_3) | instskip(NEXT) | instid1(VALU_DEP_1)
	v_cndmask_b32_e32 v12, 0, v12, vcc_lo
	v_add_nc_u32_e32 v12, v14, v12
	s_delay_alu instid0(VALU_DEP_1) | instskip(NEXT) | instid1(VALU_DEP_1)
	v_mul_lo_u32 v12, v12, v10
	v_sub_nc_u32_e32 v12, v11, v12
	s_delay_alu instid0(VALU_DEP_1) | instskip(SKIP_1) | instid1(VALU_DEP_2)
	v_and_b32_e32 v11, 0xffff, v12
	v_bfe_i32 v12, v12, 0, 16
	v_cmp_eq_u32_e32 vcc_lo, 0, v11
	v_mov_b32_e32 v11, v10
	s_or_b32 s11, vcc_lo, s11
	s_delay_alu instid0(SALU_CYCLE_1)
	s_and_not1_b32 exec_lo, exec_lo, s11
	s_cbranch_execnz .LBB73_45
; %bb.46:
	s_or_b32 exec_lo, exec_lo, s11
.LBB73_47:
	s_delay_alu instid0(SALU_CYCLE_1)
	s_or_b32 exec_lo, exec_lo, s3
	v_dual_ashrrev_i32 v5, 16, v5 :: v_dual_mov_b32 v11, 0
	s_mov_b32 s3, exec_lo
	v_cmpx_ne_u16_e32 0, v10
	s_cbranch_execz .LBB73_49
; %bb.48:
	v_bfe_i32 v10, v10, 0, 16
	v_cvt_f32_i32_e32 v13, v9
	s_delay_alu instid0(VALU_DEP_2) | instskip(SKIP_1) | instid1(VALU_DEP_2)
	v_cvt_f32_i32_e32 v11, v10
	v_xor_b32_e32 v9, v9, v10
	v_rcp_iflag_f32_e32 v12, v11
	s_delay_alu instid0(VALU_DEP_1)
	v_ashrrev_i32_e32 v9, 30, v9
	s_delay_alu instid0(TRANS32_DEP_1) | instid1(VALU_DEP_1)
	v_dual_mul_f32 v12, v13, v12 :: v_dual_bitop2_b32 v9, 1, v9 bitop3:0x54
	s_delay_alu instid0(VALU_DEP_1) | instskip(NEXT) | instid1(VALU_DEP_1)
	v_trunc_f32_e32 v10, v12
	v_fma_f32 v12, -v10, v11, v13
	v_cvt_i32_f32_e32 v10, v10
	s_delay_alu instid0(VALU_DEP_2) | instskip(SKIP_1) | instid1(VALU_DEP_1)
	v_cmp_ge_f32_e64 vcc_lo, |v12|, |v11|
	v_cndmask_b32_e32 v9, 0, v9, vcc_lo
	v_add_nc_u32_e32 v9, v10, v9
	s_delay_alu instid0(VALU_DEP_1) | instskip(NEXT) | instid1(VALU_DEP_1)
	v_bfe_i32 v9, v9, 0, 16
	v_mul_i32_i24_e32 v5, v9, v5
	s_delay_alu instid0(VALU_DEP_1) | instskip(NEXT) | instid1(VALU_DEP_1)
	v_sub_nc_u32_e32 v9, 0, v5
	v_max_i32_e32 v11, v5, v9
.LBB73_49:
	s_or_b32 exec_lo, exec_lo, s3
	s_delay_alu instid0(VALU_DEP_1)
	v_perm_b32 v5, v11, v8, 0x5040100
	v_perm_b32 v4, v4, v7, 0x5040100
	v_perm_b32 v3, v3, v6, 0x5040100
	v_perm_b32 v2, v2, v1, 0x5040100
	s_add_nc_u64 s[12:13], s[4:5], s[0:1]
	s_mov_b32 s0, 0
	global_store_b128 v0, v[2:5], s[12:13] scale_offset
.LBB73_50:
	s_and_b32 vcc_lo, exec_lo, s0
	s_cbranch_vccz .LBB73_133
; %bb.51:
	v_cmp_gt_i32_e32 vcc_lo, s10, v0
	s_wait_xcnt 0x0
	v_dual_mov_b32 v19, 0 :: v_dual_bitop2_b32 v5, s2, v0 bitop3:0x54
	v_or_b32_e32 v6, 0x100, v0
	v_dual_mov_b32 v22, 0 :: v_dual_mov_b32 v21, 0
	v_mov_b32_e32 v1, v0
	s_and_saveexec_b32 s0, vcc_lo
	s_cbranch_execz .LBB73_53
; %bb.52:
	s_clause 0x1
	global_load_u16 v22, v5, s[6:7] scale_offset
	global_load_u16 v21, v5, s[8:9] scale_offset
	v_or_b32_e32 v1, 0x100, v0
.LBB73_53:
	s_wait_xcnt 0x0
	s_or_b32 exec_lo, exec_lo, s0
	v_mov_b32_e32 v20, 0
	s_mov_b32 s1, exec_lo
	v_cmpx_gt_i32_e64 s10, v1
	s_cbranch_execz .LBB73_55
; %bb.54:
	v_add_nc_u32_e32 v2, s2, v1
	v_add_nc_u32_e32 v1, 0x100, v1
	s_clause 0x1
	global_load_u16 v19, v2, s[6:7] scale_offset
	global_load_u16 v20, v2, s[8:9] scale_offset
.LBB73_55:
	s_wait_xcnt 0x0
	s_or_b32 exec_lo, exec_lo, s1
	v_dual_mov_b32 v15, 0 :: v_dual_mov_b32 v18, 0
	v_mov_b32_e32 v17, 0
	s_mov_b32 s1, exec_lo
	v_cmpx_gt_i32_e64 s10, v1
	s_cbranch_execz .LBB73_57
; %bb.56:
	v_add_nc_u32_e32 v2, s2, v1
	v_add_nc_u32_e32 v1, 0x100, v1
	s_clause 0x1
	global_load_u16 v18, v2, s[6:7] scale_offset
	global_load_u16 v17, v2, s[8:9] scale_offset
.LBB73_57:
	s_wait_xcnt 0x0
	s_or_b32 exec_lo, exec_lo, s1
	v_mov_b32_e32 v16, 0
	s_mov_b32 s1, exec_lo
	v_cmpx_gt_i32_e64 s10, v1
	s_cbranch_execz .LBB73_59
; %bb.58:
	v_add_nc_u32_e32 v2, s2, v1
	v_add_nc_u32_e32 v1, 0x100, v1
	s_clause 0x1
	global_load_u16 v15, v2, s[6:7] scale_offset
	global_load_u16 v16, v2, s[8:9] scale_offset
.LBB73_59:
	s_wait_xcnt 0x0
	s_or_b32 exec_lo, exec_lo, s1
	v_dual_mov_b32 v11, 0 :: v_dual_mov_b32 v14, 0
	v_mov_b32_e32 v13, 0
	s_mov_b32 s1, exec_lo
	v_cmpx_gt_i32_e64 s10, v1
	s_cbranch_execz .LBB73_61
; %bb.60:
	v_add_nc_u32_e32 v2, s2, v1
	v_add_nc_u32_e32 v1, 0x100, v1
	s_clause 0x1
	global_load_u16 v14, v2, s[6:7] scale_offset
	global_load_u16 v13, v2, s[8:9] scale_offset
.LBB73_61:
	;; [unrolled: 27-line block ×3, first 2 shown]
	s_wait_xcnt 0x0
	s_or_b32 exec_lo, exec_lo, s1
	v_mov_b32_e32 v8, 0
	s_mov_b32 s1, exec_lo
	v_cmpx_gt_i32_e64 s10, v1
	s_cbranch_execz .LBB73_67
; %bb.66:
	v_add_nc_u32_e32 v1, s2, v1
	s_clause 0x1
	global_load_u16 v7, v1, s[6:7] scale_offset
	global_load_u16 v8, v1, s[8:9] scale_offset
.LBB73_67:
	s_wait_xcnt 0x0
	s_or_b32 exec_lo, exec_lo, s1
	v_mov_b32_e32 v4, 0
	s_delay_alu instid0(VALU_DEP_1)
	v_dual_mov_b32 v1, v4 :: v_dual_mov_b32 v2, v4
	v_mov_b32_e32 v3, v4
	s_and_saveexec_b32 s1, vcc_lo
	s_cbranch_execz .LBB73_75
; %bb.68:
	s_wait_loadcnt 0x0
	v_sub_nc_u16 v1, 0, v21
	s_mov_b32 s3, exec_lo
	s_delay_alu instid0(VALU_DEP_1)
	v_max_i16 v2, v21, v1
	v_cmpx_ne_u16_e32 0, v22
	s_cbranch_execz .LBB73_72
; %bb.69:
	v_sub_nc_u16 v1, 0, v22
	s_mov_b32 s6, 0
	s_delay_alu instid0(VALU_DEP_1) | instskip(SKIP_1) | instid1(VALU_DEP_2)
	v_max_i16 v3, v22, v1
	v_and_b32_e32 v1, 0xffff, v2
	v_and_b32_e32 v3, 0xffff, v3
.LBB73_70:                              ; =>This Inner Loop Header: Depth=1
	s_delay_alu instid0(VALU_DEP_1) | instskip(NEXT) | instid1(VALU_DEP_1)
	v_bfe_i32 v23, v1, 0, 16
	v_cvt_f32_i32_e32 v25, v23
	s_delay_alu instid0(VALU_DEP_3) | instskip(NEXT) | instid1(VALU_DEP_1)
	v_mov_b32_e32 v2, v3
	v_bfe_i32 v3, v2, 0, 16
	s_delay_alu instid0(VALU_DEP_1) | instskip(SKIP_1) | instid1(VALU_DEP_2)
	v_cvt_f32_i32_e32 v4, v3
	v_xor_b32_e32 v3, v23, v3
	v_rcp_iflag_f32_e32 v24, v4
	v_nop
	s_delay_alu instid0(TRANS32_DEP_1) | instskip(NEXT) | instid1(VALU_DEP_1)
	v_mul_f32_e32 v23, v25, v24
	v_trunc_f32_e32 v23, v23
	s_delay_alu instid0(VALU_DEP_1) | instskip(SKIP_1) | instid1(VALU_DEP_2)
	v_dual_fma_f32 v24, -v23, v4, v25 :: v_dual_ashrrev_i32 v3, 30, v3
	v_cvt_i32_f32_e32 v23, v23
	v_cmp_ge_f32_e64 s0, |v24|, |v4|
	s_delay_alu instid0(VALU_DEP_3) | instskip(NEXT) | instid1(VALU_DEP_1)
	v_or_b32_e32 v3, 1, v3
	v_cndmask_b32_e64 v3, 0, v3, s0
	s_delay_alu instid0(VALU_DEP_1) | instskip(NEXT) | instid1(VALU_DEP_1)
	v_add_nc_u32_e32 v3, v23, v3
	v_mul_lo_u32 v3, v3, v2
	s_delay_alu instid0(VALU_DEP_1) | instskip(NEXT) | instid1(VALU_DEP_1)
	v_sub_nc_u32_e32 v3, v1, v3
	v_and_b32_e32 v1, 0xffff, v3
	v_bfe_i32 v3, v3, 0, 16
	s_delay_alu instid0(VALU_DEP_2) | instskip(SKIP_2) | instid1(SALU_CYCLE_1)
	v_cmp_eq_u32_e64 s0, 0, v1
	v_mov_b32_e32 v1, v2
	s_or_b32 s6, s0, s6
	s_and_not1_b32 exec_lo, exec_lo, s6
	s_cbranch_execnz .LBB73_70
; %bb.71:
	s_or_b32 exec_lo, exec_lo, s6
.LBB73_72:
	s_delay_alu instid0(SALU_CYCLE_1)
	s_or_b32 exec_lo, exec_lo, s3
	v_dual_mov_b32 v1, 0 :: v_dual_mov_b32 v3, 0
	s_mov_b32 s3, exec_lo
	v_cmpx_ne_u16_e32 0, v2
	s_cbranch_execz .LBB73_74
; %bb.73:
	v_bfe_i32 v2, v2, 0, 16
	v_bfe_i32 v4, v22, 0, 16
	s_delay_alu instid0(VALU_DEP_2) | instskip(NEXT) | instid1(VALU_DEP_2)
	v_cvt_f32_i32_e32 v3, v2
	v_cvt_f32_i32_e32 v23, v4
	v_xor_b32_e32 v2, v4, v2
	s_delay_alu instid0(VALU_DEP_3) | instskip(SKIP_1) | instid1(TRANS32_DEP_1)
	v_rcp_iflag_f32_e32 v22, v3
	v_nop
	v_mul_f32_e32 v22, v23, v22
	s_delay_alu instid0(VALU_DEP_1) | instskip(NEXT) | instid1(VALU_DEP_1)
	v_trunc_f32_e32 v4, v22
	v_dual_fma_f32 v22, -v4, v3, v23 :: v_dual_ashrrev_i32 v2, 30, v2
	v_cvt_i32_f32_e32 v4, v4
	s_delay_alu instid0(VALU_DEP_2) | instskip(NEXT) | instid1(VALU_DEP_3)
	v_cmp_ge_f32_e64 s0, |v22|, |v3|
	v_or_b32_e32 v2, 1, v2
	v_bfe_i32 v3, v21, 0, 16
	s_delay_alu instid0(VALU_DEP_2) | instskip(NEXT) | instid1(VALU_DEP_1)
	v_cndmask_b32_e64 v2, 0, v2, s0
	v_add_nc_u32_e32 v2, v4, v2
	s_delay_alu instid0(VALU_DEP_1) | instskip(NEXT) | instid1(VALU_DEP_1)
	v_bfe_i32 v2, v2, 0, 16
	v_mul_i32_i24_e32 v2, v2, v3
	s_delay_alu instid0(VALU_DEP_1) | instskip(NEXT) | instid1(VALU_DEP_1)
	v_sub_nc_u32_e32 v3, 0, v2
	v_max_i32_e32 v3, v2, v3
.LBB73_74:
	s_or_b32 exec_lo, exec_lo, s3
	s_delay_alu instid0(VALU_DEP_1)
	v_and_b32_e32 v4, 0xffff, v3
	v_dual_mov_b32 v2, v1 :: v_dual_mov_b32 v3, v1
.LBB73_75:
	s_or_b32 exec_lo, exec_lo, s1
	s_delay_alu instid0(SALU_CYCLE_1)
	s_mov_b32 s1, exec_lo
	v_cmpx_gt_i32_e64 s10, v6
	s_cbranch_execz .LBB73_83
; %bb.76:
	s_wait_loadcnt 0x0
	v_sub_nc_u16 v21, 0, v20
	s_mov_b32 s6, 0
	s_mov_b32 s3, exec_lo
	s_delay_alu instid0(VALU_DEP_1)
	v_max_i16 v21, v20, v21
	v_cmpx_ne_u16_e32 0, v19
	s_cbranch_execz .LBB73_80
; %bb.77:
	v_sub_nc_u16 v22, 0, v19
	s_delay_alu instid0(VALU_DEP_1) | instskip(SKIP_1) | instid1(VALU_DEP_2)
	v_max_i16 v23, v19, v22
	v_and_b32_e32 v22, 0xffff, v21
	v_and_b32_e32 v23, 0xffff, v23
.LBB73_78:                              ; =>This Inner Loop Header: Depth=1
	s_delay_alu instid0(VALU_DEP_1) | instskip(NEXT) | instid1(VALU_DEP_2)
	v_bfe_i32 v25, v22, 0, 16
	v_mov_b32_e32 v21, v23
	s_delay_alu instid0(VALU_DEP_2) | instskip(NEXT) | instid1(VALU_DEP_2)
	v_cvt_f32_i32_e32 v27, v25
	v_bfe_i32 v23, v21, 0, 16
	s_delay_alu instid0(VALU_DEP_1) | instskip(SKIP_1) | instid1(VALU_DEP_2)
	v_cvt_f32_i32_e32 v24, v23
	v_xor_b32_e32 v23, v25, v23
	v_rcp_iflag_f32_e32 v26, v24
	v_nop
	s_delay_alu instid0(TRANS32_DEP_1) | instskip(NEXT) | instid1(VALU_DEP_1)
	v_dual_ashrrev_i32 v23, 30, v23 :: v_dual_mul_f32 v25, v27, v26
	v_trunc_f32_e32 v25, v25
	s_delay_alu instid0(VALU_DEP_1) | instskip(SKIP_1) | instid1(VALU_DEP_2)
	v_dual_fma_f32 v26, -v25, v24, v27 :: v_dual_bitop2_b32 v23, 1, v23 bitop3:0x54
	v_cvt_i32_f32_e32 v25, v25
	v_cmp_ge_f32_e64 s0, |v26|, |v24|
	s_delay_alu instid0(VALU_DEP_1) | instskip(NEXT) | instid1(VALU_DEP_1)
	v_cndmask_b32_e64 v23, 0, v23, s0
	v_add_nc_u32_e32 v23, v25, v23
	s_delay_alu instid0(VALU_DEP_1) | instskip(NEXT) | instid1(VALU_DEP_1)
	v_mul_lo_u32 v23, v23, v21
	v_sub_nc_u32_e32 v23, v22, v23
	s_delay_alu instid0(VALU_DEP_1) | instskip(SKIP_1) | instid1(VALU_DEP_2)
	v_and_b32_e32 v22, 0xffff, v23
	v_bfe_i32 v23, v23, 0, 16
	v_cmp_eq_u32_e64 s0, 0, v22
	v_mov_b32_e32 v22, v21
	s_or_b32 s6, s0, s6
	s_delay_alu instid0(SALU_CYCLE_1)
	s_and_not1_b32 exec_lo, exec_lo, s6
	s_cbranch_execnz .LBB73_78
; %bb.79:
	s_or_b32 exec_lo, exec_lo, s6
.LBB73_80:
	s_delay_alu instid0(SALU_CYCLE_1)
	s_or_b32 exec_lo, exec_lo, s3
	v_mov_b32_e32 v22, 0
	s_mov_b32 s3, exec_lo
	v_cmpx_ne_u16_e32 0, v21
	s_cbranch_execz .LBB73_82
; %bb.81:
	v_bfe_i32 v21, v21, 0, 16
	v_bfe_i32 v19, v19, 0, 16
	v_bfe_i32 v20, v20, 0, 16
	s_delay_alu instid0(VALU_DEP_3) | instskip(NEXT) | instid1(VALU_DEP_3)
	v_cvt_f32_i32_e32 v22, v21
	v_cvt_f32_i32_e32 v24, v19
	v_xor_b32_e32 v19, v19, v21
	s_delay_alu instid0(VALU_DEP_3) | instskip(SKIP_1) | instid1(TRANS32_DEP_1)
	v_rcp_iflag_f32_e32 v23, v22
	v_nop
	v_mul_f32_e32 v23, v24, v23
	s_delay_alu instid0(VALU_DEP_1) | instskip(NEXT) | instid1(VALU_DEP_1)
	v_trunc_f32_e32 v21, v23
	v_dual_ashrrev_i32 v19, 30, v19 :: v_dual_fma_f32 v23, -v21, v22, v24
	s_delay_alu instid0(VALU_DEP_1) | instskip(SKIP_1) | instid1(VALU_DEP_3)
	v_or_b32_e32 v19, 1, v19
	v_cvt_i32_f32_e32 v21, v21
	v_cmp_ge_f32_e64 s0, |v23|, |v22|
	s_delay_alu instid0(VALU_DEP_1) | instskip(NEXT) | instid1(VALU_DEP_1)
	v_cndmask_b32_e64 v19, 0, v19, s0
	v_add_nc_u32_e32 v19, v21, v19
	s_delay_alu instid0(VALU_DEP_1) | instskip(NEXT) | instid1(VALU_DEP_1)
	v_bfe_i32 v19, v19, 0, 16
	v_mul_i32_i24_e32 v19, v19, v20
	s_delay_alu instid0(VALU_DEP_1) | instskip(NEXT) | instid1(VALU_DEP_1)
	v_sub_nc_u32_e32 v20, 0, v19
	v_max_i32_e32 v22, v19, v20
.LBB73_82:
	s_or_b32 exec_lo, exec_lo, s3
	s_delay_alu instid0(VALU_DEP_1)
	v_perm_b32 v4, v22, v4, 0x5040100
.LBB73_83:
	s_or_b32 exec_lo, exec_lo, s1
	s_wait_loadcnt 0x1
	v_or_b32_e32 v19, 0x200, v0
	s_mov_b32 s1, exec_lo
	s_delay_alu instid0(VALU_DEP_1)
	v_cmpx_gt_i32_e64 s10, v19
	s_cbranch_execz .LBB73_91
; %bb.84:
	s_wait_loadcnt 0x0
	v_sub_nc_u16 v19, 0, v17
	s_mov_b32 s6, 0
	s_mov_b32 s3, exec_lo
	s_delay_alu instid0(VALU_DEP_1)
	v_max_i16 v19, v17, v19
	v_cmpx_ne_u16_e32 0, v18
	s_cbranch_execz .LBB73_88
; %bb.85:
	v_sub_nc_u16 v20, 0, v18
	s_delay_alu instid0(VALU_DEP_1) | instskip(SKIP_1) | instid1(VALU_DEP_2)
	v_max_i16 v21, v18, v20
	v_and_b32_e32 v20, 0xffff, v19
	v_and_b32_e32 v21, 0xffff, v21
.LBB73_86:                              ; =>This Inner Loop Header: Depth=1
	s_delay_alu instid0(VALU_DEP_1) | instskip(NEXT) | instid1(VALU_DEP_2)
	v_bfe_i32 v23, v20, 0, 16
	v_mov_b32_e32 v19, v21
	s_delay_alu instid0(VALU_DEP_2) | instskip(NEXT) | instid1(VALU_DEP_2)
	v_cvt_f32_i32_e32 v25, v23
	v_bfe_i32 v21, v19, 0, 16
	s_delay_alu instid0(VALU_DEP_1) | instskip(SKIP_1) | instid1(VALU_DEP_2)
	v_cvt_f32_i32_e32 v22, v21
	v_xor_b32_e32 v21, v23, v21
	v_rcp_iflag_f32_e32 v24, v22
	v_nop
	s_delay_alu instid0(TRANS32_DEP_1) | instskip(NEXT) | instid1(VALU_DEP_1)
	v_dual_ashrrev_i32 v21, 30, v21 :: v_dual_mul_f32 v23, v25, v24
	v_trunc_f32_e32 v23, v23
	s_delay_alu instid0(VALU_DEP_1) | instskip(SKIP_1) | instid1(VALU_DEP_2)
	v_dual_fma_f32 v24, -v23, v22, v25 :: v_dual_bitop2_b32 v21, 1, v21 bitop3:0x54
	v_cvt_i32_f32_e32 v23, v23
	v_cmp_ge_f32_e64 s0, |v24|, |v22|
	s_delay_alu instid0(VALU_DEP_1) | instskip(NEXT) | instid1(VALU_DEP_1)
	v_cndmask_b32_e64 v21, 0, v21, s0
	v_add_nc_u32_e32 v21, v23, v21
	s_delay_alu instid0(VALU_DEP_1) | instskip(NEXT) | instid1(VALU_DEP_1)
	v_mul_lo_u32 v21, v21, v19
	v_sub_nc_u32_e32 v21, v20, v21
	s_delay_alu instid0(VALU_DEP_1) | instskip(SKIP_1) | instid1(VALU_DEP_2)
	v_and_b32_e32 v20, 0xffff, v21
	v_bfe_i32 v21, v21, 0, 16
	v_cmp_eq_u32_e64 s0, 0, v20
	v_mov_b32_e32 v20, v19
	s_or_b32 s6, s0, s6
	s_delay_alu instid0(SALU_CYCLE_1)
	s_and_not1_b32 exec_lo, exec_lo, s6
	s_cbranch_execnz .LBB73_86
; %bb.87:
	s_or_b32 exec_lo, exec_lo, s6
.LBB73_88:
	s_delay_alu instid0(SALU_CYCLE_1)
	s_or_b32 exec_lo, exec_lo, s3
	v_mov_b32_e32 v20, 0
	s_mov_b32 s3, exec_lo
	v_cmpx_ne_u16_e32 0, v19
	s_cbranch_execz .LBB73_90
; %bb.89:
	v_bfe_i32 v19, v19, 0, 16
	v_bfe_i32 v18, v18, 0, 16
	;; [unrolled: 1-line block ×3, first 2 shown]
	s_delay_alu instid0(VALU_DEP_3) | instskip(NEXT) | instid1(VALU_DEP_3)
	v_cvt_f32_i32_e32 v20, v19
	v_cvt_f32_i32_e32 v22, v18
	v_xor_b32_e32 v18, v18, v19
	s_delay_alu instid0(VALU_DEP_3) | instskip(SKIP_1) | instid1(TRANS32_DEP_1)
	v_rcp_iflag_f32_e32 v21, v20
	v_nop
	v_dual_mul_f32 v21, v22, v21 :: v_dual_ashrrev_i32 v18, 30, v18
	s_delay_alu instid0(VALU_DEP_1) | instskip(NEXT) | instid1(VALU_DEP_2)
	v_or_b32_e32 v18, 1, v18
	v_trunc_f32_e32 v19, v21
	s_delay_alu instid0(VALU_DEP_1) | instskip(SKIP_1) | instid1(VALU_DEP_2)
	v_fma_f32 v21, -v19, v20, v22
	v_cvt_i32_f32_e32 v19, v19
	v_cmp_ge_f32_e64 s0, |v21|, |v20|
	s_delay_alu instid0(VALU_DEP_1) | instskip(NEXT) | instid1(VALU_DEP_1)
	v_cndmask_b32_e64 v18, 0, v18, s0
	v_add_nc_u32_e32 v18, v19, v18
	s_delay_alu instid0(VALU_DEP_1) | instskip(NEXT) | instid1(VALU_DEP_1)
	v_bfe_i32 v18, v18, 0, 16
	v_mul_i32_i24_e32 v17, v18, v17
	s_delay_alu instid0(VALU_DEP_1) | instskip(NEXT) | instid1(VALU_DEP_1)
	v_sub_nc_u32_e32 v18, 0, v17
	v_max_i32_e32 v20, v17, v18
.LBB73_90:
	s_or_b32 exec_lo, exec_lo, s3
	s_delay_alu instid0(VALU_DEP_1)
	v_bfi_b32 v1, 0xffff, v20, v1
.LBB73_91:
	s_or_b32 exec_lo, exec_lo, s1
	s_wait_loadcnt 0x0
	v_or_b32_e32 v17, 0x300, v0
	s_mov_b32 s1, exec_lo
	s_delay_alu instid0(VALU_DEP_1)
	v_cmpx_gt_i32_e64 s10, v17
	s_cbranch_execz .LBB73_99
; %bb.92:
	v_sub_nc_u16 v17, 0, v16
	s_mov_b32 s6, 0
	s_mov_b32 s3, exec_lo
	s_delay_alu instid0(VALU_DEP_1)
	v_max_i16 v17, v16, v17
	v_cmpx_ne_u16_e32 0, v15
	s_cbranch_execz .LBB73_96
; %bb.93:
	v_sub_nc_u16 v18, 0, v15
	s_delay_alu instid0(VALU_DEP_1) | instskip(SKIP_1) | instid1(VALU_DEP_2)
	v_max_i16 v19, v15, v18
	v_and_b32_e32 v18, 0xffff, v17
	v_and_b32_e32 v19, 0xffff, v19
.LBB73_94:                              ; =>This Inner Loop Header: Depth=1
	s_delay_alu instid0(VALU_DEP_1) | instskip(NEXT) | instid1(VALU_DEP_2)
	v_bfe_i32 v21, v18, 0, 16
	v_mov_b32_e32 v17, v19
	s_delay_alu instid0(VALU_DEP_2) | instskip(NEXT) | instid1(VALU_DEP_2)
	v_cvt_f32_i32_e32 v23, v21
	v_bfe_i32 v19, v17, 0, 16
	s_delay_alu instid0(VALU_DEP_1) | instskip(SKIP_1) | instid1(VALU_DEP_2)
	v_cvt_f32_i32_e32 v20, v19
	v_xor_b32_e32 v19, v21, v19
	v_rcp_iflag_f32_e32 v22, v20
	v_nop
	s_delay_alu instid0(TRANS32_DEP_1) | instskip(NEXT) | instid1(VALU_DEP_1)
	v_dual_ashrrev_i32 v19, 30, v19 :: v_dual_mul_f32 v21, v23, v22
	v_trunc_f32_e32 v21, v21
	s_delay_alu instid0(VALU_DEP_1) | instskip(SKIP_1) | instid1(VALU_DEP_2)
	v_dual_fma_f32 v22, -v21, v20, v23 :: v_dual_bitop2_b32 v19, 1, v19 bitop3:0x54
	v_cvt_i32_f32_e32 v21, v21
	v_cmp_ge_f32_e64 s0, |v22|, |v20|
	s_delay_alu instid0(VALU_DEP_1) | instskip(NEXT) | instid1(VALU_DEP_1)
	v_cndmask_b32_e64 v19, 0, v19, s0
	v_add_nc_u32_e32 v19, v21, v19
	s_delay_alu instid0(VALU_DEP_1) | instskip(NEXT) | instid1(VALU_DEP_1)
	v_mul_lo_u32 v19, v19, v17
	v_sub_nc_u32_e32 v19, v18, v19
	s_delay_alu instid0(VALU_DEP_1) | instskip(SKIP_1) | instid1(VALU_DEP_2)
	v_and_b32_e32 v18, 0xffff, v19
	v_bfe_i32 v19, v19, 0, 16
	v_cmp_eq_u32_e64 s0, 0, v18
	v_mov_b32_e32 v18, v17
	s_or_b32 s6, s0, s6
	s_delay_alu instid0(SALU_CYCLE_1)
	s_and_not1_b32 exec_lo, exec_lo, s6
	s_cbranch_execnz .LBB73_94
; %bb.95:
	s_or_b32 exec_lo, exec_lo, s6
.LBB73_96:
	s_delay_alu instid0(SALU_CYCLE_1)
	s_or_b32 exec_lo, exec_lo, s3
	v_mov_b32_e32 v18, 0
	s_mov_b32 s3, exec_lo
	v_cmpx_ne_u16_e32 0, v17
	s_cbranch_execz .LBB73_98
; %bb.97:
	v_bfe_i32 v17, v17, 0, 16
	v_bfe_i32 v15, v15, 0, 16
	;; [unrolled: 1-line block ×3, first 2 shown]
	s_delay_alu instid0(VALU_DEP_3) | instskip(NEXT) | instid1(VALU_DEP_3)
	v_cvt_f32_i32_e32 v18, v17
	v_cvt_f32_i32_e32 v20, v15
	v_xor_b32_e32 v15, v15, v17
	s_delay_alu instid0(VALU_DEP_3) | instskip(SKIP_1) | instid1(TRANS32_DEP_1)
	v_rcp_iflag_f32_e32 v19, v18
	v_nop
	v_mul_f32_e32 v19, v20, v19
	s_delay_alu instid0(VALU_DEP_1) | instskip(NEXT) | instid1(VALU_DEP_1)
	v_trunc_f32_e32 v17, v19
	v_dual_ashrrev_i32 v15, 30, v15 :: v_dual_fma_f32 v19, -v17, v18, v20
	s_delay_alu instid0(VALU_DEP_1) | instskip(SKIP_1) | instid1(VALU_DEP_3)
	v_or_b32_e32 v15, 1, v15
	v_cvt_i32_f32_e32 v17, v17
	v_cmp_ge_f32_e64 s0, |v19|, |v18|
	s_delay_alu instid0(VALU_DEP_1) | instskip(NEXT) | instid1(VALU_DEP_1)
	v_cndmask_b32_e64 v15, 0, v15, s0
	v_add_nc_u32_e32 v15, v17, v15
	s_delay_alu instid0(VALU_DEP_1) | instskip(NEXT) | instid1(VALU_DEP_1)
	v_bfe_i32 v15, v15, 0, 16
	v_mul_i32_i24_e32 v15, v15, v16
	s_delay_alu instid0(VALU_DEP_1) | instskip(NEXT) | instid1(VALU_DEP_1)
	v_sub_nc_u32_e32 v16, 0, v15
	v_max_i32_e32 v18, v15, v16
.LBB73_98:
	s_or_b32 exec_lo, exec_lo, s3
	s_delay_alu instid0(VALU_DEP_1)
	v_perm_b32 v1, v18, v1, 0x5040100
.LBB73_99:
	s_or_b32 exec_lo, exec_lo, s1
	v_or_b32_e32 v15, 0x400, v0
	s_mov_b32 s1, exec_lo
	s_delay_alu instid0(VALU_DEP_1)
	v_cmpx_gt_i32_e64 s10, v15
	s_cbranch_execz .LBB73_107
; %bb.100:
	v_sub_nc_u16 v15, 0, v13
	s_mov_b32 s6, 0
	s_mov_b32 s3, exec_lo
	s_delay_alu instid0(VALU_DEP_1)
	v_max_i16 v15, v13, v15
	v_cmpx_ne_u16_e32 0, v14
	s_cbranch_execz .LBB73_104
; %bb.101:
	v_sub_nc_u16 v16, 0, v14
	s_delay_alu instid0(VALU_DEP_1) | instskip(SKIP_1) | instid1(VALU_DEP_2)
	v_max_i16 v17, v14, v16
	v_and_b32_e32 v16, 0xffff, v15
	v_and_b32_e32 v17, 0xffff, v17
.LBB73_102:                             ; =>This Inner Loop Header: Depth=1
	s_delay_alu instid0(VALU_DEP_1) | instskip(NEXT) | instid1(VALU_DEP_2)
	v_bfe_i32 v19, v16, 0, 16
	v_mov_b32_e32 v15, v17
	s_delay_alu instid0(VALU_DEP_2) | instskip(NEXT) | instid1(VALU_DEP_2)
	v_cvt_f32_i32_e32 v21, v19
	v_bfe_i32 v17, v15, 0, 16
	s_delay_alu instid0(VALU_DEP_1) | instskip(SKIP_1) | instid1(VALU_DEP_2)
	v_cvt_f32_i32_e32 v18, v17
	v_xor_b32_e32 v17, v19, v17
	v_rcp_iflag_f32_e32 v20, v18
	v_nop
	s_delay_alu instid0(TRANS32_DEP_1) | instskip(NEXT) | instid1(VALU_DEP_1)
	v_dual_ashrrev_i32 v17, 30, v17 :: v_dual_mul_f32 v19, v21, v20
	v_trunc_f32_e32 v19, v19
	s_delay_alu instid0(VALU_DEP_1) | instskip(SKIP_1) | instid1(VALU_DEP_2)
	v_dual_fma_f32 v20, -v19, v18, v21 :: v_dual_bitop2_b32 v17, 1, v17 bitop3:0x54
	v_cvt_i32_f32_e32 v19, v19
	v_cmp_ge_f32_e64 s0, |v20|, |v18|
	s_delay_alu instid0(VALU_DEP_1) | instskip(NEXT) | instid1(VALU_DEP_1)
	v_cndmask_b32_e64 v17, 0, v17, s0
	v_add_nc_u32_e32 v17, v19, v17
	s_delay_alu instid0(VALU_DEP_1) | instskip(NEXT) | instid1(VALU_DEP_1)
	v_mul_lo_u32 v17, v17, v15
	v_sub_nc_u32_e32 v17, v16, v17
	s_delay_alu instid0(VALU_DEP_1) | instskip(SKIP_1) | instid1(VALU_DEP_2)
	v_and_b32_e32 v16, 0xffff, v17
	v_bfe_i32 v17, v17, 0, 16
	v_cmp_eq_u32_e64 s0, 0, v16
	v_mov_b32_e32 v16, v15
	s_or_b32 s6, s0, s6
	s_delay_alu instid0(SALU_CYCLE_1)
	s_and_not1_b32 exec_lo, exec_lo, s6
	s_cbranch_execnz .LBB73_102
; %bb.103:
	s_or_b32 exec_lo, exec_lo, s6
.LBB73_104:
	s_delay_alu instid0(SALU_CYCLE_1)
	s_or_b32 exec_lo, exec_lo, s3
	v_mov_b32_e32 v16, 0
	s_mov_b32 s3, exec_lo
	v_cmpx_ne_u16_e32 0, v15
	s_cbranch_execz .LBB73_106
; %bb.105:
	v_bfe_i32 v15, v15, 0, 16
	v_bfe_i32 v14, v14, 0, 16
	;; [unrolled: 1-line block ×3, first 2 shown]
	s_delay_alu instid0(VALU_DEP_3) | instskip(NEXT) | instid1(VALU_DEP_3)
	v_cvt_f32_i32_e32 v16, v15
	v_cvt_f32_i32_e32 v18, v14
	v_xor_b32_e32 v14, v14, v15
	s_delay_alu instid0(VALU_DEP_3) | instskip(SKIP_1) | instid1(TRANS32_DEP_1)
	v_rcp_iflag_f32_e32 v17, v16
	v_nop
	v_dual_mul_f32 v17, v18, v17 :: v_dual_ashrrev_i32 v14, 30, v14
	s_delay_alu instid0(VALU_DEP_1) | instskip(NEXT) | instid1(VALU_DEP_2)
	v_or_b32_e32 v14, 1, v14
	v_trunc_f32_e32 v15, v17
	s_delay_alu instid0(VALU_DEP_1) | instskip(SKIP_1) | instid1(VALU_DEP_2)
	v_fma_f32 v17, -v15, v16, v18
	v_cvt_i32_f32_e32 v15, v15
	v_cmp_ge_f32_e64 s0, |v17|, |v16|
	s_delay_alu instid0(VALU_DEP_1) | instskip(NEXT) | instid1(VALU_DEP_1)
	v_cndmask_b32_e64 v14, 0, v14, s0
	v_add_nc_u32_e32 v14, v15, v14
	s_delay_alu instid0(VALU_DEP_1) | instskip(NEXT) | instid1(VALU_DEP_1)
	v_bfe_i32 v14, v14, 0, 16
	v_mul_i32_i24_e32 v13, v14, v13
	s_delay_alu instid0(VALU_DEP_1) | instskip(NEXT) | instid1(VALU_DEP_1)
	v_sub_nc_u32_e32 v14, 0, v13
	v_max_i32_e32 v16, v13, v14
.LBB73_106:
	s_or_b32 exec_lo, exec_lo, s3
	s_delay_alu instid0(VALU_DEP_1)
	v_bfi_b32 v2, 0xffff, v16, v2
.LBB73_107:
	s_or_b32 exec_lo, exec_lo, s1
	v_or_b32_e32 v13, 0x500, v0
	s_mov_b32 s1, exec_lo
	s_delay_alu instid0(VALU_DEP_1)
	v_cmpx_gt_i32_e64 s10, v13
	s_cbranch_execz .LBB73_115
; %bb.108:
	v_sub_nc_u16 v13, 0, v12
	s_mov_b32 s6, 0
	s_mov_b32 s3, exec_lo
	s_delay_alu instid0(VALU_DEP_1)
	v_max_i16 v13, v12, v13
	v_cmpx_ne_u16_e32 0, v11
	s_cbranch_execz .LBB73_112
; %bb.109:
	v_sub_nc_u16 v14, 0, v11
	s_delay_alu instid0(VALU_DEP_1) | instskip(SKIP_1) | instid1(VALU_DEP_2)
	v_max_i16 v15, v11, v14
	v_and_b32_e32 v14, 0xffff, v13
	v_and_b32_e32 v15, 0xffff, v15
.LBB73_110:                             ; =>This Inner Loop Header: Depth=1
	s_delay_alu instid0(VALU_DEP_1) | instskip(NEXT) | instid1(VALU_DEP_2)
	v_bfe_i32 v17, v14, 0, 16
	v_mov_b32_e32 v13, v15
	s_delay_alu instid0(VALU_DEP_2) | instskip(NEXT) | instid1(VALU_DEP_2)
	v_cvt_f32_i32_e32 v19, v17
	v_bfe_i32 v15, v13, 0, 16
	s_delay_alu instid0(VALU_DEP_1) | instskip(SKIP_1) | instid1(VALU_DEP_2)
	v_cvt_f32_i32_e32 v16, v15
	v_xor_b32_e32 v15, v17, v15
	v_rcp_iflag_f32_e32 v18, v16
	v_nop
	s_delay_alu instid0(TRANS32_DEP_1) | instskip(NEXT) | instid1(VALU_DEP_1)
	v_dual_ashrrev_i32 v15, 30, v15 :: v_dual_mul_f32 v17, v19, v18
	v_trunc_f32_e32 v17, v17
	s_delay_alu instid0(VALU_DEP_1) | instskip(SKIP_1) | instid1(VALU_DEP_2)
	v_dual_fma_f32 v18, -v17, v16, v19 :: v_dual_bitop2_b32 v15, 1, v15 bitop3:0x54
	v_cvt_i32_f32_e32 v17, v17
	v_cmp_ge_f32_e64 s0, |v18|, |v16|
	s_delay_alu instid0(VALU_DEP_1) | instskip(NEXT) | instid1(VALU_DEP_1)
	v_cndmask_b32_e64 v15, 0, v15, s0
	v_add_nc_u32_e32 v15, v17, v15
	s_delay_alu instid0(VALU_DEP_1) | instskip(NEXT) | instid1(VALU_DEP_1)
	v_mul_lo_u32 v15, v15, v13
	v_sub_nc_u32_e32 v15, v14, v15
	s_delay_alu instid0(VALU_DEP_1) | instskip(SKIP_1) | instid1(VALU_DEP_2)
	v_and_b32_e32 v14, 0xffff, v15
	v_bfe_i32 v15, v15, 0, 16
	v_cmp_eq_u32_e64 s0, 0, v14
	v_mov_b32_e32 v14, v13
	s_or_b32 s6, s0, s6
	s_delay_alu instid0(SALU_CYCLE_1)
	s_and_not1_b32 exec_lo, exec_lo, s6
	s_cbranch_execnz .LBB73_110
; %bb.111:
	s_or_b32 exec_lo, exec_lo, s6
.LBB73_112:
	s_delay_alu instid0(SALU_CYCLE_1)
	s_or_b32 exec_lo, exec_lo, s3
	v_mov_b32_e32 v14, 0
	s_mov_b32 s3, exec_lo
	v_cmpx_ne_u16_e32 0, v13
	s_cbranch_execz .LBB73_114
; %bb.113:
	v_bfe_i32 v13, v13, 0, 16
	v_bfe_i32 v11, v11, 0, 16
	;; [unrolled: 1-line block ×3, first 2 shown]
	s_delay_alu instid0(VALU_DEP_3) | instskip(NEXT) | instid1(VALU_DEP_3)
	v_cvt_f32_i32_e32 v14, v13
	v_cvt_f32_i32_e32 v16, v11
	v_xor_b32_e32 v11, v11, v13
	s_delay_alu instid0(VALU_DEP_3) | instskip(SKIP_1) | instid1(TRANS32_DEP_1)
	v_rcp_iflag_f32_e32 v15, v14
	v_nop
	v_mul_f32_e32 v15, v16, v15
	s_delay_alu instid0(VALU_DEP_1) | instskip(NEXT) | instid1(VALU_DEP_1)
	v_trunc_f32_e32 v13, v15
	v_dual_ashrrev_i32 v11, 30, v11 :: v_dual_fma_f32 v15, -v13, v14, v16
	s_delay_alu instid0(VALU_DEP_1) | instskip(SKIP_1) | instid1(VALU_DEP_3)
	v_or_b32_e32 v11, 1, v11
	v_cvt_i32_f32_e32 v13, v13
	v_cmp_ge_f32_e64 s0, |v15|, |v14|
	s_delay_alu instid0(VALU_DEP_1) | instskip(NEXT) | instid1(VALU_DEP_1)
	v_cndmask_b32_e64 v11, 0, v11, s0
	v_add_nc_u32_e32 v11, v13, v11
	s_delay_alu instid0(VALU_DEP_1) | instskip(NEXT) | instid1(VALU_DEP_1)
	v_bfe_i32 v11, v11, 0, 16
	v_mul_i32_i24_e32 v11, v11, v12
	s_delay_alu instid0(VALU_DEP_1) | instskip(NEXT) | instid1(VALU_DEP_1)
	v_sub_nc_u32_e32 v12, 0, v11
	v_max_i32_e32 v14, v11, v12
.LBB73_114:
	s_or_b32 exec_lo, exec_lo, s3
	s_delay_alu instid0(VALU_DEP_1)
	v_perm_b32 v2, v14, v2, 0x5040100
.LBB73_115:
	s_or_b32 exec_lo, exec_lo, s1
	v_or_b32_e32 v11, 0x600, v0
	s_mov_b32 s1, exec_lo
	s_delay_alu instid0(VALU_DEP_1)
	v_cmpx_gt_i32_e64 s10, v11
	s_cbranch_execz .LBB73_123
; %bb.116:
	v_sub_nc_u16 v11, 0, v9
	s_mov_b32 s6, 0
	s_mov_b32 s3, exec_lo
	s_delay_alu instid0(VALU_DEP_1)
	v_max_i16 v11, v9, v11
	v_cmpx_ne_u16_e32 0, v10
	s_cbranch_execz .LBB73_120
; %bb.117:
	v_sub_nc_u16 v12, 0, v10
	s_delay_alu instid0(VALU_DEP_1) | instskip(SKIP_1) | instid1(VALU_DEP_2)
	v_max_i16 v13, v10, v12
	v_and_b32_e32 v12, 0xffff, v11
	v_and_b32_e32 v13, 0xffff, v13
.LBB73_118:                             ; =>This Inner Loop Header: Depth=1
	s_delay_alu instid0(VALU_DEP_1) | instskip(NEXT) | instid1(VALU_DEP_2)
	v_bfe_i32 v15, v12, 0, 16
	v_mov_b32_e32 v11, v13
	s_delay_alu instid0(VALU_DEP_2) | instskip(NEXT) | instid1(VALU_DEP_2)
	v_cvt_f32_i32_e32 v17, v15
	v_bfe_i32 v13, v11, 0, 16
	s_delay_alu instid0(VALU_DEP_1) | instskip(SKIP_1) | instid1(VALU_DEP_2)
	v_cvt_f32_i32_e32 v14, v13
	v_xor_b32_e32 v13, v15, v13
	v_rcp_iflag_f32_e32 v16, v14
	v_nop
	s_delay_alu instid0(TRANS32_DEP_1) | instskip(NEXT) | instid1(VALU_DEP_1)
	v_dual_ashrrev_i32 v13, 30, v13 :: v_dual_mul_f32 v15, v17, v16
	v_trunc_f32_e32 v15, v15
	s_delay_alu instid0(VALU_DEP_1) | instskip(SKIP_1) | instid1(VALU_DEP_2)
	v_dual_fma_f32 v16, -v15, v14, v17 :: v_dual_bitop2_b32 v13, 1, v13 bitop3:0x54
	v_cvt_i32_f32_e32 v15, v15
	v_cmp_ge_f32_e64 s0, |v16|, |v14|
	s_delay_alu instid0(VALU_DEP_1) | instskip(NEXT) | instid1(VALU_DEP_1)
	v_cndmask_b32_e64 v13, 0, v13, s0
	v_add_nc_u32_e32 v13, v15, v13
	s_delay_alu instid0(VALU_DEP_1) | instskip(NEXT) | instid1(VALU_DEP_1)
	v_mul_lo_u32 v13, v13, v11
	v_sub_nc_u32_e32 v13, v12, v13
	s_delay_alu instid0(VALU_DEP_1) | instskip(SKIP_1) | instid1(VALU_DEP_2)
	v_and_b32_e32 v12, 0xffff, v13
	v_bfe_i32 v13, v13, 0, 16
	v_cmp_eq_u32_e64 s0, 0, v12
	v_mov_b32_e32 v12, v11
	s_or_b32 s6, s0, s6
	s_delay_alu instid0(SALU_CYCLE_1)
	s_and_not1_b32 exec_lo, exec_lo, s6
	s_cbranch_execnz .LBB73_118
; %bb.119:
	s_or_b32 exec_lo, exec_lo, s6
.LBB73_120:
	s_delay_alu instid0(SALU_CYCLE_1)
	s_or_b32 exec_lo, exec_lo, s3
	v_mov_b32_e32 v12, 0
	s_mov_b32 s3, exec_lo
	v_cmpx_ne_u16_e32 0, v11
	s_cbranch_execz .LBB73_122
; %bb.121:
	v_bfe_i32 v11, v11, 0, 16
	v_bfe_i32 v10, v10, 0, 16
	;; [unrolled: 1-line block ×3, first 2 shown]
	s_delay_alu instid0(VALU_DEP_3) | instskip(NEXT) | instid1(VALU_DEP_3)
	v_cvt_f32_i32_e32 v12, v11
	v_cvt_f32_i32_e32 v14, v10
	v_xor_b32_e32 v10, v10, v11
	s_delay_alu instid0(VALU_DEP_3) | instskip(SKIP_1) | instid1(TRANS32_DEP_1)
	v_rcp_iflag_f32_e32 v13, v12
	v_nop
	v_dual_mul_f32 v13, v14, v13 :: v_dual_ashrrev_i32 v10, 30, v10
	s_delay_alu instid0(VALU_DEP_1) | instskip(NEXT) | instid1(VALU_DEP_2)
	v_or_b32_e32 v10, 1, v10
	v_trunc_f32_e32 v11, v13
	s_delay_alu instid0(VALU_DEP_1) | instskip(SKIP_1) | instid1(VALU_DEP_2)
	v_fma_f32 v13, -v11, v12, v14
	v_cvt_i32_f32_e32 v11, v11
	v_cmp_ge_f32_e64 s0, |v13|, |v12|
	s_delay_alu instid0(VALU_DEP_1) | instskip(NEXT) | instid1(VALU_DEP_1)
	v_cndmask_b32_e64 v10, 0, v10, s0
	v_add_nc_u32_e32 v10, v11, v10
	s_delay_alu instid0(VALU_DEP_1) | instskip(NEXT) | instid1(VALU_DEP_1)
	v_bfe_i32 v10, v10, 0, 16
	v_mul_i32_i24_e32 v9, v10, v9
	s_delay_alu instid0(VALU_DEP_1) | instskip(NEXT) | instid1(VALU_DEP_1)
	v_sub_nc_u32_e32 v10, 0, v9
	v_max_i32_e32 v12, v9, v10
.LBB73_122:
	s_or_b32 exec_lo, exec_lo, s3
	s_delay_alu instid0(VALU_DEP_1)
	v_bfi_b32 v3, 0xffff, v12, v3
.LBB73_123:
	s_or_b32 exec_lo, exec_lo, s1
	v_or_b32_e32 v9, 0x700, v0
	s_mov_b32 s1, exec_lo
	s_delay_alu instid0(VALU_DEP_1)
	v_cmpx_gt_i32_e64 s10, v9
	s_cbranch_execnz .LBB73_134
; %bb.124:
	s_or_b32 exec_lo, exec_lo, s1
	s_and_saveexec_b32 s0, vcc_lo
	s_delay_alu instid0(SALU_CYCLE_1)
	s_xor_b32 s0, exec_lo, s0
	s_cbranch_execnz .LBB73_141
.LBB73_125:
	s_or_b32 exec_lo, exec_lo, s0
	s_delay_alu instid0(SALU_CYCLE_1)
	s_mov_b32 s0, exec_lo
	v_cmpx_gt_i32_e64 s10, v0
	s_cbranch_execnz .LBB73_142
.LBB73_126:
	s_or_b32 exec_lo, exec_lo, s0
	s_delay_alu instid0(SALU_CYCLE_1)
	s_mov_b32 s0, exec_lo
	v_cmpx_gt_i32_e64 s10, v0
	s_cbranch_execnz .LBB73_143
.LBB73_127:
	s_or_b32 exec_lo, exec_lo, s0
	s_delay_alu instid0(SALU_CYCLE_1)
	s_mov_b32 s0, exec_lo
	v_cmpx_gt_i32_e64 s10, v0
	s_cbranch_execnz .LBB73_144
.LBB73_128:
	s_or_b32 exec_lo, exec_lo, s0
	s_delay_alu instid0(SALU_CYCLE_1)
	s_mov_b32 s0, exec_lo
	v_cmpx_gt_i32_e64 s10, v0
	s_cbranch_execnz .LBB73_145
.LBB73_129:
	s_or_b32 exec_lo, exec_lo, s0
	s_delay_alu instid0(SALU_CYCLE_1)
	s_mov_b32 s0, exec_lo
	v_cmpx_gt_i32_e64 s10, v0
	s_cbranch_execnz .LBB73_146
.LBB73_130:
	s_or_b32 exec_lo, exec_lo, s0
	s_delay_alu instid0(SALU_CYCLE_1)
	s_mov_b32 s0, exec_lo
	v_cmpx_gt_i32_e64 s10, v0
	s_cbranch_execnz .LBB73_147
.LBB73_131:
	s_or_b32 exec_lo, exec_lo, s0
	s_delay_alu instid0(SALU_CYCLE_1)
	s_mov_b32 s0, exec_lo
	v_cmpx_gt_i32_e64 s10, v0
	s_cbranch_execz .LBB73_133
.LBB73_132:
	v_add_nc_u32_e32 v0, s2, v0
	global_store_d16_hi_b16 v0, v3, s[4:5] scale_offset
.LBB73_133:
	s_endpgm
.LBB73_134:
	v_sub_nc_u16 v9, 0, v8
	s_mov_b32 s6, 0
	s_mov_b32 s3, exec_lo
	s_delay_alu instid0(VALU_DEP_1)
	v_max_i16 v9, v8, v9
	v_cmpx_ne_u16_e32 0, v7
	s_cbranch_execz .LBB73_138
; %bb.135:
	v_sub_nc_u16 v10, 0, v7
	s_delay_alu instid0(VALU_DEP_1) | instskip(SKIP_1) | instid1(VALU_DEP_2)
	v_max_i16 v11, v7, v10
	v_and_b32_e32 v10, 0xffff, v9
	v_and_b32_e32 v11, 0xffff, v11
.LBB73_136:                             ; =>This Inner Loop Header: Depth=1
	s_delay_alu instid0(VALU_DEP_1) | instskip(NEXT) | instid1(VALU_DEP_2)
	v_bfe_i32 v13, v10, 0, 16
	v_mov_b32_e32 v9, v11
	s_delay_alu instid0(VALU_DEP_2) | instskip(NEXT) | instid1(VALU_DEP_2)
	v_cvt_f32_i32_e32 v15, v13
	v_bfe_i32 v11, v9, 0, 16
	s_delay_alu instid0(VALU_DEP_1) | instskip(SKIP_1) | instid1(VALU_DEP_2)
	v_cvt_f32_i32_e32 v12, v11
	v_xor_b32_e32 v11, v13, v11
	v_rcp_iflag_f32_e32 v14, v12
	v_nop
	s_delay_alu instid0(TRANS32_DEP_1) | instskip(NEXT) | instid1(VALU_DEP_1)
	v_dual_ashrrev_i32 v11, 30, v11 :: v_dual_mul_f32 v13, v15, v14
	v_trunc_f32_e32 v13, v13
	s_delay_alu instid0(VALU_DEP_1) | instskip(SKIP_1) | instid1(VALU_DEP_2)
	v_dual_fma_f32 v14, -v13, v12, v15 :: v_dual_bitop2_b32 v11, 1, v11 bitop3:0x54
	v_cvt_i32_f32_e32 v13, v13
	v_cmp_ge_f32_e64 s0, |v14|, |v12|
	s_delay_alu instid0(VALU_DEP_1) | instskip(NEXT) | instid1(VALU_DEP_1)
	v_cndmask_b32_e64 v11, 0, v11, s0
	v_add_nc_u32_e32 v11, v13, v11
	s_delay_alu instid0(VALU_DEP_1) | instskip(NEXT) | instid1(VALU_DEP_1)
	v_mul_lo_u32 v11, v11, v9
	v_sub_nc_u32_e32 v11, v10, v11
	s_delay_alu instid0(VALU_DEP_1) | instskip(SKIP_1) | instid1(VALU_DEP_2)
	v_and_b32_e32 v10, 0xffff, v11
	v_bfe_i32 v11, v11, 0, 16
	v_cmp_eq_u32_e64 s0, 0, v10
	v_mov_b32_e32 v10, v9
	s_or_b32 s6, s0, s6
	s_delay_alu instid0(SALU_CYCLE_1)
	s_and_not1_b32 exec_lo, exec_lo, s6
	s_cbranch_execnz .LBB73_136
; %bb.137:
	s_or_b32 exec_lo, exec_lo, s6
.LBB73_138:
	s_delay_alu instid0(SALU_CYCLE_1)
	s_or_b32 exec_lo, exec_lo, s3
	v_mov_b32_e32 v10, 0
	s_mov_b32 s3, exec_lo
	v_cmpx_ne_u16_e32 0, v9
	s_cbranch_execz .LBB73_140
; %bb.139:
	v_bfe_i32 v9, v9, 0, 16
	v_bfe_i32 v7, v7, 0, 16
	;; [unrolled: 1-line block ×3, first 2 shown]
	s_delay_alu instid0(VALU_DEP_3) | instskip(NEXT) | instid1(VALU_DEP_3)
	v_cvt_f32_i32_e32 v10, v9
	v_cvt_f32_i32_e32 v12, v7
	v_xor_b32_e32 v7, v7, v9
	s_delay_alu instid0(VALU_DEP_3) | instskip(SKIP_1) | instid1(TRANS32_DEP_1)
	v_rcp_iflag_f32_e32 v11, v10
	v_nop
	v_mul_f32_e32 v11, v12, v11
	s_delay_alu instid0(VALU_DEP_1) | instskip(NEXT) | instid1(VALU_DEP_1)
	v_trunc_f32_e32 v9, v11
	v_dual_ashrrev_i32 v7, 30, v7 :: v_dual_fma_f32 v11, -v9, v10, v12
	s_delay_alu instid0(VALU_DEP_1) | instskip(SKIP_1) | instid1(VALU_DEP_3)
	v_or_b32_e32 v7, 1, v7
	v_cvt_i32_f32_e32 v9, v9
	v_cmp_ge_f32_e64 s0, |v11|, |v10|
	s_delay_alu instid0(VALU_DEP_1) | instskip(NEXT) | instid1(VALU_DEP_1)
	v_cndmask_b32_e64 v7, 0, v7, s0
	v_add_nc_u32_e32 v7, v9, v7
	s_delay_alu instid0(VALU_DEP_1) | instskip(NEXT) | instid1(VALU_DEP_1)
	v_bfe_i32 v7, v7, 0, 16
	v_mul_i32_i24_e32 v7, v7, v8
	s_delay_alu instid0(VALU_DEP_1) | instskip(NEXT) | instid1(VALU_DEP_1)
	v_sub_nc_u32_e32 v8, 0, v7
	v_max_i32_e32 v10, v7, v8
.LBB73_140:
	s_or_b32 exec_lo, exec_lo, s3
	s_delay_alu instid0(VALU_DEP_1) | instskip(SKIP_2) | instid1(SALU_CYCLE_1)
	v_perm_b32 v3, v10, v3, 0x5040100
	s_or_b32 exec_lo, exec_lo, s1
	s_and_saveexec_b32 s0, vcc_lo
	s_xor_b32 s0, exec_lo, s0
	s_cbranch_execz .LBB73_125
.LBB73_141:
	v_mov_b32_e32 v0, v6
	global_store_b16 v5, v4, s[4:5] scale_offset
	s_wait_xcnt 0x0
	s_or_b32 exec_lo, exec_lo, s0
	s_delay_alu instid0(SALU_CYCLE_1)
	s_mov_b32 s0, exec_lo
	v_cmpx_gt_i32_e64 s10, v0
	s_cbranch_execz .LBB73_126
.LBB73_142:
	v_add_nc_u32_e32 v5, s2, v0
	v_add_nc_u32_e32 v0, 0x100, v0
	global_store_d16_hi_b16 v5, v4, s[4:5] scale_offset
	s_wait_xcnt 0x0
	s_or_b32 exec_lo, exec_lo, s0
	s_delay_alu instid0(SALU_CYCLE_1)
	s_mov_b32 s0, exec_lo
	v_cmpx_gt_i32_e64 s10, v0
	s_cbranch_execz .LBB73_127
.LBB73_143:
	v_add_nc_u32_e32 v4, s2, v0
	v_add_nc_u32_e32 v0, 0x100, v0
	global_store_b16 v4, v1, s[4:5] scale_offset
	s_wait_xcnt 0x0
	s_or_b32 exec_lo, exec_lo, s0
	s_delay_alu instid0(SALU_CYCLE_1)
	s_mov_b32 s0, exec_lo
	v_cmpx_gt_i32_e64 s10, v0
	s_cbranch_execz .LBB73_128
.LBB73_144:
	v_add_nc_u32_e32 v4, s2, v0
	v_add_nc_u32_e32 v0, 0x100, v0
	global_store_d16_hi_b16 v4, v1, s[4:5] scale_offset
	s_wait_xcnt 0x0
	s_or_b32 exec_lo, exec_lo, s0
	s_delay_alu instid0(SALU_CYCLE_1)
	s_mov_b32 s0, exec_lo
	v_cmpx_gt_i32_e64 s10, v0
	s_cbranch_execz .LBB73_129
.LBB73_145:
	v_add_nc_u32_e32 v1, s2, v0
	v_add_nc_u32_e32 v0, 0x100, v0
	global_store_b16 v1, v2, s[4:5] scale_offset
	s_wait_xcnt 0x0
	s_or_b32 exec_lo, exec_lo, s0
	s_delay_alu instid0(SALU_CYCLE_1)
	s_mov_b32 s0, exec_lo
	v_cmpx_gt_i32_e64 s10, v0
	s_cbranch_execz .LBB73_130
.LBB73_146:
	v_add_nc_u32_e32 v1, s2, v0
	v_add_nc_u32_e32 v0, 0x100, v0
	global_store_d16_hi_b16 v1, v2, s[4:5] scale_offset
	s_wait_xcnt 0x0
	s_or_b32 exec_lo, exec_lo, s0
	s_delay_alu instid0(SALU_CYCLE_1)
	s_mov_b32 s0, exec_lo
	v_cmpx_gt_i32_e64 s10, v0
	s_cbranch_execz .LBB73_131
.LBB73_147:
	v_add_nc_u32_e32 v1, s2, v0
	v_add_nc_u32_e32 v0, 0x100, v0
	global_store_b16 v1, v3, s[4:5] scale_offset
	s_wait_xcnt 0x0
	s_or_b32 exec_lo, exec_lo, s0
	s_delay_alu instid0(SALU_CYCLE_1)
	s_mov_b32 s0, exec_lo
	v_cmpx_gt_i32_e64 s10, v0
	s_cbranch_execnz .LBB73_132
	s_branch .LBB73_133
	.section	.rodata,"a",@progbits
	.p2align	6, 0x0
	.amdhsa_kernel _ZN2at6native29vectorized_elementwise_kernelILi8EZZZNS0_15lcm_kernel_cudaERNS_18TensorIteratorBaseEENKUlvE_clEvENKUlvE3_clEvEUlssE_St5arrayIPcLm3EEEEviT0_T1_
		.amdhsa_group_segment_fixed_size 0
		.amdhsa_private_segment_fixed_size 0
		.amdhsa_kernarg_size 32
		.amdhsa_user_sgpr_count 2
		.amdhsa_user_sgpr_dispatch_ptr 0
		.amdhsa_user_sgpr_queue_ptr 0
		.amdhsa_user_sgpr_kernarg_segment_ptr 1
		.amdhsa_user_sgpr_dispatch_id 0
		.amdhsa_user_sgpr_kernarg_preload_length 0
		.amdhsa_user_sgpr_kernarg_preload_offset 0
		.amdhsa_user_sgpr_private_segment_size 0
		.amdhsa_wavefront_size32 1
		.amdhsa_uses_dynamic_stack 0
		.amdhsa_enable_private_segment 0
		.amdhsa_system_sgpr_workgroup_id_x 1
		.amdhsa_system_sgpr_workgroup_id_y 0
		.amdhsa_system_sgpr_workgroup_id_z 0
		.amdhsa_system_sgpr_workgroup_info 0
		.amdhsa_system_vgpr_workitem_id 0
		.amdhsa_next_free_vgpr 28
		.amdhsa_next_free_sgpr 14
		.amdhsa_named_barrier_count 0
		.amdhsa_reserve_vcc 1
		.amdhsa_float_round_mode_32 0
		.amdhsa_float_round_mode_16_64 0
		.amdhsa_float_denorm_mode_32 3
		.amdhsa_float_denorm_mode_16_64 3
		.amdhsa_fp16_overflow 0
		.amdhsa_memory_ordered 1
		.amdhsa_forward_progress 1
		.amdhsa_inst_pref_size 67
		.amdhsa_round_robin_scheduling 0
		.amdhsa_exception_fp_ieee_invalid_op 0
		.amdhsa_exception_fp_denorm_src 0
		.amdhsa_exception_fp_ieee_div_zero 0
		.amdhsa_exception_fp_ieee_overflow 0
		.amdhsa_exception_fp_ieee_underflow 0
		.amdhsa_exception_fp_ieee_inexact 0
		.amdhsa_exception_int_div_zero 0
	.end_amdhsa_kernel
	.section	.text._ZN2at6native29vectorized_elementwise_kernelILi8EZZZNS0_15lcm_kernel_cudaERNS_18TensorIteratorBaseEENKUlvE_clEvENKUlvE3_clEvEUlssE_St5arrayIPcLm3EEEEviT0_T1_,"axG",@progbits,_ZN2at6native29vectorized_elementwise_kernelILi8EZZZNS0_15lcm_kernel_cudaERNS_18TensorIteratorBaseEENKUlvE_clEvENKUlvE3_clEvEUlssE_St5arrayIPcLm3EEEEviT0_T1_,comdat
.Lfunc_end73:
	.size	_ZN2at6native29vectorized_elementwise_kernelILi8EZZZNS0_15lcm_kernel_cudaERNS_18TensorIteratorBaseEENKUlvE_clEvENKUlvE3_clEvEUlssE_St5arrayIPcLm3EEEEviT0_T1_, .Lfunc_end73-_ZN2at6native29vectorized_elementwise_kernelILi8EZZZNS0_15lcm_kernel_cudaERNS_18TensorIteratorBaseEENKUlvE_clEvENKUlvE3_clEvEUlssE_St5arrayIPcLm3EEEEviT0_T1_
                                        ; -- End function
	.set _ZN2at6native29vectorized_elementwise_kernelILi8EZZZNS0_15lcm_kernel_cudaERNS_18TensorIteratorBaseEENKUlvE_clEvENKUlvE3_clEvEUlssE_St5arrayIPcLm3EEEEviT0_T1_.num_vgpr, 28
	.set _ZN2at6native29vectorized_elementwise_kernelILi8EZZZNS0_15lcm_kernel_cudaERNS_18TensorIteratorBaseEENKUlvE_clEvENKUlvE3_clEvEUlssE_St5arrayIPcLm3EEEEviT0_T1_.num_agpr, 0
	.set _ZN2at6native29vectorized_elementwise_kernelILi8EZZZNS0_15lcm_kernel_cudaERNS_18TensorIteratorBaseEENKUlvE_clEvENKUlvE3_clEvEUlssE_St5arrayIPcLm3EEEEviT0_T1_.numbered_sgpr, 14
	.set _ZN2at6native29vectorized_elementwise_kernelILi8EZZZNS0_15lcm_kernel_cudaERNS_18TensorIteratorBaseEENKUlvE_clEvENKUlvE3_clEvEUlssE_St5arrayIPcLm3EEEEviT0_T1_.num_named_barrier, 0
	.set _ZN2at6native29vectorized_elementwise_kernelILi8EZZZNS0_15lcm_kernel_cudaERNS_18TensorIteratorBaseEENKUlvE_clEvENKUlvE3_clEvEUlssE_St5arrayIPcLm3EEEEviT0_T1_.private_seg_size, 0
	.set _ZN2at6native29vectorized_elementwise_kernelILi8EZZZNS0_15lcm_kernel_cudaERNS_18TensorIteratorBaseEENKUlvE_clEvENKUlvE3_clEvEUlssE_St5arrayIPcLm3EEEEviT0_T1_.uses_vcc, 1
	.set _ZN2at6native29vectorized_elementwise_kernelILi8EZZZNS0_15lcm_kernel_cudaERNS_18TensorIteratorBaseEENKUlvE_clEvENKUlvE3_clEvEUlssE_St5arrayIPcLm3EEEEviT0_T1_.uses_flat_scratch, 0
	.set _ZN2at6native29vectorized_elementwise_kernelILi8EZZZNS0_15lcm_kernel_cudaERNS_18TensorIteratorBaseEENKUlvE_clEvENKUlvE3_clEvEUlssE_St5arrayIPcLm3EEEEviT0_T1_.has_dyn_sized_stack, 0
	.set _ZN2at6native29vectorized_elementwise_kernelILi8EZZZNS0_15lcm_kernel_cudaERNS_18TensorIteratorBaseEENKUlvE_clEvENKUlvE3_clEvEUlssE_St5arrayIPcLm3EEEEviT0_T1_.has_recursion, 0
	.set _ZN2at6native29vectorized_elementwise_kernelILi8EZZZNS0_15lcm_kernel_cudaERNS_18TensorIteratorBaseEENKUlvE_clEvENKUlvE3_clEvEUlssE_St5arrayIPcLm3EEEEviT0_T1_.has_indirect_call, 0
	.section	.AMDGPU.csdata,"",@progbits
; Kernel info:
; codeLenInByte = 8524
; TotalNumSgprs: 16
; NumVgprs: 28
; ScratchSize: 0
; MemoryBound: 0
; FloatMode: 240
; IeeeMode: 1
; LDSByteSize: 0 bytes/workgroup (compile time only)
; SGPRBlocks: 0
; VGPRBlocks: 1
; NumSGPRsForWavesPerEU: 16
; NumVGPRsForWavesPerEU: 28
; NamedBarCnt: 0
; Occupancy: 16
; WaveLimiterHint : 0
; COMPUTE_PGM_RSRC2:SCRATCH_EN: 0
; COMPUTE_PGM_RSRC2:USER_SGPR: 2
; COMPUTE_PGM_RSRC2:TRAP_HANDLER: 0
; COMPUTE_PGM_RSRC2:TGID_X_EN: 1
; COMPUTE_PGM_RSRC2:TGID_Y_EN: 0
; COMPUTE_PGM_RSRC2:TGID_Z_EN: 0
; COMPUTE_PGM_RSRC2:TIDIG_COMP_CNT: 0
	.section	.text._ZN2at6native29vectorized_elementwise_kernelILi4EZZZNS0_15lcm_kernel_cudaERNS_18TensorIteratorBaseEENKUlvE_clEvENKUlvE3_clEvEUlssE_St5arrayIPcLm3EEEEviT0_T1_,"axG",@progbits,_ZN2at6native29vectorized_elementwise_kernelILi4EZZZNS0_15lcm_kernel_cudaERNS_18TensorIteratorBaseEENKUlvE_clEvENKUlvE3_clEvEUlssE_St5arrayIPcLm3EEEEviT0_T1_,comdat
	.globl	_ZN2at6native29vectorized_elementwise_kernelILi4EZZZNS0_15lcm_kernel_cudaERNS_18TensorIteratorBaseEENKUlvE_clEvENKUlvE3_clEvEUlssE_St5arrayIPcLm3EEEEviT0_T1_ ; -- Begin function _ZN2at6native29vectorized_elementwise_kernelILi4EZZZNS0_15lcm_kernel_cudaERNS_18TensorIteratorBaseEENKUlvE_clEvENKUlvE3_clEvEUlssE_St5arrayIPcLm3EEEEviT0_T1_
	.p2align	8
	.type	_ZN2at6native29vectorized_elementwise_kernelILi4EZZZNS0_15lcm_kernel_cudaERNS_18TensorIteratorBaseEENKUlvE_clEvENKUlvE3_clEvEUlssE_St5arrayIPcLm3EEEEviT0_T1_,@function
_ZN2at6native29vectorized_elementwise_kernelILi4EZZZNS0_15lcm_kernel_cudaERNS_18TensorIteratorBaseEENKUlvE_clEvENKUlvE3_clEvEUlssE_St5arrayIPcLm3EEEEviT0_T1_: ; @_ZN2at6native29vectorized_elementwise_kernelILi4EZZZNS0_15lcm_kernel_cudaERNS_18TensorIteratorBaseEENKUlvE_clEvENKUlvE3_clEvEUlssE_St5arrayIPcLm3EEEEviT0_T1_
; %bb.0:
	s_clause 0x2
	s_load_b32 s3, s[0:1], 0x0
	s_load_b128 s[4:7], s[0:1], 0x8
	s_load_b64 s[8:9], s[0:1], 0x18
	s_wait_xcnt 0x0
	s_bfe_u32 s0, ttmp6, 0x4000c
	s_and_b32 s1, ttmp6, 15
	s_add_co_i32 s0, s0, 1
	s_getreg_b32 s2, hwreg(HW_REG_IB_STS2, 6, 4)
	s_mul_i32 s0, ttmp9, s0
	s_delay_alu instid0(SALU_CYCLE_1) | instskip(SKIP_2) | instid1(SALU_CYCLE_1)
	s_add_co_i32 s1, s1, s0
	s_cmp_eq_u32 s2, 0
	s_cselect_b32 s0, ttmp9, s1
	s_lshl_b32 s2, s0, 11
	s_mov_b32 s0, -1
	s_wait_kmcnt 0x0
	s_sub_co_i32 s10, s3, s2
	s_delay_alu instid0(SALU_CYCLE_1)
	s_cmp_gt_i32 s10, 0x7ff
	s_cbranch_scc0 .LBB74_50
; %bb.1:
	s_ashr_i32 s3, s2, 31
	s_delay_alu instid0(SALU_CYCLE_1)
	s_lshl_b64 s[0:1], s[2:3], 1
	s_mov_b32 s3, exec_lo
	s_add_nc_u64 s[12:13], s[8:9], s[0:1]
	s_add_nc_u64 s[14:15], s[6:7], s[0:1]
	s_clause 0x3
	global_load_b64 v[6:7], v0, s[12:13] scale_offset
	global_load_b64 v[8:9], v0, s[14:15] scale_offset
	global_load_b64 v[4:5], v0, s[14:15] offset:2048 scale_offset
	global_load_b64 v[2:3], v0, s[12:13] offset:2048 scale_offset
	s_wait_loadcnt 0x3
	v_sub_nc_u16 v1, 0, v6
	s_delay_alu instid0(VALU_DEP_1)
	v_max_i16 v10, v6, v1
	s_wait_loadcnt 0x2
	s_wait_xcnt 0x0
	v_cmpx_ne_u16_e32 0, v8
	s_cbranch_execz .LBB74_5
; %bb.2:
	v_sub_nc_u16 v1, 0, v8
	s_mov_b32 s11, 0
	s_delay_alu instid0(VALU_DEP_1) | instskip(SKIP_1) | instid1(VALU_DEP_2)
	v_max_i16 v11, v8, v1
	v_and_b32_e32 v1, 0xffff, v10
	v_and_b32_e32 v11, 0xffff, v11
.LBB74_3:                               ; =>This Inner Loop Header: Depth=1
	s_delay_alu instid0(VALU_DEP_1) | instskip(NEXT) | instid1(VALU_DEP_2)
	v_bfe_i32 v13, v1, 0, 16
	v_mov_b32_e32 v10, v11
	s_delay_alu instid0(VALU_DEP_2) | instskip(NEXT) | instid1(VALU_DEP_2)
	v_cvt_f32_i32_e32 v15, v13
	v_bfe_i32 v11, v10, 0, 16
	s_delay_alu instid0(VALU_DEP_1) | instskip(SKIP_1) | instid1(VALU_DEP_2)
	v_cvt_f32_i32_e32 v12, v11
	v_xor_b32_e32 v11, v13, v11
	v_rcp_iflag_f32_e32 v14, v12
	v_nop
	s_delay_alu instid0(TRANS32_DEP_1) | instskip(NEXT) | instid1(VALU_DEP_1)
	v_dual_ashrrev_i32 v11, 30, v11 :: v_dual_mul_f32 v13, v15, v14
	v_trunc_f32_e32 v13, v13
	s_delay_alu instid0(VALU_DEP_1) | instskip(SKIP_1) | instid1(VALU_DEP_2)
	v_dual_fma_f32 v14, -v13, v12, v15 :: v_dual_bitop2_b32 v11, 1, v11 bitop3:0x54
	v_cvt_i32_f32_e32 v13, v13
	v_cmp_ge_f32_e64 vcc_lo, |v14|, |v12|
	s_delay_alu instid0(VALU_DEP_3) | instskip(NEXT) | instid1(VALU_DEP_1)
	v_cndmask_b32_e32 v11, 0, v11, vcc_lo
	v_add_nc_u32_e32 v11, v13, v11
	s_delay_alu instid0(VALU_DEP_1) | instskip(NEXT) | instid1(VALU_DEP_1)
	v_mul_lo_u32 v11, v11, v10
	v_sub_nc_u32_e32 v11, v1, v11
	s_delay_alu instid0(VALU_DEP_1) | instskip(SKIP_1) | instid1(VALU_DEP_2)
	v_and_b32_e32 v1, 0xffff, v11
	v_bfe_i32 v11, v11, 0, 16
	v_cmp_eq_u32_e32 vcc_lo, 0, v1
	v_mov_b32_e32 v1, v10
	s_or_b32 s11, vcc_lo, s11
	s_delay_alu instid0(SALU_CYCLE_1)
	s_and_not1_b32 exec_lo, exec_lo, s11
	s_cbranch_execnz .LBB74_3
; %bb.4:
	s_or_b32 exec_lo, exec_lo, s11
.LBB74_5:
	s_delay_alu instid0(SALU_CYCLE_1)
	s_or_b32 exec_lo, exec_lo, s3
	v_mov_b32_e32 v1, 0
	s_mov_b32 s3, exec_lo
	v_cmpx_ne_u16_e32 0, v10
	s_cbranch_execz .LBB74_7
; %bb.6:
	v_bfe_i32 v1, v10, 0, 16
	v_bfe_i32 v11, v8, 0, 16
	s_delay_alu instid0(VALU_DEP_2) | instskip(NEXT) | instid1(VALU_DEP_2)
	v_cvt_f32_i32_e32 v10, v1
	v_cvt_f32_i32_e32 v13, v11
	v_xor_b32_e32 v1, v11, v1
	s_delay_alu instid0(VALU_DEP_3) | instskip(SKIP_1) | instid1(TRANS32_DEP_1)
	v_rcp_iflag_f32_e32 v12, v10
	v_nop
	v_mul_f32_e32 v12, v13, v12
	s_delay_alu instid0(VALU_DEP_1) | instskip(NEXT) | instid1(VALU_DEP_1)
	v_trunc_f32_e32 v11, v12
	v_dual_ashrrev_i32 v1, 30, v1 :: v_dual_fma_f32 v12, -v11, v10, v13
	s_delay_alu instid0(VALU_DEP_1) | instskip(SKIP_1) | instid1(VALU_DEP_3)
	v_or_b32_e32 v1, 1, v1
	v_cvt_i32_f32_e32 v11, v11
	v_cmp_ge_f32_e64 vcc_lo, |v12|, |v10|
	v_bfe_i32 v10, v6, 0, 16
	s_delay_alu instid0(VALU_DEP_4) | instskip(NEXT) | instid1(VALU_DEP_1)
	v_cndmask_b32_e32 v1, 0, v1, vcc_lo
	v_add_nc_u32_e32 v1, v11, v1
	s_delay_alu instid0(VALU_DEP_1) | instskip(NEXT) | instid1(VALU_DEP_1)
	v_bfe_i32 v1, v1, 0, 16
	v_mul_i32_i24_e32 v1, v1, v10
	s_delay_alu instid0(VALU_DEP_1) | instskip(NEXT) | instid1(VALU_DEP_1)
	v_sub_nc_u32_e32 v10, 0, v1
	v_max_i32_e32 v1, v1, v10
.LBB74_7:
	s_or_b32 exec_lo, exec_lo, s3
	v_lshrrev_b32_e32 v10, 16, v6
	s_mov_b32 s11, 0
	s_mov_b32 s3, exec_lo
	s_delay_alu instid0(VALU_DEP_1) | instskip(NEXT) | instid1(VALU_DEP_1)
	v_sub_nc_u16 v11, 0, v10
	v_max_i16 v11, v10, v11
	v_cmpx_lt_u32_e32 0xffff, v8
	s_cbranch_execz .LBB74_11
; %bb.8:
	v_lshrrev_b32_e32 v10, 16, v8
	s_delay_alu instid0(VALU_DEP_1) | instskip(NEXT) | instid1(VALU_DEP_1)
	v_sub_nc_u16 v12, 0, v10
	v_max_i16 v12, v10, v12
	v_and_b32_e32 v10, 0xffff, v11
	s_delay_alu instid0(VALU_DEP_2)
	v_and_b32_e32 v12, 0xffff, v12
.LBB74_9:                               ; =>This Inner Loop Header: Depth=1
	s_delay_alu instid0(VALU_DEP_1) | instskip(NEXT) | instid1(VALU_DEP_2)
	v_bfe_i32 v14, v10, 0, 16
	v_mov_b32_e32 v11, v12
	s_delay_alu instid0(VALU_DEP_2) | instskip(NEXT) | instid1(VALU_DEP_2)
	v_cvt_f32_i32_e32 v16, v14
	v_bfe_i32 v12, v11, 0, 16
	s_delay_alu instid0(VALU_DEP_1) | instskip(SKIP_1) | instid1(VALU_DEP_2)
	v_cvt_f32_i32_e32 v13, v12
	v_xor_b32_e32 v12, v14, v12
	v_rcp_iflag_f32_e32 v15, v13
	v_nop
	s_delay_alu instid0(TRANS32_DEP_1) | instskip(NEXT) | instid1(VALU_DEP_1)
	v_dual_ashrrev_i32 v12, 30, v12 :: v_dual_mul_f32 v14, v16, v15
	v_trunc_f32_e32 v14, v14
	s_delay_alu instid0(VALU_DEP_1) | instskip(SKIP_1) | instid1(VALU_DEP_2)
	v_dual_fma_f32 v15, -v14, v13, v16 :: v_dual_bitop2_b32 v12, 1, v12 bitop3:0x54
	v_cvt_i32_f32_e32 v14, v14
	v_cmp_ge_f32_e64 vcc_lo, |v15|, |v13|
	s_delay_alu instid0(VALU_DEP_3) | instskip(NEXT) | instid1(VALU_DEP_1)
	v_cndmask_b32_e32 v12, 0, v12, vcc_lo
	v_add_nc_u32_e32 v12, v14, v12
	s_delay_alu instid0(VALU_DEP_1) | instskip(NEXT) | instid1(VALU_DEP_1)
	v_mul_lo_u32 v12, v12, v11
	v_sub_nc_u32_e32 v12, v10, v12
	s_delay_alu instid0(VALU_DEP_1) | instskip(SKIP_1) | instid1(VALU_DEP_2)
	v_and_b32_e32 v10, 0xffff, v12
	v_bfe_i32 v12, v12, 0, 16
	v_cmp_eq_u32_e32 vcc_lo, 0, v10
	v_mov_b32_e32 v10, v11
	s_or_b32 s11, vcc_lo, s11
	s_delay_alu instid0(SALU_CYCLE_1)
	s_and_not1_b32 exec_lo, exec_lo, s11
	s_cbranch_execnz .LBB74_9
; %bb.10:
	s_or_b32 exec_lo, exec_lo, s11
.LBB74_11:
	s_delay_alu instid0(SALU_CYCLE_1)
	s_or_b32 exec_lo, exec_lo, s3
	v_mov_b32_e32 v10, 0
	s_mov_b32 s3, exec_lo
	v_cmpx_ne_u16_e32 0, v11
	s_cbranch_execz .LBB74_13
; %bb.12:
	v_bfe_i32 v10, v11, 0, 16
	v_ashrrev_i32_e32 v6, 16, v6
	s_delay_alu instid0(VALU_DEP_2) | instskip(SKIP_1) | instid1(VALU_DEP_2)
	v_cvt_f32_i32_e32 v11, v10
	v_ashrrev_i32_e32 v8, 16, v8
	v_rcp_iflag_f32_e32 v12, v11
	s_delay_alu instid0(VALU_DEP_1)
	v_cvt_f32_i32_e32 v13, v8
	s_delay_alu instid0(TRANS32_DEP_1) | instid1(VALU_DEP_1)
	v_dual_mul_f32 v12, v13, v12 :: v_dual_bitop2_b32 v8, v8, v10 bitop3:0x14
	s_delay_alu instid0(VALU_DEP_1) | instskip(NEXT) | instid1(VALU_DEP_2)
	v_ashrrev_i32_e32 v8, 30, v8
	v_trunc_f32_e32 v10, v12
	s_delay_alu instid0(VALU_DEP_1) | instskip(SKIP_1) | instid1(VALU_DEP_2)
	v_dual_fma_f32 v12, -v10, v11, v13 :: v_dual_bitop2_b32 v8, 1, v8 bitop3:0x54
	v_cvt_i32_f32_e32 v10, v10
	v_cmp_ge_f32_e64 vcc_lo, |v12|, |v11|
	s_delay_alu instid0(VALU_DEP_3) | instskip(NEXT) | instid1(VALU_DEP_1)
	v_cndmask_b32_e32 v8, 0, v8, vcc_lo
	v_add_nc_u32_e32 v8, v10, v8
	s_delay_alu instid0(VALU_DEP_1) | instskip(NEXT) | instid1(VALU_DEP_1)
	v_bfe_i32 v8, v8, 0, 16
	v_mul_i32_i24_e32 v6, v8, v6
	s_delay_alu instid0(VALU_DEP_1) | instskip(NEXT) | instid1(VALU_DEP_1)
	v_sub_nc_u32_e32 v8, 0, v6
	v_max_i32_e32 v10, v6, v8
.LBB74_13:
	s_or_b32 exec_lo, exec_lo, s3
	v_sub_nc_u16 v6, 0, v7
	s_mov_b32 s11, 0
	s_mov_b32 s3, exec_lo
	s_delay_alu instid0(VALU_DEP_1)
	v_max_i16 v8, v7, v6
	v_cmpx_ne_u16_e32 0, v9
	s_cbranch_execz .LBB74_17
; %bb.14:
	v_sub_nc_u16 v6, 0, v9
	s_delay_alu instid0(VALU_DEP_1) | instskip(SKIP_1) | instid1(VALU_DEP_2)
	v_max_i16 v11, v9, v6
	v_and_b32_e32 v6, 0xffff, v8
	v_and_b32_e32 v11, 0xffff, v11
.LBB74_15:                              ; =>This Inner Loop Header: Depth=1
	s_delay_alu instid0(VALU_DEP_1) | instskip(NEXT) | instid1(VALU_DEP_2)
	v_bfe_i32 v13, v6, 0, 16
	v_mov_b32_e32 v8, v11
	s_delay_alu instid0(VALU_DEP_2) | instskip(NEXT) | instid1(VALU_DEP_2)
	v_cvt_f32_i32_e32 v15, v13
	v_bfe_i32 v11, v8, 0, 16
	s_delay_alu instid0(VALU_DEP_1) | instskip(SKIP_1) | instid1(VALU_DEP_2)
	v_cvt_f32_i32_e32 v12, v11
	v_xor_b32_e32 v11, v13, v11
	v_rcp_iflag_f32_e32 v14, v12
	v_nop
	s_delay_alu instid0(TRANS32_DEP_1) | instskip(NEXT) | instid1(VALU_DEP_1)
	v_dual_ashrrev_i32 v11, 30, v11 :: v_dual_mul_f32 v13, v15, v14
	v_trunc_f32_e32 v13, v13
	s_delay_alu instid0(VALU_DEP_1) | instskip(SKIP_1) | instid1(VALU_DEP_2)
	v_dual_fma_f32 v14, -v13, v12, v15 :: v_dual_bitop2_b32 v11, 1, v11 bitop3:0x54
	v_cvt_i32_f32_e32 v13, v13
	v_cmp_ge_f32_e64 vcc_lo, |v14|, |v12|
	s_delay_alu instid0(VALU_DEP_3) | instskip(NEXT) | instid1(VALU_DEP_1)
	v_cndmask_b32_e32 v11, 0, v11, vcc_lo
	v_add_nc_u32_e32 v11, v13, v11
	s_delay_alu instid0(VALU_DEP_1) | instskip(NEXT) | instid1(VALU_DEP_1)
	v_mul_lo_u32 v11, v11, v8
	v_sub_nc_u32_e32 v11, v6, v11
	s_delay_alu instid0(VALU_DEP_1) | instskip(SKIP_1) | instid1(VALU_DEP_2)
	v_and_b32_e32 v6, 0xffff, v11
	v_bfe_i32 v11, v11, 0, 16
	v_cmp_eq_u32_e32 vcc_lo, 0, v6
	v_mov_b32_e32 v6, v8
	s_or_b32 s11, vcc_lo, s11
	s_delay_alu instid0(SALU_CYCLE_1)
	s_and_not1_b32 exec_lo, exec_lo, s11
	s_cbranch_execnz .LBB74_15
; %bb.16:
	s_or_b32 exec_lo, exec_lo, s11
.LBB74_17:
	s_delay_alu instid0(SALU_CYCLE_1)
	s_or_b32 exec_lo, exec_lo, s3
	v_mov_b32_e32 v6, 0
	s_mov_b32 s3, exec_lo
	v_cmpx_ne_u16_e32 0, v8
	s_cbranch_execz .LBB74_19
; %bb.18:
	v_bfe_i32 v6, v8, 0, 16
	v_bfe_i32 v11, v9, 0, 16
	s_delay_alu instid0(VALU_DEP_2) | instskip(NEXT) | instid1(VALU_DEP_2)
	v_cvt_f32_i32_e32 v8, v6
	v_cvt_f32_i32_e32 v13, v11
	v_xor_b32_e32 v6, v11, v6
	s_delay_alu instid0(VALU_DEP_3) | instskip(SKIP_1) | instid1(TRANS32_DEP_1)
	v_rcp_iflag_f32_e32 v12, v8
	v_nop
	v_mul_f32_e32 v12, v13, v12
	s_delay_alu instid0(VALU_DEP_1) | instskip(NEXT) | instid1(VALU_DEP_1)
	v_trunc_f32_e32 v11, v12
	v_dual_ashrrev_i32 v6, 30, v6 :: v_dual_fma_f32 v12, -v11, v8, v13
	s_delay_alu instid0(VALU_DEP_1) | instskip(SKIP_1) | instid1(VALU_DEP_3)
	v_or_b32_e32 v6, 1, v6
	v_cvt_i32_f32_e32 v11, v11
	v_cmp_ge_f32_e64 vcc_lo, |v12|, |v8|
	v_bfe_i32 v8, v7, 0, 16
	s_delay_alu instid0(VALU_DEP_4) | instskip(NEXT) | instid1(VALU_DEP_1)
	v_cndmask_b32_e32 v6, 0, v6, vcc_lo
	v_add_nc_u32_e32 v6, v11, v6
	s_delay_alu instid0(VALU_DEP_1) | instskip(NEXT) | instid1(VALU_DEP_1)
	v_bfe_i32 v6, v6, 0, 16
	v_mul_i32_i24_e32 v6, v6, v8
	s_delay_alu instid0(VALU_DEP_1) | instskip(NEXT) | instid1(VALU_DEP_1)
	v_sub_nc_u32_e32 v8, 0, v6
	v_max_i32_e32 v6, v6, v8
.LBB74_19:
	s_or_b32 exec_lo, exec_lo, s3
	v_lshrrev_b32_e32 v8, 16, v7
	s_mov_b32 s11, 0
	s_mov_b32 s3, exec_lo
	s_delay_alu instid0(VALU_DEP_1) | instskip(NEXT) | instid1(VALU_DEP_1)
	v_sub_nc_u16 v11, 0, v8
	v_max_i16 v11, v8, v11
	v_cmpx_lt_u32_e32 0xffff, v9
	s_cbranch_execz .LBB74_23
; %bb.20:
	v_lshrrev_b32_e32 v8, 16, v9
	s_delay_alu instid0(VALU_DEP_1) | instskip(NEXT) | instid1(VALU_DEP_1)
	v_sub_nc_u16 v12, 0, v8
	v_max_i16 v12, v8, v12
	v_and_b32_e32 v8, 0xffff, v11
	s_delay_alu instid0(VALU_DEP_2)
	v_and_b32_e32 v12, 0xffff, v12
.LBB74_21:                              ; =>This Inner Loop Header: Depth=1
	s_delay_alu instid0(VALU_DEP_1) | instskip(NEXT) | instid1(VALU_DEP_2)
	v_bfe_i32 v14, v8, 0, 16
	v_mov_b32_e32 v11, v12
	s_delay_alu instid0(VALU_DEP_2) | instskip(NEXT) | instid1(VALU_DEP_2)
	v_cvt_f32_i32_e32 v16, v14
	v_bfe_i32 v12, v11, 0, 16
	s_delay_alu instid0(VALU_DEP_1) | instskip(SKIP_1) | instid1(VALU_DEP_2)
	v_cvt_f32_i32_e32 v13, v12
	v_xor_b32_e32 v12, v14, v12
	v_rcp_iflag_f32_e32 v15, v13
	v_nop
	s_delay_alu instid0(TRANS32_DEP_1) | instskip(NEXT) | instid1(VALU_DEP_1)
	v_dual_ashrrev_i32 v12, 30, v12 :: v_dual_mul_f32 v14, v16, v15
	v_trunc_f32_e32 v14, v14
	s_delay_alu instid0(VALU_DEP_1) | instskip(SKIP_1) | instid1(VALU_DEP_2)
	v_dual_fma_f32 v15, -v14, v13, v16 :: v_dual_bitop2_b32 v12, 1, v12 bitop3:0x54
	v_cvt_i32_f32_e32 v14, v14
	v_cmp_ge_f32_e64 vcc_lo, |v15|, |v13|
	s_delay_alu instid0(VALU_DEP_3) | instskip(NEXT) | instid1(VALU_DEP_1)
	v_cndmask_b32_e32 v12, 0, v12, vcc_lo
	v_add_nc_u32_e32 v12, v14, v12
	s_delay_alu instid0(VALU_DEP_1) | instskip(NEXT) | instid1(VALU_DEP_1)
	v_mul_lo_u32 v12, v12, v11
	v_sub_nc_u32_e32 v12, v8, v12
	s_delay_alu instid0(VALU_DEP_1) | instskip(SKIP_1) | instid1(VALU_DEP_2)
	v_and_b32_e32 v8, 0xffff, v12
	v_bfe_i32 v12, v12, 0, 16
	v_cmp_eq_u32_e32 vcc_lo, 0, v8
	v_mov_b32_e32 v8, v11
	s_or_b32 s11, vcc_lo, s11
	s_delay_alu instid0(SALU_CYCLE_1)
	s_and_not1_b32 exec_lo, exec_lo, s11
	s_cbranch_execnz .LBB74_21
; %bb.22:
	s_or_b32 exec_lo, exec_lo, s11
.LBB74_23:
	s_delay_alu instid0(SALU_CYCLE_1)
	s_or_b32 exec_lo, exec_lo, s3
	v_mov_b32_e32 v8, 0
	s_mov_b32 s3, exec_lo
	v_cmpx_ne_u16_e32 0, v11
	s_cbranch_execz .LBB74_25
; %bb.24:
	v_bfe_i32 v8, v11, 0, 16
	v_ashrrev_i32_e32 v7, 16, v7
	s_delay_alu instid0(VALU_DEP_2) | instskip(NEXT) | instid1(VALU_DEP_1)
	v_cvt_f32_i32_e32 v11, v8
	v_rcp_iflag_f32_e32 v12, v11
	v_ashrrev_i32_e32 v9, 16, v9
	s_delay_alu instid0(VALU_DEP_1)
	v_cvt_f32_i32_e32 v13, v9
	s_delay_alu instid0(TRANS32_DEP_1) | instid1(VALU_DEP_1)
	v_mul_f32_e32 v12, v13, v12
	v_xor_b32_e32 v8, v9, v8
	s_delay_alu instid0(VALU_DEP_2) | instskip(NEXT) | instid1(VALU_DEP_1)
	v_trunc_f32_e32 v9, v12
	v_dual_fma_f32 v12, -v9, v11, v13 :: v_dual_ashrrev_i32 v8, 30, v8
	v_cvt_i32_f32_e32 v9, v9
	s_delay_alu instid0(VALU_DEP_2) | instskip(NEXT) | instid1(VALU_DEP_3)
	v_cmp_ge_f32_e64 vcc_lo, |v12|, |v11|
	v_or_b32_e32 v8, 1, v8
	s_delay_alu instid0(VALU_DEP_1) | instskip(NEXT) | instid1(VALU_DEP_1)
	v_cndmask_b32_e32 v8, 0, v8, vcc_lo
	v_add_nc_u32_e32 v8, v9, v8
	s_delay_alu instid0(VALU_DEP_1) | instskip(NEXT) | instid1(VALU_DEP_1)
	v_bfe_i32 v8, v8, 0, 16
	v_mul_i32_i24_e32 v7, v8, v7
	s_delay_alu instid0(VALU_DEP_1) | instskip(NEXT) | instid1(VALU_DEP_1)
	v_sub_nc_u32_e32 v8, 0, v7
	v_max_i32_e32 v8, v7, v8
.LBB74_25:
	s_or_b32 exec_lo, exec_lo, s3
	s_wait_loadcnt 0x0
	v_sub_nc_u16 v7, 0, v2
	s_mov_b32 s11, 0
	s_mov_b32 s3, exec_lo
	s_delay_alu instid0(VALU_DEP_1)
	v_max_i16 v9, v2, v7
	v_cmpx_ne_u16_e32 0, v4
	s_cbranch_execz .LBB74_29
; %bb.26:
	v_sub_nc_u16 v7, 0, v4
	s_delay_alu instid0(VALU_DEP_1) | instskip(SKIP_1) | instid1(VALU_DEP_2)
	v_max_i16 v11, v4, v7
	v_and_b32_e32 v7, 0xffff, v9
	v_and_b32_e32 v11, 0xffff, v11
.LBB74_27:                              ; =>This Inner Loop Header: Depth=1
	s_delay_alu instid0(VALU_DEP_1) | instskip(NEXT) | instid1(VALU_DEP_2)
	v_bfe_i32 v13, v7, 0, 16
	v_mov_b32_e32 v9, v11
	s_delay_alu instid0(VALU_DEP_2) | instskip(NEXT) | instid1(VALU_DEP_2)
	v_cvt_f32_i32_e32 v15, v13
	v_bfe_i32 v11, v9, 0, 16
	s_delay_alu instid0(VALU_DEP_1) | instskip(SKIP_1) | instid1(VALU_DEP_2)
	v_cvt_f32_i32_e32 v12, v11
	v_xor_b32_e32 v11, v13, v11
	v_rcp_iflag_f32_e32 v14, v12
	v_nop
	s_delay_alu instid0(TRANS32_DEP_1) | instskip(NEXT) | instid1(VALU_DEP_1)
	v_dual_ashrrev_i32 v11, 30, v11 :: v_dual_mul_f32 v13, v15, v14
	v_trunc_f32_e32 v13, v13
	s_delay_alu instid0(VALU_DEP_1) | instskip(SKIP_1) | instid1(VALU_DEP_2)
	v_dual_fma_f32 v14, -v13, v12, v15 :: v_dual_bitop2_b32 v11, 1, v11 bitop3:0x54
	v_cvt_i32_f32_e32 v13, v13
	v_cmp_ge_f32_e64 vcc_lo, |v14|, |v12|
	s_delay_alu instid0(VALU_DEP_3) | instskip(NEXT) | instid1(VALU_DEP_1)
	v_cndmask_b32_e32 v11, 0, v11, vcc_lo
	v_add_nc_u32_e32 v11, v13, v11
	s_delay_alu instid0(VALU_DEP_1) | instskip(NEXT) | instid1(VALU_DEP_1)
	v_mul_lo_u32 v11, v11, v9
	v_sub_nc_u32_e32 v11, v7, v11
	s_delay_alu instid0(VALU_DEP_1) | instskip(SKIP_1) | instid1(VALU_DEP_2)
	v_and_b32_e32 v7, 0xffff, v11
	v_bfe_i32 v11, v11, 0, 16
	v_cmp_eq_u32_e32 vcc_lo, 0, v7
	v_mov_b32_e32 v7, v9
	s_or_b32 s11, vcc_lo, s11
	s_delay_alu instid0(SALU_CYCLE_1)
	s_and_not1_b32 exec_lo, exec_lo, s11
	s_cbranch_execnz .LBB74_27
; %bb.28:
	s_or_b32 exec_lo, exec_lo, s11
.LBB74_29:
	s_delay_alu instid0(SALU_CYCLE_1)
	s_or_b32 exec_lo, exec_lo, s3
	v_mov_b32_e32 v7, 0
	s_mov_b32 s3, exec_lo
	v_cmpx_ne_u16_e32 0, v9
	s_cbranch_execz .LBB74_31
; %bb.30:
	v_bfe_i32 v7, v9, 0, 16
	v_bfe_i32 v11, v4, 0, 16
	s_delay_alu instid0(VALU_DEP_2) | instskip(NEXT) | instid1(VALU_DEP_2)
	v_cvt_f32_i32_e32 v9, v7
	v_cvt_f32_i32_e32 v13, v11
	v_xor_b32_e32 v7, v11, v7
	s_delay_alu instid0(VALU_DEP_3) | instskip(SKIP_1) | instid1(TRANS32_DEP_1)
	v_rcp_iflag_f32_e32 v12, v9
	v_nop
	v_mul_f32_e32 v12, v13, v12
	s_delay_alu instid0(VALU_DEP_1) | instskip(NEXT) | instid1(VALU_DEP_1)
	v_trunc_f32_e32 v11, v12
	v_dual_ashrrev_i32 v7, 30, v7 :: v_dual_fma_f32 v12, -v11, v9, v13
	s_delay_alu instid0(VALU_DEP_1) | instskip(SKIP_1) | instid1(VALU_DEP_3)
	v_or_b32_e32 v7, 1, v7
	v_cvt_i32_f32_e32 v11, v11
	v_cmp_ge_f32_e64 vcc_lo, |v12|, |v9|
	v_bfe_i32 v9, v2, 0, 16
	s_delay_alu instid0(VALU_DEP_4) | instskip(NEXT) | instid1(VALU_DEP_1)
	v_cndmask_b32_e32 v7, 0, v7, vcc_lo
	v_add_nc_u32_e32 v7, v11, v7
	s_delay_alu instid0(VALU_DEP_1) | instskip(NEXT) | instid1(VALU_DEP_1)
	v_bfe_i32 v7, v7, 0, 16
	v_mul_i32_i24_e32 v7, v7, v9
	s_delay_alu instid0(VALU_DEP_1) | instskip(NEXT) | instid1(VALU_DEP_1)
	v_sub_nc_u32_e32 v9, 0, v7
	v_max_i32_e32 v7, v7, v9
.LBB74_31:
	s_or_b32 exec_lo, exec_lo, s3
	v_lshrrev_b32_e32 v9, 16, v2
	s_mov_b32 s11, 0
	s_mov_b32 s3, exec_lo
	s_delay_alu instid0(VALU_DEP_1) | instskip(NEXT) | instid1(VALU_DEP_1)
	v_sub_nc_u16 v11, 0, v9
	v_max_i16 v11, v9, v11
	v_cmpx_lt_u32_e32 0xffff, v4
	s_cbranch_execz .LBB74_35
; %bb.32:
	v_lshrrev_b32_e32 v9, 16, v4
	s_delay_alu instid0(VALU_DEP_1) | instskip(NEXT) | instid1(VALU_DEP_1)
	v_sub_nc_u16 v12, 0, v9
	v_max_i16 v12, v9, v12
	v_and_b32_e32 v9, 0xffff, v11
	s_delay_alu instid0(VALU_DEP_2)
	v_and_b32_e32 v12, 0xffff, v12
.LBB74_33:                              ; =>This Inner Loop Header: Depth=1
	s_delay_alu instid0(VALU_DEP_1) | instskip(NEXT) | instid1(VALU_DEP_2)
	v_bfe_i32 v14, v9, 0, 16
	v_mov_b32_e32 v11, v12
	s_delay_alu instid0(VALU_DEP_2) | instskip(NEXT) | instid1(VALU_DEP_2)
	v_cvt_f32_i32_e32 v16, v14
	v_bfe_i32 v12, v11, 0, 16
	s_delay_alu instid0(VALU_DEP_1) | instskip(SKIP_1) | instid1(VALU_DEP_2)
	v_cvt_f32_i32_e32 v13, v12
	v_xor_b32_e32 v12, v14, v12
	v_rcp_iflag_f32_e32 v15, v13
	v_nop
	s_delay_alu instid0(TRANS32_DEP_1) | instskip(NEXT) | instid1(VALU_DEP_1)
	v_dual_ashrrev_i32 v12, 30, v12 :: v_dual_mul_f32 v14, v16, v15
	v_trunc_f32_e32 v14, v14
	s_delay_alu instid0(VALU_DEP_1) | instskip(SKIP_1) | instid1(VALU_DEP_2)
	v_dual_fma_f32 v15, -v14, v13, v16 :: v_dual_bitop2_b32 v12, 1, v12 bitop3:0x54
	v_cvt_i32_f32_e32 v14, v14
	v_cmp_ge_f32_e64 vcc_lo, |v15|, |v13|
	s_delay_alu instid0(VALU_DEP_3) | instskip(NEXT) | instid1(VALU_DEP_1)
	v_cndmask_b32_e32 v12, 0, v12, vcc_lo
	v_add_nc_u32_e32 v12, v14, v12
	s_delay_alu instid0(VALU_DEP_1) | instskip(NEXT) | instid1(VALU_DEP_1)
	v_mul_lo_u32 v12, v12, v11
	v_sub_nc_u32_e32 v12, v9, v12
	s_delay_alu instid0(VALU_DEP_1) | instskip(SKIP_1) | instid1(VALU_DEP_2)
	v_and_b32_e32 v9, 0xffff, v12
	v_bfe_i32 v12, v12, 0, 16
	v_cmp_eq_u32_e32 vcc_lo, 0, v9
	v_mov_b32_e32 v9, v11
	s_or_b32 s11, vcc_lo, s11
	s_delay_alu instid0(SALU_CYCLE_1)
	s_and_not1_b32 exec_lo, exec_lo, s11
	s_cbranch_execnz .LBB74_33
; %bb.34:
	s_or_b32 exec_lo, exec_lo, s11
.LBB74_35:
	s_delay_alu instid0(SALU_CYCLE_1)
	s_or_b32 exec_lo, exec_lo, s3
	v_mov_b32_e32 v9, 0
	s_mov_b32 s3, exec_lo
	v_cmpx_ne_u16_e32 0, v11
	s_cbranch_execz .LBB74_37
; %bb.36:
	v_bfe_i32 v9, v11, 0, 16
	v_ashrrev_i32_e32 v2, 16, v2
	s_delay_alu instid0(VALU_DEP_2) | instskip(SKIP_1) | instid1(VALU_DEP_2)
	v_cvt_f32_i32_e32 v11, v9
	v_ashrrev_i32_e32 v4, 16, v4
	v_rcp_iflag_f32_e32 v12, v11
	s_delay_alu instid0(VALU_DEP_1)
	v_cvt_f32_i32_e32 v13, v4
	s_delay_alu instid0(TRANS32_DEP_1) | instid1(VALU_DEP_1)
	v_dual_mul_f32 v12, v13, v12 :: v_dual_bitop2_b32 v4, v4, v9 bitop3:0x14
	s_delay_alu instid0(VALU_DEP_1) | instskip(NEXT) | instid1(VALU_DEP_2)
	v_ashrrev_i32_e32 v4, 30, v4
	v_trunc_f32_e32 v9, v12
	s_delay_alu instid0(VALU_DEP_1) | instskip(SKIP_1) | instid1(VALU_DEP_2)
	v_dual_fma_f32 v12, -v9, v11, v13 :: v_dual_bitop2_b32 v4, 1, v4 bitop3:0x54
	v_cvt_i32_f32_e32 v9, v9
	v_cmp_ge_f32_e64 vcc_lo, |v12|, |v11|
	s_delay_alu instid0(VALU_DEP_3) | instskip(NEXT) | instid1(VALU_DEP_1)
	v_cndmask_b32_e32 v4, 0, v4, vcc_lo
	v_add_nc_u32_e32 v4, v9, v4
	s_delay_alu instid0(VALU_DEP_1) | instskip(NEXT) | instid1(VALU_DEP_1)
	v_bfe_i32 v4, v4, 0, 16
	v_mul_i32_i24_e32 v2, v4, v2
	s_delay_alu instid0(VALU_DEP_1) | instskip(NEXT) | instid1(VALU_DEP_1)
	v_sub_nc_u32_e32 v4, 0, v2
	v_max_i32_e32 v9, v2, v4
.LBB74_37:
	s_or_b32 exec_lo, exec_lo, s3
	v_sub_nc_u16 v2, 0, v3
	s_mov_b32 s11, 0
	s_mov_b32 s3, exec_lo
	s_delay_alu instid0(VALU_DEP_1)
	v_max_i16 v4, v3, v2
	v_cmpx_ne_u16_e32 0, v5
	s_cbranch_execz .LBB74_41
; %bb.38:
	v_sub_nc_u16 v2, 0, v5
	s_delay_alu instid0(VALU_DEP_1) | instskip(SKIP_1) | instid1(VALU_DEP_2)
	v_max_i16 v11, v5, v2
	v_and_b32_e32 v2, 0xffff, v4
	v_and_b32_e32 v11, 0xffff, v11
.LBB74_39:                              ; =>This Inner Loop Header: Depth=1
	s_delay_alu instid0(VALU_DEP_1) | instskip(NEXT) | instid1(VALU_DEP_2)
	v_bfe_i32 v13, v2, 0, 16
	v_mov_b32_e32 v4, v11
	s_delay_alu instid0(VALU_DEP_2) | instskip(NEXT) | instid1(VALU_DEP_2)
	v_cvt_f32_i32_e32 v15, v13
	v_bfe_i32 v11, v4, 0, 16
	s_delay_alu instid0(VALU_DEP_1) | instskip(SKIP_1) | instid1(VALU_DEP_2)
	v_cvt_f32_i32_e32 v12, v11
	v_xor_b32_e32 v11, v13, v11
	v_rcp_iflag_f32_e32 v14, v12
	v_nop
	s_delay_alu instid0(TRANS32_DEP_1) | instskip(NEXT) | instid1(VALU_DEP_1)
	v_dual_ashrrev_i32 v11, 30, v11 :: v_dual_mul_f32 v13, v15, v14
	v_trunc_f32_e32 v13, v13
	s_delay_alu instid0(VALU_DEP_1) | instskip(SKIP_1) | instid1(VALU_DEP_2)
	v_dual_fma_f32 v14, -v13, v12, v15 :: v_dual_bitop2_b32 v11, 1, v11 bitop3:0x54
	v_cvt_i32_f32_e32 v13, v13
	v_cmp_ge_f32_e64 vcc_lo, |v14|, |v12|
	s_delay_alu instid0(VALU_DEP_3) | instskip(NEXT) | instid1(VALU_DEP_1)
	v_cndmask_b32_e32 v11, 0, v11, vcc_lo
	v_add_nc_u32_e32 v11, v13, v11
	s_delay_alu instid0(VALU_DEP_1) | instskip(NEXT) | instid1(VALU_DEP_1)
	v_mul_lo_u32 v11, v11, v4
	v_sub_nc_u32_e32 v11, v2, v11
	s_delay_alu instid0(VALU_DEP_1) | instskip(SKIP_1) | instid1(VALU_DEP_2)
	v_and_b32_e32 v2, 0xffff, v11
	v_bfe_i32 v11, v11, 0, 16
	v_cmp_eq_u32_e32 vcc_lo, 0, v2
	v_mov_b32_e32 v2, v4
	s_or_b32 s11, vcc_lo, s11
	s_delay_alu instid0(SALU_CYCLE_1)
	s_and_not1_b32 exec_lo, exec_lo, s11
	s_cbranch_execnz .LBB74_39
; %bb.40:
	s_or_b32 exec_lo, exec_lo, s11
.LBB74_41:
	s_delay_alu instid0(SALU_CYCLE_1)
	s_or_b32 exec_lo, exec_lo, s3
	v_mov_b32_e32 v2, 0
	s_mov_b32 s3, exec_lo
	v_cmpx_ne_u16_e32 0, v4
	s_cbranch_execz .LBB74_43
; %bb.42:
	v_bfe_i32 v2, v4, 0, 16
	v_bfe_i32 v11, v5, 0, 16
	s_delay_alu instid0(VALU_DEP_2) | instskip(NEXT) | instid1(VALU_DEP_2)
	v_cvt_f32_i32_e32 v4, v2
	v_cvt_f32_i32_e32 v13, v11
	v_xor_b32_e32 v2, v11, v2
	s_delay_alu instid0(VALU_DEP_3) | instskip(SKIP_1) | instid1(TRANS32_DEP_1)
	v_rcp_iflag_f32_e32 v12, v4
	v_nop
	v_mul_f32_e32 v12, v13, v12
	s_delay_alu instid0(VALU_DEP_1) | instskip(NEXT) | instid1(VALU_DEP_1)
	v_trunc_f32_e32 v11, v12
	v_dual_ashrrev_i32 v2, 30, v2 :: v_dual_fma_f32 v12, -v11, v4, v13
	s_delay_alu instid0(VALU_DEP_1) | instskip(SKIP_1) | instid1(VALU_DEP_3)
	v_or_b32_e32 v2, 1, v2
	v_cvt_i32_f32_e32 v11, v11
	v_cmp_ge_f32_e64 vcc_lo, |v12|, |v4|
	v_bfe_i32 v4, v3, 0, 16
	s_delay_alu instid0(VALU_DEP_4) | instskip(NEXT) | instid1(VALU_DEP_1)
	v_cndmask_b32_e32 v2, 0, v2, vcc_lo
	v_add_nc_u32_e32 v2, v11, v2
	s_delay_alu instid0(VALU_DEP_1) | instskip(NEXT) | instid1(VALU_DEP_1)
	v_bfe_i32 v2, v2, 0, 16
	v_mul_i32_i24_e32 v2, v2, v4
	s_delay_alu instid0(VALU_DEP_1) | instskip(NEXT) | instid1(VALU_DEP_1)
	v_sub_nc_u32_e32 v4, 0, v2
	v_max_i32_e32 v2, v2, v4
.LBB74_43:
	s_or_b32 exec_lo, exec_lo, s3
	v_lshrrev_b32_e32 v4, 16, v3
	s_mov_b32 s11, 0
	s_mov_b32 s3, exec_lo
	s_delay_alu instid0(VALU_DEP_1) | instskip(NEXT) | instid1(VALU_DEP_1)
	v_sub_nc_u16 v11, 0, v4
	v_max_i16 v4, v4, v11
	v_cmpx_lt_u32_e32 0xffff, v5
	s_cbranch_execz .LBB74_47
; %bb.44:
	v_lshrrev_b32_e32 v11, 16, v5
	s_delay_alu instid0(VALU_DEP_1) | instskip(NEXT) | instid1(VALU_DEP_1)
	v_sub_nc_u16 v12, 0, v11
	v_max_i16 v12, v11, v12
	v_and_b32_e32 v11, 0xffff, v4
	s_delay_alu instid0(VALU_DEP_2)
	v_and_b32_e32 v12, 0xffff, v12
.LBB74_45:                              ; =>This Inner Loop Header: Depth=1
	s_delay_alu instid0(VALU_DEP_1) | instskip(NEXT) | instid1(VALU_DEP_2)
	v_bfe_i32 v14, v11, 0, 16
	v_mov_b32_e32 v4, v12
	s_delay_alu instid0(VALU_DEP_2) | instskip(NEXT) | instid1(VALU_DEP_2)
	v_cvt_f32_i32_e32 v16, v14
	v_bfe_i32 v12, v4, 0, 16
	s_delay_alu instid0(VALU_DEP_1) | instskip(SKIP_1) | instid1(VALU_DEP_2)
	v_cvt_f32_i32_e32 v13, v12
	v_xor_b32_e32 v12, v14, v12
	v_rcp_iflag_f32_e32 v15, v13
	v_nop
	s_delay_alu instid0(TRANS32_DEP_1) | instskip(NEXT) | instid1(VALU_DEP_1)
	v_dual_ashrrev_i32 v12, 30, v12 :: v_dual_mul_f32 v14, v16, v15
	v_trunc_f32_e32 v14, v14
	s_delay_alu instid0(VALU_DEP_1) | instskip(SKIP_1) | instid1(VALU_DEP_2)
	v_dual_fma_f32 v15, -v14, v13, v16 :: v_dual_bitop2_b32 v12, 1, v12 bitop3:0x54
	v_cvt_i32_f32_e32 v14, v14
	v_cmp_ge_f32_e64 vcc_lo, |v15|, |v13|
	s_delay_alu instid0(VALU_DEP_3) | instskip(NEXT) | instid1(VALU_DEP_1)
	v_cndmask_b32_e32 v12, 0, v12, vcc_lo
	v_add_nc_u32_e32 v12, v14, v12
	s_delay_alu instid0(VALU_DEP_1) | instskip(NEXT) | instid1(VALU_DEP_1)
	v_mul_lo_u32 v12, v12, v4
	v_sub_nc_u32_e32 v12, v11, v12
	s_delay_alu instid0(VALU_DEP_1) | instskip(SKIP_1) | instid1(VALU_DEP_2)
	v_and_b32_e32 v11, 0xffff, v12
	v_bfe_i32 v12, v12, 0, 16
	v_cmp_eq_u32_e32 vcc_lo, 0, v11
	v_mov_b32_e32 v11, v4
	s_or_b32 s11, vcc_lo, s11
	s_delay_alu instid0(SALU_CYCLE_1)
	s_and_not1_b32 exec_lo, exec_lo, s11
	s_cbranch_execnz .LBB74_45
; %bb.46:
	s_or_b32 exec_lo, exec_lo, s11
.LBB74_47:
	s_delay_alu instid0(SALU_CYCLE_1)
	s_or_b32 exec_lo, exec_lo, s3
	v_mov_b32_e32 v11, 0
	s_mov_b32 s3, exec_lo
	v_cmpx_ne_u16_e32 0, v4
	s_cbranch_execz .LBB74_49
; %bb.48:
	v_bfe_i32 v4, v4, 0, 16
	v_ashrrev_i32_e32 v3, 16, v3
	s_delay_alu instid0(VALU_DEP_2) | instskip(NEXT) | instid1(VALU_DEP_1)
	v_cvt_f32_i32_e32 v11, v4
	v_rcp_iflag_f32_e32 v12, v11
	v_ashrrev_i32_e32 v5, 16, v5
	s_delay_alu instid0(VALU_DEP_1)
	v_cvt_f32_i32_e32 v13, v5
	s_delay_alu instid0(TRANS32_DEP_1) | instid1(VALU_DEP_1)
	v_mul_f32_e32 v12, v13, v12
	v_xor_b32_e32 v4, v5, v4
	s_delay_alu instid0(VALU_DEP_2) | instskip(NEXT) | instid1(VALU_DEP_1)
	v_trunc_f32_e32 v5, v12
	v_dual_fma_f32 v12, -v5, v11, v13 :: v_dual_ashrrev_i32 v4, 30, v4
	v_cvt_i32_f32_e32 v5, v5
	s_delay_alu instid0(VALU_DEP_2) | instskip(NEXT) | instid1(VALU_DEP_3)
	v_cmp_ge_f32_e64 vcc_lo, |v12|, |v11|
	v_or_b32_e32 v4, 1, v4
	s_delay_alu instid0(VALU_DEP_1) | instskip(NEXT) | instid1(VALU_DEP_1)
	v_cndmask_b32_e32 v4, 0, v4, vcc_lo
	v_add_nc_u32_e32 v4, v5, v4
	s_delay_alu instid0(VALU_DEP_1) | instskip(NEXT) | instid1(VALU_DEP_1)
	v_bfe_i32 v4, v4, 0, 16
	v_mul_i32_i24_e32 v3, v4, v3
	s_delay_alu instid0(VALU_DEP_1) | instskip(NEXT) | instid1(VALU_DEP_1)
	v_sub_nc_u32_e32 v4, 0, v3
	v_max_i32_e32 v11, v3, v4
.LBB74_49:
	s_or_b32 exec_lo, exec_lo, s3
	v_perm_b32 v5, v8, v6, 0x5040100
	v_perm_b32 v4, v10, v1, 0x5040100
	s_delay_alu instid0(VALU_DEP_3)
	v_perm_b32 v3, v11, v2, 0x5040100
	v_perm_b32 v2, v9, v7, 0x5040100
	s_add_nc_u64 s[12:13], s[4:5], s[0:1]
	s_mov_b32 s0, 0
	s_clause 0x1
	global_store_b64 v0, v[4:5], s[12:13] scale_offset
	global_store_b64 v0, v[2:3], s[12:13] offset:2048 scale_offset
.LBB74_50:
	s_and_b32 vcc_lo, exec_lo, s0
	s_cbranch_vccz .LBB74_133
; %bb.51:
	v_cmp_gt_i32_e32 vcc_lo, s10, v0
	s_wait_xcnt 0x1
	v_dual_mov_b32 v19, 0 :: v_dual_bitop2_b32 v5, s2, v0 bitop3:0x54
	v_or_b32_e32 v6, 0x100, v0
	v_dual_mov_b32 v22, 0 :: v_dual_mov_b32 v21, 0
	v_mov_b32_e32 v1, v0
	s_wait_xcnt 0x0
	s_and_saveexec_b32 s0, vcc_lo
	s_cbranch_execz .LBB74_53
; %bb.52:
	s_clause 0x1
	global_load_u16 v22, v5, s[6:7] scale_offset
	global_load_u16 v21, v5, s[8:9] scale_offset
	v_or_b32_e32 v1, 0x100, v0
.LBB74_53:
	s_wait_xcnt 0x0
	s_or_b32 exec_lo, exec_lo, s0
	v_mov_b32_e32 v20, 0
	s_mov_b32 s1, exec_lo
	v_cmpx_gt_i32_e64 s10, v1
	s_cbranch_execz .LBB74_55
; %bb.54:
	v_add_nc_u32_e32 v2, s2, v1
	v_add_nc_u32_e32 v1, 0x100, v1
	s_clause 0x1
	global_load_u16 v19, v2, s[6:7] scale_offset
	global_load_u16 v20, v2, s[8:9] scale_offset
.LBB74_55:
	s_wait_xcnt 0x0
	s_or_b32 exec_lo, exec_lo, s1
	v_dual_mov_b32 v15, 0 :: v_dual_mov_b32 v18, 0
	v_mov_b32_e32 v17, 0
	s_mov_b32 s1, exec_lo
	v_cmpx_gt_i32_e64 s10, v1
	s_cbranch_execz .LBB74_57
; %bb.56:
	v_add_nc_u32_e32 v2, s2, v1
	v_add_nc_u32_e32 v1, 0x100, v1
	s_clause 0x1
	global_load_u16 v18, v2, s[6:7] scale_offset
	global_load_u16 v17, v2, s[8:9] scale_offset
.LBB74_57:
	s_wait_xcnt 0x0
	s_or_b32 exec_lo, exec_lo, s1
	v_mov_b32_e32 v16, 0
	s_mov_b32 s1, exec_lo
	v_cmpx_gt_i32_e64 s10, v1
	s_cbranch_execz .LBB74_59
; %bb.58:
	v_add_nc_u32_e32 v2, s2, v1
	v_add_nc_u32_e32 v1, 0x100, v1
	s_clause 0x1
	global_load_u16 v15, v2, s[6:7] scale_offset
	global_load_u16 v16, v2, s[8:9] scale_offset
.LBB74_59:
	s_wait_xcnt 0x0
	s_or_b32 exec_lo, exec_lo, s1
	v_dual_mov_b32 v11, 0 :: v_dual_mov_b32 v14, 0
	v_mov_b32_e32 v13, 0
	s_mov_b32 s1, exec_lo
	v_cmpx_gt_i32_e64 s10, v1
	s_cbranch_execz .LBB74_61
; %bb.60:
	v_add_nc_u32_e32 v2, s2, v1
	v_add_nc_u32_e32 v1, 0x100, v1
	s_clause 0x1
	global_load_u16 v14, v2, s[6:7] scale_offset
	global_load_u16 v13, v2, s[8:9] scale_offset
.LBB74_61:
	;; [unrolled: 27-line block ×3, first 2 shown]
	s_wait_xcnt 0x0
	s_or_b32 exec_lo, exec_lo, s1
	v_mov_b32_e32 v8, 0
	s_mov_b32 s1, exec_lo
	v_cmpx_gt_i32_e64 s10, v1
	s_cbranch_execz .LBB74_67
; %bb.66:
	v_add_nc_u32_e32 v1, s2, v1
	s_clause 0x1
	global_load_u16 v7, v1, s[6:7] scale_offset
	global_load_u16 v8, v1, s[8:9] scale_offset
.LBB74_67:
	s_wait_xcnt 0x0
	s_or_b32 exec_lo, exec_lo, s1
	v_mov_b32_e32 v4, 0
	s_delay_alu instid0(VALU_DEP_1)
	v_dual_mov_b32 v1, v4 :: v_dual_mov_b32 v2, v4
	v_mov_b32_e32 v3, v4
	s_and_saveexec_b32 s1, vcc_lo
	s_cbranch_execz .LBB74_75
; %bb.68:
	s_wait_loadcnt 0x0
	v_sub_nc_u16 v1, 0, v21
	s_mov_b32 s3, exec_lo
	s_delay_alu instid0(VALU_DEP_1)
	v_max_i16 v2, v21, v1
	v_cmpx_ne_u16_e32 0, v22
	s_cbranch_execz .LBB74_72
; %bb.69:
	v_sub_nc_u16 v1, 0, v22
	s_mov_b32 s6, 0
	s_delay_alu instid0(VALU_DEP_1) | instskip(SKIP_1) | instid1(VALU_DEP_2)
	v_max_i16 v3, v22, v1
	v_and_b32_e32 v1, 0xffff, v2
	v_and_b32_e32 v3, 0xffff, v3
.LBB74_70:                              ; =>This Inner Loop Header: Depth=1
	s_delay_alu instid0(VALU_DEP_1) | instskip(NEXT) | instid1(VALU_DEP_1)
	v_bfe_i32 v23, v1, 0, 16
	v_cvt_f32_i32_e32 v25, v23
	s_delay_alu instid0(VALU_DEP_3) | instskip(NEXT) | instid1(VALU_DEP_1)
	v_mov_b32_e32 v2, v3
	v_bfe_i32 v3, v2, 0, 16
	s_delay_alu instid0(VALU_DEP_1) | instskip(SKIP_1) | instid1(VALU_DEP_2)
	v_cvt_f32_i32_e32 v4, v3
	v_xor_b32_e32 v3, v23, v3
	v_rcp_iflag_f32_e32 v24, v4
	v_nop
	s_delay_alu instid0(TRANS32_DEP_1) | instskip(NEXT) | instid1(VALU_DEP_1)
	v_mul_f32_e32 v23, v25, v24
	v_trunc_f32_e32 v23, v23
	s_delay_alu instid0(VALU_DEP_1) | instskip(SKIP_1) | instid1(VALU_DEP_2)
	v_dual_fma_f32 v24, -v23, v4, v25 :: v_dual_ashrrev_i32 v3, 30, v3
	v_cvt_i32_f32_e32 v23, v23
	v_cmp_ge_f32_e64 s0, |v24|, |v4|
	s_delay_alu instid0(VALU_DEP_3) | instskip(NEXT) | instid1(VALU_DEP_1)
	v_or_b32_e32 v3, 1, v3
	v_cndmask_b32_e64 v3, 0, v3, s0
	s_delay_alu instid0(VALU_DEP_1) | instskip(NEXT) | instid1(VALU_DEP_1)
	v_add_nc_u32_e32 v3, v23, v3
	v_mul_lo_u32 v3, v3, v2
	s_delay_alu instid0(VALU_DEP_1) | instskip(NEXT) | instid1(VALU_DEP_1)
	v_sub_nc_u32_e32 v3, v1, v3
	v_and_b32_e32 v1, 0xffff, v3
	v_bfe_i32 v3, v3, 0, 16
	s_delay_alu instid0(VALU_DEP_2) | instskip(SKIP_2) | instid1(SALU_CYCLE_1)
	v_cmp_eq_u32_e64 s0, 0, v1
	v_mov_b32_e32 v1, v2
	s_or_b32 s6, s0, s6
	s_and_not1_b32 exec_lo, exec_lo, s6
	s_cbranch_execnz .LBB74_70
; %bb.71:
	s_or_b32 exec_lo, exec_lo, s6
.LBB74_72:
	s_delay_alu instid0(SALU_CYCLE_1)
	s_or_b32 exec_lo, exec_lo, s3
	v_dual_mov_b32 v1, 0 :: v_dual_mov_b32 v3, 0
	s_mov_b32 s3, exec_lo
	v_cmpx_ne_u16_e32 0, v2
	s_cbranch_execz .LBB74_74
; %bb.73:
	v_bfe_i32 v2, v2, 0, 16
	v_bfe_i32 v4, v22, 0, 16
	s_delay_alu instid0(VALU_DEP_2) | instskip(NEXT) | instid1(VALU_DEP_2)
	v_cvt_f32_i32_e32 v3, v2
	v_cvt_f32_i32_e32 v23, v4
	v_xor_b32_e32 v2, v4, v2
	s_delay_alu instid0(VALU_DEP_3) | instskip(SKIP_1) | instid1(TRANS32_DEP_1)
	v_rcp_iflag_f32_e32 v22, v3
	v_nop
	v_mul_f32_e32 v22, v23, v22
	s_delay_alu instid0(VALU_DEP_1) | instskip(NEXT) | instid1(VALU_DEP_1)
	v_trunc_f32_e32 v4, v22
	v_dual_fma_f32 v22, -v4, v3, v23 :: v_dual_ashrrev_i32 v2, 30, v2
	v_cvt_i32_f32_e32 v4, v4
	s_delay_alu instid0(VALU_DEP_2) | instskip(NEXT) | instid1(VALU_DEP_3)
	v_cmp_ge_f32_e64 s0, |v22|, |v3|
	v_or_b32_e32 v2, 1, v2
	v_bfe_i32 v3, v21, 0, 16
	s_delay_alu instid0(VALU_DEP_2) | instskip(NEXT) | instid1(VALU_DEP_1)
	v_cndmask_b32_e64 v2, 0, v2, s0
	v_add_nc_u32_e32 v2, v4, v2
	s_delay_alu instid0(VALU_DEP_1) | instskip(NEXT) | instid1(VALU_DEP_1)
	v_bfe_i32 v2, v2, 0, 16
	v_mul_i32_i24_e32 v2, v2, v3
	s_delay_alu instid0(VALU_DEP_1) | instskip(NEXT) | instid1(VALU_DEP_1)
	v_sub_nc_u32_e32 v3, 0, v2
	v_max_i32_e32 v3, v2, v3
.LBB74_74:
	s_or_b32 exec_lo, exec_lo, s3
	s_delay_alu instid0(VALU_DEP_1)
	v_and_b32_e32 v4, 0xffff, v3
	v_dual_mov_b32 v2, v1 :: v_dual_mov_b32 v3, v1
.LBB74_75:
	s_or_b32 exec_lo, exec_lo, s1
	s_delay_alu instid0(SALU_CYCLE_1)
	s_mov_b32 s1, exec_lo
	v_cmpx_gt_i32_e64 s10, v6
	s_cbranch_execz .LBB74_83
; %bb.76:
	s_wait_loadcnt 0x0
	v_sub_nc_u16 v21, 0, v20
	s_mov_b32 s6, 0
	s_mov_b32 s3, exec_lo
	s_delay_alu instid0(VALU_DEP_1)
	v_max_i16 v21, v20, v21
	v_cmpx_ne_u16_e32 0, v19
	s_cbranch_execz .LBB74_80
; %bb.77:
	v_sub_nc_u16 v22, 0, v19
	s_delay_alu instid0(VALU_DEP_1) | instskip(SKIP_1) | instid1(VALU_DEP_2)
	v_max_i16 v23, v19, v22
	v_and_b32_e32 v22, 0xffff, v21
	v_and_b32_e32 v23, 0xffff, v23
.LBB74_78:                              ; =>This Inner Loop Header: Depth=1
	s_delay_alu instid0(VALU_DEP_1) | instskip(NEXT) | instid1(VALU_DEP_2)
	v_bfe_i32 v25, v22, 0, 16
	v_mov_b32_e32 v21, v23
	s_delay_alu instid0(VALU_DEP_2) | instskip(NEXT) | instid1(VALU_DEP_2)
	v_cvt_f32_i32_e32 v27, v25
	v_bfe_i32 v23, v21, 0, 16
	s_delay_alu instid0(VALU_DEP_1) | instskip(SKIP_1) | instid1(VALU_DEP_2)
	v_cvt_f32_i32_e32 v24, v23
	v_xor_b32_e32 v23, v25, v23
	v_rcp_iflag_f32_e32 v26, v24
	v_nop
	s_delay_alu instid0(TRANS32_DEP_1) | instskip(NEXT) | instid1(VALU_DEP_1)
	v_dual_ashrrev_i32 v23, 30, v23 :: v_dual_mul_f32 v25, v27, v26
	v_trunc_f32_e32 v25, v25
	s_delay_alu instid0(VALU_DEP_1) | instskip(SKIP_1) | instid1(VALU_DEP_2)
	v_dual_fma_f32 v26, -v25, v24, v27 :: v_dual_bitop2_b32 v23, 1, v23 bitop3:0x54
	v_cvt_i32_f32_e32 v25, v25
	v_cmp_ge_f32_e64 s0, |v26|, |v24|
	s_delay_alu instid0(VALU_DEP_1) | instskip(NEXT) | instid1(VALU_DEP_1)
	v_cndmask_b32_e64 v23, 0, v23, s0
	v_add_nc_u32_e32 v23, v25, v23
	s_delay_alu instid0(VALU_DEP_1) | instskip(NEXT) | instid1(VALU_DEP_1)
	v_mul_lo_u32 v23, v23, v21
	v_sub_nc_u32_e32 v23, v22, v23
	s_delay_alu instid0(VALU_DEP_1) | instskip(SKIP_1) | instid1(VALU_DEP_2)
	v_and_b32_e32 v22, 0xffff, v23
	v_bfe_i32 v23, v23, 0, 16
	v_cmp_eq_u32_e64 s0, 0, v22
	v_mov_b32_e32 v22, v21
	s_or_b32 s6, s0, s6
	s_delay_alu instid0(SALU_CYCLE_1)
	s_and_not1_b32 exec_lo, exec_lo, s6
	s_cbranch_execnz .LBB74_78
; %bb.79:
	s_or_b32 exec_lo, exec_lo, s6
.LBB74_80:
	s_delay_alu instid0(SALU_CYCLE_1)
	s_or_b32 exec_lo, exec_lo, s3
	v_mov_b32_e32 v22, 0
	s_mov_b32 s3, exec_lo
	v_cmpx_ne_u16_e32 0, v21
	s_cbranch_execz .LBB74_82
; %bb.81:
	v_bfe_i32 v21, v21, 0, 16
	v_bfe_i32 v19, v19, 0, 16
	;; [unrolled: 1-line block ×3, first 2 shown]
	s_delay_alu instid0(VALU_DEP_3) | instskip(NEXT) | instid1(VALU_DEP_3)
	v_cvt_f32_i32_e32 v22, v21
	v_cvt_f32_i32_e32 v24, v19
	v_xor_b32_e32 v19, v19, v21
	s_delay_alu instid0(VALU_DEP_3) | instskip(SKIP_1) | instid1(TRANS32_DEP_1)
	v_rcp_iflag_f32_e32 v23, v22
	v_nop
	v_mul_f32_e32 v23, v24, v23
	s_delay_alu instid0(VALU_DEP_1) | instskip(NEXT) | instid1(VALU_DEP_1)
	v_trunc_f32_e32 v21, v23
	v_dual_ashrrev_i32 v19, 30, v19 :: v_dual_fma_f32 v23, -v21, v22, v24
	s_delay_alu instid0(VALU_DEP_1) | instskip(SKIP_1) | instid1(VALU_DEP_3)
	v_or_b32_e32 v19, 1, v19
	v_cvt_i32_f32_e32 v21, v21
	v_cmp_ge_f32_e64 s0, |v23|, |v22|
	s_delay_alu instid0(VALU_DEP_1) | instskip(NEXT) | instid1(VALU_DEP_1)
	v_cndmask_b32_e64 v19, 0, v19, s0
	v_add_nc_u32_e32 v19, v21, v19
	s_delay_alu instid0(VALU_DEP_1) | instskip(NEXT) | instid1(VALU_DEP_1)
	v_bfe_i32 v19, v19, 0, 16
	v_mul_i32_i24_e32 v19, v19, v20
	s_delay_alu instid0(VALU_DEP_1) | instskip(NEXT) | instid1(VALU_DEP_1)
	v_sub_nc_u32_e32 v20, 0, v19
	v_max_i32_e32 v22, v19, v20
.LBB74_82:
	s_or_b32 exec_lo, exec_lo, s3
	s_delay_alu instid0(VALU_DEP_1)
	v_perm_b32 v4, v22, v4, 0x5040100
.LBB74_83:
	s_or_b32 exec_lo, exec_lo, s1
	s_wait_loadcnt 0x1
	v_or_b32_e32 v19, 0x200, v0
	s_mov_b32 s1, exec_lo
	s_delay_alu instid0(VALU_DEP_1)
	v_cmpx_gt_i32_e64 s10, v19
	s_cbranch_execz .LBB74_91
; %bb.84:
	s_wait_loadcnt 0x0
	v_sub_nc_u16 v19, 0, v17
	s_mov_b32 s6, 0
	s_mov_b32 s3, exec_lo
	s_delay_alu instid0(VALU_DEP_1)
	v_max_i16 v19, v17, v19
	v_cmpx_ne_u16_e32 0, v18
	s_cbranch_execz .LBB74_88
; %bb.85:
	v_sub_nc_u16 v20, 0, v18
	s_delay_alu instid0(VALU_DEP_1) | instskip(SKIP_1) | instid1(VALU_DEP_2)
	v_max_i16 v21, v18, v20
	v_and_b32_e32 v20, 0xffff, v19
	v_and_b32_e32 v21, 0xffff, v21
.LBB74_86:                              ; =>This Inner Loop Header: Depth=1
	s_delay_alu instid0(VALU_DEP_1) | instskip(NEXT) | instid1(VALU_DEP_2)
	v_bfe_i32 v23, v20, 0, 16
	v_mov_b32_e32 v19, v21
	s_delay_alu instid0(VALU_DEP_2) | instskip(NEXT) | instid1(VALU_DEP_2)
	v_cvt_f32_i32_e32 v25, v23
	v_bfe_i32 v21, v19, 0, 16
	s_delay_alu instid0(VALU_DEP_1) | instskip(SKIP_1) | instid1(VALU_DEP_2)
	v_cvt_f32_i32_e32 v22, v21
	v_xor_b32_e32 v21, v23, v21
	v_rcp_iflag_f32_e32 v24, v22
	v_nop
	s_delay_alu instid0(TRANS32_DEP_1) | instskip(NEXT) | instid1(VALU_DEP_1)
	v_dual_ashrrev_i32 v21, 30, v21 :: v_dual_mul_f32 v23, v25, v24
	v_trunc_f32_e32 v23, v23
	s_delay_alu instid0(VALU_DEP_1) | instskip(SKIP_1) | instid1(VALU_DEP_2)
	v_dual_fma_f32 v24, -v23, v22, v25 :: v_dual_bitop2_b32 v21, 1, v21 bitop3:0x54
	v_cvt_i32_f32_e32 v23, v23
	v_cmp_ge_f32_e64 s0, |v24|, |v22|
	s_delay_alu instid0(VALU_DEP_1) | instskip(NEXT) | instid1(VALU_DEP_1)
	v_cndmask_b32_e64 v21, 0, v21, s0
	v_add_nc_u32_e32 v21, v23, v21
	s_delay_alu instid0(VALU_DEP_1) | instskip(NEXT) | instid1(VALU_DEP_1)
	v_mul_lo_u32 v21, v21, v19
	v_sub_nc_u32_e32 v21, v20, v21
	s_delay_alu instid0(VALU_DEP_1) | instskip(SKIP_1) | instid1(VALU_DEP_2)
	v_and_b32_e32 v20, 0xffff, v21
	v_bfe_i32 v21, v21, 0, 16
	v_cmp_eq_u32_e64 s0, 0, v20
	v_mov_b32_e32 v20, v19
	s_or_b32 s6, s0, s6
	s_delay_alu instid0(SALU_CYCLE_1)
	s_and_not1_b32 exec_lo, exec_lo, s6
	s_cbranch_execnz .LBB74_86
; %bb.87:
	s_or_b32 exec_lo, exec_lo, s6
.LBB74_88:
	s_delay_alu instid0(SALU_CYCLE_1)
	s_or_b32 exec_lo, exec_lo, s3
	v_mov_b32_e32 v20, 0
	s_mov_b32 s3, exec_lo
	v_cmpx_ne_u16_e32 0, v19
	s_cbranch_execz .LBB74_90
; %bb.89:
	v_bfe_i32 v19, v19, 0, 16
	v_bfe_i32 v18, v18, 0, 16
	;; [unrolled: 1-line block ×3, first 2 shown]
	s_delay_alu instid0(VALU_DEP_3) | instskip(NEXT) | instid1(VALU_DEP_3)
	v_cvt_f32_i32_e32 v20, v19
	v_cvt_f32_i32_e32 v22, v18
	v_xor_b32_e32 v18, v18, v19
	s_delay_alu instid0(VALU_DEP_3) | instskip(SKIP_1) | instid1(TRANS32_DEP_1)
	v_rcp_iflag_f32_e32 v21, v20
	v_nop
	v_dual_mul_f32 v21, v22, v21 :: v_dual_ashrrev_i32 v18, 30, v18
	s_delay_alu instid0(VALU_DEP_1) | instskip(NEXT) | instid1(VALU_DEP_2)
	v_or_b32_e32 v18, 1, v18
	v_trunc_f32_e32 v19, v21
	s_delay_alu instid0(VALU_DEP_1) | instskip(SKIP_1) | instid1(VALU_DEP_2)
	v_fma_f32 v21, -v19, v20, v22
	v_cvt_i32_f32_e32 v19, v19
	v_cmp_ge_f32_e64 s0, |v21|, |v20|
	s_delay_alu instid0(VALU_DEP_1) | instskip(NEXT) | instid1(VALU_DEP_1)
	v_cndmask_b32_e64 v18, 0, v18, s0
	v_add_nc_u32_e32 v18, v19, v18
	s_delay_alu instid0(VALU_DEP_1) | instskip(NEXT) | instid1(VALU_DEP_1)
	v_bfe_i32 v18, v18, 0, 16
	v_mul_i32_i24_e32 v17, v18, v17
	s_delay_alu instid0(VALU_DEP_1) | instskip(NEXT) | instid1(VALU_DEP_1)
	v_sub_nc_u32_e32 v18, 0, v17
	v_max_i32_e32 v20, v17, v18
.LBB74_90:
	s_or_b32 exec_lo, exec_lo, s3
	s_delay_alu instid0(VALU_DEP_1)
	v_bfi_b32 v1, 0xffff, v20, v1
.LBB74_91:
	s_or_b32 exec_lo, exec_lo, s1
	s_wait_loadcnt 0x0
	v_or_b32_e32 v17, 0x300, v0
	s_mov_b32 s1, exec_lo
	s_delay_alu instid0(VALU_DEP_1)
	v_cmpx_gt_i32_e64 s10, v17
	s_cbranch_execz .LBB74_99
; %bb.92:
	v_sub_nc_u16 v17, 0, v16
	s_mov_b32 s6, 0
	s_mov_b32 s3, exec_lo
	s_delay_alu instid0(VALU_DEP_1)
	v_max_i16 v17, v16, v17
	v_cmpx_ne_u16_e32 0, v15
	s_cbranch_execz .LBB74_96
; %bb.93:
	v_sub_nc_u16 v18, 0, v15
	s_delay_alu instid0(VALU_DEP_1) | instskip(SKIP_1) | instid1(VALU_DEP_2)
	v_max_i16 v19, v15, v18
	v_and_b32_e32 v18, 0xffff, v17
	v_and_b32_e32 v19, 0xffff, v19
.LBB74_94:                              ; =>This Inner Loop Header: Depth=1
	s_delay_alu instid0(VALU_DEP_1) | instskip(NEXT) | instid1(VALU_DEP_2)
	v_bfe_i32 v21, v18, 0, 16
	v_mov_b32_e32 v17, v19
	s_delay_alu instid0(VALU_DEP_2) | instskip(NEXT) | instid1(VALU_DEP_2)
	v_cvt_f32_i32_e32 v23, v21
	v_bfe_i32 v19, v17, 0, 16
	s_delay_alu instid0(VALU_DEP_1) | instskip(SKIP_1) | instid1(VALU_DEP_2)
	v_cvt_f32_i32_e32 v20, v19
	v_xor_b32_e32 v19, v21, v19
	v_rcp_iflag_f32_e32 v22, v20
	v_nop
	s_delay_alu instid0(TRANS32_DEP_1) | instskip(NEXT) | instid1(VALU_DEP_1)
	v_dual_ashrrev_i32 v19, 30, v19 :: v_dual_mul_f32 v21, v23, v22
	v_trunc_f32_e32 v21, v21
	s_delay_alu instid0(VALU_DEP_1) | instskip(SKIP_1) | instid1(VALU_DEP_2)
	v_dual_fma_f32 v22, -v21, v20, v23 :: v_dual_bitop2_b32 v19, 1, v19 bitop3:0x54
	v_cvt_i32_f32_e32 v21, v21
	v_cmp_ge_f32_e64 s0, |v22|, |v20|
	s_delay_alu instid0(VALU_DEP_1) | instskip(NEXT) | instid1(VALU_DEP_1)
	v_cndmask_b32_e64 v19, 0, v19, s0
	v_add_nc_u32_e32 v19, v21, v19
	s_delay_alu instid0(VALU_DEP_1) | instskip(NEXT) | instid1(VALU_DEP_1)
	v_mul_lo_u32 v19, v19, v17
	v_sub_nc_u32_e32 v19, v18, v19
	s_delay_alu instid0(VALU_DEP_1) | instskip(SKIP_1) | instid1(VALU_DEP_2)
	v_and_b32_e32 v18, 0xffff, v19
	v_bfe_i32 v19, v19, 0, 16
	v_cmp_eq_u32_e64 s0, 0, v18
	v_mov_b32_e32 v18, v17
	s_or_b32 s6, s0, s6
	s_delay_alu instid0(SALU_CYCLE_1)
	s_and_not1_b32 exec_lo, exec_lo, s6
	s_cbranch_execnz .LBB74_94
; %bb.95:
	s_or_b32 exec_lo, exec_lo, s6
.LBB74_96:
	s_delay_alu instid0(SALU_CYCLE_1)
	s_or_b32 exec_lo, exec_lo, s3
	v_mov_b32_e32 v18, 0
	s_mov_b32 s3, exec_lo
	v_cmpx_ne_u16_e32 0, v17
	s_cbranch_execz .LBB74_98
; %bb.97:
	v_bfe_i32 v17, v17, 0, 16
	v_bfe_i32 v15, v15, 0, 16
	;; [unrolled: 1-line block ×3, first 2 shown]
	s_delay_alu instid0(VALU_DEP_3) | instskip(NEXT) | instid1(VALU_DEP_3)
	v_cvt_f32_i32_e32 v18, v17
	v_cvt_f32_i32_e32 v20, v15
	v_xor_b32_e32 v15, v15, v17
	s_delay_alu instid0(VALU_DEP_3) | instskip(SKIP_1) | instid1(TRANS32_DEP_1)
	v_rcp_iflag_f32_e32 v19, v18
	v_nop
	v_mul_f32_e32 v19, v20, v19
	s_delay_alu instid0(VALU_DEP_1) | instskip(NEXT) | instid1(VALU_DEP_1)
	v_trunc_f32_e32 v17, v19
	v_dual_ashrrev_i32 v15, 30, v15 :: v_dual_fma_f32 v19, -v17, v18, v20
	s_delay_alu instid0(VALU_DEP_1) | instskip(SKIP_1) | instid1(VALU_DEP_3)
	v_or_b32_e32 v15, 1, v15
	v_cvt_i32_f32_e32 v17, v17
	v_cmp_ge_f32_e64 s0, |v19|, |v18|
	s_delay_alu instid0(VALU_DEP_1) | instskip(NEXT) | instid1(VALU_DEP_1)
	v_cndmask_b32_e64 v15, 0, v15, s0
	v_add_nc_u32_e32 v15, v17, v15
	s_delay_alu instid0(VALU_DEP_1) | instskip(NEXT) | instid1(VALU_DEP_1)
	v_bfe_i32 v15, v15, 0, 16
	v_mul_i32_i24_e32 v15, v15, v16
	s_delay_alu instid0(VALU_DEP_1) | instskip(NEXT) | instid1(VALU_DEP_1)
	v_sub_nc_u32_e32 v16, 0, v15
	v_max_i32_e32 v18, v15, v16
.LBB74_98:
	s_or_b32 exec_lo, exec_lo, s3
	s_delay_alu instid0(VALU_DEP_1)
	v_perm_b32 v1, v18, v1, 0x5040100
.LBB74_99:
	s_or_b32 exec_lo, exec_lo, s1
	v_or_b32_e32 v15, 0x400, v0
	s_mov_b32 s1, exec_lo
	s_delay_alu instid0(VALU_DEP_1)
	v_cmpx_gt_i32_e64 s10, v15
	s_cbranch_execz .LBB74_107
; %bb.100:
	v_sub_nc_u16 v15, 0, v13
	s_mov_b32 s6, 0
	s_mov_b32 s3, exec_lo
	s_delay_alu instid0(VALU_DEP_1)
	v_max_i16 v15, v13, v15
	v_cmpx_ne_u16_e32 0, v14
	s_cbranch_execz .LBB74_104
; %bb.101:
	v_sub_nc_u16 v16, 0, v14
	s_delay_alu instid0(VALU_DEP_1) | instskip(SKIP_1) | instid1(VALU_DEP_2)
	v_max_i16 v17, v14, v16
	v_and_b32_e32 v16, 0xffff, v15
	v_and_b32_e32 v17, 0xffff, v17
.LBB74_102:                             ; =>This Inner Loop Header: Depth=1
	s_delay_alu instid0(VALU_DEP_1) | instskip(NEXT) | instid1(VALU_DEP_2)
	v_bfe_i32 v19, v16, 0, 16
	v_mov_b32_e32 v15, v17
	s_delay_alu instid0(VALU_DEP_2) | instskip(NEXT) | instid1(VALU_DEP_2)
	v_cvt_f32_i32_e32 v21, v19
	v_bfe_i32 v17, v15, 0, 16
	s_delay_alu instid0(VALU_DEP_1) | instskip(SKIP_1) | instid1(VALU_DEP_2)
	v_cvt_f32_i32_e32 v18, v17
	v_xor_b32_e32 v17, v19, v17
	v_rcp_iflag_f32_e32 v20, v18
	v_nop
	s_delay_alu instid0(TRANS32_DEP_1) | instskip(NEXT) | instid1(VALU_DEP_1)
	v_dual_ashrrev_i32 v17, 30, v17 :: v_dual_mul_f32 v19, v21, v20
	v_trunc_f32_e32 v19, v19
	s_delay_alu instid0(VALU_DEP_1) | instskip(SKIP_1) | instid1(VALU_DEP_2)
	v_dual_fma_f32 v20, -v19, v18, v21 :: v_dual_bitop2_b32 v17, 1, v17 bitop3:0x54
	v_cvt_i32_f32_e32 v19, v19
	v_cmp_ge_f32_e64 s0, |v20|, |v18|
	s_delay_alu instid0(VALU_DEP_1) | instskip(NEXT) | instid1(VALU_DEP_1)
	v_cndmask_b32_e64 v17, 0, v17, s0
	v_add_nc_u32_e32 v17, v19, v17
	s_delay_alu instid0(VALU_DEP_1) | instskip(NEXT) | instid1(VALU_DEP_1)
	v_mul_lo_u32 v17, v17, v15
	v_sub_nc_u32_e32 v17, v16, v17
	s_delay_alu instid0(VALU_DEP_1) | instskip(SKIP_1) | instid1(VALU_DEP_2)
	v_and_b32_e32 v16, 0xffff, v17
	v_bfe_i32 v17, v17, 0, 16
	v_cmp_eq_u32_e64 s0, 0, v16
	v_mov_b32_e32 v16, v15
	s_or_b32 s6, s0, s6
	s_delay_alu instid0(SALU_CYCLE_1)
	s_and_not1_b32 exec_lo, exec_lo, s6
	s_cbranch_execnz .LBB74_102
; %bb.103:
	s_or_b32 exec_lo, exec_lo, s6
.LBB74_104:
	s_delay_alu instid0(SALU_CYCLE_1)
	s_or_b32 exec_lo, exec_lo, s3
	v_mov_b32_e32 v16, 0
	s_mov_b32 s3, exec_lo
	v_cmpx_ne_u16_e32 0, v15
	s_cbranch_execz .LBB74_106
; %bb.105:
	v_bfe_i32 v15, v15, 0, 16
	v_bfe_i32 v14, v14, 0, 16
	;; [unrolled: 1-line block ×3, first 2 shown]
	s_delay_alu instid0(VALU_DEP_3) | instskip(NEXT) | instid1(VALU_DEP_3)
	v_cvt_f32_i32_e32 v16, v15
	v_cvt_f32_i32_e32 v18, v14
	v_xor_b32_e32 v14, v14, v15
	s_delay_alu instid0(VALU_DEP_3) | instskip(SKIP_1) | instid1(TRANS32_DEP_1)
	v_rcp_iflag_f32_e32 v17, v16
	v_nop
	v_dual_mul_f32 v17, v18, v17 :: v_dual_ashrrev_i32 v14, 30, v14
	s_delay_alu instid0(VALU_DEP_1) | instskip(NEXT) | instid1(VALU_DEP_2)
	v_or_b32_e32 v14, 1, v14
	v_trunc_f32_e32 v15, v17
	s_delay_alu instid0(VALU_DEP_1) | instskip(SKIP_1) | instid1(VALU_DEP_2)
	v_fma_f32 v17, -v15, v16, v18
	v_cvt_i32_f32_e32 v15, v15
	v_cmp_ge_f32_e64 s0, |v17|, |v16|
	s_delay_alu instid0(VALU_DEP_1) | instskip(NEXT) | instid1(VALU_DEP_1)
	v_cndmask_b32_e64 v14, 0, v14, s0
	v_add_nc_u32_e32 v14, v15, v14
	s_delay_alu instid0(VALU_DEP_1) | instskip(NEXT) | instid1(VALU_DEP_1)
	v_bfe_i32 v14, v14, 0, 16
	v_mul_i32_i24_e32 v13, v14, v13
	s_delay_alu instid0(VALU_DEP_1) | instskip(NEXT) | instid1(VALU_DEP_1)
	v_sub_nc_u32_e32 v14, 0, v13
	v_max_i32_e32 v16, v13, v14
.LBB74_106:
	s_or_b32 exec_lo, exec_lo, s3
	s_delay_alu instid0(VALU_DEP_1)
	v_bfi_b32 v2, 0xffff, v16, v2
.LBB74_107:
	s_or_b32 exec_lo, exec_lo, s1
	v_or_b32_e32 v13, 0x500, v0
	s_mov_b32 s1, exec_lo
	s_delay_alu instid0(VALU_DEP_1)
	v_cmpx_gt_i32_e64 s10, v13
	s_cbranch_execz .LBB74_115
; %bb.108:
	v_sub_nc_u16 v13, 0, v12
	s_mov_b32 s6, 0
	s_mov_b32 s3, exec_lo
	s_delay_alu instid0(VALU_DEP_1)
	v_max_i16 v13, v12, v13
	v_cmpx_ne_u16_e32 0, v11
	s_cbranch_execz .LBB74_112
; %bb.109:
	v_sub_nc_u16 v14, 0, v11
	s_delay_alu instid0(VALU_DEP_1) | instskip(SKIP_1) | instid1(VALU_DEP_2)
	v_max_i16 v15, v11, v14
	v_and_b32_e32 v14, 0xffff, v13
	v_and_b32_e32 v15, 0xffff, v15
.LBB74_110:                             ; =>This Inner Loop Header: Depth=1
	s_delay_alu instid0(VALU_DEP_1) | instskip(NEXT) | instid1(VALU_DEP_2)
	v_bfe_i32 v17, v14, 0, 16
	v_mov_b32_e32 v13, v15
	s_delay_alu instid0(VALU_DEP_2) | instskip(NEXT) | instid1(VALU_DEP_2)
	v_cvt_f32_i32_e32 v19, v17
	v_bfe_i32 v15, v13, 0, 16
	s_delay_alu instid0(VALU_DEP_1) | instskip(SKIP_1) | instid1(VALU_DEP_2)
	v_cvt_f32_i32_e32 v16, v15
	v_xor_b32_e32 v15, v17, v15
	v_rcp_iflag_f32_e32 v18, v16
	v_nop
	s_delay_alu instid0(TRANS32_DEP_1) | instskip(NEXT) | instid1(VALU_DEP_1)
	v_dual_ashrrev_i32 v15, 30, v15 :: v_dual_mul_f32 v17, v19, v18
	v_trunc_f32_e32 v17, v17
	s_delay_alu instid0(VALU_DEP_1) | instskip(SKIP_1) | instid1(VALU_DEP_2)
	v_dual_fma_f32 v18, -v17, v16, v19 :: v_dual_bitop2_b32 v15, 1, v15 bitop3:0x54
	v_cvt_i32_f32_e32 v17, v17
	v_cmp_ge_f32_e64 s0, |v18|, |v16|
	s_delay_alu instid0(VALU_DEP_1) | instskip(NEXT) | instid1(VALU_DEP_1)
	v_cndmask_b32_e64 v15, 0, v15, s0
	v_add_nc_u32_e32 v15, v17, v15
	s_delay_alu instid0(VALU_DEP_1) | instskip(NEXT) | instid1(VALU_DEP_1)
	v_mul_lo_u32 v15, v15, v13
	v_sub_nc_u32_e32 v15, v14, v15
	s_delay_alu instid0(VALU_DEP_1) | instskip(SKIP_1) | instid1(VALU_DEP_2)
	v_and_b32_e32 v14, 0xffff, v15
	v_bfe_i32 v15, v15, 0, 16
	v_cmp_eq_u32_e64 s0, 0, v14
	v_mov_b32_e32 v14, v13
	s_or_b32 s6, s0, s6
	s_delay_alu instid0(SALU_CYCLE_1)
	s_and_not1_b32 exec_lo, exec_lo, s6
	s_cbranch_execnz .LBB74_110
; %bb.111:
	s_or_b32 exec_lo, exec_lo, s6
.LBB74_112:
	s_delay_alu instid0(SALU_CYCLE_1)
	s_or_b32 exec_lo, exec_lo, s3
	v_mov_b32_e32 v14, 0
	s_mov_b32 s3, exec_lo
	v_cmpx_ne_u16_e32 0, v13
	s_cbranch_execz .LBB74_114
; %bb.113:
	v_bfe_i32 v13, v13, 0, 16
	v_bfe_i32 v11, v11, 0, 16
	;; [unrolled: 1-line block ×3, first 2 shown]
	s_delay_alu instid0(VALU_DEP_3) | instskip(NEXT) | instid1(VALU_DEP_3)
	v_cvt_f32_i32_e32 v14, v13
	v_cvt_f32_i32_e32 v16, v11
	v_xor_b32_e32 v11, v11, v13
	s_delay_alu instid0(VALU_DEP_3) | instskip(SKIP_1) | instid1(TRANS32_DEP_1)
	v_rcp_iflag_f32_e32 v15, v14
	v_nop
	v_mul_f32_e32 v15, v16, v15
	s_delay_alu instid0(VALU_DEP_1) | instskip(NEXT) | instid1(VALU_DEP_1)
	v_trunc_f32_e32 v13, v15
	v_dual_ashrrev_i32 v11, 30, v11 :: v_dual_fma_f32 v15, -v13, v14, v16
	s_delay_alu instid0(VALU_DEP_1) | instskip(SKIP_1) | instid1(VALU_DEP_3)
	v_or_b32_e32 v11, 1, v11
	v_cvt_i32_f32_e32 v13, v13
	v_cmp_ge_f32_e64 s0, |v15|, |v14|
	s_delay_alu instid0(VALU_DEP_1) | instskip(NEXT) | instid1(VALU_DEP_1)
	v_cndmask_b32_e64 v11, 0, v11, s0
	v_add_nc_u32_e32 v11, v13, v11
	s_delay_alu instid0(VALU_DEP_1) | instskip(NEXT) | instid1(VALU_DEP_1)
	v_bfe_i32 v11, v11, 0, 16
	v_mul_i32_i24_e32 v11, v11, v12
	s_delay_alu instid0(VALU_DEP_1) | instskip(NEXT) | instid1(VALU_DEP_1)
	v_sub_nc_u32_e32 v12, 0, v11
	v_max_i32_e32 v14, v11, v12
.LBB74_114:
	s_or_b32 exec_lo, exec_lo, s3
	s_delay_alu instid0(VALU_DEP_1)
	v_perm_b32 v2, v14, v2, 0x5040100
.LBB74_115:
	s_or_b32 exec_lo, exec_lo, s1
	v_or_b32_e32 v11, 0x600, v0
	s_mov_b32 s1, exec_lo
	s_delay_alu instid0(VALU_DEP_1)
	v_cmpx_gt_i32_e64 s10, v11
	s_cbranch_execz .LBB74_123
; %bb.116:
	v_sub_nc_u16 v11, 0, v9
	s_mov_b32 s6, 0
	s_mov_b32 s3, exec_lo
	s_delay_alu instid0(VALU_DEP_1)
	v_max_i16 v11, v9, v11
	v_cmpx_ne_u16_e32 0, v10
	s_cbranch_execz .LBB74_120
; %bb.117:
	v_sub_nc_u16 v12, 0, v10
	s_delay_alu instid0(VALU_DEP_1) | instskip(SKIP_1) | instid1(VALU_DEP_2)
	v_max_i16 v13, v10, v12
	v_and_b32_e32 v12, 0xffff, v11
	v_and_b32_e32 v13, 0xffff, v13
.LBB74_118:                             ; =>This Inner Loop Header: Depth=1
	s_delay_alu instid0(VALU_DEP_1) | instskip(NEXT) | instid1(VALU_DEP_2)
	v_bfe_i32 v15, v12, 0, 16
	v_mov_b32_e32 v11, v13
	s_delay_alu instid0(VALU_DEP_2) | instskip(NEXT) | instid1(VALU_DEP_2)
	v_cvt_f32_i32_e32 v17, v15
	v_bfe_i32 v13, v11, 0, 16
	s_delay_alu instid0(VALU_DEP_1) | instskip(SKIP_1) | instid1(VALU_DEP_2)
	v_cvt_f32_i32_e32 v14, v13
	v_xor_b32_e32 v13, v15, v13
	v_rcp_iflag_f32_e32 v16, v14
	v_nop
	s_delay_alu instid0(TRANS32_DEP_1) | instskip(NEXT) | instid1(VALU_DEP_1)
	v_dual_ashrrev_i32 v13, 30, v13 :: v_dual_mul_f32 v15, v17, v16
	v_trunc_f32_e32 v15, v15
	s_delay_alu instid0(VALU_DEP_1) | instskip(SKIP_1) | instid1(VALU_DEP_2)
	v_dual_fma_f32 v16, -v15, v14, v17 :: v_dual_bitop2_b32 v13, 1, v13 bitop3:0x54
	v_cvt_i32_f32_e32 v15, v15
	v_cmp_ge_f32_e64 s0, |v16|, |v14|
	s_delay_alu instid0(VALU_DEP_1) | instskip(NEXT) | instid1(VALU_DEP_1)
	v_cndmask_b32_e64 v13, 0, v13, s0
	v_add_nc_u32_e32 v13, v15, v13
	s_delay_alu instid0(VALU_DEP_1) | instskip(NEXT) | instid1(VALU_DEP_1)
	v_mul_lo_u32 v13, v13, v11
	v_sub_nc_u32_e32 v13, v12, v13
	s_delay_alu instid0(VALU_DEP_1) | instskip(SKIP_1) | instid1(VALU_DEP_2)
	v_and_b32_e32 v12, 0xffff, v13
	v_bfe_i32 v13, v13, 0, 16
	v_cmp_eq_u32_e64 s0, 0, v12
	v_mov_b32_e32 v12, v11
	s_or_b32 s6, s0, s6
	s_delay_alu instid0(SALU_CYCLE_1)
	s_and_not1_b32 exec_lo, exec_lo, s6
	s_cbranch_execnz .LBB74_118
; %bb.119:
	s_or_b32 exec_lo, exec_lo, s6
.LBB74_120:
	s_delay_alu instid0(SALU_CYCLE_1)
	s_or_b32 exec_lo, exec_lo, s3
	v_mov_b32_e32 v12, 0
	s_mov_b32 s3, exec_lo
	v_cmpx_ne_u16_e32 0, v11
	s_cbranch_execz .LBB74_122
; %bb.121:
	v_bfe_i32 v11, v11, 0, 16
	v_bfe_i32 v10, v10, 0, 16
	;; [unrolled: 1-line block ×3, first 2 shown]
	s_delay_alu instid0(VALU_DEP_3) | instskip(NEXT) | instid1(VALU_DEP_3)
	v_cvt_f32_i32_e32 v12, v11
	v_cvt_f32_i32_e32 v14, v10
	v_xor_b32_e32 v10, v10, v11
	s_delay_alu instid0(VALU_DEP_3) | instskip(SKIP_1) | instid1(TRANS32_DEP_1)
	v_rcp_iflag_f32_e32 v13, v12
	v_nop
	v_dual_mul_f32 v13, v14, v13 :: v_dual_ashrrev_i32 v10, 30, v10
	s_delay_alu instid0(VALU_DEP_1) | instskip(NEXT) | instid1(VALU_DEP_2)
	v_or_b32_e32 v10, 1, v10
	v_trunc_f32_e32 v11, v13
	s_delay_alu instid0(VALU_DEP_1) | instskip(SKIP_1) | instid1(VALU_DEP_2)
	v_fma_f32 v13, -v11, v12, v14
	v_cvt_i32_f32_e32 v11, v11
	v_cmp_ge_f32_e64 s0, |v13|, |v12|
	s_delay_alu instid0(VALU_DEP_1) | instskip(NEXT) | instid1(VALU_DEP_1)
	v_cndmask_b32_e64 v10, 0, v10, s0
	v_add_nc_u32_e32 v10, v11, v10
	s_delay_alu instid0(VALU_DEP_1) | instskip(NEXT) | instid1(VALU_DEP_1)
	v_bfe_i32 v10, v10, 0, 16
	v_mul_i32_i24_e32 v9, v10, v9
	s_delay_alu instid0(VALU_DEP_1) | instskip(NEXT) | instid1(VALU_DEP_1)
	v_sub_nc_u32_e32 v10, 0, v9
	v_max_i32_e32 v12, v9, v10
.LBB74_122:
	s_or_b32 exec_lo, exec_lo, s3
	s_delay_alu instid0(VALU_DEP_1)
	v_bfi_b32 v3, 0xffff, v12, v3
.LBB74_123:
	s_or_b32 exec_lo, exec_lo, s1
	v_or_b32_e32 v9, 0x700, v0
	s_mov_b32 s1, exec_lo
	s_delay_alu instid0(VALU_DEP_1)
	v_cmpx_gt_i32_e64 s10, v9
	s_cbranch_execnz .LBB74_134
; %bb.124:
	s_or_b32 exec_lo, exec_lo, s1
	s_and_saveexec_b32 s0, vcc_lo
	s_delay_alu instid0(SALU_CYCLE_1)
	s_xor_b32 s0, exec_lo, s0
	s_cbranch_execnz .LBB74_141
.LBB74_125:
	s_or_b32 exec_lo, exec_lo, s0
	s_delay_alu instid0(SALU_CYCLE_1)
	s_mov_b32 s0, exec_lo
	v_cmpx_gt_i32_e64 s10, v0
	s_cbranch_execnz .LBB74_142
.LBB74_126:
	s_or_b32 exec_lo, exec_lo, s0
	s_delay_alu instid0(SALU_CYCLE_1)
	s_mov_b32 s0, exec_lo
	v_cmpx_gt_i32_e64 s10, v0
	s_cbranch_execnz .LBB74_143
.LBB74_127:
	s_or_b32 exec_lo, exec_lo, s0
	s_delay_alu instid0(SALU_CYCLE_1)
	s_mov_b32 s0, exec_lo
	v_cmpx_gt_i32_e64 s10, v0
	s_cbranch_execnz .LBB74_144
.LBB74_128:
	s_or_b32 exec_lo, exec_lo, s0
	s_delay_alu instid0(SALU_CYCLE_1)
	s_mov_b32 s0, exec_lo
	v_cmpx_gt_i32_e64 s10, v0
	s_cbranch_execnz .LBB74_145
.LBB74_129:
	s_or_b32 exec_lo, exec_lo, s0
	s_delay_alu instid0(SALU_CYCLE_1)
	s_mov_b32 s0, exec_lo
	v_cmpx_gt_i32_e64 s10, v0
	s_cbranch_execnz .LBB74_146
.LBB74_130:
	s_or_b32 exec_lo, exec_lo, s0
	s_delay_alu instid0(SALU_CYCLE_1)
	s_mov_b32 s0, exec_lo
	v_cmpx_gt_i32_e64 s10, v0
	s_cbranch_execnz .LBB74_147
.LBB74_131:
	s_or_b32 exec_lo, exec_lo, s0
	s_delay_alu instid0(SALU_CYCLE_1)
	s_mov_b32 s0, exec_lo
	v_cmpx_gt_i32_e64 s10, v0
	s_cbranch_execz .LBB74_133
.LBB74_132:
	v_add_nc_u32_e32 v0, s2, v0
	global_store_d16_hi_b16 v0, v3, s[4:5] scale_offset
.LBB74_133:
	s_endpgm
.LBB74_134:
	v_sub_nc_u16 v9, 0, v8
	s_mov_b32 s6, 0
	s_mov_b32 s3, exec_lo
	s_delay_alu instid0(VALU_DEP_1)
	v_max_i16 v9, v8, v9
	v_cmpx_ne_u16_e32 0, v7
	s_cbranch_execz .LBB74_138
; %bb.135:
	v_sub_nc_u16 v10, 0, v7
	s_delay_alu instid0(VALU_DEP_1) | instskip(SKIP_1) | instid1(VALU_DEP_2)
	v_max_i16 v11, v7, v10
	v_and_b32_e32 v10, 0xffff, v9
	v_and_b32_e32 v11, 0xffff, v11
.LBB74_136:                             ; =>This Inner Loop Header: Depth=1
	s_delay_alu instid0(VALU_DEP_1) | instskip(NEXT) | instid1(VALU_DEP_2)
	v_bfe_i32 v13, v10, 0, 16
	v_mov_b32_e32 v9, v11
	s_delay_alu instid0(VALU_DEP_2) | instskip(NEXT) | instid1(VALU_DEP_2)
	v_cvt_f32_i32_e32 v15, v13
	v_bfe_i32 v11, v9, 0, 16
	s_delay_alu instid0(VALU_DEP_1) | instskip(SKIP_1) | instid1(VALU_DEP_2)
	v_cvt_f32_i32_e32 v12, v11
	v_xor_b32_e32 v11, v13, v11
	v_rcp_iflag_f32_e32 v14, v12
	v_nop
	s_delay_alu instid0(TRANS32_DEP_1) | instskip(NEXT) | instid1(VALU_DEP_1)
	v_dual_ashrrev_i32 v11, 30, v11 :: v_dual_mul_f32 v13, v15, v14
	v_trunc_f32_e32 v13, v13
	s_delay_alu instid0(VALU_DEP_1) | instskip(SKIP_1) | instid1(VALU_DEP_2)
	v_dual_fma_f32 v14, -v13, v12, v15 :: v_dual_bitop2_b32 v11, 1, v11 bitop3:0x54
	v_cvt_i32_f32_e32 v13, v13
	v_cmp_ge_f32_e64 s0, |v14|, |v12|
	s_delay_alu instid0(VALU_DEP_1) | instskip(NEXT) | instid1(VALU_DEP_1)
	v_cndmask_b32_e64 v11, 0, v11, s0
	v_add_nc_u32_e32 v11, v13, v11
	s_delay_alu instid0(VALU_DEP_1) | instskip(NEXT) | instid1(VALU_DEP_1)
	v_mul_lo_u32 v11, v11, v9
	v_sub_nc_u32_e32 v11, v10, v11
	s_delay_alu instid0(VALU_DEP_1) | instskip(SKIP_1) | instid1(VALU_DEP_2)
	v_and_b32_e32 v10, 0xffff, v11
	v_bfe_i32 v11, v11, 0, 16
	v_cmp_eq_u32_e64 s0, 0, v10
	v_mov_b32_e32 v10, v9
	s_or_b32 s6, s0, s6
	s_delay_alu instid0(SALU_CYCLE_1)
	s_and_not1_b32 exec_lo, exec_lo, s6
	s_cbranch_execnz .LBB74_136
; %bb.137:
	s_or_b32 exec_lo, exec_lo, s6
.LBB74_138:
	s_delay_alu instid0(SALU_CYCLE_1)
	s_or_b32 exec_lo, exec_lo, s3
	v_mov_b32_e32 v10, 0
	s_mov_b32 s3, exec_lo
	v_cmpx_ne_u16_e32 0, v9
	s_cbranch_execz .LBB74_140
; %bb.139:
	v_bfe_i32 v9, v9, 0, 16
	v_bfe_i32 v7, v7, 0, 16
	;; [unrolled: 1-line block ×3, first 2 shown]
	s_delay_alu instid0(VALU_DEP_3) | instskip(NEXT) | instid1(VALU_DEP_3)
	v_cvt_f32_i32_e32 v10, v9
	v_cvt_f32_i32_e32 v12, v7
	v_xor_b32_e32 v7, v7, v9
	s_delay_alu instid0(VALU_DEP_3) | instskip(SKIP_1) | instid1(TRANS32_DEP_1)
	v_rcp_iflag_f32_e32 v11, v10
	v_nop
	v_mul_f32_e32 v11, v12, v11
	s_delay_alu instid0(VALU_DEP_1) | instskip(NEXT) | instid1(VALU_DEP_1)
	v_trunc_f32_e32 v9, v11
	v_dual_ashrrev_i32 v7, 30, v7 :: v_dual_fma_f32 v11, -v9, v10, v12
	s_delay_alu instid0(VALU_DEP_1) | instskip(SKIP_1) | instid1(VALU_DEP_3)
	v_or_b32_e32 v7, 1, v7
	v_cvt_i32_f32_e32 v9, v9
	v_cmp_ge_f32_e64 s0, |v11|, |v10|
	s_delay_alu instid0(VALU_DEP_1) | instskip(NEXT) | instid1(VALU_DEP_1)
	v_cndmask_b32_e64 v7, 0, v7, s0
	v_add_nc_u32_e32 v7, v9, v7
	s_delay_alu instid0(VALU_DEP_1) | instskip(NEXT) | instid1(VALU_DEP_1)
	v_bfe_i32 v7, v7, 0, 16
	v_mul_i32_i24_e32 v7, v7, v8
	s_delay_alu instid0(VALU_DEP_1) | instskip(NEXT) | instid1(VALU_DEP_1)
	v_sub_nc_u32_e32 v8, 0, v7
	v_max_i32_e32 v10, v7, v8
.LBB74_140:
	s_or_b32 exec_lo, exec_lo, s3
	s_delay_alu instid0(VALU_DEP_1) | instskip(SKIP_2) | instid1(SALU_CYCLE_1)
	v_perm_b32 v3, v10, v3, 0x5040100
	s_or_b32 exec_lo, exec_lo, s1
	s_and_saveexec_b32 s0, vcc_lo
	s_xor_b32 s0, exec_lo, s0
	s_cbranch_execz .LBB74_125
.LBB74_141:
	v_mov_b32_e32 v0, v6
	global_store_b16 v5, v4, s[4:5] scale_offset
	s_wait_xcnt 0x0
	s_or_b32 exec_lo, exec_lo, s0
	s_delay_alu instid0(SALU_CYCLE_1)
	s_mov_b32 s0, exec_lo
	v_cmpx_gt_i32_e64 s10, v0
	s_cbranch_execz .LBB74_126
.LBB74_142:
	v_add_nc_u32_e32 v5, s2, v0
	v_add_nc_u32_e32 v0, 0x100, v0
	global_store_d16_hi_b16 v5, v4, s[4:5] scale_offset
	s_wait_xcnt 0x0
	s_or_b32 exec_lo, exec_lo, s0
	s_delay_alu instid0(SALU_CYCLE_1)
	s_mov_b32 s0, exec_lo
	v_cmpx_gt_i32_e64 s10, v0
	s_cbranch_execz .LBB74_127
.LBB74_143:
	v_add_nc_u32_e32 v4, s2, v0
	v_add_nc_u32_e32 v0, 0x100, v0
	global_store_b16 v4, v1, s[4:5] scale_offset
	s_wait_xcnt 0x0
	s_or_b32 exec_lo, exec_lo, s0
	s_delay_alu instid0(SALU_CYCLE_1)
	s_mov_b32 s0, exec_lo
	v_cmpx_gt_i32_e64 s10, v0
	s_cbranch_execz .LBB74_128
.LBB74_144:
	v_add_nc_u32_e32 v4, s2, v0
	v_add_nc_u32_e32 v0, 0x100, v0
	global_store_d16_hi_b16 v4, v1, s[4:5] scale_offset
	s_wait_xcnt 0x0
	s_or_b32 exec_lo, exec_lo, s0
	s_delay_alu instid0(SALU_CYCLE_1)
	s_mov_b32 s0, exec_lo
	v_cmpx_gt_i32_e64 s10, v0
	s_cbranch_execz .LBB74_129
.LBB74_145:
	v_add_nc_u32_e32 v1, s2, v0
	v_add_nc_u32_e32 v0, 0x100, v0
	global_store_b16 v1, v2, s[4:5] scale_offset
	s_wait_xcnt 0x0
	s_or_b32 exec_lo, exec_lo, s0
	s_delay_alu instid0(SALU_CYCLE_1)
	s_mov_b32 s0, exec_lo
	v_cmpx_gt_i32_e64 s10, v0
	s_cbranch_execz .LBB74_130
.LBB74_146:
	v_add_nc_u32_e32 v1, s2, v0
	v_add_nc_u32_e32 v0, 0x100, v0
	global_store_d16_hi_b16 v1, v2, s[4:5] scale_offset
	s_wait_xcnt 0x0
	s_or_b32 exec_lo, exec_lo, s0
	s_delay_alu instid0(SALU_CYCLE_1)
	s_mov_b32 s0, exec_lo
	v_cmpx_gt_i32_e64 s10, v0
	s_cbranch_execz .LBB74_131
.LBB74_147:
	v_add_nc_u32_e32 v1, s2, v0
	v_add_nc_u32_e32 v0, 0x100, v0
	global_store_b16 v1, v3, s[4:5] scale_offset
	s_wait_xcnt 0x0
	s_or_b32 exec_lo, exec_lo, s0
	s_delay_alu instid0(SALU_CYCLE_1)
	s_mov_b32 s0, exec_lo
	v_cmpx_gt_i32_e64 s10, v0
	s_cbranch_execnz .LBB74_132
	s_branch .LBB74_133
	.section	.rodata,"a",@progbits
	.p2align	6, 0x0
	.amdhsa_kernel _ZN2at6native29vectorized_elementwise_kernelILi4EZZZNS0_15lcm_kernel_cudaERNS_18TensorIteratorBaseEENKUlvE_clEvENKUlvE3_clEvEUlssE_St5arrayIPcLm3EEEEviT0_T1_
		.amdhsa_group_segment_fixed_size 0
		.amdhsa_private_segment_fixed_size 0
		.amdhsa_kernarg_size 32
		.amdhsa_user_sgpr_count 2
		.amdhsa_user_sgpr_dispatch_ptr 0
		.amdhsa_user_sgpr_queue_ptr 0
		.amdhsa_user_sgpr_kernarg_segment_ptr 1
		.amdhsa_user_sgpr_dispatch_id 0
		.amdhsa_user_sgpr_kernarg_preload_length 0
		.amdhsa_user_sgpr_kernarg_preload_offset 0
		.amdhsa_user_sgpr_private_segment_size 0
		.amdhsa_wavefront_size32 1
		.amdhsa_uses_dynamic_stack 0
		.amdhsa_enable_private_segment 0
		.amdhsa_system_sgpr_workgroup_id_x 1
		.amdhsa_system_sgpr_workgroup_id_y 0
		.amdhsa_system_sgpr_workgroup_id_z 0
		.amdhsa_system_sgpr_workgroup_info 0
		.amdhsa_system_vgpr_workitem_id 0
		.amdhsa_next_free_vgpr 28
		.amdhsa_next_free_sgpr 16
		.amdhsa_named_barrier_count 0
		.amdhsa_reserve_vcc 1
		.amdhsa_float_round_mode_32 0
		.amdhsa_float_round_mode_16_64 0
		.amdhsa_float_denorm_mode_32 3
		.amdhsa_float_denorm_mode_16_64 3
		.amdhsa_fp16_overflow 0
		.amdhsa_memory_ordered 1
		.amdhsa_forward_progress 1
		.amdhsa_inst_pref_size 68
		.amdhsa_round_robin_scheduling 0
		.amdhsa_exception_fp_ieee_invalid_op 0
		.amdhsa_exception_fp_denorm_src 0
		.amdhsa_exception_fp_ieee_div_zero 0
		.amdhsa_exception_fp_ieee_overflow 0
		.amdhsa_exception_fp_ieee_underflow 0
		.amdhsa_exception_fp_ieee_inexact 0
		.amdhsa_exception_int_div_zero 0
	.end_amdhsa_kernel
	.section	.text._ZN2at6native29vectorized_elementwise_kernelILi4EZZZNS0_15lcm_kernel_cudaERNS_18TensorIteratorBaseEENKUlvE_clEvENKUlvE3_clEvEUlssE_St5arrayIPcLm3EEEEviT0_T1_,"axG",@progbits,_ZN2at6native29vectorized_elementwise_kernelILi4EZZZNS0_15lcm_kernel_cudaERNS_18TensorIteratorBaseEENKUlvE_clEvENKUlvE3_clEvEUlssE_St5arrayIPcLm3EEEEviT0_T1_,comdat
.Lfunc_end74:
	.size	_ZN2at6native29vectorized_elementwise_kernelILi4EZZZNS0_15lcm_kernel_cudaERNS_18TensorIteratorBaseEENKUlvE_clEvENKUlvE3_clEvEUlssE_St5arrayIPcLm3EEEEviT0_T1_, .Lfunc_end74-_ZN2at6native29vectorized_elementwise_kernelILi4EZZZNS0_15lcm_kernel_cudaERNS_18TensorIteratorBaseEENKUlvE_clEvENKUlvE3_clEvEUlssE_St5arrayIPcLm3EEEEviT0_T1_
                                        ; -- End function
	.set _ZN2at6native29vectorized_elementwise_kernelILi4EZZZNS0_15lcm_kernel_cudaERNS_18TensorIteratorBaseEENKUlvE_clEvENKUlvE3_clEvEUlssE_St5arrayIPcLm3EEEEviT0_T1_.num_vgpr, 28
	.set _ZN2at6native29vectorized_elementwise_kernelILi4EZZZNS0_15lcm_kernel_cudaERNS_18TensorIteratorBaseEENKUlvE_clEvENKUlvE3_clEvEUlssE_St5arrayIPcLm3EEEEviT0_T1_.num_agpr, 0
	.set _ZN2at6native29vectorized_elementwise_kernelILi4EZZZNS0_15lcm_kernel_cudaERNS_18TensorIteratorBaseEENKUlvE_clEvENKUlvE3_clEvEUlssE_St5arrayIPcLm3EEEEviT0_T1_.numbered_sgpr, 16
	.set _ZN2at6native29vectorized_elementwise_kernelILi4EZZZNS0_15lcm_kernel_cudaERNS_18TensorIteratorBaseEENKUlvE_clEvENKUlvE3_clEvEUlssE_St5arrayIPcLm3EEEEviT0_T1_.num_named_barrier, 0
	.set _ZN2at6native29vectorized_elementwise_kernelILi4EZZZNS0_15lcm_kernel_cudaERNS_18TensorIteratorBaseEENKUlvE_clEvENKUlvE3_clEvEUlssE_St5arrayIPcLm3EEEEviT0_T1_.private_seg_size, 0
	.set _ZN2at6native29vectorized_elementwise_kernelILi4EZZZNS0_15lcm_kernel_cudaERNS_18TensorIteratorBaseEENKUlvE_clEvENKUlvE3_clEvEUlssE_St5arrayIPcLm3EEEEviT0_T1_.uses_vcc, 1
	.set _ZN2at6native29vectorized_elementwise_kernelILi4EZZZNS0_15lcm_kernel_cudaERNS_18TensorIteratorBaseEENKUlvE_clEvENKUlvE3_clEvEUlssE_St5arrayIPcLm3EEEEviT0_T1_.uses_flat_scratch, 0
	.set _ZN2at6native29vectorized_elementwise_kernelILi4EZZZNS0_15lcm_kernel_cudaERNS_18TensorIteratorBaseEENKUlvE_clEvENKUlvE3_clEvEUlssE_St5arrayIPcLm3EEEEviT0_T1_.has_dyn_sized_stack, 0
	.set _ZN2at6native29vectorized_elementwise_kernelILi4EZZZNS0_15lcm_kernel_cudaERNS_18TensorIteratorBaseEENKUlvE_clEvENKUlvE3_clEvEUlssE_St5arrayIPcLm3EEEEviT0_T1_.has_recursion, 0
	.set _ZN2at6native29vectorized_elementwise_kernelILi4EZZZNS0_15lcm_kernel_cudaERNS_18TensorIteratorBaseEENKUlvE_clEvENKUlvE3_clEvEUlssE_St5arrayIPcLm3EEEEviT0_T1_.has_indirect_call, 0
	.section	.AMDGPU.csdata,"",@progbits
; Kernel info:
; codeLenInByte = 8588
; TotalNumSgprs: 18
; NumVgprs: 28
; ScratchSize: 0
; MemoryBound: 0
; FloatMode: 240
; IeeeMode: 1
; LDSByteSize: 0 bytes/workgroup (compile time only)
; SGPRBlocks: 0
; VGPRBlocks: 1
; NumSGPRsForWavesPerEU: 18
; NumVGPRsForWavesPerEU: 28
; NamedBarCnt: 0
; Occupancy: 16
; WaveLimiterHint : 1
; COMPUTE_PGM_RSRC2:SCRATCH_EN: 0
; COMPUTE_PGM_RSRC2:USER_SGPR: 2
; COMPUTE_PGM_RSRC2:TRAP_HANDLER: 0
; COMPUTE_PGM_RSRC2:TGID_X_EN: 1
; COMPUTE_PGM_RSRC2:TGID_Y_EN: 0
; COMPUTE_PGM_RSRC2:TGID_Z_EN: 0
; COMPUTE_PGM_RSRC2:TIDIG_COMP_CNT: 0
	.section	.text._ZN2at6native29vectorized_elementwise_kernelILi2EZZZNS0_15lcm_kernel_cudaERNS_18TensorIteratorBaseEENKUlvE_clEvENKUlvE3_clEvEUlssE_St5arrayIPcLm3EEEEviT0_T1_,"axG",@progbits,_ZN2at6native29vectorized_elementwise_kernelILi2EZZZNS0_15lcm_kernel_cudaERNS_18TensorIteratorBaseEENKUlvE_clEvENKUlvE3_clEvEUlssE_St5arrayIPcLm3EEEEviT0_T1_,comdat
	.globl	_ZN2at6native29vectorized_elementwise_kernelILi2EZZZNS0_15lcm_kernel_cudaERNS_18TensorIteratorBaseEENKUlvE_clEvENKUlvE3_clEvEUlssE_St5arrayIPcLm3EEEEviT0_T1_ ; -- Begin function _ZN2at6native29vectorized_elementwise_kernelILi2EZZZNS0_15lcm_kernel_cudaERNS_18TensorIteratorBaseEENKUlvE_clEvENKUlvE3_clEvEUlssE_St5arrayIPcLm3EEEEviT0_T1_
	.p2align	8
	.type	_ZN2at6native29vectorized_elementwise_kernelILi2EZZZNS0_15lcm_kernel_cudaERNS_18TensorIteratorBaseEENKUlvE_clEvENKUlvE3_clEvEUlssE_St5arrayIPcLm3EEEEviT0_T1_,@function
_ZN2at6native29vectorized_elementwise_kernelILi2EZZZNS0_15lcm_kernel_cudaERNS_18TensorIteratorBaseEENKUlvE_clEvENKUlvE3_clEvEUlssE_St5arrayIPcLm3EEEEviT0_T1_: ; @_ZN2at6native29vectorized_elementwise_kernelILi2EZZZNS0_15lcm_kernel_cudaERNS_18TensorIteratorBaseEENKUlvE_clEvENKUlvE3_clEvEUlssE_St5arrayIPcLm3EEEEviT0_T1_
; %bb.0:
	s_clause 0x2
	s_load_b32 s3, s[0:1], 0x0
	s_load_b128 s[4:7], s[0:1], 0x8
	s_load_b64 s[8:9], s[0:1], 0x18
	s_wait_xcnt 0x0
	s_bfe_u32 s0, ttmp6, 0x4000c
	s_and_b32 s1, ttmp6, 15
	s_add_co_i32 s0, s0, 1
	s_getreg_b32 s2, hwreg(HW_REG_IB_STS2, 6, 4)
	s_mul_i32 s0, ttmp9, s0
	s_delay_alu instid0(SALU_CYCLE_1) | instskip(SKIP_2) | instid1(SALU_CYCLE_1)
	s_add_co_i32 s1, s1, s0
	s_cmp_eq_u32 s2, 0
	s_cselect_b32 s0, ttmp9, s1
	s_lshl_b32 s2, s0, 11
	s_mov_b32 s0, -1
	s_wait_kmcnt 0x0
	s_sub_co_i32 s10, s3, s2
	s_delay_alu instid0(SALU_CYCLE_1)
	s_cmp_gt_i32 s10, 0x7ff
	s_cbranch_scc0 .LBB75_50
; %bb.1:
	s_ashr_i32 s3, s2, 31
	s_delay_alu instid0(SALU_CYCLE_1)
	s_lshl_b64 s[0:1], s[2:3], 1
	s_mov_b32 s3, exec_lo
	s_add_nc_u64 s[12:13], s[8:9], s[0:1]
	s_add_nc_u64 s[14:15], s[6:7], s[0:1]
	s_clause 0x7
	global_load_b32 v7, v0, s[12:13] scale_offset
	global_load_b32 v8, v0, s[14:15] scale_offset
	global_load_b32 v10, v0, s[14:15] offset:1024 scale_offset
	global_load_b32 v6, v0, s[14:15] offset:2048 scale_offset
	;; [unrolled: 1-line block ×6, first 2 shown]
	s_wait_loadcnt 0x7
	v_sub_nc_u16 v3, 0, v7
	s_delay_alu instid0(VALU_DEP_1)
	v_max_i16 v4, v7, v3
	s_wait_loadcnt 0x6
	s_wait_xcnt 0x0
	v_cmpx_ne_u16_e32 0, v8
	s_cbranch_execz .LBB75_5
; %bb.2:
	v_sub_nc_u16 v3, 0, v8
	s_mov_b32 s11, 0
	s_delay_alu instid0(VALU_DEP_1) | instskip(SKIP_1) | instid1(VALU_DEP_2)
	v_max_i16 v11, v8, v3
	v_and_b32_e32 v3, 0xffff, v4
	v_and_b32_e32 v11, 0xffff, v11
.LBB75_3:                               ; =>This Inner Loop Header: Depth=1
	s_delay_alu instid0(VALU_DEP_1) | instskip(NEXT) | instid1(VALU_DEP_2)
	v_bfe_i32 v13, v3, 0, 16
	v_mov_b32_e32 v4, v11
	s_delay_alu instid0(VALU_DEP_2) | instskip(NEXT) | instid1(VALU_DEP_2)
	v_cvt_f32_i32_e32 v15, v13
	v_bfe_i32 v11, v4, 0, 16
	s_delay_alu instid0(VALU_DEP_1) | instskip(SKIP_1) | instid1(VALU_DEP_2)
	v_cvt_f32_i32_e32 v12, v11
	v_xor_b32_e32 v11, v13, v11
	v_rcp_iflag_f32_e32 v14, v12
	v_nop
	s_delay_alu instid0(TRANS32_DEP_1) | instskip(NEXT) | instid1(VALU_DEP_1)
	v_dual_ashrrev_i32 v11, 30, v11 :: v_dual_mul_f32 v13, v15, v14
	v_trunc_f32_e32 v13, v13
	s_delay_alu instid0(VALU_DEP_1) | instskip(SKIP_1) | instid1(VALU_DEP_2)
	v_dual_fma_f32 v14, -v13, v12, v15 :: v_dual_bitop2_b32 v11, 1, v11 bitop3:0x54
	v_cvt_i32_f32_e32 v13, v13
	v_cmp_ge_f32_e64 vcc_lo, |v14|, |v12|
	s_delay_alu instid0(VALU_DEP_3) | instskip(NEXT) | instid1(VALU_DEP_1)
	v_cndmask_b32_e32 v11, 0, v11, vcc_lo
	v_add_nc_u32_e32 v11, v13, v11
	s_delay_alu instid0(VALU_DEP_1) | instskip(NEXT) | instid1(VALU_DEP_1)
	v_mul_lo_u32 v11, v11, v4
	v_sub_nc_u32_e32 v11, v3, v11
	s_delay_alu instid0(VALU_DEP_1) | instskip(SKIP_1) | instid1(VALU_DEP_2)
	v_and_b32_e32 v3, 0xffff, v11
	v_bfe_i32 v11, v11, 0, 16
	v_cmp_eq_u32_e32 vcc_lo, 0, v3
	v_mov_b32_e32 v3, v4
	s_or_b32 s11, vcc_lo, s11
	s_delay_alu instid0(SALU_CYCLE_1)
	s_and_not1_b32 exec_lo, exec_lo, s11
	s_cbranch_execnz .LBB75_3
; %bb.4:
	s_or_b32 exec_lo, exec_lo, s11
.LBB75_5:
	s_delay_alu instid0(SALU_CYCLE_1)
	s_or_b32 exec_lo, exec_lo, s3
	v_mov_b32_e32 v3, 0
	s_mov_b32 s3, exec_lo
	v_cmpx_ne_u16_e32 0, v4
	s_cbranch_execz .LBB75_7
; %bb.6:
	v_bfe_i32 v3, v4, 0, 16
	v_bfe_i32 v11, v8, 0, 16
	s_delay_alu instid0(VALU_DEP_2) | instskip(NEXT) | instid1(VALU_DEP_2)
	v_cvt_f32_i32_e32 v4, v3
	v_cvt_f32_i32_e32 v13, v11
	v_xor_b32_e32 v3, v11, v3
	s_delay_alu instid0(VALU_DEP_3) | instskip(SKIP_1) | instid1(TRANS32_DEP_1)
	v_rcp_iflag_f32_e32 v12, v4
	v_nop
	v_mul_f32_e32 v12, v13, v12
	s_delay_alu instid0(VALU_DEP_1) | instskip(NEXT) | instid1(VALU_DEP_1)
	v_trunc_f32_e32 v11, v12
	v_dual_ashrrev_i32 v3, 30, v3 :: v_dual_fma_f32 v12, -v11, v4, v13
	s_delay_alu instid0(VALU_DEP_1) | instskip(SKIP_1) | instid1(VALU_DEP_3)
	v_or_b32_e32 v3, 1, v3
	v_cvt_i32_f32_e32 v11, v11
	v_cmp_ge_f32_e64 vcc_lo, |v12|, |v4|
	v_bfe_i32 v4, v7, 0, 16
	s_delay_alu instid0(VALU_DEP_4) | instskip(NEXT) | instid1(VALU_DEP_1)
	v_cndmask_b32_e32 v3, 0, v3, vcc_lo
	v_add_nc_u32_e32 v3, v11, v3
	s_delay_alu instid0(VALU_DEP_1) | instskip(NEXT) | instid1(VALU_DEP_1)
	v_bfe_i32 v3, v3, 0, 16
	v_mul_i32_i24_e32 v3, v3, v4
	s_delay_alu instid0(VALU_DEP_1) | instskip(NEXT) | instid1(VALU_DEP_1)
	v_sub_nc_u32_e32 v4, 0, v3
	v_max_i32_e32 v3, v3, v4
.LBB75_7:
	s_or_b32 exec_lo, exec_lo, s3
	v_lshrrev_b32_e32 v4, 16, v7
	s_mov_b32 s11, 0
	s_mov_b32 s3, exec_lo
	s_delay_alu instid0(VALU_DEP_1) | instskip(NEXT) | instid1(VALU_DEP_1)
	v_sub_nc_u16 v11, 0, v4
	v_max_i16 v11, v4, v11
	v_cmpx_lt_u32_e32 0xffff, v8
	s_cbranch_execz .LBB75_11
; %bb.8:
	v_lshrrev_b32_e32 v4, 16, v8
	s_delay_alu instid0(VALU_DEP_1) | instskip(NEXT) | instid1(VALU_DEP_1)
	v_sub_nc_u16 v12, 0, v4
	v_max_i16 v12, v4, v12
	v_and_b32_e32 v4, 0xffff, v11
	s_delay_alu instid0(VALU_DEP_2)
	v_and_b32_e32 v12, 0xffff, v12
.LBB75_9:                               ; =>This Inner Loop Header: Depth=1
	s_delay_alu instid0(VALU_DEP_1) | instskip(NEXT) | instid1(VALU_DEP_2)
	v_bfe_i32 v14, v4, 0, 16
	v_mov_b32_e32 v11, v12
	s_delay_alu instid0(VALU_DEP_2) | instskip(NEXT) | instid1(VALU_DEP_2)
	v_cvt_f32_i32_e32 v16, v14
	v_bfe_i32 v12, v11, 0, 16
	s_delay_alu instid0(VALU_DEP_1) | instskip(SKIP_1) | instid1(VALU_DEP_2)
	v_cvt_f32_i32_e32 v13, v12
	v_xor_b32_e32 v12, v14, v12
	v_rcp_iflag_f32_e32 v15, v13
	v_nop
	s_delay_alu instid0(TRANS32_DEP_1) | instskip(NEXT) | instid1(VALU_DEP_1)
	v_dual_ashrrev_i32 v12, 30, v12 :: v_dual_mul_f32 v14, v16, v15
	v_trunc_f32_e32 v14, v14
	s_delay_alu instid0(VALU_DEP_1) | instskip(SKIP_1) | instid1(VALU_DEP_2)
	v_dual_fma_f32 v15, -v14, v13, v16 :: v_dual_bitop2_b32 v12, 1, v12 bitop3:0x54
	v_cvt_i32_f32_e32 v14, v14
	v_cmp_ge_f32_e64 vcc_lo, |v15|, |v13|
	s_delay_alu instid0(VALU_DEP_3) | instskip(NEXT) | instid1(VALU_DEP_1)
	v_cndmask_b32_e32 v12, 0, v12, vcc_lo
	v_add_nc_u32_e32 v12, v14, v12
	s_delay_alu instid0(VALU_DEP_1) | instskip(NEXT) | instid1(VALU_DEP_1)
	v_mul_lo_u32 v12, v12, v11
	v_sub_nc_u32_e32 v12, v4, v12
	s_delay_alu instid0(VALU_DEP_1) | instskip(SKIP_1) | instid1(VALU_DEP_2)
	v_and_b32_e32 v4, 0xffff, v12
	v_bfe_i32 v12, v12, 0, 16
	v_cmp_eq_u32_e32 vcc_lo, 0, v4
	v_mov_b32_e32 v4, v11
	s_or_b32 s11, vcc_lo, s11
	s_delay_alu instid0(SALU_CYCLE_1)
	s_and_not1_b32 exec_lo, exec_lo, s11
	s_cbranch_execnz .LBB75_9
; %bb.10:
	s_or_b32 exec_lo, exec_lo, s11
.LBB75_11:
	s_delay_alu instid0(SALU_CYCLE_1)
	s_or_b32 exec_lo, exec_lo, s3
	v_mov_b32_e32 v4, 0
	s_mov_b32 s3, exec_lo
	v_cmpx_ne_u16_e32 0, v11
	s_cbranch_execz .LBB75_13
; %bb.12:
	v_bfe_i32 v4, v11, 0, 16
	v_dual_ashrrev_i32 v8, 16, v8 :: v_dual_ashrrev_i32 v7, 16, v7
	s_delay_alu instid0(VALU_DEP_2) | instskip(NEXT) | instid1(VALU_DEP_2)
	v_cvt_f32_i32_e32 v11, v4
	v_cvt_f32_i32_e32 v13, v8
	v_xor_b32_e32 v4, v8, v4
	s_delay_alu instid0(VALU_DEP_3) | instskip(SKIP_1) | instid1(TRANS32_DEP_1)
	v_rcp_iflag_f32_e32 v12, v11
	v_nop
	v_mul_f32_e32 v12, v13, v12
	s_delay_alu instid0(VALU_DEP_1) | instskip(NEXT) | instid1(VALU_DEP_1)
	v_trunc_f32_e32 v8, v12
	v_dual_fma_f32 v12, -v8, v11, v13 :: v_dual_ashrrev_i32 v4, 30, v4
	v_cvt_i32_f32_e32 v8, v8
	s_delay_alu instid0(VALU_DEP_2) | instskip(NEXT) | instid1(VALU_DEP_3)
	v_cmp_ge_f32_e64 vcc_lo, |v12|, |v11|
	v_or_b32_e32 v4, 1, v4
	s_delay_alu instid0(VALU_DEP_1) | instskip(NEXT) | instid1(VALU_DEP_1)
	v_cndmask_b32_e32 v4, 0, v4, vcc_lo
	v_add_nc_u32_e32 v4, v8, v4
	s_delay_alu instid0(VALU_DEP_1) | instskip(NEXT) | instid1(VALU_DEP_1)
	v_bfe_i32 v4, v4, 0, 16
	v_mul_i32_i24_e32 v4, v4, v7
	s_delay_alu instid0(VALU_DEP_1) | instskip(NEXT) | instid1(VALU_DEP_1)
	v_sub_nc_u32_e32 v7, 0, v4
	v_max_i32_e32 v4, v4, v7
.LBB75_13:
	s_or_b32 exec_lo, exec_lo, s3
	s_wait_loadcnt 0x2
	v_sub_nc_u16 v7, 0, v9
	s_mov_b32 s11, 0
	s_mov_b32 s3, exec_lo
	s_delay_alu instid0(VALU_DEP_1)
	v_max_i16 v8, v9, v7
	v_cmpx_ne_u16_e32 0, v10
	s_cbranch_execz .LBB75_17
; %bb.14:
	v_sub_nc_u16 v7, 0, v10
	s_delay_alu instid0(VALU_DEP_1) | instskip(SKIP_1) | instid1(VALU_DEP_2)
	v_max_i16 v11, v10, v7
	v_and_b32_e32 v7, 0xffff, v8
	v_and_b32_e32 v11, 0xffff, v11
.LBB75_15:                              ; =>This Inner Loop Header: Depth=1
	s_delay_alu instid0(VALU_DEP_1) | instskip(NEXT) | instid1(VALU_DEP_2)
	v_bfe_i32 v13, v7, 0, 16
	v_mov_b32_e32 v8, v11
	s_delay_alu instid0(VALU_DEP_2) | instskip(NEXT) | instid1(VALU_DEP_2)
	v_cvt_f32_i32_e32 v15, v13
	v_bfe_i32 v11, v8, 0, 16
	s_delay_alu instid0(VALU_DEP_1) | instskip(SKIP_1) | instid1(VALU_DEP_2)
	v_cvt_f32_i32_e32 v12, v11
	v_xor_b32_e32 v11, v13, v11
	v_rcp_iflag_f32_e32 v14, v12
	v_nop
	s_delay_alu instid0(TRANS32_DEP_1) | instskip(NEXT) | instid1(VALU_DEP_1)
	v_dual_ashrrev_i32 v11, 30, v11 :: v_dual_mul_f32 v13, v15, v14
	v_trunc_f32_e32 v13, v13
	s_delay_alu instid0(VALU_DEP_1) | instskip(SKIP_1) | instid1(VALU_DEP_2)
	v_dual_fma_f32 v14, -v13, v12, v15 :: v_dual_bitop2_b32 v11, 1, v11 bitop3:0x54
	v_cvt_i32_f32_e32 v13, v13
	v_cmp_ge_f32_e64 vcc_lo, |v14|, |v12|
	s_delay_alu instid0(VALU_DEP_3) | instskip(NEXT) | instid1(VALU_DEP_1)
	v_cndmask_b32_e32 v11, 0, v11, vcc_lo
	v_add_nc_u32_e32 v11, v13, v11
	s_delay_alu instid0(VALU_DEP_1) | instskip(NEXT) | instid1(VALU_DEP_1)
	v_mul_lo_u32 v11, v11, v8
	v_sub_nc_u32_e32 v11, v7, v11
	s_delay_alu instid0(VALU_DEP_1) | instskip(SKIP_1) | instid1(VALU_DEP_2)
	v_and_b32_e32 v7, 0xffff, v11
	v_bfe_i32 v11, v11, 0, 16
	v_cmp_eq_u32_e32 vcc_lo, 0, v7
	v_mov_b32_e32 v7, v8
	s_or_b32 s11, vcc_lo, s11
	s_delay_alu instid0(SALU_CYCLE_1)
	s_and_not1_b32 exec_lo, exec_lo, s11
	s_cbranch_execnz .LBB75_15
; %bb.16:
	s_or_b32 exec_lo, exec_lo, s11
.LBB75_17:
	s_delay_alu instid0(SALU_CYCLE_1)
	s_or_b32 exec_lo, exec_lo, s3
	v_mov_b32_e32 v7, 0
	s_mov_b32 s3, exec_lo
	v_cmpx_ne_u16_e32 0, v8
	s_cbranch_execz .LBB75_19
; %bb.18:
	v_bfe_i32 v7, v8, 0, 16
	v_bfe_i32 v11, v10, 0, 16
	s_delay_alu instid0(VALU_DEP_2) | instskip(NEXT) | instid1(VALU_DEP_2)
	v_cvt_f32_i32_e32 v8, v7
	v_cvt_f32_i32_e32 v13, v11
	v_xor_b32_e32 v7, v11, v7
	s_delay_alu instid0(VALU_DEP_3) | instskip(SKIP_1) | instid1(TRANS32_DEP_1)
	v_rcp_iflag_f32_e32 v12, v8
	v_nop
	v_mul_f32_e32 v12, v13, v12
	s_delay_alu instid0(VALU_DEP_1) | instskip(NEXT) | instid1(VALU_DEP_1)
	v_trunc_f32_e32 v11, v12
	v_dual_ashrrev_i32 v7, 30, v7 :: v_dual_fma_f32 v12, -v11, v8, v13
	s_delay_alu instid0(VALU_DEP_1) | instskip(SKIP_1) | instid1(VALU_DEP_3)
	v_or_b32_e32 v7, 1, v7
	v_cvt_i32_f32_e32 v11, v11
	v_cmp_ge_f32_e64 vcc_lo, |v12|, |v8|
	v_bfe_i32 v8, v9, 0, 16
	s_delay_alu instid0(VALU_DEP_4) | instskip(NEXT) | instid1(VALU_DEP_1)
	v_cndmask_b32_e32 v7, 0, v7, vcc_lo
	v_add_nc_u32_e32 v7, v11, v7
	s_delay_alu instid0(VALU_DEP_1) | instskip(NEXT) | instid1(VALU_DEP_1)
	v_bfe_i32 v7, v7, 0, 16
	v_mul_i32_i24_e32 v7, v7, v8
	s_delay_alu instid0(VALU_DEP_1) | instskip(NEXT) | instid1(VALU_DEP_1)
	v_sub_nc_u32_e32 v8, 0, v7
	v_max_i32_e32 v7, v7, v8
.LBB75_19:
	s_or_b32 exec_lo, exec_lo, s3
	v_lshrrev_b32_e32 v8, 16, v9
	s_mov_b32 s11, 0
	s_mov_b32 s3, exec_lo
	s_delay_alu instid0(VALU_DEP_1) | instskip(NEXT) | instid1(VALU_DEP_1)
	v_sub_nc_u16 v11, 0, v8
	v_max_i16 v11, v8, v11
	v_cmpx_lt_u32_e32 0xffff, v10
	s_cbranch_execz .LBB75_23
; %bb.20:
	v_lshrrev_b32_e32 v8, 16, v10
	s_delay_alu instid0(VALU_DEP_1) | instskip(NEXT) | instid1(VALU_DEP_1)
	v_sub_nc_u16 v12, 0, v8
	v_max_i16 v12, v8, v12
	v_and_b32_e32 v8, 0xffff, v11
	s_delay_alu instid0(VALU_DEP_2)
	v_and_b32_e32 v12, 0xffff, v12
.LBB75_21:                              ; =>This Inner Loop Header: Depth=1
	s_delay_alu instid0(VALU_DEP_1) | instskip(NEXT) | instid1(VALU_DEP_2)
	v_bfe_i32 v14, v8, 0, 16
	v_mov_b32_e32 v11, v12
	s_delay_alu instid0(VALU_DEP_2) | instskip(NEXT) | instid1(VALU_DEP_2)
	v_cvt_f32_i32_e32 v16, v14
	v_bfe_i32 v12, v11, 0, 16
	s_delay_alu instid0(VALU_DEP_1) | instskip(SKIP_1) | instid1(VALU_DEP_2)
	v_cvt_f32_i32_e32 v13, v12
	v_xor_b32_e32 v12, v14, v12
	v_rcp_iflag_f32_e32 v15, v13
	v_nop
	s_delay_alu instid0(TRANS32_DEP_1) | instskip(NEXT) | instid1(VALU_DEP_1)
	v_dual_ashrrev_i32 v12, 30, v12 :: v_dual_mul_f32 v14, v16, v15
	v_trunc_f32_e32 v14, v14
	s_delay_alu instid0(VALU_DEP_1) | instskip(SKIP_1) | instid1(VALU_DEP_2)
	v_dual_fma_f32 v15, -v14, v13, v16 :: v_dual_bitop2_b32 v12, 1, v12 bitop3:0x54
	v_cvt_i32_f32_e32 v14, v14
	v_cmp_ge_f32_e64 vcc_lo, |v15|, |v13|
	s_delay_alu instid0(VALU_DEP_3) | instskip(NEXT) | instid1(VALU_DEP_1)
	v_cndmask_b32_e32 v12, 0, v12, vcc_lo
	v_add_nc_u32_e32 v12, v14, v12
	s_delay_alu instid0(VALU_DEP_1) | instskip(NEXT) | instid1(VALU_DEP_1)
	v_mul_lo_u32 v12, v12, v11
	v_sub_nc_u32_e32 v12, v8, v12
	s_delay_alu instid0(VALU_DEP_1) | instskip(SKIP_1) | instid1(VALU_DEP_2)
	v_and_b32_e32 v8, 0xffff, v12
	v_bfe_i32 v12, v12, 0, 16
	v_cmp_eq_u32_e32 vcc_lo, 0, v8
	v_mov_b32_e32 v8, v11
	s_or_b32 s11, vcc_lo, s11
	s_delay_alu instid0(SALU_CYCLE_1)
	s_and_not1_b32 exec_lo, exec_lo, s11
	s_cbranch_execnz .LBB75_21
; %bb.22:
	s_or_b32 exec_lo, exec_lo, s11
.LBB75_23:
	s_delay_alu instid0(SALU_CYCLE_1)
	s_or_b32 exec_lo, exec_lo, s3
	v_mov_b32_e32 v8, 0
	s_mov_b32 s3, exec_lo
	v_cmpx_ne_u16_e32 0, v11
	s_cbranch_execz .LBB75_25
; %bb.24:
	v_bfe_i32 v8, v11, 0, 16
	v_ashrrev_i32_e32 v9, 16, v9
	s_delay_alu instid0(VALU_DEP_2) | instskip(NEXT) | instid1(VALU_DEP_1)
	v_cvt_f32_i32_e32 v11, v8
	v_rcp_iflag_f32_e32 v12, v11
	v_ashrrev_i32_e32 v10, 16, v10
	s_delay_alu instid0(VALU_DEP_1)
	v_cvt_f32_i32_e32 v13, v10
	s_delay_alu instid0(TRANS32_DEP_1) | instid1(VALU_DEP_1)
	v_mul_f32_e32 v12, v13, v12
	v_xor_b32_e32 v8, v10, v8
	s_delay_alu instid0(VALU_DEP_2) | instskip(NEXT) | instid1(VALU_DEP_1)
	v_trunc_f32_e32 v10, v12
	v_dual_fma_f32 v12, -v10, v11, v13 :: v_dual_ashrrev_i32 v8, 30, v8
	v_cvt_i32_f32_e32 v10, v10
	s_delay_alu instid0(VALU_DEP_2) | instskip(NEXT) | instid1(VALU_DEP_3)
	v_cmp_ge_f32_e64 vcc_lo, |v12|, |v11|
	v_or_b32_e32 v8, 1, v8
	s_delay_alu instid0(VALU_DEP_1) | instskip(NEXT) | instid1(VALU_DEP_1)
	v_cndmask_b32_e32 v8, 0, v8, vcc_lo
	v_add_nc_u32_e32 v8, v10, v8
	s_delay_alu instid0(VALU_DEP_1) | instskip(NEXT) | instid1(VALU_DEP_1)
	v_bfe_i32 v8, v8, 0, 16
	v_mul_i32_i24_e32 v8, v8, v9
	s_delay_alu instid0(VALU_DEP_1) | instskip(NEXT) | instid1(VALU_DEP_1)
	v_sub_nc_u32_e32 v9, 0, v8
	v_max_i32_e32 v8, v8, v9
.LBB75_25:
	s_or_b32 exec_lo, exec_lo, s3
	s_wait_loadcnt 0x1
	v_sub_nc_u16 v9, 0, v5
	s_mov_b32 s11, 0
	s_mov_b32 s3, exec_lo
	s_delay_alu instid0(VALU_DEP_1)
	v_max_i16 v10, v5, v9
	v_cmpx_ne_u16_e32 0, v6
	s_cbranch_execz .LBB75_29
; %bb.26:
	v_sub_nc_u16 v9, 0, v6
	s_delay_alu instid0(VALU_DEP_1) | instskip(SKIP_1) | instid1(VALU_DEP_2)
	v_max_i16 v11, v6, v9
	v_and_b32_e32 v9, 0xffff, v10
	v_and_b32_e32 v11, 0xffff, v11
.LBB75_27:                              ; =>This Inner Loop Header: Depth=1
	s_delay_alu instid0(VALU_DEP_1) | instskip(NEXT) | instid1(VALU_DEP_2)
	v_bfe_i32 v13, v9, 0, 16
	v_mov_b32_e32 v10, v11
	s_delay_alu instid0(VALU_DEP_2) | instskip(NEXT) | instid1(VALU_DEP_2)
	v_cvt_f32_i32_e32 v15, v13
	v_bfe_i32 v11, v10, 0, 16
	s_delay_alu instid0(VALU_DEP_1) | instskip(SKIP_1) | instid1(VALU_DEP_2)
	v_cvt_f32_i32_e32 v12, v11
	v_xor_b32_e32 v11, v13, v11
	v_rcp_iflag_f32_e32 v14, v12
	v_nop
	s_delay_alu instid0(TRANS32_DEP_1) | instskip(NEXT) | instid1(VALU_DEP_1)
	v_dual_ashrrev_i32 v11, 30, v11 :: v_dual_mul_f32 v13, v15, v14
	v_trunc_f32_e32 v13, v13
	s_delay_alu instid0(VALU_DEP_1) | instskip(SKIP_1) | instid1(VALU_DEP_2)
	v_dual_fma_f32 v14, -v13, v12, v15 :: v_dual_bitop2_b32 v11, 1, v11 bitop3:0x54
	v_cvt_i32_f32_e32 v13, v13
	v_cmp_ge_f32_e64 vcc_lo, |v14|, |v12|
	s_delay_alu instid0(VALU_DEP_3) | instskip(NEXT) | instid1(VALU_DEP_1)
	v_cndmask_b32_e32 v11, 0, v11, vcc_lo
	v_add_nc_u32_e32 v11, v13, v11
	s_delay_alu instid0(VALU_DEP_1) | instskip(NEXT) | instid1(VALU_DEP_1)
	v_mul_lo_u32 v11, v11, v10
	v_sub_nc_u32_e32 v11, v9, v11
	s_delay_alu instid0(VALU_DEP_1) | instskip(SKIP_1) | instid1(VALU_DEP_2)
	v_and_b32_e32 v9, 0xffff, v11
	v_bfe_i32 v11, v11, 0, 16
	v_cmp_eq_u32_e32 vcc_lo, 0, v9
	v_mov_b32_e32 v9, v10
	s_or_b32 s11, vcc_lo, s11
	s_delay_alu instid0(SALU_CYCLE_1)
	s_and_not1_b32 exec_lo, exec_lo, s11
	s_cbranch_execnz .LBB75_27
; %bb.28:
	s_or_b32 exec_lo, exec_lo, s11
.LBB75_29:
	s_delay_alu instid0(SALU_CYCLE_1)
	s_or_b32 exec_lo, exec_lo, s3
	v_mov_b32_e32 v9, 0
	s_mov_b32 s3, exec_lo
	v_cmpx_ne_u16_e32 0, v10
	s_cbranch_execz .LBB75_31
; %bb.30:
	v_bfe_i32 v9, v10, 0, 16
	v_bfe_i32 v11, v6, 0, 16
	s_delay_alu instid0(VALU_DEP_2) | instskip(NEXT) | instid1(VALU_DEP_2)
	v_cvt_f32_i32_e32 v10, v9
	v_cvt_f32_i32_e32 v13, v11
	v_xor_b32_e32 v9, v11, v9
	s_delay_alu instid0(VALU_DEP_3) | instskip(SKIP_1) | instid1(TRANS32_DEP_1)
	v_rcp_iflag_f32_e32 v12, v10
	v_nop
	v_mul_f32_e32 v12, v13, v12
	s_delay_alu instid0(VALU_DEP_1) | instskip(NEXT) | instid1(VALU_DEP_1)
	v_trunc_f32_e32 v11, v12
	v_dual_ashrrev_i32 v9, 30, v9 :: v_dual_fma_f32 v12, -v11, v10, v13
	s_delay_alu instid0(VALU_DEP_1) | instskip(SKIP_1) | instid1(VALU_DEP_3)
	v_or_b32_e32 v9, 1, v9
	v_cvt_i32_f32_e32 v11, v11
	v_cmp_ge_f32_e64 vcc_lo, |v12|, |v10|
	v_bfe_i32 v10, v5, 0, 16
	s_delay_alu instid0(VALU_DEP_4) | instskip(NEXT) | instid1(VALU_DEP_1)
	v_cndmask_b32_e32 v9, 0, v9, vcc_lo
	v_add_nc_u32_e32 v9, v11, v9
	s_delay_alu instid0(VALU_DEP_1) | instskip(NEXT) | instid1(VALU_DEP_1)
	v_bfe_i32 v9, v9, 0, 16
	v_mul_i32_i24_e32 v9, v9, v10
	s_delay_alu instid0(VALU_DEP_1) | instskip(NEXT) | instid1(VALU_DEP_1)
	v_sub_nc_u32_e32 v10, 0, v9
	v_max_i32_e32 v9, v9, v10
.LBB75_31:
	s_or_b32 exec_lo, exec_lo, s3
	v_lshrrev_b32_e32 v10, 16, v5
	s_mov_b32 s11, 0
	s_mov_b32 s3, exec_lo
	s_delay_alu instid0(VALU_DEP_1) | instskip(NEXT) | instid1(VALU_DEP_1)
	v_sub_nc_u16 v11, 0, v10
	v_max_i16 v11, v10, v11
	v_cmpx_lt_u32_e32 0xffff, v6
	s_cbranch_execz .LBB75_35
; %bb.32:
	v_lshrrev_b32_e32 v10, 16, v6
	s_delay_alu instid0(VALU_DEP_1) | instskip(NEXT) | instid1(VALU_DEP_1)
	v_sub_nc_u16 v12, 0, v10
	v_max_i16 v12, v10, v12
	v_and_b32_e32 v10, 0xffff, v11
	s_delay_alu instid0(VALU_DEP_2)
	v_and_b32_e32 v12, 0xffff, v12
.LBB75_33:                              ; =>This Inner Loop Header: Depth=1
	s_delay_alu instid0(VALU_DEP_1) | instskip(NEXT) | instid1(VALU_DEP_2)
	v_bfe_i32 v14, v10, 0, 16
	v_mov_b32_e32 v11, v12
	s_delay_alu instid0(VALU_DEP_2) | instskip(NEXT) | instid1(VALU_DEP_2)
	v_cvt_f32_i32_e32 v16, v14
	v_bfe_i32 v12, v11, 0, 16
	s_delay_alu instid0(VALU_DEP_1) | instskip(SKIP_1) | instid1(VALU_DEP_2)
	v_cvt_f32_i32_e32 v13, v12
	v_xor_b32_e32 v12, v14, v12
	v_rcp_iflag_f32_e32 v15, v13
	v_nop
	s_delay_alu instid0(TRANS32_DEP_1) | instskip(NEXT) | instid1(VALU_DEP_1)
	v_dual_ashrrev_i32 v12, 30, v12 :: v_dual_mul_f32 v14, v16, v15
	v_trunc_f32_e32 v14, v14
	s_delay_alu instid0(VALU_DEP_1) | instskip(SKIP_1) | instid1(VALU_DEP_2)
	v_dual_fma_f32 v15, -v14, v13, v16 :: v_dual_bitop2_b32 v12, 1, v12 bitop3:0x54
	v_cvt_i32_f32_e32 v14, v14
	v_cmp_ge_f32_e64 vcc_lo, |v15|, |v13|
	s_delay_alu instid0(VALU_DEP_3) | instskip(NEXT) | instid1(VALU_DEP_1)
	v_cndmask_b32_e32 v12, 0, v12, vcc_lo
	v_add_nc_u32_e32 v12, v14, v12
	s_delay_alu instid0(VALU_DEP_1) | instskip(NEXT) | instid1(VALU_DEP_1)
	v_mul_lo_u32 v12, v12, v11
	v_sub_nc_u32_e32 v12, v10, v12
	s_delay_alu instid0(VALU_DEP_1) | instskip(SKIP_1) | instid1(VALU_DEP_2)
	v_and_b32_e32 v10, 0xffff, v12
	v_bfe_i32 v12, v12, 0, 16
	v_cmp_eq_u32_e32 vcc_lo, 0, v10
	v_mov_b32_e32 v10, v11
	s_or_b32 s11, vcc_lo, s11
	s_delay_alu instid0(SALU_CYCLE_1)
	s_and_not1_b32 exec_lo, exec_lo, s11
	s_cbranch_execnz .LBB75_33
; %bb.34:
	s_or_b32 exec_lo, exec_lo, s11
.LBB75_35:
	s_delay_alu instid0(SALU_CYCLE_1)
	s_or_b32 exec_lo, exec_lo, s3
	v_mov_b32_e32 v10, 0
	s_mov_b32 s3, exec_lo
	v_cmpx_ne_u16_e32 0, v11
	s_cbranch_execz .LBB75_37
; %bb.36:
	v_bfe_i32 v10, v11, 0, 16
	v_ashrrev_i32_e32 v5, 16, v5
	s_delay_alu instid0(VALU_DEP_2) | instskip(NEXT) | instid1(VALU_DEP_1)
	v_cvt_f32_i32_e32 v11, v10
	v_rcp_iflag_f32_e32 v12, v11
	v_ashrrev_i32_e32 v6, 16, v6
	s_delay_alu instid0(VALU_DEP_1)
	v_cvt_f32_i32_e32 v13, v6
	s_delay_alu instid0(TRANS32_DEP_1) | instid1(VALU_DEP_1)
	v_dual_mul_f32 v12, v13, v12 :: v_dual_bitop2_b32 v6, v6, v10 bitop3:0x14
	s_delay_alu instid0(VALU_DEP_1) | instskip(NEXT) | instid1(VALU_DEP_1)
	v_trunc_f32_e32 v10, v12
	v_dual_ashrrev_i32 v6, 30, v6 :: v_dual_fma_f32 v12, -v10, v11, v13
	s_delay_alu instid0(VALU_DEP_1) | instskip(SKIP_1) | instid1(VALU_DEP_3)
	v_or_b32_e32 v6, 1, v6
	v_cvt_i32_f32_e32 v10, v10
	v_cmp_ge_f32_e64 vcc_lo, |v12|, |v11|
	s_delay_alu instid0(VALU_DEP_3) | instskip(NEXT) | instid1(VALU_DEP_1)
	v_cndmask_b32_e32 v6, 0, v6, vcc_lo
	v_add_nc_u32_e32 v6, v10, v6
	s_delay_alu instid0(VALU_DEP_1) | instskip(NEXT) | instid1(VALU_DEP_1)
	v_bfe_i32 v6, v6, 0, 16
	v_mul_i32_i24_e32 v5, v6, v5
	s_delay_alu instid0(VALU_DEP_1) | instskip(NEXT) | instid1(VALU_DEP_1)
	v_sub_nc_u32_e32 v6, 0, v5
	v_max_i32_e32 v10, v5, v6
.LBB75_37:
	s_or_b32 exec_lo, exec_lo, s3
	s_wait_loadcnt 0x0
	v_sub_nc_u16 v5, 0, v1
	s_mov_b32 s11, 0
	s_mov_b32 s3, exec_lo
	s_delay_alu instid0(VALU_DEP_1)
	v_max_i16 v6, v1, v5
	v_cmpx_ne_u16_e32 0, v2
	s_cbranch_execz .LBB75_41
; %bb.38:
	v_sub_nc_u16 v5, 0, v2
	s_delay_alu instid0(VALU_DEP_1) | instskip(SKIP_1) | instid1(VALU_DEP_2)
	v_max_i16 v11, v2, v5
	v_and_b32_e32 v5, 0xffff, v6
	v_and_b32_e32 v11, 0xffff, v11
.LBB75_39:                              ; =>This Inner Loop Header: Depth=1
	s_delay_alu instid0(VALU_DEP_1) | instskip(NEXT) | instid1(VALU_DEP_2)
	v_bfe_i32 v13, v5, 0, 16
	v_mov_b32_e32 v6, v11
	s_delay_alu instid0(VALU_DEP_2) | instskip(NEXT) | instid1(VALU_DEP_2)
	v_cvt_f32_i32_e32 v15, v13
	v_bfe_i32 v11, v6, 0, 16
	s_delay_alu instid0(VALU_DEP_1) | instskip(SKIP_1) | instid1(VALU_DEP_2)
	v_cvt_f32_i32_e32 v12, v11
	v_xor_b32_e32 v11, v13, v11
	v_rcp_iflag_f32_e32 v14, v12
	v_nop
	s_delay_alu instid0(TRANS32_DEP_1) | instskip(NEXT) | instid1(VALU_DEP_1)
	v_dual_ashrrev_i32 v11, 30, v11 :: v_dual_mul_f32 v13, v15, v14
	v_trunc_f32_e32 v13, v13
	s_delay_alu instid0(VALU_DEP_1) | instskip(SKIP_1) | instid1(VALU_DEP_2)
	v_dual_fma_f32 v14, -v13, v12, v15 :: v_dual_bitop2_b32 v11, 1, v11 bitop3:0x54
	v_cvt_i32_f32_e32 v13, v13
	v_cmp_ge_f32_e64 vcc_lo, |v14|, |v12|
	s_delay_alu instid0(VALU_DEP_3) | instskip(NEXT) | instid1(VALU_DEP_1)
	v_cndmask_b32_e32 v11, 0, v11, vcc_lo
	v_add_nc_u32_e32 v11, v13, v11
	s_delay_alu instid0(VALU_DEP_1) | instskip(NEXT) | instid1(VALU_DEP_1)
	v_mul_lo_u32 v11, v11, v6
	v_sub_nc_u32_e32 v11, v5, v11
	s_delay_alu instid0(VALU_DEP_1) | instskip(SKIP_1) | instid1(VALU_DEP_2)
	v_and_b32_e32 v5, 0xffff, v11
	v_bfe_i32 v11, v11, 0, 16
	v_cmp_eq_u32_e32 vcc_lo, 0, v5
	v_mov_b32_e32 v5, v6
	s_or_b32 s11, vcc_lo, s11
	s_delay_alu instid0(SALU_CYCLE_1)
	s_and_not1_b32 exec_lo, exec_lo, s11
	s_cbranch_execnz .LBB75_39
; %bb.40:
	s_or_b32 exec_lo, exec_lo, s11
.LBB75_41:
	s_delay_alu instid0(SALU_CYCLE_1)
	s_or_b32 exec_lo, exec_lo, s3
	v_mov_b32_e32 v5, 0
	s_mov_b32 s3, exec_lo
	v_cmpx_ne_u16_e32 0, v6
	s_cbranch_execz .LBB75_43
; %bb.42:
	v_bfe_i32 v5, v6, 0, 16
	v_bfe_i32 v11, v2, 0, 16
	s_delay_alu instid0(VALU_DEP_2) | instskip(NEXT) | instid1(VALU_DEP_2)
	v_cvt_f32_i32_e32 v6, v5
	v_cvt_f32_i32_e32 v13, v11
	v_xor_b32_e32 v5, v11, v5
	s_delay_alu instid0(VALU_DEP_3) | instskip(SKIP_1) | instid1(TRANS32_DEP_1)
	v_rcp_iflag_f32_e32 v12, v6
	v_nop
	v_mul_f32_e32 v12, v13, v12
	s_delay_alu instid0(VALU_DEP_1) | instskip(NEXT) | instid1(VALU_DEP_1)
	v_trunc_f32_e32 v11, v12
	v_dual_ashrrev_i32 v5, 30, v5 :: v_dual_fma_f32 v12, -v11, v6, v13
	s_delay_alu instid0(VALU_DEP_1) | instskip(SKIP_1) | instid1(VALU_DEP_3)
	v_or_b32_e32 v5, 1, v5
	v_cvt_i32_f32_e32 v11, v11
	v_cmp_ge_f32_e64 vcc_lo, |v12|, |v6|
	v_bfe_i32 v6, v1, 0, 16
	s_delay_alu instid0(VALU_DEP_4) | instskip(NEXT) | instid1(VALU_DEP_1)
	v_cndmask_b32_e32 v5, 0, v5, vcc_lo
	v_add_nc_u32_e32 v5, v11, v5
	s_delay_alu instid0(VALU_DEP_1) | instskip(NEXT) | instid1(VALU_DEP_1)
	v_bfe_i32 v5, v5, 0, 16
	v_mul_i32_i24_e32 v5, v5, v6
	s_delay_alu instid0(VALU_DEP_1) | instskip(NEXT) | instid1(VALU_DEP_1)
	v_sub_nc_u32_e32 v6, 0, v5
	v_max_i32_e32 v5, v5, v6
.LBB75_43:
	s_or_b32 exec_lo, exec_lo, s3
	v_lshrrev_b32_e32 v6, 16, v1
	s_mov_b32 s11, 0
	s_mov_b32 s3, exec_lo
	s_delay_alu instid0(VALU_DEP_1) | instskip(NEXT) | instid1(VALU_DEP_1)
	v_sub_nc_u16 v11, 0, v6
	v_max_i16 v6, v6, v11
	v_cmpx_lt_u32_e32 0xffff, v2
	s_cbranch_execz .LBB75_47
; %bb.44:
	v_lshrrev_b32_e32 v11, 16, v2
	s_delay_alu instid0(VALU_DEP_1) | instskip(NEXT) | instid1(VALU_DEP_1)
	v_sub_nc_u16 v12, 0, v11
	v_max_i16 v12, v11, v12
	v_and_b32_e32 v11, 0xffff, v6
	s_delay_alu instid0(VALU_DEP_2)
	v_and_b32_e32 v12, 0xffff, v12
.LBB75_45:                              ; =>This Inner Loop Header: Depth=1
	s_delay_alu instid0(VALU_DEP_1) | instskip(NEXT) | instid1(VALU_DEP_2)
	v_bfe_i32 v14, v11, 0, 16
	v_mov_b32_e32 v6, v12
	s_delay_alu instid0(VALU_DEP_2) | instskip(NEXT) | instid1(VALU_DEP_2)
	v_cvt_f32_i32_e32 v16, v14
	v_bfe_i32 v12, v6, 0, 16
	s_delay_alu instid0(VALU_DEP_1) | instskip(SKIP_1) | instid1(VALU_DEP_2)
	v_cvt_f32_i32_e32 v13, v12
	v_xor_b32_e32 v12, v14, v12
	v_rcp_iflag_f32_e32 v15, v13
	v_nop
	s_delay_alu instid0(TRANS32_DEP_1) | instskip(NEXT) | instid1(VALU_DEP_1)
	v_dual_ashrrev_i32 v12, 30, v12 :: v_dual_mul_f32 v14, v16, v15
	v_trunc_f32_e32 v14, v14
	s_delay_alu instid0(VALU_DEP_1) | instskip(SKIP_1) | instid1(VALU_DEP_2)
	v_dual_fma_f32 v15, -v14, v13, v16 :: v_dual_bitop2_b32 v12, 1, v12 bitop3:0x54
	v_cvt_i32_f32_e32 v14, v14
	v_cmp_ge_f32_e64 vcc_lo, |v15|, |v13|
	s_delay_alu instid0(VALU_DEP_3) | instskip(NEXT) | instid1(VALU_DEP_1)
	v_cndmask_b32_e32 v12, 0, v12, vcc_lo
	v_add_nc_u32_e32 v12, v14, v12
	s_delay_alu instid0(VALU_DEP_1) | instskip(NEXT) | instid1(VALU_DEP_1)
	v_mul_lo_u32 v12, v12, v6
	v_sub_nc_u32_e32 v12, v11, v12
	s_delay_alu instid0(VALU_DEP_1) | instskip(SKIP_1) | instid1(VALU_DEP_2)
	v_and_b32_e32 v11, 0xffff, v12
	v_bfe_i32 v12, v12, 0, 16
	v_cmp_eq_u32_e32 vcc_lo, 0, v11
	v_mov_b32_e32 v11, v6
	s_or_b32 s11, vcc_lo, s11
	s_delay_alu instid0(SALU_CYCLE_1)
	s_and_not1_b32 exec_lo, exec_lo, s11
	s_cbranch_execnz .LBB75_45
; %bb.46:
	s_or_b32 exec_lo, exec_lo, s11
.LBB75_47:
	s_delay_alu instid0(SALU_CYCLE_1)
	s_or_b32 exec_lo, exec_lo, s3
	v_mov_b32_e32 v11, 0
	s_mov_b32 s3, exec_lo
	v_cmpx_ne_u16_e32 0, v6
	s_cbranch_execz .LBB75_49
; %bb.48:
	v_bfe_i32 v6, v6, 0, 16
	v_ashrrev_i32_e32 v1, 16, v1
	s_delay_alu instid0(VALU_DEP_2) | instskip(NEXT) | instid1(VALU_DEP_1)
	v_cvt_f32_i32_e32 v11, v6
	v_rcp_iflag_f32_e32 v12, v11
	v_ashrrev_i32_e32 v2, 16, v2
	s_delay_alu instid0(VALU_DEP_1)
	v_cvt_f32_i32_e32 v13, v2
	s_delay_alu instid0(TRANS32_DEP_1) | instid1(VALU_DEP_1)
	v_dual_mul_f32 v12, v13, v12 :: v_dual_bitop2_b32 v2, v2, v6 bitop3:0x14
	s_delay_alu instid0(VALU_DEP_1) | instskip(NEXT) | instid1(VALU_DEP_1)
	v_trunc_f32_e32 v6, v12
	v_dual_ashrrev_i32 v2, 30, v2 :: v_dual_fma_f32 v12, -v6, v11, v13
	s_delay_alu instid0(VALU_DEP_1) | instskip(SKIP_1) | instid1(VALU_DEP_3)
	v_or_b32_e32 v2, 1, v2
	v_cvt_i32_f32_e32 v6, v6
	v_cmp_ge_f32_e64 vcc_lo, |v12|, |v11|
	s_delay_alu instid0(VALU_DEP_3) | instskip(NEXT) | instid1(VALU_DEP_1)
	v_cndmask_b32_e32 v2, 0, v2, vcc_lo
	v_add_nc_u32_e32 v2, v6, v2
	s_delay_alu instid0(VALU_DEP_1) | instskip(NEXT) | instid1(VALU_DEP_1)
	v_bfe_i32 v2, v2, 0, 16
	v_mul_i32_i24_e32 v1, v2, v1
	s_delay_alu instid0(VALU_DEP_1) | instskip(NEXT) | instid1(VALU_DEP_1)
	v_sub_nc_u32_e32 v2, 0, v1
	v_max_i32_e32 v11, v1, v2
.LBB75_49:
	s_or_b32 exec_lo, exec_lo, s3
	v_perm_b32 v2, v4, v3, 0x5040100
	v_perm_b32 v3, v8, v7, 0x5040100
	;; [unrolled: 1-line block ×4, first 2 shown]
	s_add_nc_u64 s[12:13], s[4:5], s[0:1]
	s_mov_b32 s0, 0
	s_clause 0x3
	global_store_b32 v0, v2, s[12:13] scale_offset
	global_store_b32 v0, v3, s[12:13] offset:1024 scale_offset
	global_store_b32 v0, v4, s[12:13] offset:2048 scale_offset
	;; [unrolled: 1-line block ×3, first 2 shown]
.LBB75_50:
	s_and_b32 vcc_lo, exec_lo, s0
	s_cbranch_vccz .LBB75_133
; %bb.51:
	v_cmp_gt_i32_e32 vcc_lo, s10, v0
	v_dual_mov_b32 v19, 0 :: v_dual_bitop2_b32 v5, s2, v0 bitop3:0x54
	v_or_b32_e32 v6, 0x100, v0
	v_dual_mov_b32 v22, 0 :: v_dual_mov_b32 v21, 0
	s_wait_xcnt 0x0
	v_mov_b32_e32 v1, v0
	s_and_saveexec_b32 s0, vcc_lo
	s_cbranch_execz .LBB75_53
; %bb.52:
	s_clause 0x1
	global_load_u16 v22, v5, s[6:7] scale_offset
	global_load_u16 v21, v5, s[8:9] scale_offset
	v_or_b32_e32 v1, 0x100, v0
.LBB75_53:
	s_wait_xcnt 0x0
	s_or_b32 exec_lo, exec_lo, s0
	v_mov_b32_e32 v20, 0
	s_mov_b32 s1, exec_lo
	v_cmpx_gt_i32_e64 s10, v1
	s_cbranch_execz .LBB75_55
; %bb.54:
	v_add_nc_u32_e32 v2, s2, v1
	v_add_nc_u32_e32 v1, 0x100, v1
	s_clause 0x1
	global_load_u16 v19, v2, s[6:7] scale_offset
	global_load_u16 v20, v2, s[8:9] scale_offset
.LBB75_55:
	s_wait_xcnt 0x0
	s_or_b32 exec_lo, exec_lo, s1
	v_dual_mov_b32 v15, 0 :: v_dual_mov_b32 v18, 0
	v_mov_b32_e32 v17, 0
	s_mov_b32 s1, exec_lo
	v_cmpx_gt_i32_e64 s10, v1
	s_cbranch_execz .LBB75_57
; %bb.56:
	v_add_nc_u32_e32 v2, s2, v1
	v_add_nc_u32_e32 v1, 0x100, v1
	s_clause 0x1
	global_load_u16 v18, v2, s[6:7] scale_offset
	global_load_u16 v17, v2, s[8:9] scale_offset
.LBB75_57:
	s_wait_xcnt 0x0
	s_or_b32 exec_lo, exec_lo, s1
	v_mov_b32_e32 v16, 0
	s_mov_b32 s1, exec_lo
	v_cmpx_gt_i32_e64 s10, v1
	s_cbranch_execz .LBB75_59
; %bb.58:
	v_add_nc_u32_e32 v2, s2, v1
	v_add_nc_u32_e32 v1, 0x100, v1
	s_clause 0x1
	global_load_u16 v15, v2, s[6:7] scale_offset
	global_load_u16 v16, v2, s[8:9] scale_offset
.LBB75_59:
	s_wait_xcnt 0x0
	s_or_b32 exec_lo, exec_lo, s1
	v_dual_mov_b32 v11, 0 :: v_dual_mov_b32 v14, 0
	v_mov_b32_e32 v13, 0
	s_mov_b32 s1, exec_lo
	v_cmpx_gt_i32_e64 s10, v1
	s_cbranch_execz .LBB75_61
; %bb.60:
	v_add_nc_u32_e32 v2, s2, v1
	v_add_nc_u32_e32 v1, 0x100, v1
	s_clause 0x1
	global_load_u16 v14, v2, s[6:7] scale_offset
	global_load_u16 v13, v2, s[8:9] scale_offset
.LBB75_61:
	;; [unrolled: 27-line block ×3, first 2 shown]
	s_wait_xcnt 0x0
	s_or_b32 exec_lo, exec_lo, s1
	v_mov_b32_e32 v8, 0
	s_mov_b32 s1, exec_lo
	v_cmpx_gt_i32_e64 s10, v1
	s_cbranch_execz .LBB75_67
; %bb.66:
	v_add_nc_u32_e32 v1, s2, v1
	s_clause 0x1
	global_load_u16 v7, v1, s[6:7] scale_offset
	global_load_u16 v8, v1, s[8:9] scale_offset
.LBB75_67:
	s_wait_xcnt 0x0
	s_or_b32 exec_lo, exec_lo, s1
	v_mov_b32_e32 v4, 0
	s_delay_alu instid0(VALU_DEP_1)
	v_dual_mov_b32 v1, v4 :: v_dual_mov_b32 v2, v4
	v_mov_b32_e32 v3, v4
	s_and_saveexec_b32 s1, vcc_lo
	s_cbranch_execz .LBB75_75
; %bb.68:
	s_wait_loadcnt 0x0
	v_sub_nc_u16 v1, 0, v21
	s_mov_b32 s3, exec_lo
	s_delay_alu instid0(VALU_DEP_1)
	v_max_i16 v2, v21, v1
	v_cmpx_ne_u16_e32 0, v22
	s_cbranch_execz .LBB75_72
; %bb.69:
	v_sub_nc_u16 v1, 0, v22
	s_mov_b32 s6, 0
	s_delay_alu instid0(VALU_DEP_1) | instskip(SKIP_1) | instid1(VALU_DEP_2)
	v_max_i16 v3, v22, v1
	v_and_b32_e32 v1, 0xffff, v2
	v_and_b32_e32 v3, 0xffff, v3
.LBB75_70:                              ; =>This Inner Loop Header: Depth=1
	s_delay_alu instid0(VALU_DEP_1) | instskip(NEXT) | instid1(VALU_DEP_1)
	v_bfe_i32 v23, v1, 0, 16
	v_cvt_f32_i32_e32 v25, v23
	s_delay_alu instid0(VALU_DEP_3) | instskip(NEXT) | instid1(VALU_DEP_1)
	v_mov_b32_e32 v2, v3
	v_bfe_i32 v3, v2, 0, 16
	s_delay_alu instid0(VALU_DEP_1) | instskip(SKIP_1) | instid1(VALU_DEP_2)
	v_cvt_f32_i32_e32 v4, v3
	v_xor_b32_e32 v3, v23, v3
	v_rcp_iflag_f32_e32 v24, v4
	v_nop
	s_delay_alu instid0(TRANS32_DEP_1) | instskip(NEXT) | instid1(VALU_DEP_1)
	v_mul_f32_e32 v23, v25, v24
	v_trunc_f32_e32 v23, v23
	s_delay_alu instid0(VALU_DEP_1) | instskip(SKIP_1) | instid1(VALU_DEP_2)
	v_dual_fma_f32 v24, -v23, v4, v25 :: v_dual_ashrrev_i32 v3, 30, v3
	v_cvt_i32_f32_e32 v23, v23
	v_cmp_ge_f32_e64 s0, |v24|, |v4|
	s_delay_alu instid0(VALU_DEP_3) | instskip(NEXT) | instid1(VALU_DEP_1)
	v_or_b32_e32 v3, 1, v3
	v_cndmask_b32_e64 v3, 0, v3, s0
	s_delay_alu instid0(VALU_DEP_1) | instskip(NEXT) | instid1(VALU_DEP_1)
	v_add_nc_u32_e32 v3, v23, v3
	v_mul_lo_u32 v3, v3, v2
	s_delay_alu instid0(VALU_DEP_1) | instskip(NEXT) | instid1(VALU_DEP_1)
	v_sub_nc_u32_e32 v3, v1, v3
	v_and_b32_e32 v1, 0xffff, v3
	v_bfe_i32 v3, v3, 0, 16
	s_delay_alu instid0(VALU_DEP_2) | instskip(SKIP_2) | instid1(SALU_CYCLE_1)
	v_cmp_eq_u32_e64 s0, 0, v1
	v_mov_b32_e32 v1, v2
	s_or_b32 s6, s0, s6
	s_and_not1_b32 exec_lo, exec_lo, s6
	s_cbranch_execnz .LBB75_70
; %bb.71:
	s_or_b32 exec_lo, exec_lo, s6
.LBB75_72:
	s_delay_alu instid0(SALU_CYCLE_1)
	s_or_b32 exec_lo, exec_lo, s3
	v_dual_mov_b32 v1, 0 :: v_dual_mov_b32 v3, 0
	s_mov_b32 s3, exec_lo
	v_cmpx_ne_u16_e32 0, v2
	s_cbranch_execz .LBB75_74
; %bb.73:
	v_bfe_i32 v2, v2, 0, 16
	v_bfe_i32 v4, v22, 0, 16
	s_delay_alu instid0(VALU_DEP_2) | instskip(NEXT) | instid1(VALU_DEP_2)
	v_cvt_f32_i32_e32 v3, v2
	v_cvt_f32_i32_e32 v23, v4
	v_xor_b32_e32 v2, v4, v2
	s_delay_alu instid0(VALU_DEP_3) | instskip(SKIP_1) | instid1(TRANS32_DEP_1)
	v_rcp_iflag_f32_e32 v22, v3
	v_nop
	v_mul_f32_e32 v22, v23, v22
	s_delay_alu instid0(VALU_DEP_1) | instskip(NEXT) | instid1(VALU_DEP_1)
	v_trunc_f32_e32 v4, v22
	v_dual_fma_f32 v22, -v4, v3, v23 :: v_dual_ashrrev_i32 v2, 30, v2
	v_cvt_i32_f32_e32 v4, v4
	s_delay_alu instid0(VALU_DEP_2) | instskip(NEXT) | instid1(VALU_DEP_3)
	v_cmp_ge_f32_e64 s0, |v22|, |v3|
	v_or_b32_e32 v2, 1, v2
	v_bfe_i32 v3, v21, 0, 16
	s_delay_alu instid0(VALU_DEP_2) | instskip(NEXT) | instid1(VALU_DEP_1)
	v_cndmask_b32_e64 v2, 0, v2, s0
	v_add_nc_u32_e32 v2, v4, v2
	s_delay_alu instid0(VALU_DEP_1) | instskip(NEXT) | instid1(VALU_DEP_1)
	v_bfe_i32 v2, v2, 0, 16
	v_mul_i32_i24_e32 v2, v2, v3
	s_delay_alu instid0(VALU_DEP_1) | instskip(NEXT) | instid1(VALU_DEP_1)
	v_sub_nc_u32_e32 v3, 0, v2
	v_max_i32_e32 v3, v2, v3
.LBB75_74:
	s_or_b32 exec_lo, exec_lo, s3
	s_delay_alu instid0(VALU_DEP_1)
	v_and_b32_e32 v4, 0xffff, v3
	v_dual_mov_b32 v2, v1 :: v_dual_mov_b32 v3, v1
.LBB75_75:
	s_or_b32 exec_lo, exec_lo, s1
	s_delay_alu instid0(SALU_CYCLE_1)
	s_mov_b32 s1, exec_lo
	v_cmpx_gt_i32_e64 s10, v6
	s_cbranch_execz .LBB75_83
; %bb.76:
	s_wait_loadcnt 0x0
	v_sub_nc_u16 v21, 0, v20
	s_mov_b32 s6, 0
	s_mov_b32 s3, exec_lo
	s_delay_alu instid0(VALU_DEP_1)
	v_max_i16 v21, v20, v21
	v_cmpx_ne_u16_e32 0, v19
	s_cbranch_execz .LBB75_80
; %bb.77:
	v_sub_nc_u16 v22, 0, v19
	s_delay_alu instid0(VALU_DEP_1) | instskip(SKIP_1) | instid1(VALU_DEP_2)
	v_max_i16 v23, v19, v22
	v_and_b32_e32 v22, 0xffff, v21
	v_and_b32_e32 v23, 0xffff, v23
.LBB75_78:                              ; =>This Inner Loop Header: Depth=1
	s_delay_alu instid0(VALU_DEP_1) | instskip(NEXT) | instid1(VALU_DEP_2)
	v_bfe_i32 v25, v22, 0, 16
	v_mov_b32_e32 v21, v23
	s_delay_alu instid0(VALU_DEP_2) | instskip(NEXT) | instid1(VALU_DEP_2)
	v_cvt_f32_i32_e32 v27, v25
	v_bfe_i32 v23, v21, 0, 16
	s_delay_alu instid0(VALU_DEP_1) | instskip(SKIP_1) | instid1(VALU_DEP_2)
	v_cvt_f32_i32_e32 v24, v23
	v_xor_b32_e32 v23, v25, v23
	v_rcp_iflag_f32_e32 v26, v24
	v_nop
	s_delay_alu instid0(TRANS32_DEP_1) | instskip(NEXT) | instid1(VALU_DEP_1)
	v_dual_ashrrev_i32 v23, 30, v23 :: v_dual_mul_f32 v25, v27, v26
	v_trunc_f32_e32 v25, v25
	s_delay_alu instid0(VALU_DEP_1) | instskip(SKIP_1) | instid1(VALU_DEP_2)
	v_dual_fma_f32 v26, -v25, v24, v27 :: v_dual_bitop2_b32 v23, 1, v23 bitop3:0x54
	v_cvt_i32_f32_e32 v25, v25
	v_cmp_ge_f32_e64 s0, |v26|, |v24|
	s_delay_alu instid0(VALU_DEP_1) | instskip(NEXT) | instid1(VALU_DEP_1)
	v_cndmask_b32_e64 v23, 0, v23, s0
	v_add_nc_u32_e32 v23, v25, v23
	s_delay_alu instid0(VALU_DEP_1) | instskip(NEXT) | instid1(VALU_DEP_1)
	v_mul_lo_u32 v23, v23, v21
	v_sub_nc_u32_e32 v23, v22, v23
	s_delay_alu instid0(VALU_DEP_1) | instskip(SKIP_1) | instid1(VALU_DEP_2)
	v_and_b32_e32 v22, 0xffff, v23
	v_bfe_i32 v23, v23, 0, 16
	v_cmp_eq_u32_e64 s0, 0, v22
	v_mov_b32_e32 v22, v21
	s_or_b32 s6, s0, s6
	s_delay_alu instid0(SALU_CYCLE_1)
	s_and_not1_b32 exec_lo, exec_lo, s6
	s_cbranch_execnz .LBB75_78
; %bb.79:
	s_or_b32 exec_lo, exec_lo, s6
.LBB75_80:
	s_delay_alu instid0(SALU_CYCLE_1)
	s_or_b32 exec_lo, exec_lo, s3
	v_mov_b32_e32 v22, 0
	s_mov_b32 s3, exec_lo
	v_cmpx_ne_u16_e32 0, v21
	s_cbranch_execz .LBB75_82
; %bb.81:
	v_bfe_i32 v21, v21, 0, 16
	v_bfe_i32 v19, v19, 0, 16
	;; [unrolled: 1-line block ×3, first 2 shown]
	s_delay_alu instid0(VALU_DEP_3) | instskip(NEXT) | instid1(VALU_DEP_3)
	v_cvt_f32_i32_e32 v22, v21
	v_cvt_f32_i32_e32 v24, v19
	v_xor_b32_e32 v19, v19, v21
	s_delay_alu instid0(VALU_DEP_3) | instskip(SKIP_1) | instid1(TRANS32_DEP_1)
	v_rcp_iflag_f32_e32 v23, v22
	v_nop
	v_mul_f32_e32 v23, v24, v23
	s_delay_alu instid0(VALU_DEP_1) | instskip(NEXT) | instid1(VALU_DEP_1)
	v_trunc_f32_e32 v21, v23
	v_dual_ashrrev_i32 v19, 30, v19 :: v_dual_fma_f32 v23, -v21, v22, v24
	s_delay_alu instid0(VALU_DEP_1) | instskip(SKIP_1) | instid1(VALU_DEP_3)
	v_or_b32_e32 v19, 1, v19
	v_cvt_i32_f32_e32 v21, v21
	v_cmp_ge_f32_e64 s0, |v23|, |v22|
	s_delay_alu instid0(VALU_DEP_1) | instskip(NEXT) | instid1(VALU_DEP_1)
	v_cndmask_b32_e64 v19, 0, v19, s0
	v_add_nc_u32_e32 v19, v21, v19
	s_delay_alu instid0(VALU_DEP_1) | instskip(NEXT) | instid1(VALU_DEP_1)
	v_bfe_i32 v19, v19, 0, 16
	v_mul_i32_i24_e32 v19, v19, v20
	s_delay_alu instid0(VALU_DEP_1) | instskip(NEXT) | instid1(VALU_DEP_1)
	v_sub_nc_u32_e32 v20, 0, v19
	v_max_i32_e32 v22, v19, v20
.LBB75_82:
	s_or_b32 exec_lo, exec_lo, s3
	s_delay_alu instid0(VALU_DEP_1)
	v_perm_b32 v4, v22, v4, 0x5040100
.LBB75_83:
	s_or_b32 exec_lo, exec_lo, s1
	s_wait_loadcnt 0x1
	v_or_b32_e32 v19, 0x200, v0
	s_mov_b32 s1, exec_lo
	s_delay_alu instid0(VALU_DEP_1)
	v_cmpx_gt_i32_e64 s10, v19
	s_cbranch_execz .LBB75_91
; %bb.84:
	s_wait_loadcnt 0x0
	v_sub_nc_u16 v19, 0, v17
	s_mov_b32 s6, 0
	s_mov_b32 s3, exec_lo
	s_delay_alu instid0(VALU_DEP_1)
	v_max_i16 v19, v17, v19
	v_cmpx_ne_u16_e32 0, v18
	s_cbranch_execz .LBB75_88
; %bb.85:
	v_sub_nc_u16 v20, 0, v18
	s_delay_alu instid0(VALU_DEP_1) | instskip(SKIP_1) | instid1(VALU_DEP_2)
	v_max_i16 v21, v18, v20
	v_and_b32_e32 v20, 0xffff, v19
	v_and_b32_e32 v21, 0xffff, v21
.LBB75_86:                              ; =>This Inner Loop Header: Depth=1
	s_delay_alu instid0(VALU_DEP_1) | instskip(NEXT) | instid1(VALU_DEP_2)
	v_bfe_i32 v23, v20, 0, 16
	v_mov_b32_e32 v19, v21
	s_delay_alu instid0(VALU_DEP_2) | instskip(NEXT) | instid1(VALU_DEP_2)
	v_cvt_f32_i32_e32 v25, v23
	v_bfe_i32 v21, v19, 0, 16
	s_delay_alu instid0(VALU_DEP_1) | instskip(SKIP_1) | instid1(VALU_DEP_2)
	v_cvt_f32_i32_e32 v22, v21
	v_xor_b32_e32 v21, v23, v21
	v_rcp_iflag_f32_e32 v24, v22
	v_nop
	s_delay_alu instid0(TRANS32_DEP_1) | instskip(NEXT) | instid1(VALU_DEP_1)
	v_dual_ashrrev_i32 v21, 30, v21 :: v_dual_mul_f32 v23, v25, v24
	v_trunc_f32_e32 v23, v23
	s_delay_alu instid0(VALU_DEP_1) | instskip(SKIP_1) | instid1(VALU_DEP_2)
	v_dual_fma_f32 v24, -v23, v22, v25 :: v_dual_bitop2_b32 v21, 1, v21 bitop3:0x54
	v_cvt_i32_f32_e32 v23, v23
	v_cmp_ge_f32_e64 s0, |v24|, |v22|
	s_delay_alu instid0(VALU_DEP_1) | instskip(NEXT) | instid1(VALU_DEP_1)
	v_cndmask_b32_e64 v21, 0, v21, s0
	v_add_nc_u32_e32 v21, v23, v21
	s_delay_alu instid0(VALU_DEP_1) | instskip(NEXT) | instid1(VALU_DEP_1)
	v_mul_lo_u32 v21, v21, v19
	v_sub_nc_u32_e32 v21, v20, v21
	s_delay_alu instid0(VALU_DEP_1) | instskip(SKIP_1) | instid1(VALU_DEP_2)
	v_and_b32_e32 v20, 0xffff, v21
	v_bfe_i32 v21, v21, 0, 16
	v_cmp_eq_u32_e64 s0, 0, v20
	v_mov_b32_e32 v20, v19
	s_or_b32 s6, s0, s6
	s_delay_alu instid0(SALU_CYCLE_1)
	s_and_not1_b32 exec_lo, exec_lo, s6
	s_cbranch_execnz .LBB75_86
; %bb.87:
	s_or_b32 exec_lo, exec_lo, s6
.LBB75_88:
	s_delay_alu instid0(SALU_CYCLE_1)
	s_or_b32 exec_lo, exec_lo, s3
	v_mov_b32_e32 v20, 0
	s_mov_b32 s3, exec_lo
	v_cmpx_ne_u16_e32 0, v19
	s_cbranch_execz .LBB75_90
; %bb.89:
	v_bfe_i32 v19, v19, 0, 16
	v_bfe_i32 v18, v18, 0, 16
	;; [unrolled: 1-line block ×3, first 2 shown]
	s_delay_alu instid0(VALU_DEP_3) | instskip(NEXT) | instid1(VALU_DEP_3)
	v_cvt_f32_i32_e32 v20, v19
	v_cvt_f32_i32_e32 v22, v18
	v_xor_b32_e32 v18, v18, v19
	s_delay_alu instid0(VALU_DEP_3) | instskip(SKIP_1) | instid1(TRANS32_DEP_1)
	v_rcp_iflag_f32_e32 v21, v20
	v_nop
	v_dual_mul_f32 v21, v22, v21 :: v_dual_ashrrev_i32 v18, 30, v18
	s_delay_alu instid0(VALU_DEP_1) | instskip(NEXT) | instid1(VALU_DEP_2)
	v_or_b32_e32 v18, 1, v18
	v_trunc_f32_e32 v19, v21
	s_delay_alu instid0(VALU_DEP_1) | instskip(SKIP_1) | instid1(VALU_DEP_2)
	v_fma_f32 v21, -v19, v20, v22
	v_cvt_i32_f32_e32 v19, v19
	v_cmp_ge_f32_e64 s0, |v21|, |v20|
	s_delay_alu instid0(VALU_DEP_1) | instskip(NEXT) | instid1(VALU_DEP_1)
	v_cndmask_b32_e64 v18, 0, v18, s0
	v_add_nc_u32_e32 v18, v19, v18
	s_delay_alu instid0(VALU_DEP_1) | instskip(NEXT) | instid1(VALU_DEP_1)
	v_bfe_i32 v18, v18, 0, 16
	v_mul_i32_i24_e32 v17, v18, v17
	s_delay_alu instid0(VALU_DEP_1) | instskip(NEXT) | instid1(VALU_DEP_1)
	v_sub_nc_u32_e32 v18, 0, v17
	v_max_i32_e32 v20, v17, v18
.LBB75_90:
	s_or_b32 exec_lo, exec_lo, s3
	s_delay_alu instid0(VALU_DEP_1)
	v_bfi_b32 v1, 0xffff, v20, v1
.LBB75_91:
	s_or_b32 exec_lo, exec_lo, s1
	s_wait_loadcnt 0x0
	v_or_b32_e32 v17, 0x300, v0
	s_mov_b32 s1, exec_lo
	s_delay_alu instid0(VALU_DEP_1)
	v_cmpx_gt_i32_e64 s10, v17
	s_cbranch_execz .LBB75_99
; %bb.92:
	v_sub_nc_u16 v17, 0, v16
	s_mov_b32 s6, 0
	s_mov_b32 s3, exec_lo
	s_delay_alu instid0(VALU_DEP_1)
	v_max_i16 v17, v16, v17
	v_cmpx_ne_u16_e32 0, v15
	s_cbranch_execz .LBB75_96
; %bb.93:
	v_sub_nc_u16 v18, 0, v15
	s_delay_alu instid0(VALU_DEP_1) | instskip(SKIP_1) | instid1(VALU_DEP_2)
	v_max_i16 v19, v15, v18
	v_and_b32_e32 v18, 0xffff, v17
	v_and_b32_e32 v19, 0xffff, v19
.LBB75_94:                              ; =>This Inner Loop Header: Depth=1
	s_delay_alu instid0(VALU_DEP_1) | instskip(NEXT) | instid1(VALU_DEP_2)
	v_bfe_i32 v21, v18, 0, 16
	v_mov_b32_e32 v17, v19
	s_delay_alu instid0(VALU_DEP_2) | instskip(NEXT) | instid1(VALU_DEP_2)
	v_cvt_f32_i32_e32 v23, v21
	v_bfe_i32 v19, v17, 0, 16
	s_delay_alu instid0(VALU_DEP_1) | instskip(SKIP_1) | instid1(VALU_DEP_2)
	v_cvt_f32_i32_e32 v20, v19
	v_xor_b32_e32 v19, v21, v19
	v_rcp_iflag_f32_e32 v22, v20
	v_nop
	s_delay_alu instid0(TRANS32_DEP_1) | instskip(NEXT) | instid1(VALU_DEP_1)
	v_dual_ashrrev_i32 v19, 30, v19 :: v_dual_mul_f32 v21, v23, v22
	v_trunc_f32_e32 v21, v21
	s_delay_alu instid0(VALU_DEP_1) | instskip(SKIP_1) | instid1(VALU_DEP_2)
	v_dual_fma_f32 v22, -v21, v20, v23 :: v_dual_bitop2_b32 v19, 1, v19 bitop3:0x54
	v_cvt_i32_f32_e32 v21, v21
	v_cmp_ge_f32_e64 s0, |v22|, |v20|
	s_delay_alu instid0(VALU_DEP_1) | instskip(NEXT) | instid1(VALU_DEP_1)
	v_cndmask_b32_e64 v19, 0, v19, s0
	v_add_nc_u32_e32 v19, v21, v19
	s_delay_alu instid0(VALU_DEP_1) | instskip(NEXT) | instid1(VALU_DEP_1)
	v_mul_lo_u32 v19, v19, v17
	v_sub_nc_u32_e32 v19, v18, v19
	s_delay_alu instid0(VALU_DEP_1) | instskip(SKIP_1) | instid1(VALU_DEP_2)
	v_and_b32_e32 v18, 0xffff, v19
	v_bfe_i32 v19, v19, 0, 16
	v_cmp_eq_u32_e64 s0, 0, v18
	v_mov_b32_e32 v18, v17
	s_or_b32 s6, s0, s6
	s_delay_alu instid0(SALU_CYCLE_1)
	s_and_not1_b32 exec_lo, exec_lo, s6
	s_cbranch_execnz .LBB75_94
; %bb.95:
	s_or_b32 exec_lo, exec_lo, s6
.LBB75_96:
	s_delay_alu instid0(SALU_CYCLE_1)
	s_or_b32 exec_lo, exec_lo, s3
	v_mov_b32_e32 v18, 0
	s_mov_b32 s3, exec_lo
	v_cmpx_ne_u16_e32 0, v17
	s_cbranch_execz .LBB75_98
; %bb.97:
	v_bfe_i32 v17, v17, 0, 16
	v_bfe_i32 v15, v15, 0, 16
	;; [unrolled: 1-line block ×3, first 2 shown]
	s_delay_alu instid0(VALU_DEP_3) | instskip(NEXT) | instid1(VALU_DEP_3)
	v_cvt_f32_i32_e32 v18, v17
	v_cvt_f32_i32_e32 v20, v15
	v_xor_b32_e32 v15, v15, v17
	s_delay_alu instid0(VALU_DEP_3) | instskip(SKIP_1) | instid1(TRANS32_DEP_1)
	v_rcp_iflag_f32_e32 v19, v18
	v_nop
	v_mul_f32_e32 v19, v20, v19
	s_delay_alu instid0(VALU_DEP_1) | instskip(NEXT) | instid1(VALU_DEP_1)
	v_trunc_f32_e32 v17, v19
	v_dual_ashrrev_i32 v15, 30, v15 :: v_dual_fma_f32 v19, -v17, v18, v20
	s_delay_alu instid0(VALU_DEP_1) | instskip(SKIP_1) | instid1(VALU_DEP_3)
	v_or_b32_e32 v15, 1, v15
	v_cvt_i32_f32_e32 v17, v17
	v_cmp_ge_f32_e64 s0, |v19|, |v18|
	s_delay_alu instid0(VALU_DEP_1) | instskip(NEXT) | instid1(VALU_DEP_1)
	v_cndmask_b32_e64 v15, 0, v15, s0
	v_add_nc_u32_e32 v15, v17, v15
	s_delay_alu instid0(VALU_DEP_1) | instskip(NEXT) | instid1(VALU_DEP_1)
	v_bfe_i32 v15, v15, 0, 16
	v_mul_i32_i24_e32 v15, v15, v16
	s_delay_alu instid0(VALU_DEP_1) | instskip(NEXT) | instid1(VALU_DEP_1)
	v_sub_nc_u32_e32 v16, 0, v15
	v_max_i32_e32 v18, v15, v16
.LBB75_98:
	s_or_b32 exec_lo, exec_lo, s3
	s_delay_alu instid0(VALU_DEP_1)
	v_perm_b32 v1, v18, v1, 0x5040100
.LBB75_99:
	s_or_b32 exec_lo, exec_lo, s1
	v_or_b32_e32 v15, 0x400, v0
	s_mov_b32 s1, exec_lo
	s_delay_alu instid0(VALU_DEP_1)
	v_cmpx_gt_i32_e64 s10, v15
	s_cbranch_execz .LBB75_107
; %bb.100:
	v_sub_nc_u16 v15, 0, v13
	s_mov_b32 s6, 0
	s_mov_b32 s3, exec_lo
	s_delay_alu instid0(VALU_DEP_1)
	v_max_i16 v15, v13, v15
	v_cmpx_ne_u16_e32 0, v14
	s_cbranch_execz .LBB75_104
; %bb.101:
	v_sub_nc_u16 v16, 0, v14
	s_delay_alu instid0(VALU_DEP_1) | instskip(SKIP_1) | instid1(VALU_DEP_2)
	v_max_i16 v17, v14, v16
	v_and_b32_e32 v16, 0xffff, v15
	v_and_b32_e32 v17, 0xffff, v17
.LBB75_102:                             ; =>This Inner Loop Header: Depth=1
	s_delay_alu instid0(VALU_DEP_1) | instskip(NEXT) | instid1(VALU_DEP_2)
	v_bfe_i32 v19, v16, 0, 16
	v_mov_b32_e32 v15, v17
	s_delay_alu instid0(VALU_DEP_2) | instskip(NEXT) | instid1(VALU_DEP_2)
	v_cvt_f32_i32_e32 v21, v19
	v_bfe_i32 v17, v15, 0, 16
	s_delay_alu instid0(VALU_DEP_1) | instskip(SKIP_1) | instid1(VALU_DEP_2)
	v_cvt_f32_i32_e32 v18, v17
	v_xor_b32_e32 v17, v19, v17
	v_rcp_iflag_f32_e32 v20, v18
	v_nop
	s_delay_alu instid0(TRANS32_DEP_1) | instskip(NEXT) | instid1(VALU_DEP_1)
	v_dual_ashrrev_i32 v17, 30, v17 :: v_dual_mul_f32 v19, v21, v20
	v_trunc_f32_e32 v19, v19
	s_delay_alu instid0(VALU_DEP_1) | instskip(SKIP_1) | instid1(VALU_DEP_2)
	v_dual_fma_f32 v20, -v19, v18, v21 :: v_dual_bitop2_b32 v17, 1, v17 bitop3:0x54
	v_cvt_i32_f32_e32 v19, v19
	v_cmp_ge_f32_e64 s0, |v20|, |v18|
	s_delay_alu instid0(VALU_DEP_1) | instskip(NEXT) | instid1(VALU_DEP_1)
	v_cndmask_b32_e64 v17, 0, v17, s0
	v_add_nc_u32_e32 v17, v19, v17
	s_delay_alu instid0(VALU_DEP_1) | instskip(NEXT) | instid1(VALU_DEP_1)
	v_mul_lo_u32 v17, v17, v15
	v_sub_nc_u32_e32 v17, v16, v17
	s_delay_alu instid0(VALU_DEP_1) | instskip(SKIP_1) | instid1(VALU_DEP_2)
	v_and_b32_e32 v16, 0xffff, v17
	v_bfe_i32 v17, v17, 0, 16
	v_cmp_eq_u32_e64 s0, 0, v16
	v_mov_b32_e32 v16, v15
	s_or_b32 s6, s0, s6
	s_delay_alu instid0(SALU_CYCLE_1)
	s_and_not1_b32 exec_lo, exec_lo, s6
	s_cbranch_execnz .LBB75_102
; %bb.103:
	s_or_b32 exec_lo, exec_lo, s6
.LBB75_104:
	s_delay_alu instid0(SALU_CYCLE_1)
	s_or_b32 exec_lo, exec_lo, s3
	v_mov_b32_e32 v16, 0
	s_mov_b32 s3, exec_lo
	v_cmpx_ne_u16_e32 0, v15
	s_cbranch_execz .LBB75_106
; %bb.105:
	v_bfe_i32 v15, v15, 0, 16
	v_bfe_i32 v14, v14, 0, 16
	;; [unrolled: 1-line block ×3, first 2 shown]
	s_delay_alu instid0(VALU_DEP_3) | instskip(NEXT) | instid1(VALU_DEP_3)
	v_cvt_f32_i32_e32 v16, v15
	v_cvt_f32_i32_e32 v18, v14
	v_xor_b32_e32 v14, v14, v15
	s_delay_alu instid0(VALU_DEP_3) | instskip(SKIP_1) | instid1(TRANS32_DEP_1)
	v_rcp_iflag_f32_e32 v17, v16
	v_nop
	v_dual_mul_f32 v17, v18, v17 :: v_dual_ashrrev_i32 v14, 30, v14
	s_delay_alu instid0(VALU_DEP_1) | instskip(NEXT) | instid1(VALU_DEP_2)
	v_or_b32_e32 v14, 1, v14
	v_trunc_f32_e32 v15, v17
	s_delay_alu instid0(VALU_DEP_1) | instskip(SKIP_1) | instid1(VALU_DEP_2)
	v_fma_f32 v17, -v15, v16, v18
	v_cvt_i32_f32_e32 v15, v15
	v_cmp_ge_f32_e64 s0, |v17|, |v16|
	s_delay_alu instid0(VALU_DEP_1) | instskip(NEXT) | instid1(VALU_DEP_1)
	v_cndmask_b32_e64 v14, 0, v14, s0
	v_add_nc_u32_e32 v14, v15, v14
	s_delay_alu instid0(VALU_DEP_1) | instskip(NEXT) | instid1(VALU_DEP_1)
	v_bfe_i32 v14, v14, 0, 16
	v_mul_i32_i24_e32 v13, v14, v13
	s_delay_alu instid0(VALU_DEP_1) | instskip(NEXT) | instid1(VALU_DEP_1)
	v_sub_nc_u32_e32 v14, 0, v13
	v_max_i32_e32 v16, v13, v14
.LBB75_106:
	s_or_b32 exec_lo, exec_lo, s3
	s_delay_alu instid0(VALU_DEP_1)
	v_bfi_b32 v2, 0xffff, v16, v2
.LBB75_107:
	s_or_b32 exec_lo, exec_lo, s1
	v_or_b32_e32 v13, 0x500, v0
	s_mov_b32 s1, exec_lo
	s_delay_alu instid0(VALU_DEP_1)
	v_cmpx_gt_i32_e64 s10, v13
	s_cbranch_execz .LBB75_115
; %bb.108:
	v_sub_nc_u16 v13, 0, v12
	s_mov_b32 s6, 0
	s_mov_b32 s3, exec_lo
	s_delay_alu instid0(VALU_DEP_1)
	v_max_i16 v13, v12, v13
	v_cmpx_ne_u16_e32 0, v11
	s_cbranch_execz .LBB75_112
; %bb.109:
	v_sub_nc_u16 v14, 0, v11
	s_delay_alu instid0(VALU_DEP_1) | instskip(SKIP_1) | instid1(VALU_DEP_2)
	v_max_i16 v15, v11, v14
	v_and_b32_e32 v14, 0xffff, v13
	v_and_b32_e32 v15, 0xffff, v15
.LBB75_110:                             ; =>This Inner Loop Header: Depth=1
	s_delay_alu instid0(VALU_DEP_1) | instskip(NEXT) | instid1(VALU_DEP_2)
	v_bfe_i32 v17, v14, 0, 16
	v_mov_b32_e32 v13, v15
	s_delay_alu instid0(VALU_DEP_2) | instskip(NEXT) | instid1(VALU_DEP_2)
	v_cvt_f32_i32_e32 v19, v17
	v_bfe_i32 v15, v13, 0, 16
	s_delay_alu instid0(VALU_DEP_1) | instskip(SKIP_1) | instid1(VALU_DEP_2)
	v_cvt_f32_i32_e32 v16, v15
	v_xor_b32_e32 v15, v17, v15
	v_rcp_iflag_f32_e32 v18, v16
	v_nop
	s_delay_alu instid0(TRANS32_DEP_1) | instskip(NEXT) | instid1(VALU_DEP_1)
	v_dual_ashrrev_i32 v15, 30, v15 :: v_dual_mul_f32 v17, v19, v18
	v_trunc_f32_e32 v17, v17
	s_delay_alu instid0(VALU_DEP_1) | instskip(SKIP_1) | instid1(VALU_DEP_2)
	v_dual_fma_f32 v18, -v17, v16, v19 :: v_dual_bitop2_b32 v15, 1, v15 bitop3:0x54
	v_cvt_i32_f32_e32 v17, v17
	v_cmp_ge_f32_e64 s0, |v18|, |v16|
	s_delay_alu instid0(VALU_DEP_1) | instskip(NEXT) | instid1(VALU_DEP_1)
	v_cndmask_b32_e64 v15, 0, v15, s0
	v_add_nc_u32_e32 v15, v17, v15
	s_delay_alu instid0(VALU_DEP_1) | instskip(NEXT) | instid1(VALU_DEP_1)
	v_mul_lo_u32 v15, v15, v13
	v_sub_nc_u32_e32 v15, v14, v15
	s_delay_alu instid0(VALU_DEP_1) | instskip(SKIP_1) | instid1(VALU_DEP_2)
	v_and_b32_e32 v14, 0xffff, v15
	v_bfe_i32 v15, v15, 0, 16
	v_cmp_eq_u32_e64 s0, 0, v14
	v_mov_b32_e32 v14, v13
	s_or_b32 s6, s0, s6
	s_delay_alu instid0(SALU_CYCLE_1)
	s_and_not1_b32 exec_lo, exec_lo, s6
	s_cbranch_execnz .LBB75_110
; %bb.111:
	s_or_b32 exec_lo, exec_lo, s6
.LBB75_112:
	s_delay_alu instid0(SALU_CYCLE_1)
	s_or_b32 exec_lo, exec_lo, s3
	v_mov_b32_e32 v14, 0
	s_mov_b32 s3, exec_lo
	v_cmpx_ne_u16_e32 0, v13
	s_cbranch_execz .LBB75_114
; %bb.113:
	v_bfe_i32 v13, v13, 0, 16
	v_bfe_i32 v11, v11, 0, 16
	;; [unrolled: 1-line block ×3, first 2 shown]
	s_delay_alu instid0(VALU_DEP_3) | instskip(NEXT) | instid1(VALU_DEP_3)
	v_cvt_f32_i32_e32 v14, v13
	v_cvt_f32_i32_e32 v16, v11
	v_xor_b32_e32 v11, v11, v13
	s_delay_alu instid0(VALU_DEP_3) | instskip(SKIP_1) | instid1(TRANS32_DEP_1)
	v_rcp_iflag_f32_e32 v15, v14
	v_nop
	v_mul_f32_e32 v15, v16, v15
	s_delay_alu instid0(VALU_DEP_1) | instskip(NEXT) | instid1(VALU_DEP_1)
	v_trunc_f32_e32 v13, v15
	v_dual_ashrrev_i32 v11, 30, v11 :: v_dual_fma_f32 v15, -v13, v14, v16
	s_delay_alu instid0(VALU_DEP_1) | instskip(SKIP_1) | instid1(VALU_DEP_3)
	v_or_b32_e32 v11, 1, v11
	v_cvt_i32_f32_e32 v13, v13
	v_cmp_ge_f32_e64 s0, |v15|, |v14|
	s_delay_alu instid0(VALU_DEP_1) | instskip(NEXT) | instid1(VALU_DEP_1)
	v_cndmask_b32_e64 v11, 0, v11, s0
	v_add_nc_u32_e32 v11, v13, v11
	s_delay_alu instid0(VALU_DEP_1) | instskip(NEXT) | instid1(VALU_DEP_1)
	v_bfe_i32 v11, v11, 0, 16
	v_mul_i32_i24_e32 v11, v11, v12
	s_delay_alu instid0(VALU_DEP_1) | instskip(NEXT) | instid1(VALU_DEP_1)
	v_sub_nc_u32_e32 v12, 0, v11
	v_max_i32_e32 v14, v11, v12
.LBB75_114:
	s_or_b32 exec_lo, exec_lo, s3
	s_delay_alu instid0(VALU_DEP_1)
	v_perm_b32 v2, v14, v2, 0x5040100
.LBB75_115:
	s_or_b32 exec_lo, exec_lo, s1
	v_or_b32_e32 v11, 0x600, v0
	s_mov_b32 s1, exec_lo
	s_delay_alu instid0(VALU_DEP_1)
	v_cmpx_gt_i32_e64 s10, v11
	s_cbranch_execz .LBB75_123
; %bb.116:
	v_sub_nc_u16 v11, 0, v9
	s_mov_b32 s6, 0
	s_mov_b32 s3, exec_lo
	s_delay_alu instid0(VALU_DEP_1)
	v_max_i16 v11, v9, v11
	v_cmpx_ne_u16_e32 0, v10
	s_cbranch_execz .LBB75_120
; %bb.117:
	v_sub_nc_u16 v12, 0, v10
	s_delay_alu instid0(VALU_DEP_1) | instskip(SKIP_1) | instid1(VALU_DEP_2)
	v_max_i16 v13, v10, v12
	v_and_b32_e32 v12, 0xffff, v11
	v_and_b32_e32 v13, 0xffff, v13
.LBB75_118:                             ; =>This Inner Loop Header: Depth=1
	s_delay_alu instid0(VALU_DEP_1) | instskip(NEXT) | instid1(VALU_DEP_2)
	v_bfe_i32 v15, v12, 0, 16
	v_mov_b32_e32 v11, v13
	s_delay_alu instid0(VALU_DEP_2) | instskip(NEXT) | instid1(VALU_DEP_2)
	v_cvt_f32_i32_e32 v17, v15
	v_bfe_i32 v13, v11, 0, 16
	s_delay_alu instid0(VALU_DEP_1) | instskip(SKIP_1) | instid1(VALU_DEP_2)
	v_cvt_f32_i32_e32 v14, v13
	v_xor_b32_e32 v13, v15, v13
	v_rcp_iflag_f32_e32 v16, v14
	v_nop
	s_delay_alu instid0(TRANS32_DEP_1) | instskip(NEXT) | instid1(VALU_DEP_1)
	v_dual_ashrrev_i32 v13, 30, v13 :: v_dual_mul_f32 v15, v17, v16
	v_trunc_f32_e32 v15, v15
	s_delay_alu instid0(VALU_DEP_1) | instskip(SKIP_1) | instid1(VALU_DEP_2)
	v_dual_fma_f32 v16, -v15, v14, v17 :: v_dual_bitop2_b32 v13, 1, v13 bitop3:0x54
	v_cvt_i32_f32_e32 v15, v15
	v_cmp_ge_f32_e64 s0, |v16|, |v14|
	s_delay_alu instid0(VALU_DEP_1) | instskip(NEXT) | instid1(VALU_DEP_1)
	v_cndmask_b32_e64 v13, 0, v13, s0
	v_add_nc_u32_e32 v13, v15, v13
	s_delay_alu instid0(VALU_DEP_1) | instskip(NEXT) | instid1(VALU_DEP_1)
	v_mul_lo_u32 v13, v13, v11
	v_sub_nc_u32_e32 v13, v12, v13
	s_delay_alu instid0(VALU_DEP_1) | instskip(SKIP_1) | instid1(VALU_DEP_2)
	v_and_b32_e32 v12, 0xffff, v13
	v_bfe_i32 v13, v13, 0, 16
	v_cmp_eq_u32_e64 s0, 0, v12
	v_mov_b32_e32 v12, v11
	s_or_b32 s6, s0, s6
	s_delay_alu instid0(SALU_CYCLE_1)
	s_and_not1_b32 exec_lo, exec_lo, s6
	s_cbranch_execnz .LBB75_118
; %bb.119:
	s_or_b32 exec_lo, exec_lo, s6
.LBB75_120:
	s_delay_alu instid0(SALU_CYCLE_1)
	s_or_b32 exec_lo, exec_lo, s3
	v_mov_b32_e32 v12, 0
	s_mov_b32 s3, exec_lo
	v_cmpx_ne_u16_e32 0, v11
	s_cbranch_execz .LBB75_122
; %bb.121:
	v_bfe_i32 v11, v11, 0, 16
	v_bfe_i32 v10, v10, 0, 16
	;; [unrolled: 1-line block ×3, first 2 shown]
	s_delay_alu instid0(VALU_DEP_3) | instskip(NEXT) | instid1(VALU_DEP_3)
	v_cvt_f32_i32_e32 v12, v11
	v_cvt_f32_i32_e32 v14, v10
	v_xor_b32_e32 v10, v10, v11
	s_delay_alu instid0(VALU_DEP_3) | instskip(SKIP_1) | instid1(TRANS32_DEP_1)
	v_rcp_iflag_f32_e32 v13, v12
	v_nop
	v_dual_mul_f32 v13, v14, v13 :: v_dual_ashrrev_i32 v10, 30, v10
	s_delay_alu instid0(VALU_DEP_1) | instskip(NEXT) | instid1(VALU_DEP_2)
	v_or_b32_e32 v10, 1, v10
	v_trunc_f32_e32 v11, v13
	s_delay_alu instid0(VALU_DEP_1) | instskip(SKIP_1) | instid1(VALU_DEP_2)
	v_fma_f32 v13, -v11, v12, v14
	v_cvt_i32_f32_e32 v11, v11
	v_cmp_ge_f32_e64 s0, |v13|, |v12|
	s_delay_alu instid0(VALU_DEP_1) | instskip(NEXT) | instid1(VALU_DEP_1)
	v_cndmask_b32_e64 v10, 0, v10, s0
	v_add_nc_u32_e32 v10, v11, v10
	s_delay_alu instid0(VALU_DEP_1) | instskip(NEXT) | instid1(VALU_DEP_1)
	v_bfe_i32 v10, v10, 0, 16
	v_mul_i32_i24_e32 v9, v10, v9
	s_delay_alu instid0(VALU_DEP_1) | instskip(NEXT) | instid1(VALU_DEP_1)
	v_sub_nc_u32_e32 v10, 0, v9
	v_max_i32_e32 v12, v9, v10
.LBB75_122:
	s_or_b32 exec_lo, exec_lo, s3
	s_delay_alu instid0(VALU_DEP_1)
	v_bfi_b32 v3, 0xffff, v12, v3
.LBB75_123:
	s_or_b32 exec_lo, exec_lo, s1
	v_or_b32_e32 v9, 0x700, v0
	s_mov_b32 s1, exec_lo
	s_delay_alu instid0(VALU_DEP_1)
	v_cmpx_gt_i32_e64 s10, v9
	s_cbranch_execnz .LBB75_134
; %bb.124:
	s_or_b32 exec_lo, exec_lo, s1
	s_and_saveexec_b32 s0, vcc_lo
	s_delay_alu instid0(SALU_CYCLE_1)
	s_xor_b32 s0, exec_lo, s0
	s_cbranch_execnz .LBB75_141
.LBB75_125:
	s_or_b32 exec_lo, exec_lo, s0
	s_delay_alu instid0(SALU_CYCLE_1)
	s_mov_b32 s0, exec_lo
	v_cmpx_gt_i32_e64 s10, v0
	s_cbranch_execnz .LBB75_142
.LBB75_126:
	s_or_b32 exec_lo, exec_lo, s0
	s_delay_alu instid0(SALU_CYCLE_1)
	s_mov_b32 s0, exec_lo
	v_cmpx_gt_i32_e64 s10, v0
	s_cbranch_execnz .LBB75_143
.LBB75_127:
	s_or_b32 exec_lo, exec_lo, s0
	s_delay_alu instid0(SALU_CYCLE_1)
	s_mov_b32 s0, exec_lo
	v_cmpx_gt_i32_e64 s10, v0
	s_cbranch_execnz .LBB75_144
.LBB75_128:
	s_or_b32 exec_lo, exec_lo, s0
	s_delay_alu instid0(SALU_CYCLE_1)
	s_mov_b32 s0, exec_lo
	v_cmpx_gt_i32_e64 s10, v0
	s_cbranch_execnz .LBB75_145
.LBB75_129:
	s_or_b32 exec_lo, exec_lo, s0
	s_delay_alu instid0(SALU_CYCLE_1)
	s_mov_b32 s0, exec_lo
	v_cmpx_gt_i32_e64 s10, v0
	s_cbranch_execnz .LBB75_146
.LBB75_130:
	s_or_b32 exec_lo, exec_lo, s0
	s_delay_alu instid0(SALU_CYCLE_1)
	s_mov_b32 s0, exec_lo
	v_cmpx_gt_i32_e64 s10, v0
	s_cbranch_execnz .LBB75_147
.LBB75_131:
	s_or_b32 exec_lo, exec_lo, s0
	s_delay_alu instid0(SALU_CYCLE_1)
	s_mov_b32 s0, exec_lo
	v_cmpx_gt_i32_e64 s10, v0
	s_cbranch_execz .LBB75_133
.LBB75_132:
	v_add_nc_u32_e32 v0, s2, v0
	global_store_d16_hi_b16 v0, v3, s[4:5] scale_offset
.LBB75_133:
	s_endpgm
.LBB75_134:
	v_sub_nc_u16 v9, 0, v8
	s_mov_b32 s6, 0
	s_mov_b32 s3, exec_lo
	s_delay_alu instid0(VALU_DEP_1)
	v_max_i16 v9, v8, v9
	v_cmpx_ne_u16_e32 0, v7
	s_cbranch_execz .LBB75_138
; %bb.135:
	v_sub_nc_u16 v10, 0, v7
	s_delay_alu instid0(VALU_DEP_1) | instskip(SKIP_1) | instid1(VALU_DEP_2)
	v_max_i16 v11, v7, v10
	v_and_b32_e32 v10, 0xffff, v9
	v_and_b32_e32 v11, 0xffff, v11
.LBB75_136:                             ; =>This Inner Loop Header: Depth=1
	s_delay_alu instid0(VALU_DEP_1) | instskip(NEXT) | instid1(VALU_DEP_2)
	v_bfe_i32 v13, v10, 0, 16
	v_mov_b32_e32 v9, v11
	s_delay_alu instid0(VALU_DEP_2) | instskip(NEXT) | instid1(VALU_DEP_2)
	v_cvt_f32_i32_e32 v15, v13
	v_bfe_i32 v11, v9, 0, 16
	s_delay_alu instid0(VALU_DEP_1) | instskip(SKIP_1) | instid1(VALU_DEP_2)
	v_cvt_f32_i32_e32 v12, v11
	v_xor_b32_e32 v11, v13, v11
	v_rcp_iflag_f32_e32 v14, v12
	v_nop
	s_delay_alu instid0(TRANS32_DEP_1) | instskip(NEXT) | instid1(VALU_DEP_1)
	v_dual_ashrrev_i32 v11, 30, v11 :: v_dual_mul_f32 v13, v15, v14
	v_trunc_f32_e32 v13, v13
	s_delay_alu instid0(VALU_DEP_1) | instskip(SKIP_1) | instid1(VALU_DEP_2)
	v_dual_fma_f32 v14, -v13, v12, v15 :: v_dual_bitop2_b32 v11, 1, v11 bitop3:0x54
	v_cvt_i32_f32_e32 v13, v13
	v_cmp_ge_f32_e64 s0, |v14|, |v12|
	s_delay_alu instid0(VALU_DEP_1) | instskip(NEXT) | instid1(VALU_DEP_1)
	v_cndmask_b32_e64 v11, 0, v11, s0
	v_add_nc_u32_e32 v11, v13, v11
	s_delay_alu instid0(VALU_DEP_1) | instskip(NEXT) | instid1(VALU_DEP_1)
	v_mul_lo_u32 v11, v11, v9
	v_sub_nc_u32_e32 v11, v10, v11
	s_delay_alu instid0(VALU_DEP_1) | instskip(SKIP_1) | instid1(VALU_DEP_2)
	v_and_b32_e32 v10, 0xffff, v11
	v_bfe_i32 v11, v11, 0, 16
	v_cmp_eq_u32_e64 s0, 0, v10
	v_mov_b32_e32 v10, v9
	s_or_b32 s6, s0, s6
	s_delay_alu instid0(SALU_CYCLE_1)
	s_and_not1_b32 exec_lo, exec_lo, s6
	s_cbranch_execnz .LBB75_136
; %bb.137:
	s_or_b32 exec_lo, exec_lo, s6
.LBB75_138:
	s_delay_alu instid0(SALU_CYCLE_1)
	s_or_b32 exec_lo, exec_lo, s3
	v_mov_b32_e32 v10, 0
	s_mov_b32 s3, exec_lo
	v_cmpx_ne_u16_e32 0, v9
	s_cbranch_execz .LBB75_140
; %bb.139:
	v_bfe_i32 v9, v9, 0, 16
	v_bfe_i32 v7, v7, 0, 16
	;; [unrolled: 1-line block ×3, first 2 shown]
	s_delay_alu instid0(VALU_DEP_3) | instskip(NEXT) | instid1(VALU_DEP_3)
	v_cvt_f32_i32_e32 v10, v9
	v_cvt_f32_i32_e32 v12, v7
	v_xor_b32_e32 v7, v7, v9
	s_delay_alu instid0(VALU_DEP_3) | instskip(SKIP_1) | instid1(TRANS32_DEP_1)
	v_rcp_iflag_f32_e32 v11, v10
	v_nop
	v_mul_f32_e32 v11, v12, v11
	s_delay_alu instid0(VALU_DEP_1) | instskip(NEXT) | instid1(VALU_DEP_1)
	v_trunc_f32_e32 v9, v11
	v_dual_ashrrev_i32 v7, 30, v7 :: v_dual_fma_f32 v11, -v9, v10, v12
	s_delay_alu instid0(VALU_DEP_1) | instskip(SKIP_1) | instid1(VALU_DEP_3)
	v_or_b32_e32 v7, 1, v7
	v_cvt_i32_f32_e32 v9, v9
	v_cmp_ge_f32_e64 s0, |v11|, |v10|
	s_delay_alu instid0(VALU_DEP_1) | instskip(NEXT) | instid1(VALU_DEP_1)
	v_cndmask_b32_e64 v7, 0, v7, s0
	v_add_nc_u32_e32 v7, v9, v7
	s_delay_alu instid0(VALU_DEP_1) | instskip(NEXT) | instid1(VALU_DEP_1)
	v_bfe_i32 v7, v7, 0, 16
	v_mul_i32_i24_e32 v7, v7, v8
	s_delay_alu instid0(VALU_DEP_1) | instskip(NEXT) | instid1(VALU_DEP_1)
	v_sub_nc_u32_e32 v8, 0, v7
	v_max_i32_e32 v10, v7, v8
.LBB75_140:
	s_or_b32 exec_lo, exec_lo, s3
	s_delay_alu instid0(VALU_DEP_1) | instskip(SKIP_2) | instid1(SALU_CYCLE_1)
	v_perm_b32 v3, v10, v3, 0x5040100
	s_or_b32 exec_lo, exec_lo, s1
	s_and_saveexec_b32 s0, vcc_lo
	s_xor_b32 s0, exec_lo, s0
	s_cbranch_execz .LBB75_125
.LBB75_141:
	v_mov_b32_e32 v0, v6
	global_store_b16 v5, v4, s[4:5] scale_offset
	s_wait_xcnt 0x0
	s_or_b32 exec_lo, exec_lo, s0
	s_delay_alu instid0(SALU_CYCLE_1)
	s_mov_b32 s0, exec_lo
	v_cmpx_gt_i32_e64 s10, v0
	s_cbranch_execz .LBB75_126
.LBB75_142:
	v_add_nc_u32_e32 v5, s2, v0
	v_add_nc_u32_e32 v0, 0x100, v0
	global_store_d16_hi_b16 v5, v4, s[4:5] scale_offset
	s_wait_xcnt 0x0
	s_or_b32 exec_lo, exec_lo, s0
	s_delay_alu instid0(SALU_CYCLE_1)
	s_mov_b32 s0, exec_lo
	v_cmpx_gt_i32_e64 s10, v0
	s_cbranch_execz .LBB75_127
.LBB75_143:
	v_add_nc_u32_e32 v4, s2, v0
	v_add_nc_u32_e32 v0, 0x100, v0
	global_store_b16 v4, v1, s[4:5] scale_offset
	s_wait_xcnt 0x0
	s_or_b32 exec_lo, exec_lo, s0
	s_delay_alu instid0(SALU_CYCLE_1)
	s_mov_b32 s0, exec_lo
	v_cmpx_gt_i32_e64 s10, v0
	s_cbranch_execz .LBB75_128
.LBB75_144:
	v_add_nc_u32_e32 v4, s2, v0
	v_add_nc_u32_e32 v0, 0x100, v0
	global_store_d16_hi_b16 v4, v1, s[4:5] scale_offset
	s_wait_xcnt 0x0
	s_or_b32 exec_lo, exec_lo, s0
	s_delay_alu instid0(SALU_CYCLE_1)
	s_mov_b32 s0, exec_lo
	v_cmpx_gt_i32_e64 s10, v0
	s_cbranch_execz .LBB75_129
.LBB75_145:
	v_add_nc_u32_e32 v1, s2, v0
	v_add_nc_u32_e32 v0, 0x100, v0
	global_store_b16 v1, v2, s[4:5] scale_offset
	s_wait_xcnt 0x0
	s_or_b32 exec_lo, exec_lo, s0
	s_delay_alu instid0(SALU_CYCLE_1)
	s_mov_b32 s0, exec_lo
	v_cmpx_gt_i32_e64 s10, v0
	s_cbranch_execz .LBB75_130
.LBB75_146:
	v_add_nc_u32_e32 v1, s2, v0
	v_add_nc_u32_e32 v0, 0x100, v0
	global_store_d16_hi_b16 v1, v2, s[4:5] scale_offset
	s_wait_xcnt 0x0
	s_or_b32 exec_lo, exec_lo, s0
	s_delay_alu instid0(SALU_CYCLE_1)
	s_mov_b32 s0, exec_lo
	v_cmpx_gt_i32_e64 s10, v0
	s_cbranch_execz .LBB75_131
.LBB75_147:
	v_add_nc_u32_e32 v1, s2, v0
	v_add_nc_u32_e32 v0, 0x100, v0
	global_store_b16 v1, v3, s[4:5] scale_offset
	s_wait_xcnt 0x0
	s_or_b32 exec_lo, exec_lo, s0
	s_delay_alu instid0(SALU_CYCLE_1)
	s_mov_b32 s0, exec_lo
	v_cmpx_gt_i32_e64 s10, v0
	s_cbranch_execnz .LBB75_132
	s_branch .LBB75_133
	.section	.rodata,"a",@progbits
	.p2align	6, 0x0
	.amdhsa_kernel _ZN2at6native29vectorized_elementwise_kernelILi2EZZZNS0_15lcm_kernel_cudaERNS_18TensorIteratorBaseEENKUlvE_clEvENKUlvE3_clEvEUlssE_St5arrayIPcLm3EEEEviT0_T1_
		.amdhsa_group_segment_fixed_size 0
		.amdhsa_private_segment_fixed_size 0
		.amdhsa_kernarg_size 32
		.amdhsa_user_sgpr_count 2
		.amdhsa_user_sgpr_dispatch_ptr 0
		.amdhsa_user_sgpr_queue_ptr 0
		.amdhsa_user_sgpr_kernarg_segment_ptr 1
		.amdhsa_user_sgpr_dispatch_id 0
		.amdhsa_user_sgpr_kernarg_preload_length 0
		.amdhsa_user_sgpr_kernarg_preload_offset 0
		.amdhsa_user_sgpr_private_segment_size 0
		.amdhsa_wavefront_size32 1
		.amdhsa_uses_dynamic_stack 0
		.amdhsa_enable_private_segment 0
		.amdhsa_system_sgpr_workgroup_id_x 1
		.amdhsa_system_sgpr_workgroup_id_y 0
		.amdhsa_system_sgpr_workgroup_id_z 0
		.amdhsa_system_sgpr_workgroup_info 0
		.amdhsa_system_vgpr_workitem_id 0
		.amdhsa_next_free_vgpr 28
		.amdhsa_next_free_sgpr 16
		.amdhsa_named_barrier_count 0
		.amdhsa_reserve_vcc 1
		.amdhsa_float_round_mode_32 0
		.amdhsa_float_round_mode_16_64 0
		.amdhsa_float_denorm_mode_32 3
		.amdhsa_float_denorm_mode_16_64 3
		.amdhsa_fp16_overflow 0
		.amdhsa_memory_ordered 1
		.amdhsa_forward_progress 1
		.amdhsa_inst_pref_size 68
		.amdhsa_round_robin_scheduling 0
		.amdhsa_exception_fp_ieee_invalid_op 0
		.amdhsa_exception_fp_denorm_src 0
		.amdhsa_exception_fp_ieee_div_zero 0
		.amdhsa_exception_fp_ieee_overflow 0
		.amdhsa_exception_fp_ieee_underflow 0
		.amdhsa_exception_fp_ieee_inexact 0
		.amdhsa_exception_int_div_zero 0
	.end_amdhsa_kernel
	.section	.text._ZN2at6native29vectorized_elementwise_kernelILi2EZZZNS0_15lcm_kernel_cudaERNS_18TensorIteratorBaseEENKUlvE_clEvENKUlvE3_clEvEUlssE_St5arrayIPcLm3EEEEviT0_T1_,"axG",@progbits,_ZN2at6native29vectorized_elementwise_kernelILi2EZZZNS0_15lcm_kernel_cudaERNS_18TensorIteratorBaseEENKUlvE_clEvENKUlvE3_clEvEUlssE_St5arrayIPcLm3EEEEviT0_T1_,comdat
.Lfunc_end75:
	.size	_ZN2at6native29vectorized_elementwise_kernelILi2EZZZNS0_15lcm_kernel_cudaERNS_18TensorIteratorBaseEENKUlvE_clEvENKUlvE3_clEvEUlssE_St5arrayIPcLm3EEEEviT0_T1_, .Lfunc_end75-_ZN2at6native29vectorized_elementwise_kernelILi2EZZZNS0_15lcm_kernel_cudaERNS_18TensorIteratorBaseEENKUlvE_clEvENKUlvE3_clEvEUlssE_St5arrayIPcLm3EEEEviT0_T1_
                                        ; -- End function
	.set _ZN2at6native29vectorized_elementwise_kernelILi2EZZZNS0_15lcm_kernel_cudaERNS_18TensorIteratorBaseEENKUlvE_clEvENKUlvE3_clEvEUlssE_St5arrayIPcLm3EEEEviT0_T1_.num_vgpr, 28
	.set _ZN2at6native29vectorized_elementwise_kernelILi2EZZZNS0_15lcm_kernel_cudaERNS_18TensorIteratorBaseEENKUlvE_clEvENKUlvE3_clEvEUlssE_St5arrayIPcLm3EEEEviT0_T1_.num_agpr, 0
	.set _ZN2at6native29vectorized_elementwise_kernelILi2EZZZNS0_15lcm_kernel_cudaERNS_18TensorIteratorBaseEENKUlvE_clEvENKUlvE3_clEvEUlssE_St5arrayIPcLm3EEEEviT0_T1_.numbered_sgpr, 16
	.set _ZN2at6native29vectorized_elementwise_kernelILi2EZZZNS0_15lcm_kernel_cudaERNS_18TensorIteratorBaseEENKUlvE_clEvENKUlvE3_clEvEUlssE_St5arrayIPcLm3EEEEviT0_T1_.num_named_barrier, 0
	.set _ZN2at6native29vectorized_elementwise_kernelILi2EZZZNS0_15lcm_kernel_cudaERNS_18TensorIteratorBaseEENKUlvE_clEvENKUlvE3_clEvEUlssE_St5arrayIPcLm3EEEEviT0_T1_.private_seg_size, 0
	.set _ZN2at6native29vectorized_elementwise_kernelILi2EZZZNS0_15lcm_kernel_cudaERNS_18TensorIteratorBaseEENKUlvE_clEvENKUlvE3_clEvEUlssE_St5arrayIPcLm3EEEEviT0_T1_.uses_vcc, 1
	.set _ZN2at6native29vectorized_elementwise_kernelILi2EZZZNS0_15lcm_kernel_cudaERNS_18TensorIteratorBaseEENKUlvE_clEvENKUlvE3_clEvEUlssE_St5arrayIPcLm3EEEEviT0_T1_.uses_flat_scratch, 0
	.set _ZN2at6native29vectorized_elementwise_kernelILi2EZZZNS0_15lcm_kernel_cudaERNS_18TensorIteratorBaseEENKUlvE_clEvENKUlvE3_clEvEUlssE_St5arrayIPcLm3EEEEviT0_T1_.has_dyn_sized_stack, 0
	.set _ZN2at6native29vectorized_elementwise_kernelILi2EZZZNS0_15lcm_kernel_cudaERNS_18TensorIteratorBaseEENKUlvE_clEvENKUlvE3_clEvEUlssE_St5arrayIPcLm3EEEEviT0_T1_.has_recursion, 0
	.set _ZN2at6native29vectorized_elementwise_kernelILi2EZZZNS0_15lcm_kernel_cudaERNS_18TensorIteratorBaseEENKUlvE_clEvENKUlvE3_clEvEUlssE_St5arrayIPcLm3EEEEviT0_T1_.has_indirect_call, 0
	.section	.AMDGPU.csdata,"",@progbits
; Kernel info:
; codeLenInByte = 8664
; TotalNumSgprs: 18
; NumVgprs: 28
; ScratchSize: 0
; MemoryBound: 0
; FloatMode: 240
; IeeeMode: 1
; LDSByteSize: 0 bytes/workgroup (compile time only)
; SGPRBlocks: 0
; VGPRBlocks: 1
; NumSGPRsForWavesPerEU: 18
; NumVGPRsForWavesPerEU: 28
; NamedBarCnt: 0
; Occupancy: 16
; WaveLimiterHint : 1
; COMPUTE_PGM_RSRC2:SCRATCH_EN: 0
; COMPUTE_PGM_RSRC2:USER_SGPR: 2
; COMPUTE_PGM_RSRC2:TRAP_HANDLER: 0
; COMPUTE_PGM_RSRC2:TGID_X_EN: 1
; COMPUTE_PGM_RSRC2:TGID_Y_EN: 0
; COMPUTE_PGM_RSRC2:TGID_Z_EN: 0
; COMPUTE_PGM_RSRC2:TIDIG_COMP_CNT: 0
	.section	.text._ZN2at6native27unrolled_elementwise_kernelIZZZNS0_15lcm_kernel_cudaERNS_18TensorIteratorBaseEENKUlvE_clEvENKUlvE3_clEvEUlssE_St5arrayIPcLm3EELi4E23TrivialOffsetCalculatorILi2EjESA_ILi1EjENS0_6memory15LoadWithoutCastENSD_16StoreWithoutCastEEEviT_T0_T2_T3_T4_T5_,"axG",@progbits,_ZN2at6native27unrolled_elementwise_kernelIZZZNS0_15lcm_kernel_cudaERNS_18TensorIteratorBaseEENKUlvE_clEvENKUlvE3_clEvEUlssE_St5arrayIPcLm3EELi4E23TrivialOffsetCalculatorILi2EjESA_ILi1EjENS0_6memory15LoadWithoutCastENSD_16StoreWithoutCastEEEviT_T0_T2_T3_T4_T5_,comdat
	.globl	_ZN2at6native27unrolled_elementwise_kernelIZZZNS0_15lcm_kernel_cudaERNS_18TensorIteratorBaseEENKUlvE_clEvENKUlvE3_clEvEUlssE_St5arrayIPcLm3EELi4E23TrivialOffsetCalculatorILi2EjESA_ILi1EjENS0_6memory15LoadWithoutCastENSD_16StoreWithoutCastEEEviT_T0_T2_T3_T4_T5_ ; -- Begin function _ZN2at6native27unrolled_elementwise_kernelIZZZNS0_15lcm_kernel_cudaERNS_18TensorIteratorBaseEENKUlvE_clEvENKUlvE3_clEvEUlssE_St5arrayIPcLm3EELi4E23TrivialOffsetCalculatorILi2EjESA_ILi1EjENS0_6memory15LoadWithoutCastENSD_16StoreWithoutCastEEEviT_T0_T2_T3_T4_T5_
	.p2align	8
	.type	_ZN2at6native27unrolled_elementwise_kernelIZZZNS0_15lcm_kernel_cudaERNS_18TensorIteratorBaseEENKUlvE_clEvENKUlvE3_clEvEUlssE_St5arrayIPcLm3EELi4E23TrivialOffsetCalculatorILi2EjESA_ILi1EjENS0_6memory15LoadWithoutCastENSD_16StoreWithoutCastEEEviT_T0_T2_T3_T4_T5_,@function
_ZN2at6native27unrolled_elementwise_kernelIZZZNS0_15lcm_kernel_cudaERNS_18TensorIteratorBaseEENKUlvE_clEvENKUlvE3_clEvEUlssE_St5arrayIPcLm3EELi4E23TrivialOffsetCalculatorILi2EjESA_ILi1EjENS0_6memory15LoadWithoutCastENSD_16StoreWithoutCastEEEviT_T0_T2_T3_T4_T5_: ; @_ZN2at6native27unrolled_elementwise_kernelIZZZNS0_15lcm_kernel_cudaERNS_18TensorIteratorBaseEENKUlvE_clEvENKUlvE3_clEvEUlssE_St5arrayIPcLm3EELi4E23TrivialOffsetCalculatorILi2EjESA_ILi1EjENS0_6memory15LoadWithoutCastENSD_16StoreWithoutCastEEEviT_T0_T2_T3_T4_T5_
; %bb.0:
	s_load_b32 s8, s[0:1], 0x0
	s_bfe_u32 s10, ttmp6, 0x4000c
	s_clause 0x1
	s_load_b128 s[4:7], s[0:1], 0x8
	s_load_b64 s[2:3], s[0:1], 0x18
	s_add_co_i32 s10, s10, 1
	s_and_b32 s9, ttmp6, 15
	s_wait_xcnt 0x0
	s_mul_i32 s1, ttmp9, s10
	s_getreg_b32 s0, hwreg(HW_REG_IB_STS2, 6, 4)
	s_add_co_i32 s9, s9, s1
	s_cmp_eq_u32 s0, 0
	v_dual_mov_b32 v9, 0 :: v_dual_mov_b32 v12, 0
	s_cselect_b32 s0, ttmp9, s9
	v_or_b32_e32 v3, 0x100, v0
	s_lshl_b32 s1, s0, 10
	s_delay_alu instid0(SALU_CYCLE_1) | instskip(SKIP_3) | instid1(SALU_CYCLE_1)
	v_dual_mov_b32 v11, 0 :: v_dual_bitop2_b32 v4, s1, v0 bitop3:0x54
	v_mov_b32_e32 v1, v0
	s_wait_kmcnt 0x0
	s_sub_co_i32 s8, s8, s1
	v_cmp_gt_i32_e32 vcc_lo, s8, v0
	s_and_saveexec_b32 s0, vcc_lo
	s_cbranch_execz .LBB76_2
; %bb.1:
	s_clause 0x1
	global_load_u16 v12, v4, s[6:7] scale_offset
	global_load_u16 v11, v4, s[2:3] scale_offset
	v_or_b32_e32 v1, 0x100, v0
.LBB76_2:
	s_wait_xcnt 0x0
	s_or_b32 exec_lo, exec_lo, s0
	v_mov_b32_e32 v10, 0
	s_mov_b32 s9, exec_lo
	v_cmpx_gt_i32_e64 s8, v1
	s_cbranch_execz .LBB76_4
; %bb.3:
	v_add_nc_u32_e32 v2, s1, v1
	v_add_nc_u32_e32 v1, 0x100, v1
	s_clause 0x1
	global_load_u16 v9, v2, s[6:7] scale_offset
	global_load_u16 v10, v2, s[2:3] scale_offset
.LBB76_4:
	s_wait_xcnt 0x0
	s_or_b32 exec_lo, exec_lo, s9
	v_dual_mov_b32 v5, 0 :: v_dual_mov_b32 v8, 0
	v_mov_b32_e32 v7, 0
	s_mov_b32 s9, exec_lo
	v_cmpx_gt_i32_e64 s8, v1
	s_cbranch_execz .LBB76_6
; %bb.5:
	v_add_nc_u32_e32 v2, s1, v1
	v_add_nc_u32_e32 v1, 0x100, v1
	s_clause 0x1
	global_load_u16 v8, v2, s[6:7] scale_offset
	global_load_u16 v7, v2, s[2:3] scale_offset
.LBB76_6:
	s_wait_xcnt 0x0
	s_or_b32 exec_lo, exec_lo, s9
	v_mov_b32_e32 v6, 0
	s_mov_b32 s9, exec_lo
	v_cmpx_gt_i32_e64 s8, v1
	s_cbranch_execz .LBB76_8
; %bb.7:
	v_add_nc_u32_e32 v1, s1, v1
	s_clause 0x1
	global_load_u16 v5, v1, s[6:7] scale_offset
	global_load_u16 v6, v1, s[2:3] scale_offset
.LBB76_8:
	s_wait_xcnt 0x0
	s_or_b32 exec_lo, exec_lo, s9
	v_mov_b32_e32 v2, 0
	s_delay_alu instid0(VALU_DEP_1)
	v_mov_b32_e32 v1, v2
	s_and_saveexec_b32 s2, vcc_lo
	s_cbranch_execz .LBB76_16
; %bb.9:
	s_wait_loadcnt 0x0
	v_sub_nc_u16 v1, 0, v11
	s_mov_b32 s3, exec_lo
	s_delay_alu instid0(VALU_DEP_1)
	v_max_i16 v2, v11, v1
	v_cmpx_ne_u16_e32 0, v12
	s_cbranch_execz .LBB76_13
; %bb.10:
	v_sub_nc_u16 v1, 0, v12
	s_mov_b32 s6, 0
	s_delay_alu instid0(VALU_DEP_1) | instskip(SKIP_1) | instid1(VALU_DEP_2)
	v_max_i16 v13, v12, v1
	v_and_b32_e32 v1, 0xffff, v2
	v_and_b32_e32 v13, 0xffff, v13
.LBB76_11:                              ; =>This Inner Loop Header: Depth=1
	s_delay_alu instid0(VALU_DEP_1) | instskip(NEXT) | instid1(VALU_DEP_2)
	v_bfe_i32 v15, v1, 0, 16
	v_mov_b32_e32 v2, v13
	s_delay_alu instid0(VALU_DEP_2) | instskip(NEXT) | instid1(VALU_DEP_2)
	v_cvt_f32_i32_e32 v17, v15
	v_bfe_i32 v13, v2, 0, 16
	s_delay_alu instid0(VALU_DEP_1) | instskip(SKIP_1) | instid1(VALU_DEP_2)
	v_cvt_f32_i32_e32 v14, v13
	v_xor_b32_e32 v13, v15, v13
	v_rcp_iflag_f32_e32 v16, v14
	v_nop
	s_delay_alu instid0(TRANS32_DEP_1) | instskip(NEXT) | instid1(VALU_DEP_1)
	v_dual_ashrrev_i32 v13, 30, v13 :: v_dual_mul_f32 v15, v17, v16
	v_trunc_f32_e32 v15, v15
	s_delay_alu instid0(VALU_DEP_1) | instskip(SKIP_1) | instid1(VALU_DEP_2)
	v_dual_fma_f32 v16, -v15, v14, v17 :: v_dual_bitop2_b32 v13, 1, v13 bitop3:0x54
	v_cvt_i32_f32_e32 v15, v15
	v_cmp_ge_f32_e64 s0, |v16|, |v14|
	s_delay_alu instid0(VALU_DEP_1) | instskip(NEXT) | instid1(VALU_DEP_1)
	v_cndmask_b32_e64 v13, 0, v13, s0
	v_add_nc_u32_e32 v13, v15, v13
	s_delay_alu instid0(VALU_DEP_1) | instskip(NEXT) | instid1(VALU_DEP_1)
	v_mul_lo_u32 v13, v13, v2
	v_sub_nc_u32_e32 v13, v1, v13
	s_delay_alu instid0(VALU_DEP_1) | instskip(SKIP_1) | instid1(VALU_DEP_2)
	v_and_b32_e32 v1, 0xffff, v13
	v_bfe_i32 v13, v13, 0, 16
	v_cmp_eq_u32_e64 s0, 0, v1
	v_mov_b32_e32 v1, v2
	s_or_b32 s6, s0, s6
	s_delay_alu instid0(SALU_CYCLE_1)
	s_and_not1_b32 exec_lo, exec_lo, s6
	s_cbranch_execnz .LBB76_11
; %bb.12:
	s_or_b32 exec_lo, exec_lo, s6
.LBB76_13:
	s_delay_alu instid0(SALU_CYCLE_1)
	s_or_b32 exec_lo, exec_lo, s3
	v_dual_mov_b32 v1, 0 :: v_dual_mov_b32 v13, 0
	s_mov_b32 s3, exec_lo
	v_cmpx_ne_u16_e32 0, v2
	s_cbranch_execz .LBB76_15
; %bb.14:
	v_bfe_i32 v2, v2, 0, 16
	v_bfe_i32 v12, v12, 0, 16
	;; [unrolled: 1-line block ×3, first 2 shown]
	s_delay_alu instid0(VALU_DEP_3) | instskip(NEXT) | instid1(VALU_DEP_3)
	v_cvt_f32_i32_e32 v13, v2
	v_cvt_f32_i32_e32 v15, v12
	v_xor_b32_e32 v2, v12, v2
	s_delay_alu instid0(VALU_DEP_3) | instskip(SKIP_1) | instid1(TRANS32_DEP_1)
	v_rcp_iflag_f32_e32 v14, v13
	v_nop
	v_mul_f32_e32 v14, v15, v14
	s_delay_alu instid0(VALU_DEP_1) | instskip(NEXT) | instid1(VALU_DEP_1)
	v_trunc_f32_e32 v12, v14
	v_dual_fma_f32 v14, -v12, v13, v15 :: v_dual_ashrrev_i32 v2, 30, v2
	v_cvt_i32_f32_e32 v12, v12
	s_delay_alu instid0(VALU_DEP_2) | instskip(NEXT) | instid1(VALU_DEP_3)
	v_cmp_ge_f32_e64 s0, |v14|, |v13|
	v_or_b32_e32 v2, 1, v2
	s_delay_alu instid0(VALU_DEP_1) | instskip(NEXT) | instid1(VALU_DEP_1)
	v_cndmask_b32_e64 v2, 0, v2, s0
	v_add_nc_u32_e32 v2, v12, v2
	s_delay_alu instid0(VALU_DEP_1) | instskip(NEXT) | instid1(VALU_DEP_1)
	v_bfe_i32 v2, v2, 0, 16
	v_mul_i32_i24_e32 v2, v2, v11
	s_delay_alu instid0(VALU_DEP_1) | instskip(NEXT) | instid1(VALU_DEP_1)
	v_sub_nc_u32_e32 v11, 0, v2
	v_max_i32_e32 v13, v2, v11
.LBB76_15:
	s_or_b32 exec_lo, exec_lo, s3
	s_delay_alu instid0(VALU_DEP_1)
	v_and_b32_e32 v2, 0xffff, v13
.LBB76_16:
	s_or_b32 exec_lo, exec_lo, s2
	s_delay_alu instid0(SALU_CYCLE_1)
	s_mov_b32 s2, exec_lo
	v_cmpx_gt_i32_e64 s8, v3
	s_cbranch_execz .LBB76_24
; %bb.17:
	s_wait_loadcnt 0x0
	v_sub_nc_u16 v11, 0, v10
	s_mov_b32 s6, 0
	s_mov_b32 s3, exec_lo
	s_delay_alu instid0(VALU_DEP_1)
	v_max_i16 v11, v10, v11
	v_cmpx_ne_u16_e32 0, v9
	s_cbranch_execz .LBB76_21
; %bb.18:
	v_sub_nc_u16 v12, 0, v9
	s_delay_alu instid0(VALU_DEP_1) | instskip(SKIP_1) | instid1(VALU_DEP_2)
	v_max_i16 v13, v9, v12
	v_and_b32_e32 v12, 0xffff, v11
	v_and_b32_e32 v13, 0xffff, v13
.LBB76_19:                              ; =>This Inner Loop Header: Depth=1
	s_delay_alu instid0(VALU_DEP_1) | instskip(NEXT) | instid1(VALU_DEP_2)
	v_bfe_i32 v15, v12, 0, 16
	v_mov_b32_e32 v11, v13
	s_delay_alu instid0(VALU_DEP_2) | instskip(NEXT) | instid1(VALU_DEP_2)
	v_cvt_f32_i32_e32 v17, v15
	v_bfe_i32 v13, v11, 0, 16
	s_delay_alu instid0(VALU_DEP_1) | instskip(SKIP_1) | instid1(VALU_DEP_2)
	v_cvt_f32_i32_e32 v14, v13
	v_xor_b32_e32 v13, v15, v13
	v_rcp_iflag_f32_e32 v16, v14
	v_nop
	s_delay_alu instid0(TRANS32_DEP_1) | instskip(NEXT) | instid1(VALU_DEP_1)
	v_dual_ashrrev_i32 v13, 30, v13 :: v_dual_mul_f32 v15, v17, v16
	v_trunc_f32_e32 v15, v15
	s_delay_alu instid0(VALU_DEP_1) | instskip(SKIP_1) | instid1(VALU_DEP_2)
	v_dual_fma_f32 v16, -v15, v14, v17 :: v_dual_bitop2_b32 v13, 1, v13 bitop3:0x54
	v_cvt_i32_f32_e32 v15, v15
	v_cmp_ge_f32_e64 s0, |v16|, |v14|
	s_delay_alu instid0(VALU_DEP_1) | instskip(NEXT) | instid1(VALU_DEP_1)
	v_cndmask_b32_e64 v13, 0, v13, s0
	v_add_nc_u32_e32 v13, v15, v13
	s_delay_alu instid0(VALU_DEP_1) | instskip(NEXT) | instid1(VALU_DEP_1)
	v_mul_lo_u32 v13, v13, v11
	v_sub_nc_u32_e32 v13, v12, v13
	s_delay_alu instid0(VALU_DEP_1) | instskip(SKIP_1) | instid1(VALU_DEP_2)
	v_and_b32_e32 v12, 0xffff, v13
	v_bfe_i32 v13, v13, 0, 16
	v_cmp_eq_u32_e64 s0, 0, v12
	v_mov_b32_e32 v12, v11
	s_or_b32 s6, s0, s6
	s_delay_alu instid0(SALU_CYCLE_1)
	s_and_not1_b32 exec_lo, exec_lo, s6
	s_cbranch_execnz .LBB76_19
; %bb.20:
	s_or_b32 exec_lo, exec_lo, s6
.LBB76_21:
	s_delay_alu instid0(SALU_CYCLE_1)
	s_or_b32 exec_lo, exec_lo, s3
	v_mov_b32_e32 v12, 0
	s_mov_b32 s3, exec_lo
	v_cmpx_ne_u16_e32 0, v11
	s_cbranch_execz .LBB76_23
; %bb.22:
	v_bfe_i32 v11, v11, 0, 16
	v_bfe_i32 v9, v9, 0, 16
	;; [unrolled: 1-line block ×3, first 2 shown]
	s_delay_alu instid0(VALU_DEP_3) | instskip(NEXT) | instid1(VALU_DEP_3)
	v_cvt_f32_i32_e32 v12, v11
	v_cvt_f32_i32_e32 v14, v9
	v_xor_b32_e32 v9, v9, v11
	s_delay_alu instid0(VALU_DEP_3) | instskip(SKIP_1) | instid1(TRANS32_DEP_1)
	v_rcp_iflag_f32_e32 v13, v12
	v_nop
	v_mul_f32_e32 v13, v14, v13
	s_delay_alu instid0(VALU_DEP_1) | instskip(NEXT) | instid1(VALU_DEP_1)
	v_trunc_f32_e32 v11, v13
	v_dual_ashrrev_i32 v9, 30, v9 :: v_dual_fma_f32 v13, -v11, v12, v14
	s_delay_alu instid0(VALU_DEP_1) | instskip(SKIP_1) | instid1(VALU_DEP_3)
	v_or_b32_e32 v9, 1, v9
	v_cvt_i32_f32_e32 v11, v11
	v_cmp_ge_f32_e64 s0, |v13|, |v12|
	s_delay_alu instid0(VALU_DEP_1) | instskip(NEXT) | instid1(VALU_DEP_1)
	v_cndmask_b32_e64 v9, 0, v9, s0
	v_add_nc_u32_e32 v9, v11, v9
	s_delay_alu instid0(VALU_DEP_1) | instskip(NEXT) | instid1(VALU_DEP_1)
	v_bfe_i32 v9, v9, 0, 16
	v_mul_i32_i24_e32 v9, v9, v10
	s_delay_alu instid0(VALU_DEP_1) | instskip(NEXT) | instid1(VALU_DEP_1)
	v_sub_nc_u32_e32 v10, 0, v9
	v_max_i32_e32 v12, v9, v10
.LBB76_23:
	s_or_b32 exec_lo, exec_lo, s3
	s_delay_alu instid0(VALU_DEP_1)
	v_perm_b32 v2, v12, v2, 0x5040100
.LBB76_24:
	s_or_b32 exec_lo, exec_lo, s2
	s_wait_loadcnt 0x1
	v_or_b32_e32 v9, 0x200, v0
	s_mov_b32 s2, exec_lo
	s_delay_alu instid0(VALU_DEP_1)
	v_cmpx_gt_i32_e64 s8, v9
	s_cbranch_execz .LBB76_32
; %bb.25:
	s_wait_loadcnt 0x0
	v_sub_nc_u16 v9, 0, v7
	s_mov_b32 s6, 0
	s_mov_b32 s3, exec_lo
	s_delay_alu instid0(VALU_DEP_1)
	v_max_i16 v9, v7, v9
	v_cmpx_ne_u16_e32 0, v8
	s_cbranch_execz .LBB76_29
; %bb.26:
	v_sub_nc_u16 v10, 0, v8
	s_delay_alu instid0(VALU_DEP_1) | instskip(SKIP_1) | instid1(VALU_DEP_2)
	v_max_i16 v11, v8, v10
	v_and_b32_e32 v10, 0xffff, v9
	v_and_b32_e32 v11, 0xffff, v11
.LBB76_27:                              ; =>This Inner Loop Header: Depth=1
	s_delay_alu instid0(VALU_DEP_1) | instskip(NEXT) | instid1(VALU_DEP_2)
	v_bfe_i32 v13, v10, 0, 16
	v_mov_b32_e32 v9, v11
	s_delay_alu instid0(VALU_DEP_2) | instskip(NEXT) | instid1(VALU_DEP_2)
	v_cvt_f32_i32_e32 v15, v13
	v_bfe_i32 v11, v9, 0, 16
	s_delay_alu instid0(VALU_DEP_1) | instskip(SKIP_1) | instid1(VALU_DEP_2)
	v_cvt_f32_i32_e32 v12, v11
	v_xor_b32_e32 v11, v13, v11
	v_rcp_iflag_f32_e32 v14, v12
	v_nop
	s_delay_alu instid0(TRANS32_DEP_1) | instskip(NEXT) | instid1(VALU_DEP_1)
	v_dual_ashrrev_i32 v11, 30, v11 :: v_dual_mul_f32 v13, v15, v14
	v_trunc_f32_e32 v13, v13
	s_delay_alu instid0(VALU_DEP_1) | instskip(SKIP_1) | instid1(VALU_DEP_2)
	v_dual_fma_f32 v14, -v13, v12, v15 :: v_dual_bitop2_b32 v11, 1, v11 bitop3:0x54
	v_cvt_i32_f32_e32 v13, v13
	v_cmp_ge_f32_e64 s0, |v14|, |v12|
	s_delay_alu instid0(VALU_DEP_1) | instskip(NEXT) | instid1(VALU_DEP_1)
	v_cndmask_b32_e64 v11, 0, v11, s0
	v_add_nc_u32_e32 v11, v13, v11
	s_delay_alu instid0(VALU_DEP_1) | instskip(NEXT) | instid1(VALU_DEP_1)
	v_mul_lo_u32 v11, v11, v9
	v_sub_nc_u32_e32 v11, v10, v11
	s_delay_alu instid0(VALU_DEP_1) | instskip(SKIP_1) | instid1(VALU_DEP_2)
	v_and_b32_e32 v10, 0xffff, v11
	v_bfe_i32 v11, v11, 0, 16
	v_cmp_eq_u32_e64 s0, 0, v10
	v_mov_b32_e32 v10, v9
	s_or_b32 s6, s0, s6
	s_delay_alu instid0(SALU_CYCLE_1)
	s_and_not1_b32 exec_lo, exec_lo, s6
	s_cbranch_execnz .LBB76_27
; %bb.28:
	s_or_b32 exec_lo, exec_lo, s6
.LBB76_29:
	s_delay_alu instid0(SALU_CYCLE_1)
	s_or_b32 exec_lo, exec_lo, s3
	v_mov_b32_e32 v10, 0
	s_mov_b32 s3, exec_lo
	v_cmpx_ne_u16_e32 0, v9
	s_cbranch_execz .LBB76_31
; %bb.30:
	v_bfe_i32 v9, v9, 0, 16
	v_bfe_i32 v8, v8, 0, 16
	;; [unrolled: 1-line block ×3, first 2 shown]
	s_delay_alu instid0(VALU_DEP_3) | instskip(NEXT) | instid1(VALU_DEP_3)
	v_cvt_f32_i32_e32 v10, v9
	v_cvt_f32_i32_e32 v12, v8
	v_xor_b32_e32 v8, v8, v9
	s_delay_alu instid0(VALU_DEP_3) | instskip(SKIP_1) | instid1(TRANS32_DEP_1)
	v_rcp_iflag_f32_e32 v11, v10
	v_nop
	v_dual_mul_f32 v11, v12, v11 :: v_dual_ashrrev_i32 v8, 30, v8
	s_delay_alu instid0(VALU_DEP_1) | instskip(NEXT) | instid1(VALU_DEP_2)
	v_or_b32_e32 v8, 1, v8
	v_trunc_f32_e32 v9, v11
	s_delay_alu instid0(VALU_DEP_1) | instskip(SKIP_1) | instid1(VALU_DEP_2)
	v_fma_f32 v11, -v9, v10, v12
	v_cvt_i32_f32_e32 v9, v9
	v_cmp_ge_f32_e64 s0, |v11|, |v10|
	s_delay_alu instid0(VALU_DEP_1) | instskip(NEXT) | instid1(VALU_DEP_1)
	v_cndmask_b32_e64 v8, 0, v8, s0
	v_add_nc_u32_e32 v8, v9, v8
	s_delay_alu instid0(VALU_DEP_1) | instskip(NEXT) | instid1(VALU_DEP_1)
	v_bfe_i32 v8, v8, 0, 16
	v_mul_i32_i24_e32 v7, v8, v7
	s_delay_alu instid0(VALU_DEP_1) | instskip(NEXT) | instid1(VALU_DEP_1)
	v_sub_nc_u32_e32 v8, 0, v7
	v_max_i32_e32 v10, v7, v8
.LBB76_31:
	s_or_b32 exec_lo, exec_lo, s3
	s_delay_alu instid0(VALU_DEP_1)
	v_bfi_b32 v1, 0xffff, v10, v1
.LBB76_32:
	s_or_b32 exec_lo, exec_lo, s2
	s_wait_loadcnt 0x0
	v_or_b32_e32 v7, 0x300, v0
	s_mov_b32 s2, exec_lo
	s_delay_alu instid0(VALU_DEP_1)
	v_cmpx_gt_i32_e64 s8, v7
	s_cbranch_execnz .LBB76_38
; %bb.33:
	s_or_b32 exec_lo, exec_lo, s2
	s_and_saveexec_b32 s0, vcc_lo
	s_delay_alu instid0(SALU_CYCLE_1)
	s_xor_b32 s0, exec_lo, s0
	s_cbranch_execnz .LBB76_45
.LBB76_34:
	s_or_b32 exec_lo, exec_lo, s0
	s_delay_alu instid0(SALU_CYCLE_1)
	s_mov_b32 s0, exec_lo
	v_cmpx_gt_i32_e64 s8, v0
	s_cbranch_execnz .LBB76_46
.LBB76_35:
	s_or_b32 exec_lo, exec_lo, s0
	s_delay_alu instid0(SALU_CYCLE_1)
	s_mov_b32 s0, exec_lo
	v_cmpx_gt_i32_e64 s8, v0
	s_cbranch_execnz .LBB76_47
.LBB76_36:
	s_or_b32 exec_lo, exec_lo, s0
	s_delay_alu instid0(SALU_CYCLE_1)
	s_mov_b32 s0, exec_lo
	v_cmpx_gt_i32_e64 s8, v0
	s_cbranch_execnz .LBB76_48
.LBB76_37:
	s_endpgm
.LBB76_38:
	v_sub_nc_u16 v7, 0, v6
	s_mov_b32 s6, 0
	s_mov_b32 s3, exec_lo
	s_delay_alu instid0(VALU_DEP_1)
	v_max_i16 v7, v6, v7
	v_cmpx_ne_u16_e32 0, v5
	s_cbranch_execz .LBB76_42
; %bb.39:
	v_sub_nc_u16 v8, 0, v5
	s_delay_alu instid0(VALU_DEP_1) | instskip(SKIP_1) | instid1(VALU_DEP_2)
	v_max_i16 v9, v5, v8
	v_and_b32_e32 v8, 0xffff, v7
	v_and_b32_e32 v9, 0xffff, v9
.LBB76_40:                              ; =>This Inner Loop Header: Depth=1
	s_delay_alu instid0(VALU_DEP_1) | instskip(NEXT) | instid1(VALU_DEP_2)
	v_bfe_i32 v11, v8, 0, 16
	v_mov_b32_e32 v7, v9
	s_delay_alu instid0(VALU_DEP_2) | instskip(NEXT) | instid1(VALU_DEP_2)
	v_cvt_f32_i32_e32 v13, v11
	v_bfe_i32 v9, v7, 0, 16
	s_delay_alu instid0(VALU_DEP_1) | instskip(SKIP_1) | instid1(VALU_DEP_2)
	v_cvt_f32_i32_e32 v10, v9
	v_xor_b32_e32 v9, v11, v9
	v_rcp_iflag_f32_e32 v12, v10
	v_nop
	s_delay_alu instid0(TRANS32_DEP_1) | instskip(NEXT) | instid1(VALU_DEP_1)
	v_dual_ashrrev_i32 v9, 30, v9 :: v_dual_mul_f32 v11, v13, v12
	v_trunc_f32_e32 v11, v11
	s_delay_alu instid0(VALU_DEP_1) | instskip(SKIP_1) | instid1(VALU_DEP_2)
	v_dual_fma_f32 v12, -v11, v10, v13 :: v_dual_bitop2_b32 v9, 1, v9 bitop3:0x54
	v_cvt_i32_f32_e32 v11, v11
	v_cmp_ge_f32_e64 s0, |v12|, |v10|
	s_delay_alu instid0(VALU_DEP_1) | instskip(NEXT) | instid1(VALU_DEP_1)
	v_cndmask_b32_e64 v9, 0, v9, s0
	v_add_nc_u32_e32 v9, v11, v9
	s_delay_alu instid0(VALU_DEP_1) | instskip(NEXT) | instid1(VALU_DEP_1)
	v_mul_lo_u32 v9, v9, v7
	v_sub_nc_u32_e32 v9, v8, v9
	s_delay_alu instid0(VALU_DEP_1) | instskip(SKIP_1) | instid1(VALU_DEP_2)
	v_and_b32_e32 v8, 0xffff, v9
	v_bfe_i32 v9, v9, 0, 16
	v_cmp_eq_u32_e64 s0, 0, v8
	v_mov_b32_e32 v8, v7
	s_or_b32 s6, s0, s6
	s_delay_alu instid0(SALU_CYCLE_1)
	s_and_not1_b32 exec_lo, exec_lo, s6
	s_cbranch_execnz .LBB76_40
; %bb.41:
	s_or_b32 exec_lo, exec_lo, s6
.LBB76_42:
	s_delay_alu instid0(SALU_CYCLE_1)
	s_or_b32 exec_lo, exec_lo, s3
	v_mov_b32_e32 v8, 0
	s_mov_b32 s3, exec_lo
	v_cmpx_ne_u16_e32 0, v7
	s_cbranch_execz .LBB76_44
; %bb.43:
	v_bfe_i32 v7, v7, 0, 16
	v_bfe_i32 v5, v5, 0, 16
	;; [unrolled: 1-line block ×3, first 2 shown]
	s_delay_alu instid0(VALU_DEP_3) | instskip(NEXT) | instid1(VALU_DEP_3)
	v_cvt_f32_i32_e32 v8, v7
	v_cvt_f32_i32_e32 v10, v5
	v_xor_b32_e32 v5, v5, v7
	s_delay_alu instid0(VALU_DEP_3) | instskip(SKIP_1) | instid1(TRANS32_DEP_1)
	v_rcp_iflag_f32_e32 v9, v8
	v_nop
	v_mul_f32_e32 v9, v10, v9
	s_delay_alu instid0(VALU_DEP_1) | instskip(NEXT) | instid1(VALU_DEP_1)
	v_trunc_f32_e32 v7, v9
	v_dual_ashrrev_i32 v5, 30, v5 :: v_dual_fma_f32 v9, -v7, v8, v10
	s_delay_alu instid0(VALU_DEP_1) | instskip(SKIP_1) | instid1(VALU_DEP_3)
	v_or_b32_e32 v5, 1, v5
	v_cvt_i32_f32_e32 v7, v7
	v_cmp_ge_f32_e64 s0, |v9|, |v8|
	s_delay_alu instid0(VALU_DEP_1) | instskip(NEXT) | instid1(VALU_DEP_1)
	v_cndmask_b32_e64 v5, 0, v5, s0
	v_add_nc_u32_e32 v5, v7, v5
	s_delay_alu instid0(VALU_DEP_1) | instskip(NEXT) | instid1(VALU_DEP_1)
	v_bfe_i32 v5, v5, 0, 16
	v_mul_i32_i24_e32 v5, v5, v6
	s_delay_alu instid0(VALU_DEP_1) | instskip(NEXT) | instid1(VALU_DEP_1)
	v_sub_nc_u32_e32 v6, 0, v5
	v_max_i32_e32 v8, v5, v6
.LBB76_44:
	s_or_b32 exec_lo, exec_lo, s3
	s_delay_alu instid0(VALU_DEP_1) | instskip(SKIP_2) | instid1(SALU_CYCLE_1)
	v_perm_b32 v1, v8, v1, 0x5040100
	s_or_b32 exec_lo, exec_lo, s2
	s_and_saveexec_b32 s0, vcc_lo
	s_xor_b32 s0, exec_lo, s0
	s_cbranch_execz .LBB76_34
.LBB76_45:
	v_mov_b32_e32 v0, v3
	global_store_b16 v4, v2, s[4:5] scale_offset
	s_wait_xcnt 0x0
	s_or_b32 exec_lo, exec_lo, s0
	s_delay_alu instid0(SALU_CYCLE_1)
	s_mov_b32 s0, exec_lo
	v_cmpx_gt_i32_e64 s8, v0
	s_cbranch_execz .LBB76_35
.LBB76_46:
	v_add_nc_u32_e32 v3, 0x100, v0
	s_delay_alu instid0(VALU_DEP_1) | instskip(SKIP_3) | instid1(SALU_CYCLE_1)
	v_dual_add_nc_u32 v4, s1, v0 :: v_dual_mov_b32 v0, v3
	global_store_d16_hi_b16 v4, v2, s[4:5] scale_offset
	s_wait_xcnt 0x0
	s_or_b32 exec_lo, exec_lo, s0
	s_mov_b32 s0, exec_lo
	v_cmpx_gt_i32_e64 s8, v0
	s_cbranch_execz .LBB76_36
.LBB76_47:
	v_add_nc_u32_e32 v2, 0x100, v0
	s_delay_alu instid0(VALU_DEP_1) | instskip(SKIP_3) | instid1(SALU_CYCLE_1)
	v_dual_mov_b32 v0, v2 :: v_dual_add_nc_u32 v3, s1, v0
	global_store_b16 v3, v1, s[4:5] scale_offset
	s_wait_xcnt 0x0
	s_or_b32 exec_lo, exec_lo, s0
	s_mov_b32 s0, exec_lo
	v_cmpx_gt_i32_e64 s8, v0
	s_cbranch_execz .LBB76_37
.LBB76_48:
	v_add_nc_u32_e32 v0, s1, v0
	global_store_d16_hi_b16 v0, v1, s[4:5] scale_offset
	s_endpgm
	.section	.rodata,"a",@progbits
	.p2align	6, 0x0
	.amdhsa_kernel _ZN2at6native27unrolled_elementwise_kernelIZZZNS0_15lcm_kernel_cudaERNS_18TensorIteratorBaseEENKUlvE_clEvENKUlvE3_clEvEUlssE_St5arrayIPcLm3EELi4E23TrivialOffsetCalculatorILi2EjESA_ILi1EjENS0_6memory15LoadWithoutCastENSD_16StoreWithoutCastEEEviT_T0_T2_T3_T4_T5_
		.amdhsa_group_segment_fixed_size 0
		.amdhsa_private_segment_fixed_size 0
		.amdhsa_kernarg_size 36
		.amdhsa_user_sgpr_count 2
		.amdhsa_user_sgpr_dispatch_ptr 0
		.amdhsa_user_sgpr_queue_ptr 0
		.amdhsa_user_sgpr_kernarg_segment_ptr 1
		.amdhsa_user_sgpr_dispatch_id 0
		.amdhsa_user_sgpr_kernarg_preload_length 0
		.amdhsa_user_sgpr_kernarg_preload_offset 0
		.amdhsa_user_sgpr_private_segment_size 0
		.amdhsa_wavefront_size32 1
		.amdhsa_uses_dynamic_stack 0
		.amdhsa_enable_private_segment 0
		.amdhsa_system_sgpr_workgroup_id_x 1
		.amdhsa_system_sgpr_workgroup_id_y 0
		.amdhsa_system_sgpr_workgroup_id_z 0
		.amdhsa_system_sgpr_workgroup_info 0
		.amdhsa_system_vgpr_workitem_id 0
		.amdhsa_next_free_vgpr 18
		.amdhsa_next_free_sgpr 11
		.amdhsa_named_barrier_count 0
		.amdhsa_reserve_vcc 1
		.amdhsa_float_round_mode_32 0
		.amdhsa_float_round_mode_16_64 0
		.amdhsa_float_denorm_mode_32 3
		.amdhsa_float_denorm_mode_16_64 3
		.amdhsa_fp16_overflow 0
		.amdhsa_memory_ordered 1
		.amdhsa_forward_progress 1
		.amdhsa_inst_pref_size 20
		.amdhsa_round_robin_scheduling 0
		.amdhsa_exception_fp_ieee_invalid_op 0
		.amdhsa_exception_fp_denorm_src 0
		.amdhsa_exception_fp_ieee_div_zero 0
		.amdhsa_exception_fp_ieee_overflow 0
		.amdhsa_exception_fp_ieee_underflow 0
		.amdhsa_exception_fp_ieee_inexact 0
		.amdhsa_exception_int_div_zero 0
	.end_amdhsa_kernel
	.section	.text._ZN2at6native27unrolled_elementwise_kernelIZZZNS0_15lcm_kernel_cudaERNS_18TensorIteratorBaseEENKUlvE_clEvENKUlvE3_clEvEUlssE_St5arrayIPcLm3EELi4E23TrivialOffsetCalculatorILi2EjESA_ILi1EjENS0_6memory15LoadWithoutCastENSD_16StoreWithoutCastEEEviT_T0_T2_T3_T4_T5_,"axG",@progbits,_ZN2at6native27unrolled_elementwise_kernelIZZZNS0_15lcm_kernel_cudaERNS_18TensorIteratorBaseEENKUlvE_clEvENKUlvE3_clEvEUlssE_St5arrayIPcLm3EELi4E23TrivialOffsetCalculatorILi2EjESA_ILi1EjENS0_6memory15LoadWithoutCastENSD_16StoreWithoutCastEEEviT_T0_T2_T3_T4_T5_,comdat
.Lfunc_end76:
	.size	_ZN2at6native27unrolled_elementwise_kernelIZZZNS0_15lcm_kernel_cudaERNS_18TensorIteratorBaseEENKUlvE_clEvENKUlvE3_clEvEUlssE_St5arrayIPcLm3EELi4E23TrivialOffsetCalculatorILi2EjESA_ILi1EjENS0_6memory15LoadWithoutCastENSD_16StoreWithoutCastEEEviT_T0_T2_T3_T4_T5_, .Lfunc_end76-_ZN2at6native27unrolled_elementwise_kernelIZZZNS0_15lcm_kernel_cudaERNS_18TensorIteratorBaseEENKUlvE_clEvENKUlvE3_clEvEUlssE_St5arrayIPcLm3EELi4E23TrivialOffsetCalculatorILi2EjESA_ILi1EjENS0_6memory15LoadWithoutCastENSD_16StoreWithoutCastEEEviT_T0_T2_T3_T4_T5_
                                        ; -- End function
	.set _ZN2at6native27unrolled_elementwise_kernelIZZZNS0_15lcm_kernel_cudaERNS_18TensorIteratorBaseEENKUlvE_clEvENKUlvE3_clEvEUlssE_St5arrayIPcLm3EELi4E23TrivialOffsetCalculatorILi2EjESA_ILi1EjENS0_6memory15LoadWithoutCastENSD_16StoreWithoutCastEEEviT_T0_T2_T3_T4_T5_.num_vgpr, 18
	.set _ZN2at6native27unrolled_elementwise_kernelIZZZNS0_15lcm_kernel_cudaERNS_18TensorIteratorBaseEENKUlvE_clEvENKUlvE3_clEvEUlssE_St5arrayIPcLm3EELi4E23TrivialOffsetCalculatorILi2EjESA_ILi1EjENS0_6memory15LoadWithoutCastENSD_16StoreWithoutCastEEEviT_T0_T2_T3_T4_T5_.num_agpr, 0
	.set _ZN2at6native27unrolled_elementwise_kernelIZZZNS0_15lcm_kernel_cudaERNS_18TensorIteratorBaseEENKUlvE_clEvENKUlvE3_clEvEUlssE_St5arrayIPcLm3EELi4E23TrivialOffsetCalculatorILi2EjESA_ILi1EjENS0_6memory15LoadWithoutCastENSD_16StoreWithoutCastEEEviT_T0_T2_T3_T4_T5_.numbered_sgpr, 11
	.set _ZN2at6native27unrolled_elementwise_kernelIZZZNS0_15lcm_kernel_cudaERNS_18TensorIteratorBaseEENKUlvE_clEvENKUlvE3_clEvEUlssE_St5arrayIPcLm3EELi4E23TrivialOffsetCalculatorILi2EjESA_ILi1EjENS0_6memory15LoadWithoutCastENSD_16StoreWithoutCastEEEviT_T0_T2_T3_T4_T5_.num_named_barrier, 0
	.set _ZN2at6native27unrolled_elementwise_kernelIZZZNS0_15lcm_kernel_cudaERNS_18TensorIteratorBaseEENKUlvE_clEvENKUlvE3_clEvEUlssE_St5arrayIPcLm3EELi4E23TrivialOffsetCalculatorILi2EjESA_ILi1EjENS0_6memory15LoadWithoutCastENSD_16StoreWithoutCastEEEviT_T0_T2_T3_T4_T5_.private_seg_size, 0
	.set _ZN2at6native27unrolled_elementwise_kernelIZZZNS0_15lcm_kernel_cudaERNS_18TensorIteratorBaseEENKUlvE_clEvENKUlvE3_clEvEUlssE_St5arrayIPcLm3EELi4E23TrivialOffsetCalculatorILi2EjESA_ILi1EjENS0_6memory15LoadWithoutCastENSD_16StoreWithoutCastEEEviT_T0_T2_T3_T4_T5_.uses_vcc, 1
	.set _ZN2at6native27unrolled_elementwise_kernelIZZZNS0_15lcm_kernel_cudaERNS_18TensorIteratorBaseEENKUlvE_clEvENKUlvE3_clEvEUlssE_St5arrayIPcLm3EELi4E23TrivialOffsetCalculatorILi2EjESA_ILi1EjENS0_6memory15LoadWithoutCastENSD_16StoreWithoutCastEEEviT_T0_T2_T3_T4_T5_.uses_flat_scratch, 0
	.set _ZN2at6native27unrolled_elementwise_kernelIZZZNS0_15lcm_kernel_cudaERNS_18TensorIteratorBaseEENKUlvE_clEvENKUlvE3_clEvEUlssE_St5arrayIPcLm3EELi4E23TrivialOffsetCalculatorILi2EjESA_ILi1EjENS0_6memory15LoadWithoutCastENSD_16StoreWithoutCastEEEviT_T0_T2_T3_T4_T5_.has_dyn_sized_stack, 0
	.set _ZN2at6native27unrolled_elementwise_kernelIZZZNS0_15lcm_kernel_cudaERNS_18TensorIteratorBaseEENKUlvE_clEvENKUlvE3_clEvEUlssE_St5arrayIPcLm3EELi4E23TrivialOffsetCalculatorILi2EjESA_ILi1EjENS0_6memory15LoadWithoutCastENSD_16StoreWithoutCastEEEviT_T0_T2_T3_T4_T5_.has_recursion, 0
	.set _ZN2at6native27unrolled_elementwise_kernelIZZZNS0_15lcm_kernel_cudaERNS_18TensorIteratorBaseEENKUlvE_clEvENKUlvE3_clEvEUlssE_St5arrayIPcLm3EELi4E23TrivialOffsetCalculatorILi2EjESA_ILi1EjENS0_6memory15LoadWithoutCastENSD_16StoreWithoutCastEEEviT_T0_T2_T3_T4_T5_.has_indirect_call, 0
	.section	.AMDGPU.csdata,"",@progbits
; Kernel info:
; codeLenInByte = 2560
; TotalNumSgprs: 13
; NumVgprs: 18
; ScratchSize: 0
; MemoryBound: 0
; FloatMode: 240
; IeeeMode: 1
; LDSByteSize: 0 bytes/workgroup (compile time only)
; SGPRBlocks: 0
; VGPRBlocks: 1
; NumSGPRsForWavesPerEU: 13
; NumVGPRsForWavesPerEU: 18
; NamedBarCnt: 0
; Occupancy: 16
; WaveLimiterHint : 0
; COMPUTE_PGM_RSRC2:SCRATCH_EN: 0
; COMPUTE_PGM_RSRC2:USER_SGPR: 2
; COMPUTE_PGM_RSRC2:TRAP_HANDLER: 0
; COMPUTE_PGM_RSRC2:TGID_X_EN: 1
; COMPUTE_PGM_RSRC2:TGID_Y_EN: 0
; COMPUTE_PGM_RSRC2:TGID_Z_EN: 0
; COMPUTE_PGM_RSRC2:TIDIG_COMP_CNT: 0
	.section	.text._ZN2at6native32elementwise_kernel_manual_unrollILi128ELi8EZNS0_22gpu_kernel_impl_nocastIZZZNS0_15lcm_kernel_cudaERNS_18TensorIteratorBaseEENKUlvE_clEvENKUlvE3_clEvEUlssE_EEvS4_RKT_EUlibE_EEviT1_,"axG",@progbits,_ZN2at6native32elementwise_kernel_manual_unrollILi128ELi8EZNS0_22gpu_kernel_impl_nocastIZZZNS0_15lcm_kernel_cudaERNS_18TensorIteratorBaseEENKUlvE_clEvENKUlvE3_clEvEUlssE_EEvS4_RKT_EUlibE_EEviT1_,comdat
	.globl	_ZN2at6native32elementwise_kernel_manual_unrollILi128ELi8EZNS0_22gpu_kernel_impl_nocastIZZZNS0_15lcm_kernel_cudaERNS_18TensorIteratorBaseEENKUlvE_clEvENKUlvE3_clEvEUlssE_EEvS4_RKT_EUlibE_EEviT1_ ; -- Begin function _ZN2at6native32elementwise_kernel_manual_unrollILi128ELi8EZNS0_22gpu_kernel_impl_nocastIZZZNS0_15lcm_kernel_cudaERNS_18TensorIteratorBaseEENKUlvE_clEvENKUlvE3_clEvEUlssE_EEvS4_RKT_EUlibE_EEviT1_
	.p2align	8
	.type	_ZN2at6native32elementwise_kernel_manual_unrollILi128ELi8EZNS0_22gpu_kernel_impl_nocastIZZZNS0_15lcm_kernel_cudaERNS_18TensorIteratorBaseEENKUlvE_clEvENKUlvE3_clEvEUlssE_EEvS4_RKT_EUlibE_EEviT1_,@function
_ZN2at6native32elementwise_kernel_manual_unrollILi128ELi8EZNS0_22gpu_kernel_impl_nocastIZZZNS0_15lcm_kernel_cudaERNS_18TensorIteratorBaseEENKUlvE_clEvENKUlvE3_clEvEUlssE_EEvS4_RKT_EUlibE_EEviT1_: ; @_ZN2at6native32elementwise_kernel_manual_unrollILi128ELi8EZNS0_22gpu_kernel_impl_nocastIZZZNS0_15lcm_kernel_cudaERNS_18TensorIteratorBaseEENKUlvE_clEvENKUlvE3_clEvEUlssE_EEvS4_RKT_EUlibE_EEviT1_
; %bb.0:
	s_clause 0x1
	s_load_b32 s26, s[0:1], 0x8
	s_load_b32 s33, s[0:1], 0x0
	s_bfe_u32 s2, ttmp6, 0x4000c
	s_and_b32 s3, ttmp6, 15
	s_add_co_i32 s2, s2, 1
	s_getreg_b32 s4, hwreg(HW_REG_IB_STS2, 6, 4)
	s_mul_i32 s2, ttmp9, s2
	s_add_nc_u64 s[12:13], s[0:1], 8
	s_add_co_i32 s3, s3, s2
	s_cmp_eq_u32 s4, 0
	s_mov_b32 s21, 0
	s_cselect_b32 s2, ttmp9, s3
	s_wait_xcnt 0x0
	s_mov_b32 s0, exec_lo
	v_lshl_or_b32 v0, s2, 10, v0
	s_delay_alu instid0(VALU_DEP_1) | instskip(SKIP_2) | instid1(SALU_CYCLE_1)
	v_or_b32_e32 v6, 0x380, v0
	s_wait_kmcnt 0x0
	s_add_co_i32 s27, s26, -1
	s_cmp_gt_u32 s27, 1
	s_cselect_b32 s28, -1, 0
	v_cmpx_le_i32_e64 s33, v6
	s_xor_b32 s29, exec_lo, s0
	s_cbranch_execz .LBB77_154
; %bb.1:
	s_clause 0x5
	s_load_b128 s[4:7], s[12:13], 0x4
	s_load_b64 s[16:17], s[12:13], 0x14
	s_load_b128 s[8:11], s[12:13], 0xc4
	s_load_b64 s[18:19], s[12:13], 0xd4
	s_load_b64 s[14:15], s[12:13], 0x198
	s_load_b128 s[0:3], s[12:13], 0x188
	s_cmp_lg_u32 s26, 0
	s_mov_b32 s23, s21
	s_cselect_b32 s34, -1, 0
	s_min_u32 s31, s27, 15
	s_cmp_gt_u32 s26, 1
	s_cselect_b32 s30, -1, 0
	s_wait_kmcnt 0x0
	s_mov_b32 s20, s5
	s_mov_b32 s22, s16
	s_mov_b32 s5, exec_lo
	v_cmpx_gt_i32_e64 s33, v0
	s_cbranch_execnz .LBB77_9
; %bb.2:
	s_or_b32 exec_lo, exec_lo, s5
	s_delay_alu instid0(SALU_CYCLE_1)
	s_mov_b32 s5, exec_lo
	v_cmpx_gt_i32_e64 s33, v0
	s_cbranch_execnz .LBB77_27
.LBB77_3:
	s_or_b32 exec_lo, exec_lo, s5
	s_delay_alu instid0(SALU_CYCLE_1)
	s_mov_b32 s5, exec_lo
	v_cmpx_gt_i32_e64 s33, v0
	s_cbranch_execnz .LBB77_45
.LBB77_4:
	s_or_b32 exec_lo, exec_lo, s5
	s_delay_alu instid0(SALU_CYCLE_1)
	s_mov_b32 s5, exec_lo
	v_cmpx_gt_i32_e64 s33, v0
	s_cbranch_execnz .LBB77_63
.LBB77_5:
	s_or_b32 exec_lo, exec_lo, s5
	s_delay_alu instid0(SALU_CYCLE_1)
	s_mov_b32 s5, exec_lo
	v_cmpx_gt_i32_e64 s33, v0
	s_cbranch_execnz .LBB77_81
.LBB77_6:
	s_or_b32 exec_lo, exec_lo, s5
	s_delay_alu instid0(SALU_CYCLE_1)
	s_mov_b32 s5, exec_lo
	v_cmpx_gt_i32_e64 s33, v0
	s_cbranch_execnz .LBB77_99
.LBB77_7:
	s_or_b32 exec_lo, exec_lo, s5
	s_delay_alu instid0(SALU_CYCLE_1)
	s_mov_b32 s5, exec_lo
	v_cmpx_gt_i32_e64 s33, v0
	s_cbranch_execnz .LBB77_117
.LBB77_8:
	s_or_b32 exec_lo, exec_lo, s5
	s_delay_alu instid0(SALU_CYCLE_1)
	s_mov_b32 s5, exec_lo
	v_cmpx_gt_i32_e64 s33, v0
	s_cbranch_execnz .LBB77_135
	s_branch .LBB77_153
.LBB77_9:
	s_and_not1_b32 vcc_lo, exec_lo, s28
	s_cbranch_vccnz .LBB77_15
; %bb.10:
	s_and_not1_b32 vcc_lo, exec_lo, s34
	s_cbranch_vccnz .LBB77_16
; %bb.11:
	v_dual_mov_b32 v4, 0 :: v_dual_mov_b32 v1, v0
	v_dual_mov_b32 v6, 0 :: v_dual_mov_b32 v5, 0
	s_add_co_i32 s16, s31, 1
	s_mov_b64 s[24:25], 0xffffffffffffffe8
	s_and_b32 s16, s16, 30
	s_add_nc_u64 s[24:25], s[12:13], s[24:25]
.LBB77_12:                              ; =>This Inner Loop Header: Depth=1
	s_clause 0x1
	s_load_b128 s[36:39], s[24:25], 0x1c
	s_load_b64 s[44:45], s[24:25], 0x2c
	s_add_co_i32 s16, s16, -2
	s_delay_alu instid0(SALU_CYCLE_1) | instskip(SKIP_2) | instid1(VALU_DEP_1)
	s_cmp_lg_u32 s16, 0
	s_wait_kmcnt 0x0
	v_mul_hi_u32 v2, s37, v1
	v_add_nc_u32_e32 v2, v1, v2
	s_delay_alu instid0(VALU_DEP_1) | instskip(NEXT) | instid1(VALU_DEP_1)
	v_lshrrev_b32_e32 v2, s38, v2
	v_mul_hi_u32 v3, s44, v2
	v_mul_lo_u32 v7, v2, s36
	s_clause 0x1
	s_load_b128 s[40:43], s[24:25], 0xdc
	s_load_b64 s[36:37], s[24:25], 0xec
	s_wait_xcnt 0x0
	s_add_nc_u64 s[24:25], s[24:25], 24
	s_delay_alu instid0(VALU_DEP_2) | instskip(NEXT) | instid1(VALU_DEP_2)
	v_add_nc_u32_e32 v3, v2, v3
	v_sub_nc_u32_e32 v7, v1, v7
	s_delay_alu instid0(VALU_DEP_2) | instskip(SKIP_1) | instid1(VALU_DEP_2)
	v_lshrrev_b32_e32 v1, s45, v3
	s_wait_kmcnt 0x0
	v_mad_u32 v4, v7, s40, v4
	s_delay_alu instid0(VALU_DEP_2) | instskip(SKIP_2) | instid1(VALU_DEP_3)
	v_mul_lo_u32 v3, v1, s39
	v_mad_u32 v5, v7, s42, v5
	v_mad_u32 v6, v7, s41, v6
	v_sub_nc_u32_e32 v2, v2, v3
	s_delay_alu instid0(VALU_DEP_1) | instskip(NEXT) | instid1(VALU_DEP_4)
	v_mad_u32 v4, v2, s43, v4
	v_mad_u32 v5, v2, s37, v5
	s_delay_alu instid0(VALU_DEP_4)
	v_mad_u32 v6, v2, s36, v6
	s_cbranch_scc1 .LBB77_12
; %bb.13:
	s_bitcmp1_b32 s31, 0
	s_cselect_b32 s16, -1, 0
	s_delay_alu instid0(SALU_CYCLE_1)
	s_and_b32 vcc_lo, exec_lo, s16
	s_cbranch_vccnz .LBB77_17
; %bb.14:
	s_clause 0x1
	s_load_b96 s[36:38], s[24:25], 0x1c
	s_load_b96 s[40:42], s[24:25], 0xdc
	s_wait_kmcnt 0x0
	v_mul_hi_u32 v2, s37, v1
	s_delay_alu instid0(VALU_DEP_1) | instskip(NEXT) | instid1(VALU_DEP_1)
	v_add_nc_u32_e32 v2, v1, v2
	v_lshrrev_b32_e32 v2, s38, v2
	s_delay_alu instid0(VALU_DEP_1) | instskip(NEXT) | instid1(VALU_DEP_1)
	v_mul_lo_u32 v2, v2, s36
	v_sub_nc_u32_e32 v1, v1, v2
	s_delay_alu instid0(VALU_DEP_1)
	v_mad_u32 v4, v1, s40, v4
	v_mad_u32 v6, v1, s41, v6
	;; [unrolled: 1-line block ×3, first 2 shown]
	s_cbranch_execz .LBB77_18
	s_branch .LBB77_20
.LBB77_15:
                                        ; implicit-def: $vgpr5
                                        ; implicit-def: $vgpr6
                                        ; implicit-def: $vgpr4
	s_branch .LBB77_18
.LBB77_16:
	v_dual_mov_b32 v5, 0 :: v_dual_mov_b32 v6, 0
	v_mov_b32_e32 v4, 0
.LBB77_17:
	s_cbranch_execnz .LBB77_20
.LBB77_18:
	v_mov_b32_e32 v1, 0
	s_and_not1_b32 vcc_lo, exec_lo, s30
	s_delay_alu instid0(VALU_DEP_1) | instskip(NEXT) | instid1(VALU_DEP_1)
	v_mul_u64_e32 v[2:3], s[20:21], v[0:1]
	v_add_nc_u32_e32 v2, v0, v3
	s_delay_alu instid0(VALU_DEP_1) | instskip(NEXT) | instid1(VALU_DEP_1)
	v_lshrrev_b32_e32 v2, s6, v2
	v_mul_lo_u32 v3, v2, s4
	s_delay_alu instid0(VALU_DEP_1) | instskip(NEXT) | instid1(VALU_DEP_1)
	v_sub_nc_u32_e32 v3, v0, v3
	v_mul_lo_u32 v4, v3, s8
	v_mul_lo_u32 v5, v3, s10
	;; [unrolled: 1-line block ×3, first 2 shown]
	s_cbranch_vccnz .LBB77_20
; %bb.19:
	v_mov_b32_e32 v3, v1
	s_delay_alu instid0(VALU_DEP_1) | instskip(NEXT) | instid1(VALU_DEP_1)
	v_mul_u64_e32 v[8:9], s[22:23], v[2:3]
	v_add_nc_u32_e32 v1, v2, v9
	s_delay_alu instid0(VALU_DEP_1) | instskip(NEXT) | instid1(VALU_DEP_1)
	v_lshrrev_b32_e32 v1, s17, v1
	v_mul_lo_u32 v1, v1, s7
	s_delay_alu instid0(VALU_DEP_1) | instskip(NEXT) | instid1(VALU_DEP_1)
	v_sub_nc_u32_e32 v1, v2, v1
	v_mad_u32 v4, v1, s11, v4
	v_mad_u32 v6, v1, s18, v6
	;; [unrolled: 1-line block ×3, first 2 shown]
.LBB77_20:
	global_load_u16 v1, v5, s[14:15]
	global_load_i16 v2, v6, s[2:3]
	s_mov_b32 s24, 0
	s_mov_b32 s16, exec_lo
	s_wait_loadcnt 0x1
	v_sub_nc_u16 v3, 0, v1
	s_delay_alu instid0(VALU_DEP_1)
	v_max_i16 v3, v1, v3
	s_wait_loadcnt 0x0
	v_cmpx_ne_u32_e32 0, v2
	s_cbranch_execz .LBB77_24
; %bb.21:
	v_sub_nc_u16 v5, 0, v2
	s_delay_alu instid0(VALU_DEP_1) | instskip(SKIP_1) | instid1(VALU_DEP_2)
	v_max_i16 v6, v2, v5
	v_and_b32_e32 v5, 0xffff, v3
	v_and_b32_e32 v6, 0xffff, v6
.LBB77_22:                              ; =>This Inner Loop Header: Depth=1
	s_delay_alu instid0(VALU_DEP_1) | instskip(NEXT) | instid1(VALU_DEP_2)
	v_bfe_i32 v8, v5, 0, 16
	v_mov_b32_e32 v3, v6
	s_delay_alu instid0(VALU_DEP_2) | instskip(NEXT) | instid1(VALU_DEP_2)
	v_cvt_f32_i32_e32 v10, v8
	v_bfe_i32 v6, v3, 0, 16
	s_delay_alu instid0(VALU_DEP_1) | instskip(SKIP_1) | instid1(VALU_DEP_2)
	v_cvt_f32_i32_e32 v7, v6
	v_xor_b32_e32 v6, v8, v6
	v_rcp_iflag_f32_e32 v9, v7
	v_nop
	s_delay_alu instid0(TRANS32_DEP_1) | instskip(NEXT) | instid1(VALU_DEP_1)
	v_dual_ashrrev_i32 v6, 30, v6 :: v_dual_mul_f32 v8, v10, v9
	v_trunc_f32_e32 v8, v8
	s_delay_alu instid0(VALU_DEP_1) | instskip(SKIP_1) | instid1(VALU_DEP_2)
	v_dual_fma_f32 v9, -v8, v7, v10 :: v_dual_bitop2_b32 v6, 1, v6 bitop3:0x54
	v_cvt_i32_f32_e32 v8, v8
	v_cmp_ge_f32_e64 vcc_lo, |v9|, |v7|
	s_delay_alu instid0(VALU_DEP_3) | instskip(NEXT) | instid1(VALU_DEP_1)
	v_cndmask_b32_e32 v6, 0, v6, vcc_lo
	v_add_nc_u32_e32 v6, v8, v6
	s_delay_alu instid0(VALU_DEP_1) | instskip(NEXT) | instid1(VALU_DEP_1)
	v_mul_lo_u32 v6, v6, v3
	v_sub_nc_u32_e32 v6, v5, v6
	s_delay_alu instid0(VALU_DEP_1) | instskip(SKIP_1) | instid1(VALU_DEP_2)
	v_and_b32_e32 v5, 0xffff, v6
	v_bfe_i32 v6, v6, 0, 16
	v_cmp_eq_u32_e32 vcc_lo, 0, v5
	v_mov_b32_e32 v5, v3
	s_or_b32 s24, vcc_lo, s24
	s_delay_alu instid0(SALU_CYCLE_1)
	s_and_not1_b32 exec_lo, exec_lo, s24
	s_cbranch_execnz .LBB77_22
; %bb.23:
	s_or_b32 exec_lo, exec_lo, s24
.LBB77_24:
	s_delay_alu instid0(SALU_CYCLE_1)
	s_or_b32 exec_lo, exec_lo, s16
	v_mov_b32_e32 v5, 0
	s_mov_b32 s16, exec_lo
	v_cmpx_ne_u16_e32 0, v3
	s_cbranch_execz .LBB77_26
; %bb.25:
	v_bfe_i32 v3, v3, 0, 16
	v_cvt_f32_i32_e32 v7, v2
	v_bfe_i32 v1, v1, 0, 16
	s_delay_alu instid0(VALU_DEP_3) | instskip(SKIP_1) | instid1(VALU_DEP_2)
	v_cvt_f32_i32_e32 v5, v3
	v_xor_b32_e32 v2, v2, v3
	v_rcp_iflag_f32_e32 v6, v5
	v_nop
	s_delay_alu instid0(TRANS32_DEP_1) | instskip(NEXT) | instid1(VALU_DEP_1)
	v_mul_f32_e32 v6, v7, v6
	v_trunc_f32_e32 v3, v6
	s_delay_alu instid0(VALU_DEP_1) | instskip(NEXT) | instid1(VALU_DEP_1)
	v_dual_ashrrev_i32 v2, 30, v2 :: v_dual_fma_f32 v6, -v3, v5, v7
	v_or_b32_e32 v2, 1, v2
	v_cvt_i32_f32_e32 v3, v3
	s_delay_alu instid0(VALU_DEP_3) | instskip(NEXT) | instid1(VALU_DEP_3)
	v_cmp_ge_f32_e64 vcc_lo, |v6|, |v5|
	v_cndmask_b32_e32 v2, 0, v2, vcc_lo
	s_delay_alu instid0(VALU_DEP_1) | instskip(NEXT) | instid1(VALU_DEP_1)
	v_add_nc_u32_e32 v2, v3, v2
	v_bfe_i32 v2, v2, 0, 16
	s_delay_alu instid0(VALU_DEP_1) | instskip(NEXT) | instid1(VALU_DEP_1)
	v_mul_i32_i24_e32 v1, v2, v1
	v_sub_nc_u32_e32 v2, 0, v1
	s_delay_alu instid0(VALU_DEP_1)
	v_max_i32_e32 v5, v1, v2
.LBB77_26:
	s_or_b32 exec_lo, exec_lo, s16
	v_add_nc_u32_e32 v0, 0x80, v0
	global_store_b16 v4, v5, s[0:1]
	s_wait_xcnt 0x0
	s_or_b32 exec_lo, exec_lo, s5
	s_delay_alu instid0(SALU_CYCLE_1)
	s_mov_b32 s5, exec_lo
	v_cmpx_gt_i32_e64 s33, v0
	s_cbranch_execz .LBB77_3
.LBB77_27:
	s_and_not1_b32 vcc_lo, exec_lo, s28
	s_cbranch_vccnz .LBB77_33
; %bb.28:
	s_and_not1_b32 vcc_lo, exec_lo, s34
	s_cbranch_vccnz .LBB77_34
; %bb.29:
	v_dual_mov_b32 v4, 0 :: v_dual_mov_b32 v1, v0
	v_dual_mov_b32 v6, 0 :: v_dual_mov_b32 v5, 0
	s_add_co_i32 s16, s31, 1
	s_mov_b64 s[24:25], 0xffffffffffffffe8
	s_and_b32 s16, s16, 30
	s_add_nc_u64 s[24:25], s[12:13], s[24:25]
.LBB77_30:                              ; =>This Inner Loop Header: Depth=1
	s_clause 0x1
	s_load_b128 s[36:39], s[24:25], 0x1c
	s_load_b64 s[44:45], s[24:25], 0x2c
	s_add_co_i32 s16, s16, -2
	s_delay_alu instid0(SALU_CYCLE_1) | instskip(SKIP_2) | instid1(VALU_DEP_1)
	s_cmp_eq_u32 s16, 0
	s_wait_kmcnt 0x0
	v_mul_hi_u32 v2, s37, v1
	v_add_nc_u32_e32 v2, v1, v2
	s_delay_alu instid0(VALU_DEP_1) | instskip(NEXT) | instid1(VALU_DEP_1)
	v_lshrrev_b32_e32 v2, s38, v2
	v_mul_hi_u32 v3, s44, v2
	v_mul_lo_u32 v7, v2, s36
	s_clause 0x1
	s_load_b128 s[40:43], s[24:25], 0xdc
	s_load_b64 s[36:37], s[24:25], 0xec
	s_wait_xcnt 0x0
	s_add_nc_u64 s[24:25], s[24:25], 24
	s_delay_alu instid0(VALU_DEP_2) | instskip(NEXT) | instid1(VALU_DEP_2)
	v_add_nc_u32_e32 v3, v2, v3
	v_sub_nc_u32_e32 v7, v1, v7
	s_delay_alu instid0(VALU_DEP_2) | instskip(SKIP_1) | instid1(VALU_DEP_2)
	v_lshrrev_b32_e32 v1, s45, v3
	s_wait_kmcnt 0x0
	v_mad_u32 v4, v7, s40, v4
	s_delay_alu instid0(VALU_DEP_2) | instskip(SKIP_2) | instid1(VALU_DEP_3)
	v_mul_lo_u32 v3, v1, s39
	v_mad_u32 v5, v7, s42, v5
	v_mad_u32 v6, v7, s41, v6
	v_sub_nc_u32_e32 v2, v2, v3
	s_delay_alu instid0(VALU_DEP_1) | instskip(NEXT) | instid1(VALU_DEP_4)
	v_mad_u32 v4, v2, s43, v4
	v_mad_u32 v5, v2, s37, v5
	s_delay_alu instid0(VALU_DEP_4)
	v_mad_u32 v6, v2, s36, v6
	s_cbranch_scc0 .LBB77_30
; %bb.31:
	s_bitcmp1_b32 s31, 0
	s_cselect_b32 s16, -1, 0
	s_delay_alu instid0(SALU_CYCLE_1)
	s_and_b32 vcc_lo, exec_lo, s16
	s_cbranch_vccnz .LBB77_35
; %bb.32:
	s_clause 0x1
	s_load_b96 s[36:38], s[24:25], 0x1c
	s_load_b96 s[40:42], s[24:25], 0xdc
	s_wait_kmcnt 0x0
	v_mul_hi_u32 v2, s37, v1
	s_delay_alu instid0(VALU_DEP_1) | instskip(NEXT) | instid1(VALU_DEP_1)
	v_add_nc_u32_e32 v2, v1, v2
	v_lshrrev_b32_e32 v2, s38, v2
	s_delay_alu instid0(VALU_DEP_1) | instskip(NEXT) | instid1(VALU_DEP_1)
	v_mul_lo_u32 v2, v2, s36
	v_sub_nc_u32_e32 v1, v1, v2
	s_delay_alu instid0(VALU_DEP_1)
	v_mad_u32 v4, v1, s40, v4
	v_mad_u32 v6, v1, s41, v6
	;; [unrolled: 1-line block ×3, first 2 shown]
	s_branch .LBB77_35
.LBB77_33:
                                        ; implicit-def: $vgpr5
                                        ; implicit-def: $vgpr6
                                        ; implicit-def: $vgpr4
	s_branch .LBB77_36
.LBB77_34:
	v_dual_mov_b32 v5, 0 :: v_dual_mov_b32 v6, 0
	v_mov_b32_e32 v4, 0
.LBB77_35:
	s_cbranch_execnz .LBB77_38
.LBB77_36:
	v_mov_b32_e32 v1, 0
	s_and_not1_b32 vcc_lo, exec_lo, s30
	s_delay_alu instid0(VALU_DEP_1) | instskip(NEXT) | instid1(VALU_DEP_1)
	v_mul_u64_e32 v[2:3], s[20:21], v[0:1]
	v_add_nc_u32_e32 v2, v0, v3
	s_delay_alu instid0(VALU_DEP_1) | instskip(NEXT) | instid1(VALU_DEP_1)
	v_lshrrev_b32_e32 v2, s6, v2
	v_mul_lo_u32 v3, v2, s4
	s_delay_alu instid0(VALU_DEP_1) | instskip(NEXT) | instid1(VALU_DEP_1)
	v_sub_nc_u32_e32 v3, v0, v3
	v_mul_lo_u32 v4, v3, s8
	v_mul_lo_u32 v5, v3, s10
	;; [unrolled: 1-line block ×3, first 2 shown]
	s_cbranch_vccnz .LBB77_38
; %bb.37:
	v_mov_b32_e32 v3, v1
	s_delay_alu instid0(VALU_DEP_1) | instskip(NEXT) | instid1(VALU_DEP_1)
	v_mul_u64_e32 v[8:9], s[22:23], v[2:3]
	v_add_nc_u32_e32 v1, v2, v9
	s_delay_alu instid0(VALU_DEP_1) | instskip(NEXT) | instid1(VALU_DEP_1)
	v_lshrrev_b32_e32 v1, s17, v1
	v_mul_lo_u32 v1, v1, s7
	s_delay_alu instid0(VALU_DEP_1) | instskip(NEXT) | instid1(VALU_DEP_1)
	v_sub_nc_u32_e32 v1, v2, v1
	v_mad_u32 v4, v1, s11, v4
	v_mad_u32 v6, v1, s18, v6
	;; [unrolled: 1-line block ×3, first 2 shown]
.LBB77_38:
	global_load_u16 v1, v5, s[14:15]
	global_load_i16 v2, v6, s[2:3]
	s_mov_b32 s24, 0
	s_mov_b32 s16, exec_lo
	s_wait_loadcnt 0x1
	v_sub_nc_u16 v3, 0, v1
	s_delay_alu instid0(VALU_DEP_1)
	v_max_i16 v3, v1, v3
	s_wait_loadcnt 0x0
	v_cmpx_ne_u32_e32 0, v2
	s_cbranch_execz .LBB77_42
; %bb.39:
	v_sub_nc_u16 v5, 0, v2
	s_delay_alu instid0(VALU_DEP_1) | instskip(SKIP_1) | instid1(VALU_DEP_2)
	v_max_i16 v6, v2, v5
	v_and_b32_e32 v5, 0xffff, v3
	v_and_b32_e32 v6, 0xffff, v6
.LBB77_40:                              ; =>This Inner Loop Header: Depth=1
	s_delay_alu instid0(VALU_DEP_1) | instskip(NEXT) | instid1(VALU_DEP_2)
	v_bfe_i32 v8, v5, 0, 16
	v_mov_b32_e32 v3, v6
	s_delay_alu instid0(VALU_DEP_2) | instskip(NEXT) | instid1(VALU_DEP_2)
	v_cvt_f32_i32_e32 v10, v8
	v_bfe_i32 v6, v3, 0, 16
	s_delay_alu instid0(VALU_DEP_1) | instskip(SKIP_1) | instid1(VALU_DEP_2)
	v_cvt_f32_i32_e32 v7, v6
	v_xor_b32_e32 v6, v8, v6
	v_rcp_iflag_f32_e32 v9, v7
	v_nop
	s_delay_alu instid0(TRANS32_DEP_1) | instskip(NEXT) | instid1(VALU_DEP_1)
	v_dual_ashrrev_i32 v6, 30, v6 :: v_dual_mul_f32 v8, v10, v9
	v_trunc_f32_e32 v8, v8
	s_delay_alu instid0(VALU_DEP_1) | instskip(SKIP_1) | instid1(VALU_DEP_2)
	v_dual_fma_f32 v9, -v8, v7, v10 :: v_dual_bitop2_b32 v6, 1, v6 bitop3:0x54
	v_cvt_i32_f32_e32 v8, v8
	v_cmp_ge_f32_e64 vcc_lo, |v9|, |v7|
	s_delay_alu instid0(VALU_DEP_3) | instskip(NEXT) | instid1(VALU_DEP_1)
	v_cndmask_b32_e32 v6, 0, v6, vcc_lo
	v_add_nc_u32_e32 v6, v8, v6
	s_delay_alu instid0(VALU_DEP_1) | instskip(NEXT) | instid1(VALU_DEP_1)
	v_mul_lo_u32 v6, v6, v3
	v_sub_nc_u32_e32 v6, v5, v6
	s_delay_alu instid0(VALU_DEP_1) | instskip(SKIP_1) | instid1(VALU_DEP_2)
	v_and_b32_e32 v5, 0xffff, v6
	v_bfe_i32 v6, v6, 0, 16
	v_cmp_eq_u32_e32 vcc_lo, 0, v5
	v_mov_b32_e32 v5, v3
	s_or_b32 s24, vcc_lo, s24
	s_delay_alu instid0(SALU_CYCLE_1)
	s_and_not1_b32 exec_lo, exec_lo, s24
	s_cbranch_execnz .LBB77_40
; %bb.41:
	s_or_b32 exec_lo, exec_lo, s24
.LBB77_42:
	s_delay_alu instid0(SALU_CYCLE_1)
	s_or_b32 exec_lo, exec_lo, s16
	v_mov_b32_e32 v5, 0
	s_mov_b32 s16, exec_lo
	v_cmpx_ne_u16_e32 0, v3
	s_cbranch_execz .LBB77_44
; %bb.43:
	v_bfe_i32 v3, v3, 0, 16
	v_cvt_f32_i32_e32 v7, v2
	v_bfe_i32 v1, v1, 0, 16
	s_delay_alu instid0(VALU_DEP_3) | instskip(SKIP_1) | instid1(VALU_DEP_2)
	v_cvt_f32_i32_e32 v5, v3
	v_xor_b32_e32 v2, v2, v3
	v_rcp_iflag_f32_e32 v6, v5
	v_nop
	s_delay_alu instid0(TRANS32_DEP_1) | instskip(NEXT) | instid1(VALU_DEP_1)
	v_mul_f32_e32 v6, v7, v6
	v_trunc_f32_e32 v3, v6
	s_delay_alu instid0(VALU_DEP_1) | instskip(NEXT) | instid1(VALU_DEP_1)
	v_dual_ashrrev_i32 v2, 30, v2 :: v_dual_fma_f32 v6, -v3, v5, v7
	v_or_b32_e32 v2, 1, v2
	v_cvt_i32_f32_e32 v3, v3
	s_delay_alu instid0(VALU_DEP_3) | instskip(NEXT) | instid1(VALU_DEP_3)
	v_cmp_ge_f32_e64 vcc_lo, |v6|, |v5|
	v_cndmask_b32_e32 v2, 0, v2, vcc_lo
	s_delay_alu instid0(VALU_DEP_1) | instskip(NEXT) | instid1(VALU_DEP_1)
	v_add_nc_u32_e32 v2, v3, v2
	v_bfe_i32 v2, v2, 0, 16
	s_delay_alu instid0(VALU_DEP_1) | instskip(NEXT) | instid1(VALU_DEP_1)
	v_mul_i32_i24_e32 v1, v2, v1
	v_sub_nc_u32_e32 v2, 0, v1
	s_delay_alu instid0(VALU_DEP_1)
	v_max_i32_e32 v5, v1, v2
.LBB77_44:
	s_or_b32 exec_lo, exec_lo, s16
	v_add_nc_u32_e32 v0, 0x80, v0
	global_store_b16 v4, v5, s[0:1]
	s_wait_xcnt 0x0
	s_or_b32 exec_lo, exec_lo, s5
	s_delay_alu instid0(SALU_CYCLE_1)
	s_mov_b32 s5, exec_lo
	v_cmpx_gt_i32_e64 s33, v0
	s_cbranch_execz .LBB77_4
.LBB77_45:
	s_and_not1_b32 vcc_lo, exec_lo, s28
	s_cbranch_vccnz .LBB77_51
; %bb.46:
	s_and_not1_b32 vcc_lo, exec_lo, s34
	s_cbranch_vccnz .LBB77_52
; %bb.47:
	v_dual_mov_b32 v4, 0 :: v_dual_mov_b32 v1, v0
	v_dual_mov_b32 v6, 0 :: v_dual_mov_b32 v5, 0
	s_add_co_i32 s16, s31, 1
	s_mov_b64 s[24:25], 0xffffffffffffffe8
	s_and_b32 s16, s16, 30
	s_add_nc_u64 s[24:25], s[12:13], s[24:25]
.LBB77_48:                              ; =>This Inner Loop Header: Depth=1
	s_clause 0x1
	s_load_b128 s[36:39], s[24:25], 0x1c
	s_load_b64 s[44:45], s[24:25], 0x2c
	s_add_co_i32 s16, s16, -2
	s_delay_alu instid0(SALU_CYCLE_1) | instskip(SKIP_2) | instid1(VALU_DEP_1)
	s_cmp_eq_u32 s16, 0
	s_wait_kmcnt 0x0
	v_mul_hi_u32 v2, s37, v1
	v_add_nc_u32_e32 v2, v1, v2
	s_delay_alu instid0(VALU_DEP_1) | instskip(NEXT) | instid1(VALU_DEP_1)
	v_lshrrev_b32_e32 v2, s38, v2
	v_mul_hi_u32 v3, s44, v2
	v_mul_lo_u32 v7, v2, s36
	s_clause 0x1
	s_load_b128 s[40:43], s[24:25], 0xdc
	s_load_b64 s[36:37], s[24:25], 0xec
	s_wait_xcnt 0x0
	s_add_nc_u64 s[24:25], s[24:25], 24
	s_delay_alu instid0(VALU_DEP_2) | instskip(NEXT) | instid1(VALU_DEP_2)
	v_add_nc_u32_e32 v3, v2, v3
	v_sub_nc_u32_e32 v7, v1, v7
	s_delay_alu instid0(VALU_DEP_2) | instskip(SKIP_1) | instid1(VALU_DEP_2)
	v_lshrrev_b32_e32 v1, s45, v3
	s_wait_kmcnt 0x0
	v_mad_u32 v4, v7, s40, v4
	s_delay_alu instid0(VALU_DEP_2) | instskip(SKIP_2) | instid1(VALU_DEP_3)
	v_mul_lo_u32 v3, v1, s39
	v_mad_u32 v5, v7, s42, v5
	v_mad_u32 v6, v7, s41, v6
	v_sub_nc_u32_e32 v2, v2, v3
	s_delay_alu instid0(VALU_DEP_1) | instskip(NEXT) | instid1(VALU_DEP_4)
	v_mad_u32 v4, v2, s43, v4
	v_mad_u32 v5, v2, s37, v5
	s_delay_alu instid0(VALU_DEP_4)
	v_mad_u32 v6, v2, s36, v6
	s_cbranch_scc0 .LBB77_48
; %bb.49:
	s_bitcmp1_b32 s31, 0
	s_cselect_b32 s16, -1, 0
	s_delay_alu instid0(SALU_CYCLE_1)
	s_and_b32 vcc_lo, exec_lo, s16
	s_cbranch_vccnz .LBB77_53
; %bb.50:
	s_clause 0x1
	s_load_b96 s[36:38], s[24:25], 0x1c
	s_load_b96 s[40:42], s[24:25], 0xdc
	s_wait_kmcnt 0x0
	v_mul_hi_u32 v2, s37, v1
	s_delay_alu instid0(VALU_DEP_1) | instskip(NEXT) | instid1(VALU_DEP_1)
	v_add_nc_u32_e32 v2, v1, v2
	v_lshrrev_b32_e32 v2, s38, v2
	s_delay_alu instid0(VALU_DEP_1) | instskip(NEXT) | instid1(VALU_DEP_1)
	v_mul_lo_u32 v2, v2, s36
	v_sub_nc_u32_e32 v1, v1, v2
	s_delay_alu instid0(VALU_DEP_1)
	v_mad_u32 v4, v1, s40, v4
	v_mad_u32 v6, v1, s41, v6
	;; [unrolled: 1-line block ×3, first 2 shown]
	s_branch .LBB77_53
.LBB77_51:
                                        ; implicit-def: $vgpr5
                                        ; implicit-def: $vgpr6
                                        ; implicit-def: $vgpr4
	s_branch .LBB77_54
.LBB77_52:
	v_dual_mov_b32 v5, 0 :: v_dual_mov_b32 v6, 0
	v_mov_b32_e32 v4, 0
.LBB77_53:
	s_cbranch_execnz .LBB77_56
.LBB77_54:
	v_mov_b32_e32 v1, 0
	s_and_not1_b32 vcc_lo, exec_lo, s30
	s_delay_alu instid0(VALU_DEP_1) | instskip(NEXT) | instid1(VALU_DEP_1)
	v_mul_u64_e32 v[2:3], s[20:21], v[0:1]
	v_add_nc_u32_e32 v2, v0, v3
	s_delay_alu instid0(VALU_DEP_1) | instskip(NEXT) | instid1(VALU_DEP_1)
	v_lshrrev_b32_e32 v2, s6, v2
	v_mul_lo_u32 v3, v2, s4
	s_delay_alu instid0(VALU_DEP_1) | instskip(NEXT) | instid1(VALU_DEP_1)
	v_sub_nc_u32_e32 v3, v0, v3
	v_mul_lo_u32 v4, v3, s8
	v_mul_lo_u32 v5, v3, s10
	;; [unrolled: 1-line block ×3, first 2 shown]
	s_cbranch_vccnz .LBB77_56
; %bb.55:
	v_mov_b32_e32 v3, v1
	s_delay_alu instid0(VALU_DEP_1) | instskip(NEXT) | instid1(VALU_DEP_1)
	v_mul_u64_e32 v[8:9], s[22:23], v[2:3]
	v_add_nc_u32_e32 v1, v2, v9
	s_delay_alu instid0(VALU_DEP_1) | instskip(NEXT) | instid1(VALU_DEP_1)
	v_lshrrev_b32_e32 v1, s17, v1
	v_mul_lo_u32 v1, v1, s7
	s_delay_alu instid0(VALU_DEP_1) | instskip(NEXT) | instid1(VALU_DEP_1)
	v_sub_nc_u32_e32 v1, v2, v1
	v_mad_u32 v4, v1, s11, v4
	v_mad_u32 v6, v1, s18, v6
	;; [unrolled: 1-line block ×3, first 2 shown]
.LBB77_56:
	global_load_u16 v1, v5, s[14:15]
	global_load_i16 v2, v6, s[2:3]
	s_mov_b32 s24, 0
	s_mov_b32 s16, exec_lo
	s_wait_loadcnt 0x1
	v_sub_nc_u16 v3, 0, v1
	s_delay_alu instid0(VALU_DEP_1)
	v_max_i16 v3, v1, v3
	s_wait_loadcnt 0x0
	v_cmpx_ne_u32_e32 0, v2
	s_cbranch_execz .LBB77_60
; %bb.57:
	v_sub_nc_u16 v5, 0, v2
	s_delay_alu instid0(VALU_DEP_1) | instskip(SKIP_1) | instid1(VALU_DEP_2)
	v_max_i16 v6, v2, v5
	v_and_b32_e32 v5, 0xffff, v3
	v_and_b32_e32 v6, 0xffff, v6
.LBB77_58:                              ; =>This Inner Loop Header: Depth=1
	s_delay_alu instid0(VALU_DEP_1) | instskip(NEXT) | instid1(VALU_DEP_2)
	v_bfe_i32 v8, v5, 0, 16
	v_mov_b32_e32 v3, v6
	s_delay_alu instid0(VALU_DEP_2) | instskip(NEXT) | instid1(VALU_DEP_2)
	v_cvt_f32_i32_e32 v10, v8
	v_bfe_i32 v6, v3, 0, 16
	s_delay_alu instid0(VALU_DEP_1) | instskip(SKIP_1) | instid1(VALU_DEP_2)
	v_cvt_f32_i32_e32 v7, v6
	v_xor_b32_e32 v6, v8, v6
	v_rcp_iflag_f32_e32 v9, v7
	v_nop
	s_delay_alu instid0(TRANS32_DEP_1) | instskip(NEXT) | instid1(VALU_DEP_1)
	v_dual_ashrrev_i32 v6, 30, v6 :: v_dual_mul_f32 v8, v10, v9
	v_trunc_f32_e32 v8, v8
	s_delay_alu instid0(VALU_DEP_1) | instskip(SKIP_1) | instid1(VALU_DEP_2)
	v_dual_fma_f32 v9, -v8, v7, v10 :: v_dual_bitop2_b32 v6, 1, v6 bitop3:0x54
	v_cvt_i32_f32_e32 v8, v8
	v_cmp_ge_f32_e64 vcc_lo, |v9|, |v7|
	s_delay_alu instid0(VALU_DEP_3) | instskip(NEXT) | instid1(VALU_DEP_1)
	v_cndmask_b32_e32 v6, 0, v6, vcc_lo
	v_add_nc_u32_e32 v6, v8, v6
	s_delay_alu instid0(VALU_DEP_1) | instskip(NEXT) | instid1(VALU_DEP_1)
	v_mul_lo_u32 v6, v6, v3
	v_sub_nc_u32_e32 v6, v5, v6
	s_delay_alu instid0(VALU_DEP_1) | instskip(SKIP_1) | instid1(VALU_DEP_2)
	v_and_b32_e32 v5, 0xffff, v6
	v_bfe_i32 v6, v6, 0, 16
	v_cmp_eq_u32_e32 vcc_lo, 0, v5
	v_mov_b32_e32 v5, v3
	s_or_b32 s24, vcc_lo, s24
	s_delay_alu instid0(SALU_CYCLE_1)
	s_and_not1_b32 exec_lo, exec_lo, s24
	s_cbranch_execnz .LBB77_58
; %bb.59:
	s_or_b32 exec_lo, exec_lo, s24
.LBB77_60:
	s_delay_alu instid0(SALU_CYCLE_1)
	s_or_b32 exec_lo, exec_lo, s16
	v_mov_b32_e32 v5, 0
	s_mov_b32 s16, exec_lo
	v_cmpx_ne_u16_e32 0, v3
	s_cbranch_execz .LBB77_62
; %bb.61:
	v_bfe_i32 v3, v3, 0, 16
	v_cvt_f32_i32_e32 v7, v2
	v_bfe_i32 v1, v1, 0, 16
	s_delay_alu instid0(VALU_DEP_3) | instskip(SKIP_1) | instid1(VALU_DEP_2)
	v_cvt_f32_i32_e32 v5, v3
	v_xor_b32_e32 v2, v2, v3
	v_rcp_iflag_f32_e32 v6, v5
	v_nop
	s_delay_alu instid0(TRANS32_DEP_1) | instskip(NEXT) | instid1(VALU_DEP_1)
	v_mul_f32_e32 v6, v7, v6
	v_trunc_f32_e32 v3, v6
	s_delay_alu instid0(VALU_DEP_1) | instskip(NEXT) | instid1(VALU_DEP_1)
	v_dual_ashrrev_i32 v2, 30, v2 :: v_dual_fma_f32 v6, -v3, v5, v7
	v_or_b32_e32 v2, 1, v2
	v_cvt_i32_f32_e32 v3, v3
	s_delay_alu instid0(VALU_DEP_3) | instskip(NEXT) | instid1(VALU_DEP_3)
	v_cmp_ge_f32_e64 vcc_lo, |v6|, |v5|
	v_cndmask_b32_e32 v2, 0, v2, vcc_lo
	s_delay_alu instid0(VALU_DEP_1) | instskip(NEXT) | instid1(VALU_DEP_1)
	v_add_nc_u32_e32 v2, v3, v2
	v_bfe_i32 v2, v2, 0, 16
	s_delay_alu instid0(VALU_DEP_1) | instskip(NEXT) | instid1(VALU_DEP_1)
	v_mul_i32_i24_e32 v1, v2, v1
	v_sub_nc_u32_e32 v2, 0, v1
	s_delay_alu instid0(VALU_DEP_1)
	v_max_i32_e32 v5, v1, v2
.LBB77_62:
	s_or_b32 exec_lo, exec_lo, s16
	v_add_nc_u32_e32 v0, 0x80, v0
	global_store_b16 v4, v5, s[0:1]
	s_wait_xcnt 0x0
	s_or_b32 exec_lo, exec_lo, s5
	s_delay_alu instid0(SALU_CYCLE_1)
	s_mov_b32 s5, exec_lo
	v_cmpx_gt_i32_e64 s33, v0
	s_cbranch_execz .LBB77_5
.LBB77_63:
	s_and_not1_b32 vcc_lo, exec_lo, s28
	s_cbranch_vccnz .LBB77_69
; %bb.64:
	s_and_not1_b32 vcc_lo, exec_lo, s34
	s_cbranch_vccnz .LBB77_70
; %bb.65:
	v_dual_mov_b32 v4, 0 :: v_dual_mov_b32 v1, v0
	v_dual_mov_b32 v6, 0 :: v_dual_mov_b32 v5, 0
	s_add_co_i32 s16, s31, 1
	s_mov_b64 s[24:25], 0xffffffffffffffe8
	s_and_b32 s16, s16, 30
	s_add_nc_u64 s[24:25], s[12:13], s[24:25]
.LBB77_66:                              ; =>This Inner Loop Header: Depth=1
	s_clause 0x1
	s_load_b128 s[36:39], s[24:25], 0x1c
	s_load_b64 s[44:45], s[24:25], 0x2c
	s_add_co_i32 s16, s16, -2
	s_delay_alu instid0(SALU_CYCLE_1) | instskip(SKIP_2) | instid1(VALU_DEP_1)
	s_cmp_eq_u32 s16, 0
	s_wait_kmcnt 0x0
	v_mul_hi_u32 v2, s37, v1
	v_add_nc_u32_e32 v2, v1, v2
	s_delay_alu instid0(VALU_DEP_1) | instskip(NEXT) | instid1(VALU_DEP_1)
	v_lshrrev_b32_e32 v2, s38, v2
	v_mul_hi_u32 v3, s44, v2
	v_mul_lo_u32 v7, v2, s36
	s_clause 0x1
	s_load_b128 s[40:43], s[24:25], 0xdc
	s_load_b64 s[36:37], s[24:25], 0xec
	s_wait_xcnt 0x0
	s_add_nc_u64 s[24:25], s[24:25], 24
	s_delay_alu instid0(VALU_DEP_2) | instskip(NEXT) | instid1(VALU_DEP_2)
	v_add_nc_u32_e32 v3, v2, v3
	v_sub_nc_u32_e32 v7, v1, v7
	s_delay_alu instid0(VALU_DEP_2) | instskip(SKIP_1) | instid1(VALU_DEP_2)
	v_lshrrev_b32_e32 v1, s45, v3
	s_wait_kmcnt 0x0
	v_mad_u32 v4, v7, s40, v4
	s_delay_alu instid0(VALU_DEP_2) | instskip(SKIP_2) | instid1(VALU_DEP_3)
	v_mul_lo_u32 v3, v1, s39
	v_mad_u32 v5, v7, s42, v5
	v_mad_u32 v6, v7, s41, v6
	v_sub_nc_u32_e32 v2, v2, v3
	s_delay_alu instid0(VALU_DEP_1) | instskip(NEXT) | instid1(VALU_DEP_4)
	v_mad_u32 v4, v2, s43, v4
	v_mad_u32 v5, v2, s37, v5
	s_delay_alu instid0(VALU_DEP_4)
	v_mad_u32 v6, v2, s36, v6
	s_cbranch_scc0 .LBB77_66
; %bb.67:
	s_bitcmp1_b32 s31, 0
	s_cselect_b32 s16, -1, 0
	s_delay_alu instid0(SALU_CYCLE_1)
	s_and_b32 vcc_lo, exec_lo, s16
	s_cbranch_vccnz .LBB77_71
; %bb.68:
	s_clause 0x1
	s_load_b96 s[36:38], s[24:25], 0x1c
	s_load_b96 s[40:42], s[24:25], 0xdc
	s_wait_kmcnt 0x0
	v_mul_hi_u32 v2, s37, v1
	s_delay_alu instid0(VALU_DEP_1) | instskip(NEXT) | instid1(VALU_DEP_1)
	v_add_nc_u32_e32 v2, v1, v2
	v_lshrrev_b32_e32 v2, s38, v2
	s_delay_alu instid0(VALU_DEP_1) | instskip(NEXT) | instid1(VALU_DEP_1)
	v_mul_lo_u32 v2, v2, s36
	v_sub_nc_u32_e32 v1, v1, v2
	s_delay_alu instid0(VALU_DEP_1)
	v_mad_u32 v4, v1, s40, v4
	v_mad_u32 v6, v1, s41, v6
	;; [unrolled: 1-line block ×3, first 2 shown]
	s_branch .LBB77_71
.LBB77_69:
                                        ; implicit-def: $vgpr5
                                        ; implicit-def: $vgpr6
                                        ; implicit-def: $vgpr4
	s_branch .LBB77_72
.LBB77_70:
	v_dual_mov_b32 v5, 0 :: v_dual_mov_b32 v6, 0
	v_mov_b32_e32 v4, 0
.LBB77_71:
	s_cbranch_execnz .LBB77_74
.LBB77_72:
	v_mov_b32_e32 v1, 0
	s_and_not1_b32 vcc_lo, exec_lo, s30
	s_delay_alu instid0(VALU_DEP_1) | instskip(NEXT) | instid1(VALU_DEP_1)
	v_mul_u64_e32 v[2:3], s[20:21], v[0:1]
	v_add_nc_u32_e32 v2, v0, v3
	s_delay_alu instid0(VALU_DEP_1) | instskip(NEXT) | instid1(VALU_DEP_1)
	v_lshrrev_b32_e32 v2, s6, v2
	v_mul_lo_u32 v3, v2, s4
	s_delay_alu instid0(VALU_DEP_1) | instskip(NEXT) | instid1(VALU_DEP_1)
	v_sub_nc_u32_e32 v3, v0, v3
	v_mul_lo_u32 v4, v3, s8
	v_mul_lo_u32 v5, v3, s10
	;; [unrolled: 1-line block ×3, first 2 shown]
	s_cbranch_vccnz .LBB77_74
; %bb.73:
	v_mov_b32_e32 v3, v1
	s_delay_alu instid0(VALU_DEP_1) | instskip(NEXT) | instid1(VALU_DEP_1)
	v_mul_u64_e32 v[8:9], s[22:23], v[2:3]
	v_add_nc_u32_e32 v1, v2, v9
	s_delay_alu instid0(VALU_DEP_1) | instskip(NEXT) | instid1(VALU_DEP_1)
	v_lshrrev_b32_e32 v1, s17, v1
	v_mul_lo_u32 v1, v1, s7
	s_delay_alu instid0(VALU_DEP_1) | instskip(NEXT) | instid1(VALU_DEP_1)
	v_sub_nc_u32_e32 v1, v2, v1
	v_mad_u32 v4, v1, s11, v4
	v_mad_u32 v6, v1, s18, v6
	;; [unrolled: 1-line block ×3, first 2 shown]
.LBB77_74:
	global_load_u16 v1, v5, s[14:15]
	global_load_i16 v2, v6, s[2:3]
	s_mov_b32 s24, 0
	s_mov_b32 s16, exec_lo
	s_wait_loadcnt 0x1
	v_sub_nc_u16 v3, 0, v1
	s_delay_alu instid0(VALU_DEP_1)
	v_max_i16 v3, v1, v3
	s_wait_loadcnt 0x0
	v_cmpx_ne_u32_e32 0, v2
	s_cbranch_execz .LBB77_78
; %bb.75:
	v_sub_nc_u16 v5, 0, v2
	s_delay_alu instid0(VALU_DEP_1) | instskip(SKIP_1) | instid1(VALU_DEP_2)
	v_max_i16 v6, v2, v5
	v_and_b32_e32 v5, 0xffff, v3
	v_and_b32_e32 v6, 0xffff, v6
.LBB77_76:                              ; =>This Inner Loop Header: Depth=1
	s_delay_alu instid0(VALU_DEP_1) | instskip(NEXT) | instid1(VALU_DEP_2)
	v_bfe_i32 v8, v5, 0, 16
	v_mov_b32_e32 v3, v6
	s_delay_alu instid0(VALU_DEP_2) | instskip(NEXT) | instid1(VALU_DEP_2)
	v_cvt_f32_i32_e32 v10, v8
	v_bfe_i32 v6, v3, 0, 16
	s_delay_alu instid0(VALU_DEP_1) | instskip(SKIP_1) | instid1(VALU_DEP_2)
	v_cvt_f32_i32_e32 v7, v6
	v_xor_b32_e32 v6, v8, v6
	v_rcp_iflag_f32_e32 v9, v7
	v_nop
	s_delay_alu instid0(TRANS32_DEP_1) | instskip(NEXT) | instid1(VALU_DEP_1)
	v_dual_ashrrev_i32 v6, 30, v6 :: v_dual_mul_f32 v8, v10, v9
	v_trunc_f32_e32 v8, v8
	s_delay_alu instid0(VALU_DEP_1) | instskip(SKIP_1) | instid1(VALU_DEP_2)
	v_dual_fma_f32 v9, -v8, v7, v10 :: v_dual_bitop2_b32 v6, 1, v6 bitop3:0x54
	v_cvt_i32_f32_e32 v8, v8
	v_cmp_ge_f32_e64 vcc_lo, |v9|, |v7|
	s_delay_alu instid0(VALU_DEP_3) | instskip(NEXT) | instid1(VALU_DEP_1)
	v_cndmask_b32_e32 v6, 0, v6, vcc_lo
	v_add_nc_u32_e32 v6, v8, v6
	s_delay_alu instid0(VALU_DEP_1) | instskip(NEXT) | instid1(VALU_DEP_1)
	v_mul_lo_u32 v6, v6, v3
	v_sub_nc_u32_e32 v6, v5, v6
	s_delay_alu instid0(VALU_DEP_1) | instskip(SKIP_1) | instid1(VALU_DEP_2)
	v_and_b32_e32 v5, 0xffff, v6
	v_bfe_i32 v6, v6, 0, 16
	v_cmp_eq_u32_e32 vcc_lo, 0, v5
	v_mov_b32_e32 v5, v3
	s_or_b32 s24, vcc_lo, s24
	s_delay_alu instid0(SALU_CYCLE_1)
	s_and_not1_b32 exec_lo, exec_lo, s24
	s_cbranch_execnz .LBB77_76
; %bb.77:
	s_or_b32 exec_lo, exec_lo, s24
.LBB77_78:
	s_delay_alu instid0(SALU_CYCLE_1)
	s_or_b32 exec_lo, exec_lo, s16
	v_mov_b32_e32 v5, 0
	s_mov_b32 s16, exec_lo
	v_cmpx_ne_u16_e32 0, v3
	s_cbranch_execz .LBB77_80
; %bb.79:
	v_bfe_i32 v3, v3, 0, 16
	v_cvt_f32_i32_e32 v7, v2
	v_bfe_i32 v1, v1, 0, 16
	s_delay_alu instid0(VALU_DEP_3) | instskip(SKIP_1) | instid1(VALU_DEP_2)
	v_cvt_f32_i32_e32 v5, v3
	v_xor_b32_e32 v2, v2, v3
	v_rcp_iflag_f32_e32 v6, v5
	v_nop
	s_delay_alu instid0(TRANS32_DEP_1) | instskip(NEXT) | instid1(VALU_DEP_1)
	v_mul_f32_e32 v6, v7, v6
	v_trunc_f32_e32 v3, v6
	s_delay_alu instid0(VALU_DEP_1) | instskip(NEXT) | instid1(VALU_DEP_1)
	v_dual_ashrrev_i32 v2, 30, v2 :: v_dual_fma_f32 v6, -v3, v5, v7
	v_or_b32_e32 v2, 1, v2
	v_cvt_i32_f32_e32 v3, v3
	s_delay_alu instid0(VALU_DEP_3) | instskip(NEXT) | instid1(VALU_DEP_3)
	v_cmp_ge_f32_e64 vcc_lo, |v6|, |v5|
	v_cndmask_b32_e32 v2, 0, v2, vcc_lo
	s_delay_alu instid0(VALU_DEP_1) | instskip(NEXT) | instid1(VALU_DEP_1)
	v_add_nc_u32_e32 v2, v3, v2
	v_bfe_i32 v2, v2, 0, 16
	s_delay_alu instid0(VALU_DEP_1) | instskip(NEXT) | instid1(VALU_DEP_1)
	v_mul_i32_i24_e32 v1, v2, v1
	v_sub_nc_u32_e32 v2, 0, v1
	s_delay_alu instid0(VALU_DEP_1)
	v_max_i32_e32 v5, v1, v2
.LBB77_80:
	s_or_b32 exec_lo, exec_lo, s16
	v_add_nc_u32_e32 v0, 0x80, v0
	global_store_b16 v4, v5, s[0:1]
	s_wait_xcnt 0x0
	s_or_b32 exec_lo, exec_lo, s5
	s_delay_alu instid0(SALU_CYCLE_1)
	s_mov_b32 s5, exec_lo
	v_cmpx_gt_i32_e64 s33, v0
	s_cbranch_execz .LBB77_6
.LBB77_81:
	s_and_not1_b32 vcc_lo, exec_lo, s28
	s_cbranch_vccnz .LBB77_87
; %bb.82:
	s_and_not1_b32 vcc_lo, exec_lo, s34
	s_cbranch_vccnz .LBB77_88
; %bb.83:
	v_dual_mov_b32 v4, 0 :: v_dual_mov_b32 v1, v0
	v_dual_mov_b32 v6, 0 :: v_dual_mov_b32 v5, 0
	s_add_co_i32 s16, s31, 1
	s_mov_b64 s[24:25], 0xffffffffffffffe8
	s_and_b32 s16, s16, 30
	s_add_nc_u64 s[24:25], s[12:13], s[24:25]
.LBB77_84:                              ; =>This Inner Loop Header: Depth=1
	s_clause 0x1
	s_load_b128 s[36:39], s[24:25], 0x1c
	s_load_b64 s[44:45], s[24:25], 0x2c
	s_add_co_i32 s16, s16, -2
	s_delay_alu instid0(SALU_CYCLE_1) | instskip(SKIP_2) | instid1(VALU_DEP_1)
	s_cmp_eq_u32 s16, 0
	s_wait_kmcnt 0x0
	v_mul_hi_u32 v2, s37, v1
	v_add_nc_u32_e32 v2, v1, v2
	s_delay_alu instid0(VALU_DEP_1) | instskip(NEXT) | instid1(VALU_DEP_1)
	v_lshrrev_b32_e32 v2, s38, v2
	v_mul_hi_u32 v3, s44, v2
	v_mul_lo_u32 v7, v2, s36
	s_clause 0x1
	s_load_b128 s[40:43], s[24:25], 0xdc
	s_load_b64 s[36:37], s[24:25], 0xec
	s_wait_xcnt 0x0
	s_add_nc_u64 s[24:25], s[24:25], 24
	s_delay_alu instid0(VALU_DEP_2) | instskip(NEXT) | instid1(VALU_DEP_2)
	v_add_nc_u32_e32 v3, v2, v3
	v_sub_nc_u32_e32 v7, v1, v7
	s_delay_alu instid0(VALU_DEP_2) | instskip(SKIP_1) | instid1(VALU_DEP_2)
	v_lshrrev_b32_e32 v1, s45, v3
	s_wait_kmcnt 0x0
	v_mad_u32 v4, v7, s40, v4
	s_delay_alu instid0(VALU_DEP_2) | instskip(SKIP_2) | instid1(VALU_DEP_3)
	v_mul_lo_u32 v3, v1, s39
	v_mad_u32 v5, v7, s42, v5
	v_mad_u32 v6, v7, s41, v6
	v_sub_nc_u32_e32 v2, v2, v3
	s_delay_alu instid0(VALU_DEP_1) | instskip(NEXT) | instid1(VALU_DEP_4)
	v_mad_u32 v4, v2, s43, v4
	v_mad_u32 v5, v2, s37, v5
	s_delay_alu instid0(VALU_DEP_4)
	v_mad_u32 v6, v2, s36, v6
	s_cbranch_scc0 .LBB77_84
; %bb.85:
	s_bitcmp1_b32 s31, 0
	s_cselect_b32 s16, -1, 0
	s_delay_alu instid0(SALU_CYCLE_1)
	s_and_b32 vcc_lo, exec_lo, s16
	s_cbranch_vccnz .LBB77_89
; %bb.86:
	s_clause 0x1
	s_load_b96 s[36:38], s[24:25], 0x1c
	s_load_b96 s[40:42], s[24:25], 0xdc
	s_wait_kmcnt 0x0
	v_mul_hi_u32 v2, s37, v1
	s_delay_alu instid0(VALU_DEP_1) | instskip(NEXT) | instid1(VALU_DEP_1)
	v_add_nc_u32_e32 v2, v1, v2
	v_lshrrev_b32_e32 v2, s38, v2
	s_delay_alu instid0(VALU_DEP_1) | instskip(NEXT) | instid1(VALU_DEP_1)
	v_mul_lo_u32 v2, v2, s36
	v_sub_nc_u32_e32 v1, v1, v2
	s_delay_alu instid0(VALU_DEP_1)
	v_mad_u32 v4, v1, s40, v4
	v_mad_u32 v6, v1, s41, v6
	;; [unrolled: 1-line block ×3, first 2 shown]
	s_branch .LBB77_89
.LBB77_87:
                                        ; implicit-def: $vgpr5
                                        ; implicit-def: $vgpr6
                                        ; implicit-def: $vgpr4
	s_branch .LBB77_90
.LBB77_88:
	v_dual_mov_b32 v5, 0 :: v_dual_mov_b32 v6, 0
	v_mov_b32_e32 v4, 0
.LBB77_89:
	s_cbranch_execnz .LBB77_92
.LBB77_90:
	v_mov_b32_e32 v1, 0
	s_and_not1_b32 vcc_lo, exec_lo, s30
	s_delay_alu instid0(VALU_DEP_1) | instskip(NEXT) | instid1(VALU_DEP_1)
	v_mul_u64_e32 v[2:3], s[20:21], v[0:1]
	v_add_nc_u32_e32 v2, v0, v3
	s_delay_alu instid0(VALU_DEP_1) | instskip(NEXT) | instid1(VALU_DEP_1)
	v_lshrrev_b32_e32 v2, s6, v2
	v_mul_lo_u32 v3, v2, s4
	s_delay_alu instid0(VALU_DEP_1) | instskip(NEXT) | instid1(VALU_DEP_1)
	v_sub_nc_u32_e32 v3, v0, v3
	v_mul_lo_u32 v4, v3, s8
	v_mul_lo_u32 v5, v3, s10
	;; [unrolled: 1-line block ×3, first 2 shown]
	s_cbranch_vccnz .LBB77_92
; %bb.91:
	v_mov_b32_e32 v3, v1
	s_delay_alu instid0(VALU_DEP_1) | instskip(NEXT) | instid1(VALU_DEP_1)
	v_mul_u64_e32 v[8:9], s[22:23], v[2:3]
	v_add_nc_u32_e32 v1, v2, v9
	s_delay_alu instid0(VALU_DEP_1) | instskip(NEXT) | instid1(VALU_DEP_1)
	v_lshrrev_b32_e32 v1, s17, v1
	v_mul_lo_u32 v1, v1, s7
	s_delay_alu instid0(VALU_DEP_1) | instskip(NEXT) | instid1(VALU_DEP_1)
	v_sub_nc_u32_e32 v1, v2, v1
	v_mad_u32 v4, v1, s11, v4
	v_mad_u32 v6, v1, s18, v6
	;; [unrolled: 1-line block ×3, first 2 shown]
.LBB77_92:
	global_load_u16 v1, v5, s[14:15]
	global_load_i16 v2, v6, s[2:3]
	s_mov_b32 s24, 0
	s_mov_b32 s16, exec_lo
	s_wait_loadcnt 0x1
	v_sub_nc_u16 v3, 0, v1
	s_delay_alu instid0(VALU_DEP_1)
	v_max_i16 v3, v1, v3
	s_wait_loadcnt 0x0
	v_cmpx_ne_u32_e32 0, v2
	s_cbranch_execz .LBB77_96
; %bb.93:
	v_sub_nc_u16 v5, 0, v2
	s_delay_alu instid0(VALU_DEP_1) | instskip(SKIP_1) | instid1(VALU_DEP_2)
	v_max_i16 v6, v2, v5
	v_and_b32_e32 v5, 0xffff, v3
	v_and_b32_e32 v6, 0xffff, v6
.LBB77_94:                              ; =>This Inner Loop Header: Depth=1
	s_delay_alu instid0(VALU_DEP_1) | instskip(NEXT) | instid1(VALU_DEP_2)
	v_bfe_i32 v8, v5, 0, 16
	v_mov_b32_e32 v3, v6
	s_delay_alu instid0(VALU_DEP_2) | instskip(NEXT) | instid1(VALU_DEP_2)
	v_cvt_f32_i32_e32 v10, v8
	v_bfe_i32 v6, v3, 0, 16
	s_delay_alu instid0(VALU_DEP_1) | instskip(SKIP_1) | instid1(VALU_DEP_2)
	v_cvt_f32_i32_e32 v7, v6
	v_xor_b32_e32 v6, v8, v6
	v_rcp_iflag_f32_e32 v9, v7
	v_nop
	s_delay_alu instid0(TRANS32_DEP_1) | instskip(NEXT) | instid1(VALU_DEP_1)
	v_dual_ashrrev_i32 v6, 30, v6 :: v_dual_mul_f32 v8, v10, v9
	v_trunc_f32_e32 v8, v8
	s_delay_alu instid0(VALU_DEP_1) | instskip(SKIP_1) | instid1(VALU_DEP_2)
	v_dual_fma_f32 v9, -v8, v7, v10 :: v_dual_bitop2_b32 v6, 1, v6 bitop3:0x54
	v_cvt_i32_f32_e32 v8, v8
	v_cmp_ge_f32_e64 vcc_lo, |v9|, |v7|
	s_delay_alu instid0(VALU_DEP_3) | instskip(NEXT) | instid1(VALU_DEP_1)
	v_cndmask_b32_e32 v6, 0, v6, vcc_lo
	v_add_nc_u32_e32 v6, v8, v6
	s_delay_alu instid0(VALU_DEP_1) | instskip(NEXT) | instid1(VALU_DEP_1)
	v_mul_lo_u32 v6, v6, v3
	v_sub_nc_u32_e32 v6, v5, v6
	s_delay_alu instid0(VALU_DEP_1) | instskip(SKIP_1) | instid1(VALU_DEP_2)
	v_and_b32_e32 v5, 0xffff, v6
	v_bfe_i32 v6, v6, 0, 16
	v_cmp_eq_u32_e32 vcc_lo, 0, v5
	v_mov_b32_e32 v5, v3
	s_or_b32 s24, vcc_lo, s24
	s_delay_alu instid0(SALU_CYCLE_1)
	s_and_not1_b32 exec_lo, exec_lo, s24
	s_cbranch_execnz .LBB77_94
; %bb.95:
	s_or_b32 exec_lo, exec_lo, s24
.LBB77_96:
	s_delay_alu instid0(SALU_CYCLE_1)
	s_or_b32 exec_lo, exec_lo, s16
	v_mov_b32_e32 v5, 0
	s_mov_b32 s16, exec_lo
	v_cmpx_ne_u16_e32 0, v3
	s_cbranch_execz .LBB77_98
; %bb.97:
	v_bfe_i32 v3, v3, 0, 16
	v_cvt_f32_i32_e32 v7, v2
	v_bfe_i32 v1, v1, 0, 16
	s_delay_alu instid0(VALU_DEP_3) | instskip(SKIP_1) | instid1(VALU_DEP_2)
	v_cvt_f32_i32_e32 v5, v3
	v_xor_b32_e32 v2, v2, v3
	v_rcp_iflag_f32_e32 v6, v5
	v_nop
	s_delay_alu instid0(TRANS32_DEP_1) | instskip(NEXT) | instid1(VALU_DEP_1)
	v_mul_f32_e32 v6, v7, v6
	v_trunc_f32_e32 v3, v6
	s_delay_alu instid0(VALU_DEP_1) | instskip(NEXT) | instid1(VALU_DEP_1)
	v_dual_ashrrev_i32 v2, 30, v2 :: v_dual_fma_f32 v6, -v3, v5, v7
	v_or_b32_e32 v2, 1, v2
	v_cvt_i32_f32_e32 v3, v3
	s_delay_alu instid0(VALU_DEP_3) | instskip(NEXT) | instid1(VALU_DEP_3)
	v_cmp_ge_f32_e64 vcc_lo, |v6|, |v5|
	v_cndmask_b32_e32 v2, 0, v2, vcc_lo
	s_delay_alu instid0(VALU_DEP_1) | instskip(NEXT) | instid1(VALU_DEP_1)
	v_add_nc_u32_e32 v2, v3, v2
	v_bfe_i32 v2, v2, 0, 16
	s_delay_alu instid0(VALU_DEP_1) | instskip(NEXT) | instid1(VALU_DEP_1)
	v_mul_i32_i24_e32 v1, v2, v1
	v_sub_nc_u32_e32 v2, 0, v1
	s_delay_alu instid0(VALU_DEP_1)
	v_max_i32_e32 v5, v1, v2
.LBB77_98:
	s_or_b32 exec_lo, exec_lo, s16
	v_add_nc_u32_e32 v0, 0x80, v0
	global_store_b16 v4, v5, s[0:1]
	s_wait_xcnt 0x0
	s_or_b32 exec_lo, exec_lo, s5
	s_delay_alu instid0(SALU_CYCLE_1)
	s_mov_b32 s5, exec_lo
	v_cmpx_gt_i32_e64 s33, v0
	s_cbranch_execz .LBB77_7
.LBB77_99:
	s_and_not1_b32 vcc_lo, exec_lo, s28
	s_cbranch_vccnz .LBB77_105
; %bb.100:
	s_and_not1_b32 vcc_lo, exec_lo, s34
	s_cbranch_vccnz .LBB77_106
; %bb.101:
	v_dual_mov_b32 v4, 0 :: v_dual_mov_b32 v1, v0
	v_dual_mov_b32 v6, 0 :: v_dual_mov_b32 v5, 0
	s_add_co_i32 s16, s31, 1
	s_mov_b64 s[24:25], 0xffffffffffffffe8
	s_and_b32 s16, s16, 30
	s_add_nc_u64 s[24:25], s[12:13], s[24:25]
.LBB77_102:                             ; =>This Inner Loop Header: Depth=1
	s_clause 0x1
	s_load_b128 s[36:39], s[24:25], 0x1c
	s_load_b64 s[44:45], s[24:25], 0x2c
	s_add_co_i32 s16, s16, -2
	s_delay_alu instid0(SALU_CYCLE_1) | instskip(SKIP_2) | instid1(VALU_DEP_1)
	s_cmp_eq_u32 s16, 0
	s_wait_kmcnt 0x0
	v_mul_hi_u32 v2, s37, v1
	v_add_nc_u32_e32 v2, v1, v2
	s_delay_alu instid0(VALU_DEP_1) | instskip(NEXT) | instid1(VALU_DEP_1)
	v_lshrrev_b32_e32 v2, s38, v2
	v_mul_hi_u32 v3, s44, v2
	v_mul_lo_u32 v7, v2, s36
	s_clause 0x1
	s_load_b128 s[40:43], s[24:25], 0xdc
	s_load_b64 s[36:37], s[24:25], 0xec
	s_wait_xcnt 0x0
	s_add_nc_u64 s[24:25], s[24:25], 24
	s_delay_alu instid0(VALU_DEP_2) | instskip(NEXT) | instid1(VALU_DEP_2)
	v_add_nc_u32_e32 v3, v2, v3
	v_sub_nc_u32_e32 v7, v1, v7
	s_delay_alu instid0(VALU_DEP_2) | instskip(SKIP_1) | instid1(VALU_DEP_2)
	v_lshrrev_b32_e32 v1, s45, v3
	s_wait_kmcnt 0x0
	v_mad_u32 v4, v7, s40, v4
	s_delay_alu instid0(VALU_DEP_2) | instskip(SKIP_2) | instid1(VALU_DEP_3)
	v_mul_lo_u32 v3, v1, s39
	v_mad_u32 v5, v7, s42, v5
	v_mad_u32 v6, v7, s41, v6
	v_sub_nc_u32_e32 v2, v2, v3
	s_delay_alu instid0(VALU_DEP_1) | instskip(NEXT) | instid1(VALU_DEP_4)
	v_mad_u32 v4, v2, s43, v4
	v_mad_u32 v5, v2, s37, v5
	s_delay_alu instid0(VALU_DEP_4)
	v_mad_u32 v6, v2, s36, v6
	s_cbranch_scc0 .LBB77_102
; %bb.103:
	s_bitcmp1_b32 s31, 0
	s_cselect_b32 s16, -1, 0
	s_delay_alu instid0(SALU_CYCLE_1)
	s_and_b32 vcc_lo, exec_lo, s16
	s_cbranch_vccnz .LBB77_107
; %bb.104:
	s_clause 0x1
	s_load_b96 s[36:38], s[24:25], 0x1c
	s_load_b96 s[40:42], s[24:25], 0xdc
	s_wait_kmcnt 0x0
	v_mul_hi_u32 v2, s37, v1
	s_delay_alu instid0(VALU_DEP_1) | instskip(NEXT) | instid1(VALU_DEP_1)
	v_add_nc_u32_e32 v2, v1, v2
	v_lshrrev_b32_e32 v2, s38, v2
	s_delay_alu instid0(VALU_DEP_1) | instskip(NEXT) | instid1(VALU_DEP_1)
	v_mul_lo_u32 v2, v2, s36
	v_sub_nc_u32_e32 v1, v1, v2
	s_delay_alu instid0(VALU_DEP_1)
	v_mad_u32 v4, v1, s40, v4
	v_mad_u32 v6, v1, s41, v6
	;; [unrolled: 1-line block ×3, first 2 shown]
	s_branch .LBB77_107
.LBB77_105:
                                        ; implicit-def: $vgpr5
                                        ; implicit-def: $vgpr6
                                        ; implicit-def: $vgpr4
	s_branch .LBB77_108
.LBB77_106:
	v_dual_mov_b32 v5, 0 :: v_dual_mov_b32 v6, 0
	v_mov_b32_e32 v4, 0
.LBB77_107:
	s_cbranch_execnz .LBB77_110
.LBB77_108:
	v_mov_b32_e32 v1, 0
	s_and_not1_b32 vcc_lo, exec_lo, s30
	s_delay_alu instid0(VALU_DEP_1) | instskip(NEXT) | instid1(VALU_DEP_1)
	v_mul_u64_e32 v[2:3], s[20:21], v[0:1]
	v_add_nc_u32_e32 v2, v0, v3
	s_delay_alu instid0(VALU_DEP_1) | instskip(NEXT) | instid1(VALU_DEP_1)
	v_lshrrev_b32_e32 v2, s6, v2
	v_mul_lo_u32 v3, v2, s4
	s_delay_alu instid0(VALU_DEP_1) | instskip(NEXT) | instid1(VALU_DEP_1)
	v_sub_nc_u32_e32 v3, v0, v3
	v_mul_lo_u32 v4, v3, s8
	v_mul_lo_u32 v5, v3, s10
	;; [unrolled: 1-line block ×3, first 2 shown]
	s_cbranch_vccnz .LBB77_110
; %bb.109:
	v_mov_b32_e32 v3, v1
	s_delay_alu instid0(VALU_DEP_1) | instskip(NEXT) | instid1(VALU_DEP_1)
	v_mul_u64_e32 v[8:9], s[22:23], v[2:3]
	v_add_nc_u32_e32 v1, v2, v9
	s_delay_alu instid0(VALU_DEP_1) | instskip(NEXT) | instid1(VALU_DEP_1)
	v_lshrrev_b32_e32 v1, s17, v1
	v_mul_lo_u32 v1, v1, s7
	s_delay_alu instid0(VALU_DEP_1) | instskip(NEXT) | instid1(VALU_DEP_1)
	v_sub_nc_u32_e32 v1, v2, v1
	v_mad_u32 v4, v1, s11, v4
	v_mad_u32 v6, v1, s18, v6
	;; [unrolled: 1-line block ×3, first 2 shown]
.LBB77_110:
	global_load_u16 v1, v5, s[14:15]
	global_load_i16 v2, v6, s[2:3]
	s_mov_b32 s24, 0
	s_mov_b32 s16, exec_lo
	s_wait_loadcnt 0x1
	v_sub_nc_u16 v3, 0, v1
	s_delay_alu instid0(VALU_DEP_1)
	v_max_i16 v3, v1, v3
	s_wait_loadcnt 0x0
	v_cmpx_ne_u32_e32 0, v2
	s_cbranch_execz .LBB77_114
; %bb.111:
	v_sub_nc_u16 v5, 0, v2
	s_delay_alu instid0(VALU_DEP_1) | instskip(SKIP_1) | instid1(VALU_DEP_2)
	v_max_i16 v6, v2, v5
	v_and_b32_e32 v5, 0xffff, v3
	v_and_b32_e32 v6, 0xffff, v6
.LBB77_112:                             ; =>This Inner Loop Header: Depth=1
	s_delay_alu instid0(VALU_DEP_1) | instskip(NEXT) | instid1(VALU_DEP_2)
	v_bfe_i32 v8, v5, 0, 16
	v_mov_b32_e32 v3, v6
	s_delay_alu instid0(VALU_DEP_2) | instskip(NEXT) | instid1(VALU_DEP_2)
	v_cvt_f32_i32_e32 v10, v8
	v_bfe_i32 v6, v3, 0, 16
	s_delay_alu instid0(VALU_DEP_1) | instskip(SKIP_1) | instid1(VALU_DEP_2)
	v_cvt_f32_i32_e32 v7, v6
	v_xor_b32_e32 v6, v8, v6
	v_rcp_iflag_f32_e32 v9, v7
	v_nop
	s_delay_alu instid0(TRANS32_DEP_1) | instskip(NEXT) | instid1(VALU_DEP_1)
	v_dual_ashrrev_i32 v6, 30, v6 :: v_dual_mul_f32 v8, v10, v9
	v_trunc_f32_e32 v8, v8
	s_delay_alu instid0(VALU_DEP_1) | instskip(SKIP_1) | instid1(VALU_DEP_2)
	v_dual_fma_f32 v9, -v8, v7, v10 :: v_dual_bitop2_b32 v6, 1, v6 bitop3:0x54
	v_cvt_i32_f32_e32 v8, v8
	v_cmp_ge_f32_e64 vcc_lo, |v9|, |v7|
	s_delay_alu instid0(VALU_DEP_3) | instskip(NEXT) | instid1(VALU_DEP_1)
	v_cndmask_b32_e32 v6, 0, v6, vcc_lo
	v_add_nc_u32_e32 v6, v8, v6
	s_delay_alu instid0(VALU_DEP_1) | instskip(NEXT) | instid1(VALU_DEP_1)
	v_mul_lo_u32 v6, v6, v3
	v_sub_nc_u32_e32 v6, v5, v6
	s_delay_alu instid0(VALU_DEP_1) | instskip(SKIP_1) | instid1(VALU_DEP_2)
	v_and_b32_e32 v5, 0xffff, v6
	v_bfe_i32 v6, v6, 0, 16
	v_cmp_eq_u32_e32 vcc_lo, 0, v5
	v_mov_b32_e32 v5, v3
	s_or_b32 s24, vcc_lo, s24
	s_delay_alu instid0(SALU_CYCLE_1)
	s_and_not1_b32 exec_lo, exec_lo, s24
	s_cbranch_execnz .LBB77_112
; %bb.113:
	s_or_b32 exec_lo, exec_lo, s24
.LBB77_114:
	s_delay_alu instid0(SALU_CYCLE_1)
	s_or_b32 exec_lo, exec_lo, s16
	v_mov_b32_e32 v5, 0
	s_mov_b32 s16, exec_lo
	v_cmpx_ne_u16_e32 0, v3
	s_cbranch_execz .LBB77_116
; %bb.115:
	v_bfe_i32 v3, v3, 0, 16
	v_cvt_f32_i32_e32 v7, v2
	v_bfe_i32 v1, v1, 0, 16
	s_delay_alu instid0(VALU_DEP_3) | instskip(SKIP_1) | instid1(VALU_DEP_2)
	v_cvt_f32_i32_e32 v5, v3
	v_xor_b32_e32 v2, v2, v3
	v_rcp_iflag_f32_e32 v6, v5
	v_nop
	s_delay_alu instid0(TRANS32_DEP_1) | instskip(NEXT) | instid1(VALU_DEP_1)
	v_mul_f32_e32 v6, v7, v6
	v_trunc_f32_e32 v3, v6
	s_delay_alu instid0(VALU_DEP_1) | instskip(NEXT) | instid1(VALU_DEP_1)
	v_dual_ashrrev_i32 v2, 30, v2 :: v_dual_fma_f32 v6, -v3, v5, v7
	v_or_b32_e32 v2, 1, v2
	v_cvt_i32_f32_e32 v3, v3
	s_delay_alu instid0(VALU_DEP_3) | instskip(NEXT) | instid1(VALU_DEP_3)
	v_cmp_ge_f32_e64 vcc_lo, |v6|, |v5|
	v_cndmask_b32_e32 v2, 0, v2, vcc_lo
	s_delay_alu instid0(VALU_DEP_1) | instskip(NEXT) | instid1(VALU_DEP_1)
	v_add_nc_u32_e32 v2, v3, v2
	v_bfe_i32 v2, v2, 0, 16
	s_delay_alu instid0(VALU_DEP_1) | instskip(NEXT) | instid1(VALU_DEP_1)
	v_mul_i32_i24_e32 v1, v2, v1
	v_sub_nc_u32_e32 v2, 0, v1
	s_delay_alu instid0(VALU_DEP_1)
	v_max_i32_e32 v5, v1, v2
.LBB77_116:
	s_or_b32 exec_lo, exec_lo, s16
	v_add_nc_u32_e32 v0, 0x80, v0
	global_store_b16 v4, v5, s[0:1]
	s_wait_xcnt 0x0
	s_or_b32 exec_lo, exec_lo, s5
	s_delay_alu instid0(SALU_CYCLE_1)
	s_mov_b32 s5, exec_lo
	v_cmpx_gt_i32_e64 s33, v0
	s_cbranch_execz .LBB77_8
.LBB77_117:
	s_and_not1_b32 vcc_lo, exec_lo, s28
	s_cbranch_vccnz .LBB77_123
; %bb.118:
	s_and_not1_b32 vcc_lo, exec_lo, s34
	s_cbranch_vccnz .LBB77_124
; %bb.119:
	v_dual_mov_b32 v4, 0 :: v_dual_mov_b32 v1, v0
	v_dual_mov_b32 v6, 0 :: v_dual_mov_b32 v5, 0
	s_add_co_i32 s16, s31, 1
	s_mov_b64 s[24:25], 0xffffffffffffffe8
	s_and_b32 s16, s16, 30
	s_add_nc_u64 s[24:25], s[12:13], s[24:25]
.LBB77_120:                             ; =>This Inner Loop Header: Depth=1
	s_clause 0x1
	s_load_b128 s[36:39], s[24:25], 0x1c
	s_load_b64 s[44:45], s[24:25], 0x2c
	s_add_co_i32 s16, s16, -2
	s_delay_alu instid0(SALU_CYCLE_1) | instskip(SKIP_2) | instid1(VALU_DEP_1)
	s_cmp_eq_u32 s16, 0
	s_wait_kmcnt 0x0
	v_mul_hi_u32 v2, s37, v1
	v_add_nc_u32_e32 v2, v1, v2
	s_delay_alu instid0(VALU_DEP_1) | instskip(NEXT) | instid1(VALU_DEP_1)
	v_lshrrev_b32_e32 v2, s38, v2
	v_mul_hi_u32 v3, s44, v2
	v_mul_lo_u32 v7, v2, s36
	s_clause 0x1
	s_load_b128 s[40:43], s[24:25], 0xdc
	s_load_b64 s[36:37], s[24:25], 0xec
	s_wait_xcnt 0x0
	s_add_nc_u64 s[24:25], s[24:25], 24
	s_delay_alu instid0(VALU_DEP_2) | instskip(NEXT) | instid1(VALU_DEP_2)
	v_add_nc_u32_e32 v3, v2, v3
	v_sub_nc_u32_e32 v7, v1, v7
	s_delay_alu instid0(VALU_DEP_2) | instskip(SKIP_1) | instid1(VALU_DEP_2)
	v_lshrrev_b32_e32 v1, s45, v3
	s_wait_kmcnt 0x0
	v_mad_u32 v4, v7, s40, v4
	s_delay_alu instid0(VALU_DEP_2) | instskip(SKIP_2) | instid1(VALU_DEP_3)
	v_mul_lo_u32 v3, v1, s39
	v_mad_u32 v5, v7, s42, v5
	v_mad_u32 v6, v7, s41, v6
	v_sub_nc_u32_e32 v2, v2, v3
	s_delay_alu instid0(VALU_DEP_1) | instskip(NEXT) | instid1(VALU_DEP_4)
	v_mad_u32 v4, v2, s43, v4
	v_mad_u32 v5, v2, s37, v5
	s_delay_alu instid0(VALU_DEP_4)
	v_mad_u32 v6, v2, s36, v6
	s_cbranch_scc0 .LBB77_120
; %bb.121:
	s_bitcmp1_b32 s31, 0
	s_cselect_b32 s16, -1, 0
	s_delay_alu instid0(SALU_CYCLE_1)
	s_and_b32 vcc_lo, exec_lo, s16
	s_cbranch_vccnz .LBB77_125
; %bb.122:
	s_clause 0x1
	s_load_b96 s[36:38], s[24:25], 0x1c
	s_load_b96 s[40:42], s[24:25], 0xdc
	s_wait_kmcnt 0x0
	v_mul_hi_u32 v2, s37, v1
	s_delay_alu instid0(VALU_DEP_1) | instskip(NEXT) | instid1(VALU_DEP_1)
	v_add_nc_u32_e32 v2, v1, v2
	v_lshrrev_b32_e32 v2, s38, v2
	s_delay_alu instid0(VALU_DEP_1) | instskip(NEXT) | instid1(VALU_DEP_1)
	v_mul_lo_u32 v2, v2, s36
	v_sub_nc_u32_e32 v1, v1, v2
	s_delay_alu instid0(VALU_DEP_1)
	v_mad_u32 v4, v1, s40, v4
	v_mad_u32 v6, v1, s41, v6
	;; [unrolled: 1-line block ×3, first 2 shown]
	s_branch .LBB77_125
.LBB77_123:
                                        ; implicit-def: $vgpr5
                                        ; implicit-def: $vgpr6
                                        ; implicit-def: $vgpr4
	s_branch .LBB77_126
.LBB77_124:
	v_dual_mov_b32 v5, 0 :: v_dual_mov_b32 v6, 0
	v_mov_b32_e32 v4, 0
.LBB77_125:
	s_cbranch_execnz .LBB77_128
.LBB77_126:
	v_mov_b32_e32 v1, 0
	s_and_not1_b32 vcc_lo, exec_lo, s30
	s_delay_alu instid0(VALU_DEP_1) | instskip(NEXT) | instid1(VALU_DEP_1)
	v_mul_u64_e32 v[2:3], s[20:21], v[0:1]
	v_add_nc_u32_e32 v2, v0, v3
	s_delay_alu instid0(VALU_DEP_1) | instskip(NEXT) | instid1(VALU_DEP_1)
	v_lshrrev_b32_e32 v2, s6, v2
	v_mul_lo_u32 v3, v2, s4
	s_delay_alu instid0(VALU_DEP_1) | instskip(NEXT) | instid1(VALU_DEP_1)
	v_sub_nc_u32_e32 v3, v0, v3
	v_mul_lo_u32 v4, v3, s8
	v_mul_lo_u32 v5, v3, s10
	;; [unrolled: 1-line block ×3, first 2 shown]
	s_cbranch_vccnz .LBB77_128
; %bb.127:
	v_mov_b32_e32 v3, v1
	s_delay_alu instid0(VALU_DEP_1) | instskip(NEXT) | instid1(VALU_DEP_1)
	v_mul_u64_e32 v[8:9], s[22:23], v[2:3]
	v_add_nc_u32_e32 v1, v2, v9
	s_delay_alu instid0(VALU_DEP_1) | instskip(NEXT) | instid1(VALU_DEP_1)
	v_lshrrev_b32_e32 v1, s17, v1
	v_mul_lo_u32 v1, v1, s7
	s_delay_alu instid0(VALU_DEP_1) | instskip(NEXT) | instid1(VALU_DEP_1)
	v_sub_nc_u32_e32 v1, v2, v1
	v_mad_u32 v4, v1, s11, v4
	v_mad_u32 v6, v1, s18, v6
	v_mad_u32 v5, v1, s19, v5
.LBB77_128:
	global_load_u16 v1, v5, s[14:15]
	global_load_i16 v2, v6, s[2:3]
	s_mov_b32 s24, 0
	s_mov_b32 s16, exec_lo
	s_wait_loadcnt 0x1
	v_sub_nc_u16 v3, 0, v1
	s_delay_alu instid0(VALU_DEP_1)
	v_max_i16 v3, v1, v3
	s_wait_loadcnt 0x0
	v_cmpx_ne_u32_e32 0, v2
	s_cbranch_execz .LBB77_132
; %bb.129:
	v_sub_nc_u16 v5, 0, v2
	s_delay_alu instid0(VALU_DEP_1) | instskip(SKIP_1) | instid1(VALU_DEP_2)
	v_max_i16 v6, v2, v5
	v_and_b32_e32 v5, 0xffff, v3
	v_and_b32_e32 v6, 0xffff, v6
.LBB77_130:                             ; =>This Inner Loop Header: Depth=1
	s_delay_alu instid0(VALU_DEP_1) | instskip(NEXT) | instid1(VALU_DEP_2)
	v_bfe_i32 v8, v5, 0, 16
	v_mov_b32_e32 v3, v6
	s_delay_alu instid0(VALU_DEP_2) | instskip(NEXT) | instid1(VALU_DEP_2)
	v_cvt_f32_i32_e32 v10, v8
	v_bfe_i32 v6, v3, 0, 16
	s_delay_alu instid0(VALU_DEP_1) | instskip(SKIP_1) | instid1(VALU_DEP_2)
	v_cvt_f32_i32_e32 v7, v6
	v_xor_b32_e32 v6, v8, v6
	v_rcp_iflag_f32_e32 v9, v7
	v_nop
	s_delay_alu instid0(TRANS32_DEP_1) | instskip(NEXT) | instid1(VALU_DEP_1)
	v_dual_ashrrev_i32 v6, 30, v6 :: v_dual_mul_f32 v8, v10, v9
	v_trunc_f32_e32 v8, v8
	s_delay_alu instid0(VALU_DEP_1) | instskip(SKIP_1) | instid1(VALU_DEP_2)
	v_dual_fma_f32 v9, -v8, v7, v10 :: v_dual_bitop2_b32 v6, 1, v6 bitop3:0x54
	v_cvt_i32_f32_e32 v8, v8
	v_cmp_ge_f32_e64 vcc_lo, |v9|, |v7|
	s_delay_alu instid0(VALU_DEP_3) | instskip(NEXT) | instid1(VALU_DEP_1)
	v_cndmask_b32_e32 v6, 0, v6, vcc_lo
	v_add_nc_u32_e32 v6, v8, v6
	s_delay_alu instid0(VALU_DEP_1) | instskip(NEXT) | instid1(VALU_DEP_1)
	v_mul_lo_u32 v6, v6, v3
	v_sub_nc_u32_e32 v6, v5, v6
	s_delay_alu instid0(VALU_DEP_1) | instskip(SKIP_1) | instid1(VALU_DEP_2)
	v_and_b32_e32 v5, 0xffff, v6
	v_bfe_i32 v6, v6, 0, 16
	v_cmp_eq_u32_e32 vcc_lo, 0, v5
	v_mov_b32_e32 v5, v3
	s_or_b32 s24, vcc_lo, s24
	s_delay_alu instid0(SALU_CYCLE_1)
	s_and_not1_b32 exec_lo, exec_lo, s24
	s_cbranch_execnz .LBB77_130
; %bb.131:
	s_or_b32 exec_lo, exec_lo, s24
.LBB77_132:
	s_delay_alu instid0(SALU_CYCLE_1)
	s_or_b32 exec_lo, exec_lo, s16
	v_mov_b32_e32 v5, 0
	s_mov_b32 s16, exec_lo
	v_cmpx_ne_u16_e32 0, v3
	s_cbranch_execz .LBB77_134
; %bb.133:
	v_bfe_i32 v3, v3, 0, 16
	v_cvt_f32_i32_e32 v7, v2
	v_bfe_i32 v1, v1, 0, 16
	s_delay_alu instid0(VALU_DEP_3) | instskip(SKIP_1) | instid1(VALU_DEP_2)
	v_cvt_f32_i32_e32 v5, v3
	v_xor_b32_e32 v2, v2, v3
	v_rcp_iflag_f32_e32 v6, v5
	v_nop
	s_delay_alu instid0(TRANS32_DEP_1) | instskip(NEXT) | instid1(VALU_DEP_1)
	v_mul_f32_e32 v6, v7, v6
	v_trunc_f32_e32 v3, v6
	s_delay_alu instid0(VALU_DEP_1) | instskip(NEXT) | instid1(VALU_DEP_1)
	v_dual_ashrrev_i32 v2, 30, v2 :: v_dual_fma_f32 v6, -v3, v5, v7
	v_or_b32_e32 v2, 1, v2
	v_cvt_i32_f32_e32 v3, v3
	s_delay_alu instid0(VALU_DEP_3) | instskip(NEXT) | instid1(VALU_DEP_3)
	v_cmp_ge_f32_e64 vcc_lo, |v6|, |v5|
	v_cndmask_b32_e32 v2, 0, v2, vcc_lo
	s_delay_alu instid0(VALU_DEP_1) | instskip(NEXT) | instid1(VALU_DEP_1)
	v_add_nc_u32_e32 v2, v3, v2
	v_bfe_i32 v2, v2, 0, 16
	s_delay_alu instid0(VALU_DEP_1) | instskip(NEXT) | instid1(VALU_DEP_1)
	v_mul_i32_i24_e32 v1, v2, v1
	v_sub_nc_u32_e32 v2, 0, v1
	s_delay_alu instid0(VALU_DEP_1)
	v_max_i32_e32 v5, v1, v2
.LBB77_134:
	s_or_b32 exec_lo, exec_lo, s16
	v_add_nc_u32_e32 v0, 0x80, v0
	global_store_b16 v4, v5, s[0:1]
	s_wait_xcnt 0x0
	s_or_b32 exec_lo, exec_lo, s5
	s_delay_alu instid0(SALU_CYCLE_1)
	s_mov_b32 s5, exec_lo
	v_cmpx_gt_i32_e64 s33, v0
	s_cbranch_execz .LBB77_153
.LBB77_135:
	s_and_not1_b32 vcc_lo, exec_lo, s28
	s_cbranch_vccnz .LBB77_141
; %bb.136:
	s_and_not1_b32 vcc_lo, exec_lo, s34
	s_cbranch_vccnz .LBB77_142
; %bb.137:
	v_dual_mov_b32 v4, 0 :: v_dual_mov_b32 v1, v0
	v_dual_mov_b32 v6, 0 :: v_dual_mov_b32 v5, 0
	s_add_co_i32 s16, s31, 1
	s_mov_b64 s[24:25], 0xffffffffffffffe8
	s_and_b32 s16, s16, 30
	s_add_nc_u64 s[24:25], s[12:13], s[24:25]
.LBB77_138:                             ; =>This Inner Loop Header: Depth=1
	s_clause 0x1
	s_load_b128 s[36:39], s[24:25], 0x1c
	s_load_b64 s[34:35], s[24:25], 0x2c
	s_add_co_i32 s16, s16, -2
	s_delay_alu instid0(SALU_CYCLE_1) | instskip(SKIP_2) | instid1(VALU_DEP_1)
	s_cmp_eq_u32 s16, 0
	s_wait_kmcnt 0x0
	v_mul_hi_u32 v2, s37, v1
	v_add_nc_u32_e32 v2, v1, v2
	s_delay_alu instid0(VALU_DEP_1) | instskip(NEXT) | instid1(VALU_DEP_1)
	v_lshrrev_b32_e32 v2, s38, v2
	v_mul_hi_u32 v3, s34, v2
	v_mul_lo_u32 v7, v2, s36
	s_clause 0x1
	s_load_b128 s[40:43], s[24:25], 0xdc
	s_load_b64 s[36:37], s[24:25], 0xec
	s_wait_xcnt 0x0
	s_add_nc_u64 s[24:25], s[24:25], 24
	s_delay_alu instid0(VALU_DEP_2) | instskip(NEXT) | instid1(VALU_DEP_2)
	v_add_nc_u32_e32 v3, v2, v3
	v_sub_nc_u32_e32 v7, v1, v7
	s_delay_alu instid0(VALU_DEP_2) | instskip(SKIP_1) | instid1(VALU_DEP_2)
	v_lshrrev_b32_e32 v1, s35, v3
	s_wait_kmcnt 0x0
	v_mad_u32 v4, v7, s40, v4
	s_delay_alu instid0(VALU_DEP_2) | instskip(SKIP_2) | instid1(VALU_DEP_3)
	v_mul_lo_u32 v3, v1, s39
	v_mad_u32 v5, v7, s42, v5
	v_mad_u32 v6, v7, s41, v6
	v_sub_nc_u32_e32 v2, v2, v3
	s_delay_alu instid0(VALU_DEP_1) | instskip(NEXT) | instid1(VALU_DEP_4)
	v_mad_u32 v4, v2, s43, v4
	v_mad_u32 v5, v2, s37, v5
	s_delay_alu instid0(VALU_DEP_4)
	v_mad_u32 v6, v2, s36, v6
	s_cbranch_scc0 .LBB77_138
; %bb.139:
	s_bitcmp1_b32 s31, 0
	s_cselect_b32 s16, -1, 0
	s_delay_alu instid0(SALU_CYCLE_1)
	s_and_b32 vcc_lo, exec_lo, s16
	s_cbranch_vccnz .LBB77_143
; %bb.140:
	s_clause 0x1
	s_load_b96 s[36:38], s[24:25], 0x1c
	s_load_b96 s[40:42], s[24:25], 0xdc
	s_wait_kmcnt 0x0
	v_mul_hi_u32 v2, s37, v1
	s_delay_alu instid0(VALU_DEP_1) | instskip(NEXT) | instid1(VALU_DEP_1)
	v_add_nc_u32_e32 v2, v1, v2
	v_lshrrev_b32_e32 v2, s38, v2
	s_delay_alu instid0(VALU_DEP_1) | instskip(NEXT) | instid1(VALU_DEP_1)
	v_mul_lo_u32 v2, v2, s36
	v_sub_nc_u32_e32 v1, v1, v2
	s_delay_alu instid0(VALU_DEP_1)
	v_mad_u32 v4, v1, s40, v4
	v_mad_u32 v6, v1, s41, v6
	;; [unrolled: 1-line block ×3, first 2 shown]
	s_branch .LBB77_143
.LBB77_141:
                                        ; implicit-def: $vgpr5
                                        ; implicit-def: $vgpr6
                                        ; implicit-def: $vgpr4
	s_branch .LBB77_144
.LBB77_142:
	v_dual_mov_b32 v5, 0 :: v_dual_mov_b32 v6, 0
	v_mov_b32_e32 v4, 0
.LBB77_143:
	s_cbranch_execnz .LBB77_146
.LBB77_144:
	v_mov_b32_e32 v1, 0
	s_and_not1_b32 vcc_lo, exec_lo, s30
	s_delay_alu instid0(VALU_DEP_1) | instskip(NEXT) | instid1(VALU_DEP_1)
	v_mul_u64_e32 v[2:3], s[20:21], v[0:1]
	v_add_nc_u32_e32 v2, v0, v3
	s_delay_alu instid0(VALU_DEP_1) | instskip(NEXT) | instid1(VALU_DEP_1)
	v_lshrrev_b32_e32 v2, s6, v2
	v_mul_lo_u32 v3, v2, s4
	s_delay_alu instid0(VALU_DEP_1) | instskip(NEXT) | instid1(VALU_DEP_1)
	v_sub_nc_u32_e32 v0, v0, v3
	v_mul_lo_u32 v4, v0, s8
	v_mul_lo_u32 v5, v0, s10
	;; [unrolled: 1-line block ×3, first 2 shown]
	s_cbranch_vccnz .LBB77_146
; %bb.145:
	v_mov_b32_e32 v3, v1
	s_delay_alu instid0(VALU_DEP_1) | instskip(NEXT) | instid1(VALU_DEP_1)
	v_mul_u64_e32 v[0:1], s[22:23], v[2:3]
	v_add_nc_u32_e32 v0, v2, v1
	s_delay_alu instid0(VALU_DEP_1) | instskip(NEXT) | instid1(VALU_DEP_1)
	v_lshrrev_b32_e32 v0, s17, v0
	v_mul_lo_u32 v0, v0, s7
	s_delay_alu instid0(VALU_DEP_1) | instskip(NEXT) | instid1(VALU_DEP_1)
	v_sub_nc_u32_e32 v0, v2, v0
	v_mad_u32 v4, v0, s11, v4
	v_mad_u32 v6, v0, s18, v6
	;; [unrolled: 1-line block ×3, first 2 shown]
.LBB77_146:
	global_load_u16 v0, v5, s[14:15]
	global_load_i16 v1, v6, s[2:3]
	s_wait_xcnt 0x0
	s_mov_b32 s3, 0
	s_mov_b32 s2, exec_lo
	s_wait_loadcnt 0x1
	v_sub_nc_u16 v2, 0, v0
	s_delay_alu instid0(VALU_DEP_1)
	v_max_i16 v2, v0, v2
	s_wait_loadcnt 0x0
	v_cmpx_ne_u32_e32 0, v1
	s_cbranch_execz .LBB77_150
; %bb.147:
	v_sub_nc_u16 v3, 0, v1
	s_delay_alu instid0(VALU_DEP_1) | instskip(SKIP_1) | instid1(VALU_DEP_2)
	v_max_i16 v5, v1, v3
	v_and_b32_e32 v3, 0xffff, v2
	v_and_b32_e32 v5, 0xffff, v5
.LBB77_148:                             ; =>This Inner Loop Header: Depth=1
	s_delay_alu instid0(VALU_DEP_1) | instskip(NEXT) | instid1(VALU_DEP_2)
	v_bfe_i32 v7, v3, 0, 16
	v_mov_b32_e32 v2, v5
	s_delay_alu instid0(VALU_DEP_2) | instskip(NEXT) | instid1(VALU_DEP_2)
	v_cvt_f32_i32_e32 v9, v7
	v_bfe_i32 v5, v2, 0, 16
	s_delay_alu instid0(VALU_DEP_1) | instskip(SKIP_1) | instid1(VALU_DEP_2)
	v_cvt_f32_i32_e32 v6, v5
	v_xor_b32_e32 v5, v7, v5
	v_rcp_iflag_f32_e32 v8, v6
	v_nop
	s_delay_alu instid0(TRANS32_DEP_1) | instskip(NEXT) | instid1(VALU_DEP_1)
	v_dual_ashrrev_i32 v5, 30, v5 :: v_dual_mul_f32 v7, v9, v8
	v_trunc_f32_e32 v7, v7
	s_delay_alu instid0(VALU_DEP_1) | instskip(SKIP_1) | instid1(VALU_DEP_2)
	v_dual_fma_f32 v8, -v7, v6, v9 :: v_dual_bitop2_b32 v5, 1, v5 bitop3:0x54
	v_cvt_i32_f32_e32 v7, v7
	v_cmp_ge_f32_e64 vcc_lo, |v8|, |v6|
	s_delay_alu instid0(VALU_DEP_3) | instskip(NEXT) | instid1(VALU_DEP_1)
	v_cndmask_b32_e32 v5, 0, v5, vcc_lo
	v_add_nc_u32_e32 v5, v7, v5
	s_delay_alu instid0(VALU_DEP_1) | instskip(NEXT) | instid1(VALU_DEP_1)
	v_mul_lo_u32 v5, v5, v2
	v_sub_nc_u32_e32 v5, v3, v5
	s_delay_alu instid0(VALU_DEP_1) | instskip(SKIP_1) | instid1(VALU_DEP_2)
	v_and_b32_e32 v3, 0xffff, v5
	v_bfe_i32 v5, v5, 0, 16
	v_cmp_eq_u32_e32 vcc_lo, 0, v3
	v_mov_b32_e32 v3, v2
	s_or_b32 s3, vcc_lo, s3
	s_delay_alu instid0(SALU_CYCLE_1)
	s_and_not1_b32 exec_lo, exec_lo, s3
	s_cbranch_execnz .LBB77_148
; %bb.149:
	s_or_b32 exec_lo, exec_lo, s3
.LBB77_150:
	s_delay_alu instid0(SALU_CYCLE_1)
	s_or_b32 exec_lo, exec_lo, s2
	v_mov_b32_e32 v3, 0
	s_mov_b32 s2, exec_lo
	v_cmpx_ne_u16_e32 0, v2
	s_cbranch_execz .LBB77_152
; %bb.151:
	v_bfe_i32 v2, v2, 0, 16
	v_cvt_f32_i32_e32 v6, v1
	v_bfe_i32 v0, v0, 0, 16
	s_delay_alu instid0(VALU_DEP_3) | instskip(SKIP_1) | instid1(VALU_DEP_2)
	v_cvt_f32_i32_e32 v3, v2
	v_xor_b32_e32 v1, v1, v2
	v_rcp_iflag_f32_e32 v5, v3
	v_nop
	s_delay_alu instid0(TRANS32_DEP_1) | instskip(NEXT) | instid1(VALU_DEP_1)
	v_mul_f32_e32 v5, v6, v5
	v_trunc_f32_e32 v2, v5
	s_delay_alu instid0(VALU_DEP_1) | instskip(NEXT) | instid1(VALU_DEP_1)
	v_dual_ashrrev_i32 v1, 30, v1 :: v_dual_fma_f32 v5, -v2, v3, v6
	v_or_b32_e32 v1, 1, v1
	v_cvt_i32_f32_e32 v2, v2
	s_delay_alu instid0(VALU_DEP_3) | instskip(NEXT) | instid1(VALU_DEP_3)
	v_cmp_ge_f32_e64 vcc_lo, |v5|, |v3|
	v_cndmask_b32_e32 v1, 0, v1, vcc_lo
	s_delay_alu instid0(VALU_DEP_1) | instskip(NEXT) | instid1(VALU_DEP_1)
	v_add_nc_u32_e32 v1, v2, v1
	v_bfe_i32 v1, v1, 0, 16
	s_delay_alu instid0(VALU_DEP_1) | instskip(NEXT) | instid1(VALU_DEP_1)
	v_mul_i32_i24_e32 v0, v1, v0
	v_sub_nc_u32_e32 v1, 0, v0
	s_delay_alu instid0(VALU_DEP_1)
	v_max_i32_e32 v3, v0, v1
.LBB77_152:
	s_or_b32 exec_lo, exec_lo, s2
	global_store_b16 v4, v3, s[0:1]
.LBB77_153:
	s_wait_xcnt 0x0
	s_or_b32 exec_lo, exec_lo, s5
                                        ; implicit-def: $vgpr6
                                        ; implicit-def: $vgpr0
.LBB77_154:
	s_and_not1_saveexec_b32 s0, s29
	s_cbranch_execz .LBB77_161
; %bb.155:
	v_cndmask_b32_e64 v12, 0, 1, s28
	s_and_not1_b32 vcc_lo, exec_lo, s28
	s_cbranch_vccnz .LBB77_162
; %bb.156:
	s_cmp_lg_u32 s26, 0
	s_mov_b32 s2, 0
	s_cbranch_scc0 .LBB77_166
; %bb.157:
	s_min_u32 s3, s27, 15
	v_dual_mov_b32 v1, 0 :: v_dual_mov_b32 v2, v0
	v_dual_mov_b32 v8, 0 :: v_dual_mov_b32 v7, 0
	s_add_co_i32 s4, s3, 1
	s_mov_b64 s[0:1], 0xffffffffffffffe8
	s_and_b32 s4, s4, 30
	s_add_nc_u64 s[0:1], s[12:13], s[0:1]
.LBB77_158:                             ; =>This Inner Loop Header: Depth=1
	s_clause 0x1
	s_load_b128 s[8:11], s[0:1], 0x1c
	s_load_b64 s[6:7], s[0:1], 0x2c
	s_add_co_i32 s4, s4, -2
	s_delay_alu instid0(SALU_CYCLE_1) | instskip(SKIP_2) | instid1(VALU_DEP_1)
	s_cmp_lg_u32 s4, 0
	s_wait_kmcnt 0x0
	v_mul_hi_u32 v3, s9, v2
	v_add_nc_u32_e32 v3, v2, v3
	s_delay_alu instid0(VALU_DEP_1) | instskip(NEXT) | instid1(VALU_DEP_1)
	v_lshrrev_b32_e32 v3, s10, v3
	v_mul_hi_u32 v4, s6, v3
	v_mul_lo_u32 v5, v3, s8
	s_clause 0x1
	s_load_b128 s[16:19], s[0:1], 0xdc
	s_load_b64 s[8:9], s[0:1], 0xec
	s_wait_xcnt 0x0
	s_add_nc_u64 s[0:1], s[0:1], 24
	s_delay_alu instid0(VALU_DEP_1) | instskip(NEXT) | instid1(VALU_DEP_1)
	v_dual_add_nc_u32 v4, v3, v4 :: v_dual_sub_nc_u32 v5, v2, v5
	v_lshrrev_b32_e32 v2, s7, v4
	s_wait_kmcnt 0x0
	s_delay_alu instid0(VALU_DEP_2) | instskip(NEXT) | instid1(VALU_DEP_2)
	v_mad_u32 v1, v5, s16, v1
	v_mul_lo_u32 v4, v2, s11
	v_mad_u32 v7, v5, s18, v7
	v_mad_u32 v5, v5, s17, v8
	s_delay_alu instid0(VALU_DEP_3) | instskip(NEXT) | instid1(VALU_DEP_1)
	v_sub_nc_u32_e32 v3, v3, v4
	v_mad_u32 v1, v3, s19, v1
	s_delay_alu instid0(VALU_DEP_4) | instskip(NEXT) | instid1(VALU_DEP_4)
	v_mad_u32 v7, v3, s9, v7
	v_mad_u32 v8, v3, s8, v5
	s_cbranch_scc1 .LBB77_158
; %bb.159:
	s_bitcmp1_b32 s3, 0
	s_cselect_b32 s3, -1, 0
	s_delay_alu instid0(SALU_CYCLE_1)
	s_and_b32 vcc_lo, exec_lo, s3
	s_cbranch_vccnz .LBB77_163
; %bb.160:
	s_clause 0x1
	s_load_b96 s[4:6], s[0:1], 0x1c
	s_load_b96 s[8:10], s[0:1], 0xdc
	s_wait_kmcnt 0x0
	v_mul_hi_u32 v3, s5, v2
	s_delay_alu instid0(VALU_DEP_1) | instskip(NEXT) | instid1(VALU_DEP_1)
	v_add_nc_u32_e32 v3, v2, v3
	v_lshrrev_b32_e32 v3, s6, v3
	s_delay_alu instid0(VALU_DEP_1) | instskip(NEXT) | instid1(VALU_DEP_1)
	v_mul_lo_u32 v3, v3, s4
	v_sub_nc_u32_e32 v2, v2, v3
	s_delay_alu instid0(VALU_DEP_1)
	v_mad_u32 v1, v2, s8, v1
	v_mad_u32 v8, v2, s9, v8
	;; [unrolled: 1-line block ×3, first 2 shown]
	s_and_not1_b32 vcc_lo, exec_lo, s2
	s_cbranch_vccz .LBB77_164
	s_branch .LBB77_167
.LBB77_161:
	s_endpgm
.LBB77_162:
	s_mov_b32 s2, -1
                                        ; implicit-def: $vgpr7
                                        ; implicit-def: $vgpr8
                                        ; implicit-def: $vgpr1
.LBB77_163:
	s_delay_alu instid0(SALU_CYCLE_1)
	s_and_not1_b32 vcc_lo, exec_lo, s2
	s_cbranch_vccnz .LBB77_167
.LBB77_164:
	s_clause 0x1
	s_load_b96 s[0:2], s[12:13], 0x4
	s_load_b96 s[4:6], s[12:13], 0xc4
	s_cmp_lt_u32 s26, 2
	s_wait_kmcnt 0x0
	v_mul_hi_u32 v1, s1, v0
	s_delay_alu instid0(VALU_DEP_1) | instskip(NEXT) | instid1(VALU_DEP_1)
	v_add_nc_u32_e32 v1, v0, v1
	v_lshrrev_b32_e32 v2, s2, v1
	s_delay_alu instid0(VALU_DEP_1) | instskip(NEXT) | instid1(VALU_DEP_1)
	v_mul_lo_u32 v1, v2, s0
	v_sub_nc_u32_e32 v3, v0, v1
	s_delay_alu instid0(VALU_DEP_1)
	v_mul_lo_u32 v1, v3, s4
	v_mul_lo_u32 v7, v3, s6
	;; [unrolled: 1-line block ×3, first 2 shown]
	s_cbranch_scc1 .LBB77_167
; %bb.165:
	s_clause 0x1
	s_load_b96 s[0:2], s[12:13], 0x10
	s_load_b96 s[4:6], s[12:13], 0xd0
	s_wait_kmcnt 0x0
	v_mul_hi_u32 v3, s1, v2
	s_delay_alu instid0(VALU_DEP_1) | instskip(NEXT) | instid1(VALU_DEP_1)
	v_add_nc_u32_e32 v3, v2, v3
	v_lshrrev_b32_e32 v3, s2, v3
	s_delay_alu instid0(VALU_DEP_1) | instskip(NEXT) | instid1(VALU_DEP_1)
	v_mul_lo_u32 v3, v3, s0
	v_sub_nc_u32_e32 v2, v2, v3
	s_delay_alu instid0(VALU_DEP_1)
	v_mad_u32 v1, v2, s4, v1
	v_mad_u32 v8, v2, s5, v8
	;; [unrolled: 1-line block ×3, first 2 shown]
	s_branch .LBB77_167
.LBB77_166:
	v_dual_mov_b32 v7, 0 :: v_dual_mov_b32 v8, 0
	v_mov_b32_e32 v1, 0
	s_and_not1_b32 vcc_lo, exec_lo, s2
	s_cbranch_vccz .LBB77_164
.LBB77_167:
	v_cmp_ne_u32_e32 vcc_lo, 1, v12
	v_add_nc_u32_e32 v3, 0x80, v0
	s_cbranch_vccnz .LBB77_173
; %bb.168:
	s_cmp_lg_u32 s26, 0
	s_mov_b32 s2, 0
	s_cbranch_scc0 .LBB77_177
; %bb.169:
	s_min_u32 s3, s27, 15
	v_dual_mov_b32 v2, 0 :: v_dual_mov_b32 v4, v3
	v_dual_mov_b32 v10, 0 :: v_dual_mov_b32 v9, 0
	s_add_co_i32 s4, s3, 1
	s_mov_b64 s[0:1], 0xffffffffffffffe8
	s_and_b32 s4, s4, 30
	s_add_nc_u64 s[0:1], s[12:13], s[0:1]
.LBB77_170:                             ; =>This Inner Loop Header: Depth=1
	s_clause 0x1
	s_load_b128 s[8:11], s[0:1], 0x1c
	s_load_b64 s[6:7], s[0:1], 0x2c
	s_add_co_i32 s4, s4, -2
	s_delay_alu instid0(SALU_CYCLE_1) | instskip(SKIP_2) | instid1(VALU_DEP_1)
	s_cmp_lg_u32 s4, 0
	s_wait_kmcnt 0x0
	v_mul_hi_u32 v5, s9, v4
	v_add_nc_u32_e32 v5, v4, v5
	s_delay_alu instid0(VALU_DEP_1) | instskip(NEXT) | instid1(VALU_DEP_1)
	v_lshrrev_b32_e32 v5, s10, v5
	v_mul_hi_u32 v11, s6, v5
	v_mul_lo_u32 v13, v5, s8
	s_clause 0x1
	s_load_b128 s[16:19], s[0:1], 0xdc
	s_load_b64 s[8:9], s[0:1], 0xec
	s_wait_xcnt 0x0
	s_add_nc_u64 s[0:1], s[0:1], 24
	s_delay_alu instid0(VALU_DEP_1) | instskip(NEXT) | instid1(VALU_DEP_1)
	v_dual_add_nc_u32 v11, v5, v11 :: v_dual_sub_nc_u32 v13, v4, v13
	v_lshrrev_b32_e32 v4, s7, v11
	s_wait_kmcnt 0x0
	s_delay_alu instid0(VALU_DEP_2) | instskip(NEXT) | instid1(VALU_DEP_2)
	v_mad_u32 v2, v13, s16, v2
	v_mul_lo_u32 v11, v4, s11
	v_mad_u32 v9, v13, s18, v9
	v_mad_u32 v10, v13, s17, v10
	s_delay_alu instid0(VALU_DEP_3) | instskip(NEXT) | instid1(VALU_DEP_1)
	v_sub_nc_u32_e32 v5, v5, v11
	v_mad_u32 v2, v5, s19, v2
	s_delay_alu instid0(VALU_DEP_4) | instskip(NEXT) | instid1(VALU_DEP_4)
	v_mad_u32 v9, v5, s9, v9
	v_mad_u32 v10, v5, s8, v10
	s_cbranch_scc1 .LBB77_170
; %bb.171:
	s_bitcmp1_b32 s3, 0
	s_cselect_b32 s3, -1, 0
	s_delay_alu instid0(SALU_CYCLE_1)
	s_and_b32 vcc_lo, exec_lo, s3
	s_cbranch_vccnz .LBB77_174
; %bb.172:
	s_clause 0x1
	s_load_b96 s[4:6], s[0:1], 0x1c
	s_load_b96 s[8:10], s[0:1], 0xdc
	s_wait_kmcnt 0x0
	v_mul_hi_u32 v5, s5, v4
	s_delay_alu instid0(VALU_DEP_1) | instskip(NEXT) | instid1(VALU_DEP_1)
	v_add_nc_u32_e32 v5, v4, v5
	v_lshrrev_b32_e32 v5, s6, v5
	s_delay_alu instid0(VALU_DEP_1) | instskip(NEXT) | instid1(VALU_DEP_1)
	v_mul_lo_u32 v5, v5, s4
	v_sub_nc_u32_e32 v4, v4, v5
	s_delay_alu instid0(VALU_DEP_1)
	v_mad_u32 v2, v4, s8, v2
	v_mad_u32 v10, v4, s9, v10
	;; [unrolled: 1-line block ×3, first 2 shown]
	s_and_not1_b32 vcc_lo, exec_lo, s2
	s_cbranch_vccz .LBB77_175
	s_branch .LBB77_178
.LBB77_173:
	s_mov_b32 s2, -1
                                        ; implicit-def: $vgpr9
                                        ; implicit-def: $vgpr10
                                        ; implicit-def: $vgpr2
.LBB77_174:
	s_delay_alu instid0(SALU_CYCLE_1)
	s_and_not1_b32 vcc_lo, exec_lo, s2
	s_cbranch_vccnz .LBB77_178
.LBB77_175:
	s_clause 0x1
	s_load_b96 s[0:2], s[12:13], 0x4
	s_load_b96 s[4:6], s[12:13], 0xc4
	s_cmp_lt_u32 s26, 2
	s_wait_kmcnt 0x0
	v_mul_hi_u32 v2, s1, v3
	s_delay_alu instid0(VALU_DEP_1) | instskip(NEXT) | instid1(VALU_DEP_1)
	v_add_nc_u32_e32 v2, v3, v2
	v_lshrrev_b32_e32 v4, s2, v2
	s_delay_alu instid0(VALU_DEP_1) | instskip(NEXT) | instid1(VALU_DEP_1)
	v_mul_lo_u32 v2, v4, s0
	v_sub_nc_u32_e32 v3, v3, v2
	s_delay_alu instid0(VALU_DEP_1)
	v_mul_lo_u32 v2, v3, s4
	v_mul_lo_u32 v9, v3, s6
	;; [unrolled: 1-line block ×3, first 2 shown]
	s_cbranch_scc1 .LBB77_178
; %bb.176:
	s_clause 0x1
	s_load_b96 s[0:2], s[12:13], 0x10
	s_load_b96 s[4:6], s[12:13], 0xd0
	s_wait_kmcnt 0x0
	v_mul_hi_u32 v3, s1, v4
	s_delay_alu instid0(VALU_DEP_1) | instskip(NEXT) | instid1(VALU_DEP_1)
	v_add_nc_u32_e32 v3, v4, v3
	v_lshrrev_b32_e32 v3, s2, v3
	s_delay_alu instid0(VALU_DEP_1) | instskip(NEXT) | instid1(VALU_DEP_1)
	v_mul_lo_u32 v3, v3, s0
	v_sub_nc_u32_e32 v3, v4, v3
	s_delay_alu instid0(VALU_DEP_1)
	v_mad_u32 v2, v3, s4, v2
	v_mad_u32 v10, v3, s5, v10
	;; [unrolled: 1-line block ×3, first 2 shown]
	s_branch .LBB77_178
.LBB77_177:
	v_dual_mov_b32 v9, 0 :: v_dual_mov_b32 v10, 0
	v_mov_b32_e32 v2, 0
	s_and_not1_b32 vcc_lo, exec_lo, s2
	s_cbranch_vccz .LBB77_175
.LBB77_178:
	v_cmp_ne_u32_e32 vcc_lo, 1, v12
	v_add_nc_u32_e32 v4, 0x100, v0
	s_cbranch_vccnz .LBB77_184
; %bb.179:
	s_cmp_lg_u32 s26, 0
	s_mov_b32 s2, 0
	s_cbranch_scc0 .LBB77_188
; %bb.180:
	s_min_u32 s3, s27, 15
	v_dual_mov_b32 v3, 0 :: v_dual_mov_b32 v5, v4
	v_dual_mov_b32 v14, 0 :: v_dual_mov_b32 v13, 0
	s_add_co_i32 s4, s3, 1
	s_mov_b64 s[0:1], 0xffffffffffffffe8
	s_and_b32 s4, s4, 30
	s_add_nc_u64 s[0:1], s[12:13], s[0:1]
.LBB77_181:                             ; =>This Inner Loop Header: Depth=1
	s_clause 0x1
	s_load_b128 s[8:11], s[0:1], 0x1c
	s_load_b64 s[6:7], s[0:1], 0x2c
	s_add_co_i32 s4, s4, -2
	s_delay_alu instid0(SALU_CYCLE_1) | instskip(SKIP_2) | instid1(VALU_DEP_1)
	s_cmp_lg_u32 s4, 0
	s_wait_kmcnt 0x0
	v_mul_hi_u32 v11, s9, v5
	v_add_nc_u32_e32 v11, v5, v11
	s_delay_alu instid0(VALU_DEP_1) | instskip(NEXT) | instid1(VALU_DEP_1)
	v_lshrrev_b32_e32 v11, s10, v11
	v_mul_hi_u32 v15, s6, v11
	v_mul_lo_u32 v16, v11, s8
	s_clause 0x1
	s_load_b128 s[16:19], s[0:1], 0xdc
	s_load_b64 s[8:9], s[0:1], 0xec
	s_wait_xcnt 0x0
	s_add_nc_u64 s[0:1], s[0:1], 24
	s_delay_alu instid0(VALU_DEP_1) | instskip(NEXT) | instid1(VALU_DEP_1)
	v_dual_add_nc_u32 v15, v11, v15 :: v_dual_sub_nc_u32 v16, v5, v16
	v_lshrrev_b32_e32 v5, s7, v15
	s_wait_kmcnt 0x0
	s_delay_alu instid0(VALU_DEP_2) | instskip(NEXT) | instid1(VALU_DEP_2)
	v_mad_u32 v3, v16, s16, v3
	v_mul_lo_u32 v15, v5, s11
	v_mad_u32 v13, v16, s18, v13
	v_mad_u32 v14, v16, s17, v14
	s_delay_alu instid0(VALU_DEP_3) | instskip(NEXT) | instid1(VALU_DEP_1)
	v_sub_nc_u32_e32 v11, v11, v15
	v_mad_u32 v3, v11, s19, v3
	s_delay_alu instid0(VALU_DEP_4) | instskip(NEXT) | instid1(VALU_DEP_4)
	v_mad_u32 v13, v11, s9, v13
	v_mad_u32 v14, v11, s8, v14
	s_cbranch_scc1 .LBB77_181
; %bb.182:
	s_bitcmp1_b32 s3, 0
	s_cselect_b32 s3, -1, 0
	s_delay_alu instid0(SALU_CYCLE_1)
	s_and_b32 vcc_lo, exec_lo, s3
	s_cbranch_vccnz .LBB77_185
; %bb.183:
	s_clause 0x1
	s_load_b96 s[4:6], s[0:1], 0x1c
	s_load_b96 s[8:10], s[0:1], 0xdc
	s_wait_kmcnt 0x0
	v_mul_hi_u32 v11, s5, v5
	s_delay_alu instid0(VALU_DEP_1) | instskip(NEXT) | instid1(VALU_DEP_1)
	v_add_nc_u32_e32 v11, v5, v11
	v_lshrrev_b32_e32 v11, s6, v11
	s_delay_alu instid0(VALU_DEP_1) | instskip(NEXT) | instid1(VALU_DEP_1)
	v_mul_lo_u32 v11, v11, s4
	v_sub_nc_u32_e32 v5, v5, v11
	s_delay_alu instid0(VALU_DEP_1)
	v_mad_u32 v3, v5, s8, v3
	v_mad_u32 v14, v5, s9, v14
	;; [unrolled: 1-line block ×3, first 2 shown]
	s_and_not1_b32 vcc_lo, exec_lo, s2
	s_cbranch_vccz .LBB77_186
	s_branch .LBB77_189
.LBB77_184:
	s_mov_b32 s2, -1
                                        ; implicit-def: $vgpr13
                                        ; implicit-def: $vgpr14
                                        ; implicit-def: $vgpr3
.LBB77_185:
	s_delay_alu instid0(SALU_CYCLE_1)
	s_and_not1_b32 vcc_lo, exec_lo, s2
	s_cbranch_vccnz .LBB77_189
.LBB77_186:
	s_clause 0x1
	s_load_b96 s[0:2], s[12:13], 0x4
	s_load_b96 s[4:6], s[12:13], 0xc4
	s_cmp_lt_u32 s26, 2
	s_wait_kmcnt 0x0
	v_mul_hi_u32 v3, s1, v4
	s_delay_alu instid0(VALU_DEP_1) | instskip(NEXT) | instid1(VALU_DEP_1)
	v_add_nc_u32_e32 v3, v4, v3
	v_lshrrev_b32_e32 v5, s2, v3
	s_delay_alu instid0(VALU_DEP_1) | instskip(NEXT) | instid1(VALU_DEP_1)
	v_mul_lo_u32 v3, v5, s0
	v_sub_nc_u32_e32 v4, v4, v3
	s_delay_alu instid0(VALU_DEP_1)
	v_mul_lo_u32 v3, v4, s4
	v_mul_lo_u32 v13, v4, s6
	;; [unrolled: 1-line block ×3, first 2 shown]
	s_cbranch_scc1 .LBB77_189
; %bb.187:
	s_clause 0x1
	s_load_b96 s[0:2], s[12:13], 0x10
	s_load_b96 s[4:6], s[12:13], 0xd0
	s_wait_kmcnt 0x0
	v_mul_hi_u32 v4, s1, v5
	s_delay_alu instid0(VALU_DEP_1) | instskip(NEXT) | instid1(VALU_DEP_1)
	v_add_nc_u32_e32 v4, v5, v4
	v_lshrrev_b32_e32 v4, s2, v4
	s_delay_alu instid0(VALU_DEP_1) | instskip(NEXT) | instid1(VALU_DEP_1)
	v_mul_lo_u32 v4, v4, s0
	v_sub_nc_u32_e32 v4, v5, v4
	s_delay_alu instid0(VALU_DEP_1)
	v_mad_u32 v3, v4, s4, v3
	v_mad_u32 v14, v4, s5, v14
	;; [unrolled: 1-line block ×3, first 2 shown]
	s_branch .LBB77_189
.LBB77_188:
	v_dual_mov_b32 v13, 0 :: v_dual_mov_b32 v14, 0
	v_mov_b32_e32 v3, 0
	s_and_not1_b32 vcc_lo, exec_lo, s2
	s_cbranch_vccz .LBB77_186
.LBB77_189:
	v_cmp_ne_u32_e32 vcc_lo, 1, v12
	v_add_nc_u32_e32 v5, 0x180, v0
	s_cbranch_vccnz .LBB77_195
; %bb.190:
	s_cmp_lg_u32 s26, 0
	s_mov_b32 s2, 0
	s_cbranch_scc0 .LBB77_199
; %bb.191:
	s_min_u32 s3, s27, 15
	v_dual_mov_b32 v4, 0 :: v_dual_mov_b32 v11, v5
	v_dual_mov_b32 v16, 0 :: v_dual_mov_b32 v15, 0
	s_add_co_i32 s4, s3, 1
	s_mov_b64 s[0:1], 0xffffffffffffffe8
	s_and_b32 s4, s4, 30
	s_add_nc_u64 s[0:1], s[12:13], s[0:1]
.LBB77_192:                             ; =>This Inner Loop Header: Depth=1
	s_clause 0x1
	s_load_b128 s[8:11], s[0:1], 0x1c
	s_load_b64 s[6:7], s[0:1], 0x2c
	s_add_co_i32 s4, s4, -2
	s_delay_alu instid0(SALU_CYCLE_1) | instskip(SKIP_2) | instid1(VALU_DEP_1)
	s_cmp_lg_u32 s4, 0
	s_wait_kmcnt 0x0
	v_mul_hi_u32 v17, s9, v11
	v_add_nc_u32_e32 v17, v11, v17
	s_delay_alu instid0(VALU_DEP_1) | instskip(NEXT) | instid1(VALU_DEP_1)
	v_lshrrev_b32_e32 v17, s10, v17
	v_mul_hi_u32 v18, s6, v17
	v_mul_lo_u32 v19, v17, s8
	s_clause 0x1
	s_load_b128 s[16:19], s[0:1], 0xdc
	s_load_b64 s[8:9], s[0:1], 0xec
	s_wait_xcnt 0x0
	s_add_nc_u64 s[0:1], s[0:1], 24
	s_delay_alu instid0(VALU_DEP_1) | instskip(NEXT) | instid1(VALU_DEP_1)
	v_dual_add_nc_u32 v18, v17, v18 :: v_dual_sub_nc_u32 v19, v11, v19
	v_lshrrev_b32_e32 v11, s7, v18
	s_wait_kmcnt 0x0
	s_delay_alu instid0(VALU_DEP_2) | instskip(NEXT) | instid1(VALU_DEP_2)
	v_mad_u32 v4, v19, s16, v4
	v_mul_lo_u32 v18, v11, s11
	v_mad_u32 v15, v19, s18, v15
	v_mad_u32 v16, v19, s17, v16
	s_delay_alu instid0(VALU_DEP_3) | instskip(NEXT) | instid1(VALU_DEP_1)
	v_sub_nc_u32_e32 v17, v17, v18
	v_mad_u32 v4, v17, s19, v4
	s_delay_alu instid0(VALU_DEP_4) | instskip(NEXT) | instid1(VALU_DEP_4)
	v_mad_u32 v15, v17, s9, v15
	v_mad_u32 v16, v17, s8, v16
	s_cbranch_scc1 .LBB77_192
; %bb.193:
	s_bitcmp1_b32 s3, 0
	s_cselect_b32 s3, -1, 0
	s_delay_alu instid0(SALU_CYCLE_1)
	s_and_b32 vcc_lo, exec_lo, s3
	s_cbranch_vccnz .LBB77_196
; %bb.194:
	s_clause 0x1
	s_load_b96 s[4:6], s[0:1], 0x1c
	s_load_b96 s[8:10], s[0:1], 0xdc
	s_wait_kmcnt 0x0
	v_mul_hi_u32 v17, s5, v11
	s_delay_alu instid0(VALU_DEP_1) | instskip(NEXT) | instid1(VALU_DEP_1)
	v_add_nc_u32_e32 v17, v11, v17
	v_lshrrev_b32_e32 v17, s6, v17
	s_delay_alu instid0(VALU_DEP_1) | instskip(NEXT) | instid1(VALU_DEP_1)
	v_mul_lo_u32 v17, v17, s4
	v_sub_nc_u32_e32 v11, v11, v17
	s_delay_alu instid0(VALU_DEP_1)
	v_mad_u32 v4, v11, s8, v4
	v_mad_u32 v16, v11, s9, v16
	;; [unrolled: 1-line block ×3, first 2 shown]
	s_and_not1_b32 vcc_lo, exec_lo, s2
	s_cbranch_vccz .LBB77_197
	s_branch .LBB77_200
.LBB77_195:
	s_mov_b32 s2, -1
                                        ; implicit-def: $vgpr15
                                        ; implicit-def: $vgpr16
                                        ; implicit-def: $vgpr4
.LBB77_196:
	s_delay_alu instid0(SALU_CYCLE_1)
	s_and_not1_b32 vcc_lo, exec_lo, s2
	s_cbranch_vccnz .LBB77_200
.LBB77_197:
	s_clause 0x1
	s_load_b96 s[0:2], s[12:13], 0x4
	s_load_b96 s[4:6], s[12:13], 0xc4
	s_cmp_lt_u32 s26, 2
	s_wait_kmcnt 0x0
	v_mul_hi_u32 v4, s1, v5
	s_delay_alu instid0(VALU_DEP_1) | instskip(NEXT) | instid1(VALU_DEP_1)
	v_add_nc_u32_e32 v4, v5, v4
	v_lshrrev_b32_e32 v11, s2, v4
	s_delay_alu instid0(VALU_DEP_1) | instskip(NEXT) | instid1(VALU_DEP_1)
	v_mul_lo_u32 v4, v11, s0
	v_sub_nc_u32_e32 v5, v5, v4
	s_delay_alu instid0(VALU_DEP_1)
	v_mul_lo_u32 v4, v5, s4
	v_mul_lo_u32 v15, v5, s6
	;; [unrolled: 1-line block ×3, first 2 shown]
	s_cbranch_scc1 .LBB77_200
; %bb.198:
	s_clause 0x1
	s_load_b96 s[0:2], s[12:13], 0x10
	s_load_b96 s[4:6], s[12:13], 0xd0
	s_wait_kmcnt 0x0
	v_mul_hi_u32 v5, s1, v11
	s_delay_alu instid0(VALU_DEP_1) | instskip(NEXT) | instid1(VALU_DEP_1)
	v_add_nc_u32_e32 v5, v11, v5
	v_lshrrev_b32_e32 v5, s2, v5
	s_delay_alu instid0(VALU_DEP_1) | instskip(NEXT) | instid1(VALU_DEP_1)
	v_mul_lo_u32 v5, v5, s0
	v_sub_nc_u32_e32 v5, v11, v5
	s_delay_alu instid0(VALU_DEP_1)
	v_mad_u32 v4, v5, s4, v4
	v_mad_u32 v16, v5, s5, v16
	;; [unrolled: 1-line block ×3, first 2 shown]
	s_branch .LBB77_200
.LBB77_199:
	v_dual_mov_b32 v15, 0 :: v_dual_mov_b32 v16, 0
	v_mov_b32_e32 v4, 0
	s_and_not1_b32 vcc_lo, exec_lo, s2
	s_cbranch_vccz .LBB77_197
.LBB77_200:
	v_cmp_ne_u32_e32 vcc_lo, 1, v12
	v_add_nc_u32_e32 v11, 0x200, v0
	s_cbranch_vccnz .LBB77_206
; %bb.201:
	s_cmp_lg_u32 s26, 0
	s_mov_b32 s2, 0
	s_cbranch_scc0 .LBB77_210
; %bb.202:
	s_min_u32 s3, s27, 15
	v_dual_mov_b32 v5, 0 :: v_dual_mov_b32 v19, v11
	v_dual_mov_b32 v18, 0 :: v_dual_mov_b32 v17, 0
	s_add_co_i32 s4, s3, 1
	s_mov_b64 s[0:1], 0xffffffffffffffe8
	s_and_b32 s4, s4, 30
	s_add_nc_u64 s[0:1], s[12:13], s[0:1]
.LBB77_203:                             ; =>This Inner Loop Header: Depth=1
	s_clause 0x1
	s_load_b128 s[8:11], s[0:1], 0x1c
	s_load_b64 s[6:7], s[0:1], 0x2c
	s_add_co_i32 s4, s4, -2
	s_delay_alu instid0(SALU_CYCLE_1) | instskip(SKIP_2) | instid1(VALU_DEP_1)
	s_cmp_lg_u32 s4, 0
	s_wait_kmcnt 0x0
	v_mul_hi_u32 v20, s9, v19
	v_add_nc_u32_e32 v20, v19, v20
	s_delay_alu instid0(VALU_DEP_1) | instskip(NEXT) | instid1(VALU_DEP_1)
	v_lshrrev_b32_e32 v20, s10, v20
	v_mul_hi_u32 v21, s6, v20
	v_mul_lo_u32 v22, v20, s8
	s_clause 0x1
	s_load_b128 s[16:19], s[0:1], 0xdc
	s_load_b64 s[8:9], s[0:1], 0xec
	s_wait_xcnt 0x0
	s_add_nc_u64 s[0:1], s[0:1], 24
	s_delay_alu instid0(VALU_DEP_1) | instskip(NEXT) | instid1(VALU_DEP_1)
	v_dual_add_nc_u32 v21, v20, v21 :: v_dual_sub_nc_u32 v22, v19, v22
	v_lshrrev_b32_e32 v19, s7, v21
	s_wait_kmcnt 0x0
	s_delay_alu instid0(VALU_DEP_2) | instskip(NEXT) | instid1(VALU_DEP_2)
	v_mad_u32 v5, v22, s16, v5
	v_mul_lo_u32 v21, v19, s11
	v_mad_u32 v17, v22, s18, v17
	v_mad_u32 v18, v22, s17, v18
	s_delay_alu instid0(VALU_DEP_3) | instskip(NEXT) | instid1(VALU_DEP_1)
	v_sub_nc_u32_e32 v20, v20, v21
	v_mad_u32 v5, v20, s19, v5
	s_delay_alu instid0(VALU_DEP_4) | instskip(NEXT) | instid1(VALU_DEP_4)
	v_mad_u32 v17, v20, s9, v17
	v_mad_u32 v18, v20, s8, v18
	s_cbranch_scc1 .LBB77_203
; %bb.204:
	s_bitcmp1_b32 s3, 0
	s_cselect_b32 s3, -1, 0
	s_delay_alu instid0(SALU_CYCLE_1)
	s_and_b32 vcc_lo, exec_lo, s3
	s_cbranch_vccnz .LBB77_207
; %bb.205:
	s_clause 0x1
	s_load_b96 s[4:6], s[0:1], 0x1c
	s_load_b96 s[8:10], s[0:1], 0xdc
	s_wait_kmcnt 0x0
	v_mul_hi_u32 v20, s5, v19
	s_delay_alu instid0(VALU_DEP_1) | instskip(NEXT) | instid1(VALU_DEP_1)
	v_add_nc_u32_e32 v20, v19, v20
	v_lshrrev_b32_e32 v20, s6, v20
	s_delay_alu instid0(VALU_DEP_1) | instskip(NEXT) | instid1(VALU_DEP_1)
	v_mul_lo_u32 v20, v20, s4
	v_sub_nc_u32_e32 v19, v19, v20
	s_delay_alu instid0(VALU_DEP_1)
	v_mad_u32 v5, v19, s8, v5
	v_mad_u32 v18, v19, s9, v18
	;; [unrolled: 1-line block ×3, first 2 shown]
	s_and_not1_b32 vcc_lo, exec_lo, s2
	s_cbranch_vccz .LBB77_208
	s_branch .LBB77_211
.LBB77_206:
	s_mov_b32 s2, -1
                                        ; implicit-def: $vgpr17
                                        ; implicit-def: $vgpr18
                                        ; implicit-def: $vgpr5
.LBB77_207:
	s_delay_alu instid0(SALU_CYCLE_1)
	s_and_not1_b32 vcc_lo, exec_lo, s2
	s_cbranch_vccnz .LBB77_211
.LBB77_208:
	s_clause 0x1
	s_load_b96 s[0:2], s[12:13], 0x4
	s_load_b96 s[4:6], s[12:13], 0xc4
	s_cmp_lt_u32 s26, 2
	s_wait_kmcnt 0x0
	v_mul_hi_u32 v5, s1, v11
	s_delay_alu instid0(VALU_DEP_1) | instskip(NEXT) | instid1(VALU_DEP_1)
	v_add_nc_u32_e32 v5, v11, v5
	v_lshrrev_b32_e32 v19, s2, v5
	s_delay_alu instid0(VALU_DEP_1) | instskip(NEXT) | instid1(VALU_DEP_1)
	v_mul_lo_u32 v5, v19, s0
	v_sub_nc_u32_e32 v11, v11, v5
	s_delay_alu instid0(VALU_DEP_1)
	v_mul_lo_u32 v5, v11, s4
	v_mul_lo_u32 v17, v11, s6
	;; [unrolled: 1-line block ×3, first 2 shown]
	s_cbranch_scc1 .LBB77_211
; %bb.209:
	s_clause 0x1
	s_load_b96 s[0:2], s[12:13], 0x10
	s_load_b96 s[4:6], s[12:13], 0xd0
	s_wait_kmcnt 0x0
	v_mul_hi_u32 v11, s1, v19
	s_delay_alu instid0(VALU_DEP_1) | instskip(NEXT) | instid1(VALU_DEP_1)
	v_add_nc_u32_e32 v11, v19, v11
	v_lshrrev_b32_e32 v11, s2, v11
	s_delay_alu instid0(VALU_DEP_1) | instskip(NEXT) | instid1(VALU_DEP_1)
	v_mul_lo_u32 v11, v11, s0
	v_sub_nc_u32_e32 v11, v19, v11
	s_delay_alu instid0(VALU_DEP_1)
	v_mad_u32 v5, v11, s4, v5
	v_mad_u32 v18, v11, s5, v18
	;; [unrolled: 1-line block ×3, first 2 shown]
	s_branch .LBB77_211
.LBB77_210:
	v_dual_mov_b32 v17, 0 :: v_dual_mov_b32 v18, 0
	v_mov_b32_e32 v5, 0
	s_and_not1_b32 vcc_lo, exec_lo, s2
	s_cbranch_vccz .LBB77_208
.LBB77_211:
	v_cmp_ne_u32_e32 vcc_lo, 1, v12
	v_add_nc_u32_e32 v21, 0x280, v0
	s_cbranch_vccnz .LBB77_217
; %bb.212:
	s_cmp_lg_u32 s26, 0
	s_mov_b32 s2, 0
	s_cbranch_scc0 .LBB77_221
; %bb.213:
	s_min_u32 s3, s27, 15
	v_dual_mov_b32 v11, 0 :: v_dual_mov_b32 v22, v21
	v_dual_mov_b32 v20, 0 :: v_dual_mov_b32 v19, 0
	s_add_co_i32 s4, s3, 1
	s_mov_b64 s[0:1], 0xffffffffffffffe8
	s_and_b32 s4, s4, 30
	s_add_nc_u64 s[0:1], s[12:13], s[0:1]
.LBB77_214:                             ; =>This Inner Loop Header: Depth=1
	s_clause 0x1
	s_load_b128 s[8:11], s[0:1], 0x1c
	s_load_b64 s[6:7], s[0:1], 0x2c
	s_add_co_i32 s4, s4, -2
	s_delay_alu instid0(SALU_CYCLE_1) | instskip(SKIP_2) | instid1(VALU_DEP_1)
	s_cmp_lg_u32 s4, 0
	s_wait_kmcnt 0x0
	v_mul_hi_u32 v23, s9, v22
	v_add_nc_u32_e32 v23, v22, v23
	s_delay_alu instid0(VALU_DEP_1) | instskip(NEXT) | instid1(VALU_DEP_1)
	v_lshrrev_b32_e32 v23, s10, v23
	v_mul_hi_u32 v24, s6, v23
	v_mul_lo_u32 v25, v23, s8
	s_clause 0x1
	s_load_b128 s[16:19], s[0:1], 0xdc
	s_load_b64 s[8:9], s[0:1], 0xec
	s_wait_xcnt 0x0
	s_add_nc_u64 s[0:1], s[0:1], 24
	s_delay_alu instid0(VALU_DEP_1) | instskip(NEXT) | instid1(VALU_DEP_1)
	v_dual_add_nc_u32 v24, v23, v24 :: v_dual_sub_nc_u32 v25, v22, v25
	v_lshrrev_b32_e32 v22, s7, v24
	s_wait_kmcnt 0x0
	s_delay_alu instid0(VALU_DEP_2) | instskip(NEXT) | instid1(VALU_DEP_2)
	v_mad_u32 v11, v25, s16, v11
	v_mul_lo_u32 v24, v22, s11
	v_mad_u32 v19, v25, s18, v19
	v_mad_u32 v20, v25, s17, v20
	s_delay_alu instid0(VALU_DEP_3) | instskip(NEXT) | instid1(VALU_DEP_1)
	v_sub_nc_u32_e32 v23, v23, v24
	v_mad_u32 v11, v23, s19, v11
	s_delay_alu instid0(VALU_DEP_4) | instskip(NEXT) | instid1(VALU_DEP_4)
	v_mad_u32 v19, v23, s9, v19
	v_mad_u32 v20, v23, s8, v20
	s_cbranch_scc1 .LBB77_214
; %bb.215:
	s_bitcmp1_b32 s3, 0
	s_cselect_b32 s3, -1, 0
	s_delay_alu instid0(SALU_CYCLE_1)
	s_and_b32 vcc_lo, exec_lo, s3
	s_cbranch_vccnz .LBB77_218
; %bb.216:
	s_clause 0x1
	s_load_b96 s[4:6], s[0:1], 0x1c
	s_load_b96 s[8:10], s[0:1], 0xdc
	s_wait_kmcnt 0x0
	v_mul_hi_u32 v23, s5, v22
	s_delay_alu instid0(VALU_DEP_1) | instskip(NEXT) | instid1(VALU_DEP_1)
	v_add_nc_u32_e32 v23, v22, v23
	v_lshrrev_b32_e32 v23, s6, v23
	s_delay_alu instid0(VALU_DEP_1) | instskip(NEXT) | instid1(VALU_DEP_1)
	v_mul_lo_u32 v23, v23, s4
	v_sub_nc_u32_e32 v22, v22, v23
	s_delay_alu instid0(VALU_DEP_1)
	v_mad_u32 v11, v22, s8, v11
	v_mad_u32 v20, v22, s9, v20
	;; [unrolled: 1-line block ×3, first 2 shown]
	s_and_not1_b32 vcc_lo, exec_lo, s2
	s_cbranch_vccz .LBB77_219
	s_branch .LBB77_222
.LBB77_217:
	s_mov_b32 s2, -1
                                        ; implicit-def: $vgpr19
                                        ; implicit-def: $vgpr20
                                        ; implicit-def: $vgpr11
.LBB77_218:
	s_delay_alu instid0(SALU_CYCLE_1)
	s_and_not1_b32 vcc_lo, exec_lo, s2
	s_cbranch_vccnz .LBB77_222
.LBB77_219:
	s_clause 0x1
	s_load_b96 s[0:2], s[12:13], 0x4
	s_load_b96 s[4:6], s[12:13], 0xc4
	s_cmp_lt_u32 s26, 2
	s_wait_kmcnt 0x0
	v_mul_hi_u32 v11, s1, v21
	s_delay_alu instid0(VALU_DEP_1) | instskip(NEXT) | instid1(VALU_DEP_1)
	v_add_nc_u32_e32 v11, v21, v11
	v_lshrrev_b32_e32 v22, s2, v11
	s_delay_alu instid0(VALU_DEP_1) | instskip(NEXT) | instid1(VALU_DEP_1)
	v_mul_lo_u32 v11, v22, s0
	v_sub_nc_u32_e32 v20, v21, v11
	s_delay_alu instid0(VALU_DEP_1)
	v_mul_lo_u32 v11, v20, s4
	v_mul_lo_u32 v19, v20, s6
	;; [unrolled: 1-line block ×3, first 2 shown]
	s_cbranch_scc1 .LBB77_222
; %bb.220:
	s_clause 0x1
	s_load_b96 s[0:2], s[12:13], 0x10
	s_load_b96 s[4:6], s[12:13], 0xd0
	s_wait_kmcnt 0x0
	v_mul_hi_u32 v21, s1, v22
	s_delay_alu instid0(VALU_DEP_1) | instskip(NEXT) | instid1(VALU_DEP_1)
	v_add_nc_u32_e32 v21, v22, v21
	v_lshrrev_b32_e32 v21, s2, v21
	s_delay_alu instid0(VALU_DEP_1) | instskip(NEXT) | instid1(VALU_DEP_1)
	v_mul_lo_u32 v21, v21, s0
	v_sub_nc_u32_e32 v21, v22, v21
	s_delay_alu instid0(VALU_DEP_1)
	v_mad_u32 v11, v21, s4, v11
	v_mad_u32 v20, v21, s5, v20
	;; [unrolled: 1-line block ×3, first 2 shown]
	s_branch .LBB77_222
.LBB77_221:
	v_dual_mov_b32 v19, 0 :: v_dual_mov_b32 v20, 0
	v_mov_b32_e32 v11, 0
	s_and_not1_b32 vcc_lo, exec_lo, s2
	s_cbranch_vccz .LBB77_219
.LBB77_222:
	v_cmp_ne_u32_e32 vcc_lo, 1, v12
	v_add_nc_u32_e32 v23, 0x300, v0
	s_cbranch_vccnz .LBB77_228
; %bb.223:
	s_cmp_lg_u32 s26, 0
	s_mov_b32 s2, 0
	s_cbranch_scc0 .LBB77_232
; %bb.224:
	s_min_u32 s3, s27, 15
	v_dual_mov_b32 v0, 0 :: v_dual_mov_b32 v24, v23
	v_dual_mov_b32 v22, 0 :: v_dual_mov_b32 v21, 0
	s_add_co_i32 s4, s3, 1
	s_mov_b64 s[0:1], 0xffffffffffffffe8
	s_and_b32 s4, s4, 30
	s_add_nc_u64 s[0:1], s[12:13], s[0:1]
.LBB77_225:                             ; =>This Inner Loop Header: Depth=1
	s_clause 0x1
	s_load_b128 s[8:11], s[0:1], 0x1c
	s_load_b64 s[6:7], s[0:1], 0x2c
	s_add_co_i32 s4, s4, -2
	s_delay_alu instid0(SALU_CYCLE_1) | instskip(SKIP_2) | instid1(VALU_DEP_1)
	s_cmp_lg_u32 s4, 0
	s_wait_kmcnt 0x0
	v_mul_hi_u32 v25, s9, v24
	v_add_nc_u32_e32 v25, v24, v25
	s_delay_alu instid0(VALU_DEP_1) | instskip(NEXT) | instid1(VALU_DEP_1)
	v_lshrrev_b32_e32 v25, s10, v25
	v_mul_hi_u32 v26, s6, v25
	v_mul_lo_u32 v27, v25, s8
	s_clause 0x1
	s_load_b128 s[16:19], s[0:1], 0xdc
	s_load_b64 s[8:9], s[0:1], 0xec
	s_wait_xcnt 0x0
	s_add_nc_u64 s[0:1], s[0:1], 24
	s_delay_alu instid0(VALU_DEP_1) | instskip(NEXT) | instid1(VALU_DEP_1)
	v_dual_add_nc_u32 v26, v25, v26 :: v_dual_sub_nc_u32 v27, v24, v27
	v_lshrrev_b32_e32 v24, s7, v26
	s_wait_kmcnt 0x0
	s_delay_alu instid0(VALU_DEP_2) | instskip(NEXT) | instid1(VALU_DEP_2)
	v_mad_u32 v0, v27, s16, v0
	v_mul_lo_u32 v26, v24, s11
	v_mad_u32 v21, v27, s18, v21
	v_mad_u32 v22, v27, s17, v22
	s_delay_alu instid0(VALU_DEP_3) | instskip(NEXT) | instid1(VALU_DEP_1)
	v_sub_nc_u32_e32 v25, v25, v26
	v_mad_u32 v0, v25, s19, v0
	s_delay_alu instid0(VALU_DEP_4) | instskip(NEXT) | instid1(VALU_DEP_4)
	v_mad_u32 v21, v25, s9, v21
	v_mad_u32 v22, v25, s8, v22
	s_cbranch_scc1 .LBB77_225
; %bb.226:
	s_bitcmp1_b32 s3, 0
	s_cselect_b32 s3, -1, 0
	s_delay_alu instid0(SALU_CYCLE_1)
	s_and_b32 vcc_lo, exec_lo, s3
	s_cbranch_vccnz .LBB77_229
; %bb.227:
	s_clause 0x1
	s_load_b96 s[4:6], s[0:1], 0x1c
	s_load_b96 s[8:10], s[0:1], 0xdc
	s_wait_kmcnt 0x0
	v_mul_hi_u32 v25, s5, v24
	s_delay_alu instid0(VALU_DEP_1) | instskip(NEXT) | instid1(VALU_DEP_1)
	v_add_nc_u32_e32 v25, v24, v25
	v_lshrrev_b32_e32 v25, s6, v25
	s_delay_alu instid0(VALU_DEP_1) | instskip(NEXT) | instid1(VALU_DEP_1)
	v_mul_lo_u32 v25, v25, s4
	v_sub_nc_u32_e32 v24, v24, v25
	s_delay_alu instid0(VALU_DEP_1)
	v_mad_u32 v0, v24, s8, v0
	v_mad_u32 v22, v24, s9, v22
	;; [unrolled: 1-line block ×3, first 2 shown]
	s_and_not1_b32 vcc_lo, exec_lo, s2
	s_cbranch_vccz .LBB77_230
	s_branch .LBB77_233
.LBB77_228:
	s_mov_b32 s2, -1
                                        ; implicit-def: $vgpr21
                                        ; implicit-def: $vgpr22
                                        ; implicit-def: $vgpr0
.LBB77_229:
	s_delay_alu instid0(SALU_CYCLE_1)
	s_and_not1_b32 vcc_lo, exec_lo, s2
	s_cbranch_vccnz .LBB77_233
.LBB77_230:
	s_clause 0x1
	s_load_b96 s[0:2], s[12:13], 0x4
	s_load_b96 s[4:6], s[12:13], 0xc4
	s_cmp_lt_u32 s26, 2
	s_wait_kmcnt 0x0
	v_mul_hi_u32 v0, s1, v23
	s_delay_alu instid0(VALU_DEP_1) | instskip(NEXT) | instid1(VALU_DEP_1)
	v_add_nc_u32_e32 v0, v23, v0
	v_lshrrev_b32_e32 v24, s2, v0
	s_delay_alu instid0(VALU_DEP_1) | instskip(NEXT) | instid1(VALU_DEP_1)
	v_mul_lo_u32 v0, v24, s0
	v_sub_nc_u32_e32 v22, v23, v0
	s_delay_alu instid0(VALU_DEP_1)
	v_mul_lo_u32 v0, v22, s4
	v_mul_lo_u32 v21, v22, s6
	;; [unrolled: 1-line block ×3, first 2 shown]
	s_cbranch_scc1 .LBB77_233
; %bb.231:
	s_clause 0x1
	s_load_b96 s[0:2], s[12:13], 0x10
	s_load_b96 s[4:6], s[12:13], 0xd0
	s_wait_kmcnt 0x0
	v_mul_hi_u32 v23, s1, v24
	s_delay_alu instid0(VALU_DEP_1) | instskip(NEXT) | instid1(VALU_DEP_1)
	v_add_nc_u32_e32 v23, v24, v23
	v_lshrrev_b32_e32 v23, s2, v23
	s_delay_alu instid0(VALU_DEP_1) | instskip(NEXT) | instid1(VALU_DEP_1)
	v_mul_lo_u32 v23, v23, s0
	v_sub_nc_u32_e32 v23, v24, v23
	s_delay_alu instid0(VALU_DEP_1)
	v_mad_u32 v0, v23, s4, v0
	v_mad_u32 v22, v23, s5, v22
	v_mad_u32 v21, v23, s6, v21
	s_branch .LBB77_233
.LBB77_232:
	v_dual_mov_b32 v21, 0 :: v_dual_mov_b32 v22, 0
	v_mov_b32_e32 v0, 0
	s_and_not1_b32 vcc_lo, exec_lo, s2
	s_cbranch_vccz .LBB77_230
.LBB77_233:
	v_cmp_ne_u32_e32 vcc_lo, 1, v12
	s_cbranch_vccnz .LBB77_239
; %bb.234:
	s_cmp_lg_u32 s26, 0
	s_mov_b32 s2, 0
	s_cbranch_scc0 .LBB77_243
; %bb.235:
	s_min_u32 s3, s27, 15
	v_dual_mov_b32 v12, 0 :: v_dual_mov_b32 v25, v6
	v_dual_mov_b32 v23, 0 :: v_dual_mov_b32 v24, 0
	s_add_co_i32 s4, s3, 1
	s_mov_b64 s[0:1], 0xffffffffffffffe8
	s_and_b32 s4, s4, 30
	s_add_nc_u64 s[0:1], s[12:13], s[0:1]
.LBB77_236:                             ; =>This Inner Loop Header: Depth=1
	s_clause 0x1
	s_load_b128 s[8:11], s[0:1], 0x1c
	s_load_b64 s[6:7], s[0:1], 0x2c
	s_add_co_i32 s4, s4, -2
	s_delay_alu instid0(SALU_CYCLE_1) | instskip(SKIP_2) | instid1(VALU_DEP_1)
	s_cmp_lg_u32 s4, 0
	s_wait_kmcnt 0x0
	v_mul_hi_u32 v26, s9, v25
	v_add_nc_u32_e32 v26, v25, v26
	s_delay_alu instid0(VALU_DEP_1) | instskip(NEXT) | instid1(VALU_DEP_1)
	v_lshrrev_b32_e32 v26, s10, v26
	v_mul_hi_u32 v27, s6, v26
	v_mul_lo_u32 v28, v26, s8
	s_clause 0x1
	s_load_b128 s[16:19], s[0:1], 0xdc
	s_load_b64 s[8:9], s[0:1], 0xec
	s_wait_xcnt 0x0
	s_add_nc_u64 s[0:1], s[0:1], 24
	s_delay_alu instid0(VALU_DEP_1) | instskip(NEXT) | instid1(VALU_DEP_1)
	v_dual_add_nc_u32 v27, v26, v27 :: v_dual_sub_nc_u32 v28, v25, v28
	v_lshrrev_b32_e32 v25, s7, v27
	s_wait_kmcnt 0x0
	s_delay_alu instid0(VALU_DEP_2) | instskip(NEXT) | instid1(VALU_DEP_2)
	v_mad_u32 v12, v28, s16, v12
	v_mul_lo_u32 v27, v25, s11
	v_mad_u32 v24, v28, s18, v24
	v_mad_u32 v23, v28, s17, v23
	s_delay_alu instid0(VALU_DEP_3) | instskip(NEXT) | instid1(VALU_DEP_1)
	v_sub_nc_u32_e32 v26, v26, v27
	v_mad_u32 v12, v26, s19, v12
	s_delay_alu instid0(VALU_DEP_4) | instskip(NEXT) | instid1(VALU_DEP_4)
	v_mad_u32 v24, v26, s9, v24
	v_mad_u32 v23, v26, s8, v23
	s_cbranch_scc1 .LBB77_236
; %bb.237:
	s_bitcmp1_b32 s3, 0
	s_cselect_b32 s3, -1, 0
	s_delay_alu instid0(SALU_CYCLE_1)
	s_and_b32 vcc_lo, exec_lo, s3
	s_cbranch_vccnz .LBB77_240
; %bb.238:
	s_clause 0x1
	s_load_b96 s[4:6], s[0:1], 0x1c
	s_load_b96 s[8:10], s[0:1], 0xdc
	s_wait_kmcnt 0x0
	v_mul_hi_u32 v26, s5, v25
	s_delay_alu instid0(VALU_DEP_1) | instskip(NEXT) | instid1(VALU_DEP_1)
	v_add_nc_u32_e32 v26, v25, v26
	v_lshrrev_b32_e32 v26, s6, v26
	s_delay_alu instid0(VALU_DEP_1) | instskip(NEXT) | instid1(VALU_DEP_1)
	v_mul_lo_u32 v26, v26, s4
	v_sub_nc_u32_e32 v25, v25, v26
	s_delay_alu instid0(VALU_DEP_1)
	v_mad_u32 v12, v25, s8, v12
	v_mad_u32 v23, v25, s9, v23
	;; [unrolled: 1-line block ×3, first 2 shown]
	s_and_not1_b32 vcc_lo, exec_lo, s2
	s_cbranch_vccz .LBB77_241
	s_branch .LBB77_244
.LBB77_239:
	s_mov_b32 s2, -1
                                        ; implicit-def: $vgpr24
                                        ; implicit-def: $vgpr23
                                        ; implicit-def: $vgpr12
.LBB77_240:
	s_delay_alu instid0(SALU_CYCLE_1)
	s_and_not1_b32 vcc_lo, exec_lo, s2
	s_cbranch_vccnz .LBB77_244
.LBB77_241:
	s_clause 0x1
	s_load_b96 s[0:2], s[12:13], 0x4
	s_load_b96 s[4:6], s[12:13], 0xc4
	s_cmp_lt_u32 s26, 2
	s_wait_kmcnt 0x0
	v_mul_hi_u32 v12, s1, v6
	s_delay_alu instid0(VALU_DEP_1) | instskip(NEXT) | instid1(VALU_DEP_1)
	v_add_nc_u32_e32 v12, v6, v12
	v_lshrrev_b32_e32 v25, s2, v12
	s_delay_alu instid0(VALU_DEP_1) | instskip(NEXT) | instid1(VALU_DEP_1)
	v_mul_lo_u32 v12, v25, s0
	v_sub_nc_u32_e32 v6, v6, v12
	s_delay_alu instid0(VALU_DEP_1)
	v_mul_lo_u32 v12, v6, s4
	v_mul_lo_u32 v24, v6, s6
	;; [unrolled: 1-line block ×3, first 2 shown]
	s_cbranch_scc1 .LBB77_244
; %bb.242:
	s_clause 0x1
	s_load_b96 s[0:2], s[12:13], 0x10
	s_load_b96 s[4:6], s[12:13], 0xd0
	s_wait_kmcnt 0x0
	v_mul_hi_u32 v6, s1, v25
	s_delay_alu instid0(VALU_DEP_1) | instskip(NEXT) | instid1(VALU_DEP_1)
	v_add_nc_u32_e32 v6, v25, v6
	v_lshrrev_b32_e32 v6, s2, v6
	s_delay_alu instid0(VALU_DEP_1) | instskip(NEXT) | instid1(VALU_DEP_1)
	v_mul_lo_u32 v6, v6, s0
	v_sub_nc_u32_e32 v6, v25, v6
	s_delay_alu instid0(VALU_DEP_1)
	v_mad_u32 v12, v6, s4, v12
	v_mad_u32 v23, v6, s5, v23
	;; [unrolled: 1-line block ×3, first 2 shown]
	s_branch .LBB77_244
.LBB77_243:
	v_dual_mov_b32 v24, 0 :: v_dual_mov_b32 v23, 0
	v_mov_b32_e32 v12, 0
	s_and_not1_b32 vcc_lo, exec_lo, s2
	s_cbranch_vccz .LBB77_241
.LBB77_244:
	s_clause 0x1
	s_load_b64 s[4:5], s[12:13], 0x198
	s_load_b128 s[0:3], s[12:13], 0x188
	s_mov_b32 s7, 0
	s_mov_b32 s6, exec_lo
	s_wait_kmcnt 0x0
	global_load_u16 v25, v7, s[4:5]
	global_load_i16 v26, v8, s[2:3]
	s_wait_loadcnt 0x1
	v_sub_nc_u16 v6, 0, v25
	s_wait_xcnt 0x1
	s_delay_alu instid0(VALU_DEP_1)
	v_max_i16 v7, v25, v6
	s_wait_loadcnt 0x0
	v_cmpx_ne_u32_e32 0, v26
	s_cbranch_execz .LBB77_248
; %bb.245:
	v_sub_nc_u16 v6, 0, v26
	s_delay_alu instid0(VALU_DEP_1) | instskip(SKIP_1) | instid1(VALU_DEP_2)
	v_max_i16 v8, v26, v6
	v_and_b32_e32 v6, 0xffff, v7
	v_and_b32_e32 v8, 0xffff, v8
.LBB77_246:                             ; =>This Inner Loop Header: Depth=1
	s_delay_alu instid0(VALU_DEP_1) | instskip(NEXT) | instid1(VALU_DEP_1)
	v_bfe_i32 v28, v6, 0, 16
	v_cvt_f32_i32_e32 v30, v28
	s_delay_alu instid0(VALU_DEP_3) | instskip(NEXT) | instid1(VALU_DEP_1)
	v_mov_b32_e32 v7, v8
	v_bfe_i32 v8, v7, 0, 16
	s_delay_alu instid0(VALU_DEP_1) | instskip(SKIP_1) | instid1(VALU_DEP_2)
	v_cvt_f32_i32_e32 v27, v8
	v_xor_b32_e32 v8, v28, v8
	v_rcp_iflag_f32_e32 v29, v27
	v_nop
	s_delay_alu instid0(TRANS32_DEP_1) | instskip(NEXT) | instid1(VALU_DEP_1)
	v_mul_f32_e32 v28, v30, v29
	v_trunc_f32_e32 v28, v28
	s_delay_alu instid0(VALU_DEP_1) | instskip(SKIP_1) | instid1(VALU_DEP_2)
	v_dual_fma_f32 v29, -v28, v27, v30 :: v_dual_ashrrev_i32 v8, 30, v8
	v_cvt_i32_f32_e32 v28, v28
	v_cmp_ge_f32_e64 vcc_lo, |v29|, |v27|
	s_delay_alu instid0(VALU_DEP_3) | instskip(NEXT) | instid1(VALU_DEP_1)
	v_or_b32_e32 v8, 1, v8
	v_cndmask_b32_e32 v8, 0, v8, vcc_lo
	s_delay_alu instid0(VALU_DEP_1) | instskip(NEXT) | instid1(VALU_DEP_1)
	v_add_nc_u32_e32 v8, v28, v8
	v_mul_lo_u32 v8, v8, v7
	s_delay_alu instid0(VALU_DEP_1) | instskip(NEXT) | instid1(VALU_DEP_1)
	v_sub_nc_u32_e32 v8, v6, v8
	v_and_b32_e32 v6, 0xffff, v8
	v_bfe_i32 v8, v8, 0, 16
	s_delay_alu instid0(VALU_DEP_2) | instskip(SKIP_2) | instid1(SALU_CYCLE_1)
	v_cmp_eq_u32_e32 vcc_lo, 0, v6
	v_mov_b32_e32 v6, v7
	s_or_b32 s7, vcc_lo, s7
	s_and_not1_b32 exec_lo, exec_lo, s7
	s_cbranch_execnz .LBB77_246
; %bb.247:
	s_or_b32 exec_lo, exec_lo, s7
.LBB77_248:
	s_delay_alu instid0(SALU_CYCLE_1)
	s_or_b32 exec_lo, exec_lo, s6
	v_mov_b32_e32 v6, 0
	s_mov_b32 s6, exec_lo
	v_cmpx_ne_u16_e32 0, v7
	s_cbranch_execz .LBB77_250
; %bb.249:
	v_bfe_i32 v6, v7, 0, 16
	v_cvt_f32_i32_e32 v27, v26
	s_delay_alu instid0(VALU_DEP_2) | instskip(SKIP_1) | instid1(VALU_DEP_2)
	v_cvt_f32_i32_e32 v7, v6
	v_xor_b32_e32 v6, v26, v6
	v_rcp_iflag_f32_e32 v8, v7
	v_nop
	s_delay_alu instid0(TRANS32_DEP_1) | instskip(NEXT) | instid1(VALU_DEP_1)
	v_mul_f32_e32 v8, v27, v8
	v_trunc_f32_e32 v8, v8
	s_delay_alu instid0(VALU_DEP_1) | instskip(NEXT) | instid1(VALU_DEP_1)
	v_dual_ashrrev_i32 v6, 30, v6 :: v_dual_fma_f32 v26, -v8, v7, v27
	v_or_b32_e32 v6, 1, v6
	v_cvt_i32_f32_e32 v8, v8
	s_delay_alu instid0(VALU_DEP_3) | instskip(SKIP_1) | instid1(VALU_DEP_4)
	v_cmp_ge_f32_e64 vcc_lo, |v26|, |v7|
	v_bfe_i32 v7, v25, 0, 16
	v_cndmask_b32_e32 v6, 0, v6, vcc_lo
	s_delay_alu instid0(VALU_DEP_1) | instskip(NEXT) | instid1(VALU_DEP_1)
	v_add_nc_u32_e32 v6, v8, v6
	v_bfe_i32 v6, v6, 0, 16
	s_delay_alu instid0(VALU_DEP_1) | instskip(NEXT) | instid1(VALU_DEP_1)
	v_mul_i32_i24_e32 v6, v6, v7
	v_sub_nc_u32_e32 v7, 0, v6
	s_delay_alu instid0(VALU_DEP_1)
	v_max_i32_e32 v6, v6, v7
.LBB77_250:
	s_or_b32 exec_lo, exec_lo, s6
	global_load_u16 v8, v9, s[4:5]
	global_load_i16 v25, v10, s[2:3]
	s_mov_b32 s7, 0
	s_mov_b32 s6, exec_lo
	s_wait_loadcnt 0x1
	v_sub_nc_u16 v7, 0, v8
	s_wait_xcnt 0x1
	s_delay_alu instid0(VALU_DEP_1)
	v_max_i16 v9, v8, v7
	s_wait_loadcnt 0x0
	v_cmpx_ne_u32_e32 0, v25
	s_cbranch_execz .LBB77_254
; %bb.251:
	v_sub_nc_u16 v7, 0, v25
	s_delay_alu instid0(VALU_DEP_1) | instskip(SKIP_1) | instid1(VALU_DEP_2)
	v_max_i16 v10, v25, v7
	v_and_b32_e32 v7, 0xffff, v9
	v_and_b32_e32 v10, 0xffff, v10
.LBB77_252:                             ; =>This Inner Loop Header: Depth=1
	s_delay_alu instid0(VALU_DEP_1) | instskip(NEXT) | instid1(VALU_DEP_2)
	v_bfe_i32 v27, v7, 0, 16
	v_mov_b32_e32 v9, v10
	s_delay_alu instid0(VALU_DEP_2) | instskip(NEXT) | instid1(VALU_DEP_2)
	v_cvt_f32_i32_e32 v29, v27
	v_bfe_i32 v10, v9, 0, 16
	s_delay_alu instid0(VALU_DEP_1) | instskip(SKIP_1) | instid1(VALU_DEP_2)
	v_cvt_f32_i32_e32 v26, v10
	v_xor_b32_e32 v10, v27, v10
	v_rcp_iflag_f32_e32 v28, v26
	s_delay_alu instid0(VALU_DEP_1)
	v_ashrrev_i32_e32 v10, 30, v10
	s_delay_alu instid0(TRANS32_DEP_1) | instid1(VALU_DEP_1)
	v_dual_mul_f32 v27, v29, v28 :: v_dual_bitop2_b32 v10, 1, v10 bitop3:0x54
	s_delay_alu instid0(VALU_DEP_1) | instskip(NEXT) | instid1(VALU_DEP_1)
	v_trunc_f32_e32 v27, v27
	v_fma_f32 v28, -v27, v26, v29
	v_cvt_i32_f32_e32 v27, v27
	s_delay_alu instid0(VALU_DEP_2) | instskip(SKIP_1) | instid1(VALU_DEP_1)
	v_cmp_ge_f32_e64 vcc_lo, |v28|, |v26|
	v_cndmask_b32_e32 v10, 0, v10, vcc_lo
	v_add_nc_u32_e32 v10, v27, v10
	s_delay_alu instid0(VALU_DEP_1) | instskip(NEXT) | instid1(VALU_DEP_1)
	v_mul_lo_u32 v10, v10, v9
	v_sub_nc_u32_e32 v10, v7, v10
	s_delay_alu instid0(VALU_DEP_1) | instskip(SKIP_1) | instid1(VALU_DEP_2)
	v_and_b32_e32 v7, 0xffff, v10
	v_bfe_i32 v10, v10, 0, 16
	v_cmp_eq_u32_e32 vcc_lo, 0, v7
	v_mov_b32_e32 v7, v9
	s_or_b32 s7, vcc_lo, s7
	s_delay_alu instid0(SALU_CYCLE_1)
	s_and_not1_b32 exec_lo, exec_lo, s7
	s_cbranch_execnz .LBB77_252
; %bb.253:
	s_or_b32 exec_lo, exec_lo, s7
.LBB77_254:
	s_delay_alu instid0(SALU_CYCLE_1)
	s_or_b32 exec_lo, exec_lo, s6
	v_mov_b32_e32 v7, 0
	s_mov_b32 s6, exec_lo
	v_cmpx_ne_u16_e32 0, v9
	s_cbranch_execz .LBB77_256
; %bb.255:
	v_bfe_i32 v7, v9, 0, 16
	v_cvt_f32_i32_e32 v26, v25
	v_bfe_i32 v8, v8, 0, 16
	s_delay_alu instid0(VALU_DEP_3) | instskip(SKIP_1) | instid1(VALU_DEP_2)
	v_cvt_f32_i32_e32 v9, v7
	v_xor_b32_e32 v7, v25, v7
	v_rcp_iflag_f32_e32 v10, v9
	v_nop
	s_delay_alu instid0(TRANS32_DEP_1) | instskip(NEXT) | instid1(VALU_DEP_1)
	v_mul_f32_e32 v10, v26, v10
	v_trunc_f32_e32 v10, v10
	s_delay_alu instid0(VALU_DEP_1) | instskip(NEXT) | instid1(VALU_DEP_1)
	v_dual_ashrrev_i32 v7, 30, v7 :: v_dual_fma_f32 v25, -v10, v9, v26
	v_or_b32_e32 v7, 1, v7
	v_cvt_i32_f32_e32 v10, v10
	s_delay_alu instid0(VALU_DEP_3) | instskip(NEXT) | instid1(VALU_DEP_3)
	v_cmp_ge_f32_e64 vcc_lo, |v25|, |v9|
	v_cndmask_b32_e32 v7, 0, v7, vcc_lo
	s_delay_alu instid0(VALU_DEP_1) | instskip(NEXT) | instid1(VALU_DEP_1)
	v_add_nc_u32_e32 v7, v10, v7
	v_bfe_i32 v7, v7, 0, 16
	s_delay_alu instid0(VALU_DEP_1) | instskip(NEXT) | instid1(VALU_DEP_1)
	v_mul_i32_i24_e32 v7, v7, v8
	v_sub_nc_u32_e32 v8, 0, v7
	s_delay_alu instid0(VALU_DEP_1)
	v_max_i32_e32 v7, v7, v8
.LBB77_256:
	s_or_b32 exec_lo, exec_lo, s6
	global_load_u16 v9, v13, s[4:5]
	global_load_i16 v10, v14, s[2:3]
	s_mov_b32 s7, 0
	s_mov_b32 s6, exec_lo
	s_wait_loadcnt 0x1
	v_sub_nc_u16 v8, 0, v9
	s_wait_xcnt 0x1
	s_delay_alu instid0(VALU_DEP_1)
	v_max_i16 v13, v9, v8
	s_wait_loadcnt 0x0
	v_cmpx_ne_u32_e32 0, v10
	s_cbranch_execz .LBB77_260
; %bb.257:
	v_sub_nc_u16 v8, 0, v10
	s_delay_alu instid0(VALU_DEP_1) | instskip(SKIP_1) | instid1(VALU_DEP_2)
	v_max_i16 v14, v10, v8
	v_and_b32_e32 v8, 0xffff, v13
	v_and_b32_e32 v14, 0xffff, v14
.LBB77_258:                             ; =>This Inner Loop Header: Depth=1
	s_delay_alu instid0(VALU_DEP_1) | instskip(NEXT) | instid1(VALU_DEP_1)
	v_bfe_i32 v26, v8, 0, 16
	v_cvt_f32_i32_e32 v28, v26
	s_delay_alu instid0(VALU_DEP_3) | instskip(NEXT) | instid1(VALU_DEP_1)
	v_mov_b32_e32 v13, v14
	v_bfe_i32 v14, v13, 0, 16
	s_delay_alu instid0(VALU_DEP_1) | instskip(SKIP_1) | instid1(VALU_DEP_2)
	v_cvt_f32_i32_e32 v25, v14
	v_xor_b32_e32 v14, v26, v14
	v_rcp_iflag_f32_e32 v27, v25
	v_nop
	s_delay_alu instid0(TRANS32_DEP_1) | instskip(NEXT) | instid1(VALU_DEP_1)
	v_mul_f32_e32 v26, v28, v27
	v_trunc_f32_e32 v26, v26
	s_delay_alu instid0(VALU_DEP_1) | instskip(SKIP_1) | instid1(VALU_DEP_2)
	v_dual_fma_f32 v27, -v26, v25, v28 :: v_dual_ashrrev_i32 v14, 30, v14
	v_cvt_i32_f32_e32 v26, v26
	v_cmp_ge_f32_e64 vcc_lo, |v27|, |v25|
	s_delay_alu instid0(VALU_DEP_3) | instskip(NEXT) | instid1(VALU_DEP_1)
	v_or_b32_e32 v14, 1, v14
	v_cndmask_b32_e32 v14, 0, v14, vcc_lo
	s_delay_alu instid0(VALU_DEP_1) | instskip(NEXT) | instid1(VALU_DEP_1)
	v_add_nc_u32_e32 v14, v26, v14
	v_mul_lo_u32 v14, v14, v13
	s_delay_alu instid0(VALU_DEP_1) | instskip(NEXT) | instid1(VALU_DEP_1)
	v_sub_nc_u32_e32 v14, v8, v14
	v_and_b32_e32 v8, 0xffff, v14
	v_bfe_i32 v14, v14, 0, 16
	s_delay_alu instid0(VALU_DEP_2) | instskip(SKIP_2) | instid1(SALU_CYCLE_1)
	v_cmp_eq_u32_e32 vcc_lo, 0, v8
	v_mov_b32_e32 v8, v13
	s_or_b32 s7, vcc_lo, s7
	s_and_not1_b32 exec_lo, exec_lo, s7
	s_cbranch_execnz .LBB77_258
; %bb.259:
	s_or_b32 exec_lo, exec_lo, s7
.LBB77_260:
	s_delay_alu instid0(SALU_CYCLE_1)
	s_or_b32 exec_lo, exec_lo, s6
	v_mov_b32_e32 v8, 0
	s_mov_b32 s6, exec_lo
	v_cmpx_ne_u16_e32 0, v13
	s_cbranch_execz .LBB77_262
; %bb.261:
	v_bfe_i32 v8, v13, 0, 16
	v_cvt_f32_i32_e32 v25, v10
	v_bfe_i32 v9, v9, 0, 16
	s_delay_alu instid0(VALU_DEP_3) | instskip(SKIP_1) | instid1(VALU_DEP_2)
	v_cvt_f32_i32_e32 v13, v8
	v_xor_b32_e32 v8, v10, v8
	v_rcp_iflag_f32_e32 v14, v13
	v_nop
	s_delay_alu instid0(TRANS32_DEP_1) | instskip(NEXT) | instid1(VALU_DEP_1)
	v_mul_f32_e32 v14, v25, v14
	v_trunc_f32_e32 v10, v14
	s_delay_alu instid0(VALU_DEP_1) | instskip(NEXT) | instid1(VALU_DEP_1)
	v_dual_ashrrev_i32 v8, 30, v8 :: v_dual_fma_f32 v14, -v10, v13, v25
	v_or_b32_e32 v8, 1, v8
	v_cvt_i32_f32_e32 v10, v10
	s_delay_alu instid0(VALU_DEP_3) | instskip(NEXT) | instid1(VALU_DEP_3)
	v_cmp_ge_f32_e64 vcc_lo, |v14|, |v13|
	v_cndmask_b32_e32 v8, 0, v8, vcc_lo
	s_delay_alu instid0(VALU_DEP_1) | instskip(NEXT) | instid1(VALU_DEP_1)
	v_add_nc_u32_e32 v8, v10, v8
	v_bfe_i32 v8, v8, 0, 16
	s_delay_alu instid0(VALU_DEP_1) | instskip(NEXT) | instid1(VALU_DEP_1)
	v_mul_i32_i24_e32 v8, v8, v9
	v_sub_nc_u32_e32 v9, 0, v8
	s_delay_alu instid0(VALU_DEP_1)
	v_max_i32_e32 v8, v8, v9
.LBB77_262:
	s_or_b32 exec_lo, exec_lo, s6
	global_load_u16 v10, v15, s[4:5]
	global_load_i16 v13, v16, s[2:3]
	s_mov_b32 s7, 0
	s_mov_b32 s6, exec_lo
	s_wait_loadcnt 0x1
	v_sub_nc_u16 v9, 0, v10
	s_delay_alu instid0(VALU_DEP_1)
	v_max_i16 v14, v10, v9
	s_wait_loadcnt 0x0
	v_cmpx_ne_u32_e32 0, v13
	s_cbranch_execz .LBB77_266
; %bb.263:
	v_sub_nc_u16 v9, 0, v13
	s_delay_alu instid0(VALU_DEP_1) | instskip(SKIP_1) | instid1(VALU_DEP_2)
	v_max_i16 v15, v13, v9
	v_and_b32_e32 v9, 0xffff, v14
	v_and_b32_e32 v15, 0xffff, v15
.LBB77_264:                             ; =>This Inner Loop Header: Depth=1
	s_delay_alu instid0(VALU_DEP_1) | instskip(NEXT) | instid1(VALU_DEP_2)
	v_bfe_i32 v25, v9, 0, 16
	v_mov_b32_e32 v14, v15
	s_delay_alu instid0(VALU_DEP_2) | instskip(NEXT) | instid1(VALU_DEP_2)
	v_cvt_f32_i32_e32 v27, v25
	v_bfe_i32 v15, v14, 0, 16
	s_delay_alu instid0(VALU_DEP_1) | instskip(SKIP_1) | instid1(VALU_DEP_2)
	v_cvt_f32_i32_e32 v16, v15
	v_xor_b32_e32 v15, v25, v15
	v_rcp_iflag_f32_e32 v26, v16
	v_nop
	s_delay_alu instid0(TRANS32_DEP_1) | instskip(NEXT) | instid1(VALU_DEP_1)
	v_dual_ashrrev_i32 v15, 30, v15 :: v_dual_mul_f32 v25, v27, v26
	v_trunc_f32_e32 v25, v25
	s_delay_alu instid0(VALU_DEP_1) | instskip(SKIP_1) | instid1(VALU_DEP_2)
	v_dual_fma_f32 v26, -v25, v16, v27 :: v_dual_bitop2_b32 v15, 1, v15 bitop3:0x54
	v_cvt_i32_f32_e32 v25, v25
	v_cmp_ge_f32_e64 vcc_lo, |v26|, |v16|
	s_delay_alu instid0(VALU_DEP_3) | instskip(NEXT) | instid1(VALU_DEP_1)
	v_cndmask_b32_e32 v15, 0, v15, vcc_lo
	v_add_nc_u32_e32 v15, v25, v15
	s_delay_alu instid0(VALU_DEP_1) | instskip(NEXT) | instid1(VALU_DEP_1)
	v_mul_lo_u32 v15, v15, v14
	v_sub_nc_u32_e32 v15, v9, v15
	s_delay_alu instid0(VALU_DEP_1) | instskip(SKIP_1) | instid1(VALU_DEP_2)
	v_and_b32_e32 v9, 0xffff, v15
	v_bfe_i32 v15, v15, 0, 16
	v_cmp_eq_u32_e32 vcc_lo, 0, v9
	v_mov_b32_e32 v9, v14
	s_or_b32 s7, vcc_lo, s7
	s_delay_alu instid0(SALU_CYCLE_1)
	s_and_not1_b32 exec_lo, exec_lo, s7
	s_cbranch_execnz .LBB77_264
; %bb.265:
	s_or_b32 exec_lo, exec_lo, s7
.LBB77_266:
	s_delay_alu instid0(SALU_CYCLE_1)
	s_or_b32 exec_lo, exec_lo, s6
	v_mov_b32_e32 v9, 0
	s_mov_b32 s6, exec_lo
	v_cmpx_ne_u16_e32 0, v14
	s_cbranch_execz .LBB77_268
; %bb.267:
	v_bfe_i32 v9, v14, 0, 16
	v_cvt_f32_i32_e32 v16, v13
	v_bfe_i32 v10, v10, 0, 16
	s_delay_alu instid0(VALU_DEP_3) | instskip(SKIP_1) | instid1(VALU_DEP_2)
	v_cvt_f32_i32_e32 v14, v9
	v_xor_b32_e32 v9, v13, v9
	v_rcp_iflag_f32_e32 v15, v14
	v_nop
	s_delay_alu instid0(TRANS32_DEP_1) | instskip(NEXT) | instid1(VALU_DEP_1)
	v_mul_f32_e32 v15, v16, v15
	v_trunc_f32_e32 v13, v15
	s_delay_alu instid0(VALU_DEP_1) | instskip(NEXT) | instid1(VALU_DEP_1)
	v_dual_ashrrev_i32 v9, 30, v9 :: v_dual_fma_f32 v15, -v13, v14, v16
	v_or_b32_e32 v9, 1, v9
	v_cvt_i32_f32_e32 v13, v13
	s_delay_alu instid0(VALU_DEP_3) | instskip(NEXT) | instid1(VALU_DEP_3)
	v_cmp_ge_f32_e64 vcc_lo, |v15|, |v14|
	v_cndmask_b32_e32 v9, 0, v9, vcc_lo
	s_delay_alu instid0(VALU_DEP_1) | instskip(NEXT) | instid1(VALU_DEP_1)
	v_add_nc_u32_e32 v9, v13, v9
	v_bfe_i32 v9, v9, 0, 16
	s_delay_alu instid0(VALU_DEP_1) | instskip(NEXT) | instid1(VALU_DEP_1)
	v_mul_i32_i24_e32 v9, v9, v10
	v_sub_nc_u32_e32 v10, 0, v9
	s_delay_alu instid0(VALU_DEP_1)
	v_max_i32_e32 v9, v9, v10
.LBB77_268:
	s_or_b32 exec_lo, exec_lo, s6
	global_load_u16 v13, v17, s[4:5]
	global_load_i16 v14, v18, s[2:3]
	s_mov_b32 s7, 0
	s_mov_b32 s6, exec_lo
	s_wait_loadcnt 0x1
	v_sub_nc_u16 v10, 0, v13
	s_delay_alu instid0(VALU_DEP_1)
	v_max_i16 v15, v13, v10
	s_wait_loadcnt 0x0
	v_cmpx_ne_u32_e32 0, v14
	s_cbranch_execz .LBB77_272
; %bb.269:
	v_sub_nc_u16 v10, 0, v14
	s_delay_alu instid0(VALU_DEP_1) | instskip(SKIP_1) | instid1(VALU_DEP_2)
	v_max_i16 v16, v14, v10
	v_and_b32_e32 v10, 0xffff, v15
	v_and_b32_e32 v16, 0xffff, v16
.LBB77_270:                             ; =>This Inner Loop Header: Depth=1
	s_delay_alu instid0(VALU_DEP_1) | instskip(NEXT) | instid1(VALU_DEP_2)
	v_bfe_i32 v18, v10, 0, 16
	v_mov_b32_e32 v15, v16
	s_delay_alu instid0(VALU_DEP_2) | instskip(NEXT) | instid1(VALU_DEP_2)
	v_cvt_f32_i32_e32 v26, v18
	v_bfe_i32 v16, v15, 0, 16
	s_delay_alu instid0(VALU_DEP_1) | instskip(SKIP_1) | instid1(VALU_DEP_2)
	v_cvt_f32_i32_e32 v17, v16
	v_xor_b32_e32 v16, v18, v16
	v_rcp_iflag_f32_e32 v25, v17
	v_nop
	s_delay_alu instid0(TRANS32_DEP_1) | instskip(NEXT) | instid1(VALU_DEP_1)
	v_dual_ashrrev_i32 v16, 30, v16 :: v_dual_mul_f32 v18, v26, v25
	v_trunc_f32_e32 v18, v18
	s_delay_alu instid0(VALU_DEP_1) | instskip(SKIP_1) | instid1(VALU_DEP_2)
	v_dual_fma_f32 v25, -v18, v17, v26 :: v_dual_bitop2_b32 v16, 1, v16 bitop3:0x54
	v_cvt_i32_f32_e32 v18, v18
	v_cmp_ge_f32_e64 vcc_lo, |v25|, |v17|
	s_delay_alu instid0(VALU_DEP_3) | instskip(NEXT) | instid1(VALU_DEP_1)
	v_cndmask_b32_e32 v16, 0, v16, vcc_lo
	v_add_nc_u32_e32 v16, v18, v16
	s_delay_alu instid0(VALU_DEP_1) | instskip(NEXT) | instid1(VALU_DEP_1)
	v_mul_lo_u32 v16, v16, v15
	v_sub_nc_u32_e32 v16, v10, v16
	s_delay_alu instid0(VALU_DEP_1) | instskip(SKIP_1) | instid1(VALU_DEP_2)
	v_and_b32_e32 v10, 0xffff, v16
	v_bfe_i32 v16, v16, 0, 16
	v_cmp_eq_u32_e32 vcc_lo, 0, v10
	v_mov_b32_e32 v10, v15
	s_or_b32 s7, vcc_lo, s7
	s_delay_alu instid0(SALU_CYCLE_1)
	s_and_not1_b32 exec_lo, exec_lo, s7
	s_cbranch_execnz .LBB77_270
; %bb.271:
	s_or_b32 exec_lo, exec_lo, s7
.LBB77_272:
	s_delay_alu instid0(SALU_CYCLE_1)
	s_or_b32 exec_lo, exec_lo, s6
	v_mov_b32_e32 v10, 0
	s_mov_b32 s6, exec_lo
	v_cmpx_ne_u16_e32 0, v15
	s_cbranch_execz .LBB77_274
; %bb.273:
	v_bfe_i32 v10, v15, 0, 16
	v_cvt_f32_i32_e32 v17, v14
	v_bfe_i32 v13, v13, 0, 16
	s_delay_alu instid0(VALU_DEP_3) | instskip(SKIP_1) | instid1(VALU_DEP_2)
	v_cvt_f32_i32_e32 v15, v10
	v_xor_b32_e32 v10, v14, v10
	v_rcp_iflag_f32_e32 v16, v15
	v_nop
	s_delay_alu instid0(TRANS32_DEP_1) | instskip(NEXT) | instid1(VALU_DEP_1)
	v_mul_f32_e32 v16, v17, v16
	v_trunc_f32_e32 v14, v16
	s_delay_alu instid0(VALU_DEP_1) | instskip(NEXT) | instid1(VALU_DEP_1)
	v_dual_ashrrev_i32 v10, 30, v10 :: v_dual_fma_f32 v16, -v14, v15, v17
	v_or_b32_e32 v10, 1, v10
	v_cvt_i32_f32_e32 v14, v14
	s_delay_alu instid0(VALU_DEP_3) | instskip(NEXT) | instid1(VALU_DEP_3)
	v_cmp_ge_f32_e64 vcc_lo, |v16|, |v15|
	v_cndmask_b32_e32 v10, 0, v10, vcc_lo
	s_delay_alu instid0(VALU_DEP_1) | instskip(NEXT) | instid1(VALU_DEP_1)
	v_add_nc_u32_e32 v10, v14, v10
	v_bfe_i32 v10, v10, 0, 16
	s_delay_alu instid0(VALU_DEP_1) | instskip(NEXT) | instid1(VALU_DEP_1)
	v_mul_i32_i24_e32 v10, v10, v13
	v_sub_nc_u32_e32 v13, 0, v10
	s_delay_alu instid0(VALU_DEP_1)
	v_max_i32_e32 v10, v10, v13
.LBB77_274:
	s_or_b32 exec_lo, exec_lo, s6
	global_load_u16 v14, v19, s[4:5]
	global_load_i16 v15, v20, s[2:3]
	s_mov_b32 s7, 0
	s_mov_b32 s6, exec_lo
	s_wait_loadcnt 0x1
	v_sub_nc_u16 v13, 0, v14
	s_delay_alu instid0(VALU_DEP_1)
	v_max_i16 v16, v14, v13
	s_wait_loadcnt 0x0
	v_cmpx_ne_u32_e32 0, v15
	s_cbranch_execz .LBB77_278
; %bb.275:
	v_sub_nc_u16 v13, 0, v15
	s_delay_alu instid0(VALU_DEP_1) | instskip(SKIP_1) | instid1(VALU_DEP_2)
	v_max_i16 v17, v15, v13
	v_and_b32_e32 v13, 0xffff, v16
	v_and_b32_e32 v17, 0xffff, v17
.LBB77_276:                             ; =>This Inner Loop Header: Depth=1
	s_delay_alu instid0(VALU_DEP_1) | instskip(NEXT) | instid1(VALU_DEP_2)
	v_bfe_i32 v19, v13, 0, 16
	v_mov_b32_e32 v16, v17
	s_delay_alu instid0(VALU_DEP_2) | instskip(NEXT) | instid1(VALU_DEP_2)
	v_cvt_f32_i32_e32 v25, v19
	v_bfe_i32 v17, v16, 0, 16
	s_delay_alu instid0(VALU_DEP_1) | instskip(SKIP_1) | instid1(VALU_DEP_2)
	v_cvt_f32_i32_e32 v18, v17
	v_xor_b32_e32 v17, v19, v17
	v_rcp_iflag_f32_e32 v20, v18
	v_nop
	s_delay_alu instid0(TRANS32_DEP_1) | instskip(NEXT) | instid1(VALU_DEP_1)
	v_dual_ashrrev_i32 v17, 30, v17 :: v_dual_mul_f32 v19, v25, v20
	v_trunc_f32_e32 v19, v19
	s_delay_alu instid0(VALU_DEP_1) | instskip(SKIP_1) | instid1(VALU_DEP_2)
	v_dual_fma_f32 v20, -v19, v18, v25 :: v_dual_bitop2_b32 v17, 1, v17 bitop3:0x54
	v_cvt_i32_f32_e32 v19, v19
	v_cmp_ge_f32_e64 vcc_lo, |v20|, |v18|
	s_delay_alu instid0(VALU_DEP_3) | instskip(NEXT) | instid1(VALU_DEP_1)
	v_cndmask_b32_e32 v17, 0, v17, vcc_lo
	v_add_nc_u32_e32 v17, v19, v17
	s_delay_alu instid0(VALU_DEP_1) | instskip(NEXT) | instid1(VALU_DEP_1)
	v_mul_lo_u32 v17, v17, v16
	v_sub_nc_u32_e32 v17, v13, v17
	s_delay_alu instid0(VALU_DEP_1) | instskip(SKIP_1) | instid1(VALU_DEP_2)
	v_and_b32_e32 v13, 0xffff, v17
	v_bfe_i32 v17, v17, 0, 16
	v_cmp_eq_u32_e32 vcc_lo, 0, v13
	v_mov_b32_e32 v13, v16
	s_or_b32 s7, vcc_lo, s7
	s_delay_alu instid0(SALU_CYCLE_1)
	s_and_not1_b32 exec_lo, exec_lo, s7
	s_cbranch_execnz .LBB77_276
; %bb.277:
	s_or_b32 exec_lo, exec_lo, s7
.LBB77_278:
	s_delay_alu instid0(SALU_CYCLE_1)
	s_or_b32 exec_lo, exec_lo, s6
	v_mov_b32_e32 v13, 0
	s_mov_b32 s6, exec_lo
	v_cmpx_ne_u16_e32 0, v16
	s_cbranch_execz .LBB77_280
; %bb.279:
	v_bfe_i32 v13, v16, 0, 16
	v_cvt_f32_i32_e32 v18, v15
	v_bfe_i32 v14, v14, 0, 16
	s_delay_alu instid0(VALU_DEP_3) | instskip(SKIP_1) | instid1(VALU_DEP_2)
	v_cvt_f32_i32_e32 v16, v13
	v_xor_b32_e32 v13, v15, v13
	v_rcp_iflag_f32_e32 v17, v16
	v_nop
	s_delay_alu instid0(TRANS32_DEP_1) | instskip(NEXT) | instid1(VALU_DEP_1)
	v_mul_f32_e32 v17, v18, v17
	v_trunc_f32_e32 v15, v17
	s_delay_alu instid0(VALU_DEP_1) | instskip(SKIP_1) | instid1(VALU_DEP_2)
	v_dual_fma_f32 v17, -v15, v16, v18 :: v_dual_ashrrev_i32 v13, 30, v13
	v_cvt_i32_f32_e32 v15, v15
	v_cmp_ge_f32_e64 vcc_lo, |v17|, |v16|
	s_delay_alu instid0(VALU_DEP_3) | instskip(NEXT) | instid1(VALU_DEP_1)
	v_or_b32_e32 v13, 1, v13
	v_cndmask_b32_e32 v13, 0, v13, vcc_lo
	s_delay_alu instid0(VALU_DEP_1) | instskip(NEXT) | instid1(VALU_DEP_1)
	v_add_nc_u32_e32 v13, v15, v13
	v_bfe_i32 v13, v13, 0, 16
	s_delay_alu instid0(VALU_DEP_1) | instskip(NEXT) | instid1(VALU_DEP_1)
	v_mul_i32_i24_e32 v13, v13, v14
	v_sub_nc_u32_e32 v14, 0, v13
	s_delay_alu instid0(VALU_DEP_1)
	v_max_i32_e32 v13, v13, v14
.LBB77_280:
	s_or_b32 exec_lo, exec_lo, s6
	global_load_u16 v15, v21, s[4:5]
	global_load_i16 v16, v22, s[2:3]
	s_mov_b32 s7, 0
	s_mov_b32 s6, exec_lo
	s_wait_loadcnt 0x1
	v_sub_nc_u16 v14, 0, v15
	s_delay_alu instid0(VALU_DEP_1)
	v_max_i16 v17, v15, v14
	s_wait_loadcnt 0x0
	v_cmpx_ne_u32_e32 0, v16
	s_cbranch_execz .LBB77_284
; %bb.281:
	v_sub_nc_u16 v14, 0, v16
	s_delay_alu instid0(VALU_DEP_1) | instskip(SKIP_1) | instid1(VALU_DEP_2)
	v_max_i16 v18, v16, v14
	v_and_b32_e32 v14, 0xffff, v17
	v_and_b32_e32 v18, 0xffff, v18
.LBB77_282:                             ; =>This Inner Loop Header: Depth=1
	s_delay_alu instid0(VALU_DEP_1) | instskip(NEXT) | instid1(VALU_DEP_2)
	v_bfe_i32 v20, v14, 0, 16
	v_mov_b32_e32 v17, v18
	s_delay_alu instid0(VALU_DEP_2) | instskip(NEXT) | instid1(VALU_DEP_2)
	v_cvt_f32_i32_e32 v22, v20
	v_bfe_i32 v18, v17, 0, 16
	s_delay_alu instid0(VALU_DEP_1) | instskip(SKIP_1) | instid1(VALU_DEP_2)
	v_cvt_f32_i32_e32 v19, v18
	v_xor_b32_e32 v18, v20, v18
	v_rcp_iflag_f32_e32 v21, v19
	v_nop
	s_delay_alu instid0(TRANS32_DEP_1) | instskip(NEXT) | instid1(VALU_DEP_1)
	v_dual_ashrrev_i32 v18, 30, v18 :: v_dual_mul_f32 v20, v22, v21
	v_trunc_f32_e32 v20, v20
	s_delay_alu instid0(VALU_DEP_1) | instskip(SKIP_1) | instid1(VALU_DEP_2)
	v_dual_fma_f32 v21, -v20, v19, v22 :: v_dual_bitop2_b32 v18, 1, v18 bitop3:0x54
	v_cvt_i32_f32_e32 v20, v20
	v_cmp_ge_f32_e64 vcc_lo, |v21|, |v19|
	s_delay_alu instid0(VALU_DEP_3) | instskip(NEXT) | instid1(VALU_DEP_1)
	v_cndmask_b32_e32 v18, 0, v18, vcc_lo
	v_add_nc_u32_e32 v18, v20, v18
	s_delay_alu instid0(VALU_DEP_1) | instskip(NEXT) | instid1(VALU_DEP_1)
	v_mul_lo_u32 v18, v18, v17
	v_sub_nc_u32_e32 v18, v14, v18
	s_delay_alu instid0(VALU_DEP_1) | instskip(SKIP_1) | instid1(VALU_DEP_2)
	v_and_b32_e32 v14, 0xffff, v18
	v_bfe_i32 v18, v18, 0, 16
	v_cmp_eq_u32_e32 vcc_lo, 0, v14
	v_mov_b32_e32 v14, v17
	s_or_b32 s7, vcc_lo, s7
	s_delay_alu instid0(SALU_CYCLE_1)
	s_and_not1_b32 exec_lo, exec_lo, s7
	s_cbranch_execnz .LBB77_282
; %bb.283:
	s_or_b32 exec_lo, exec_lo, s7
.LBB77_284:
	s_delay_alu instid0(SALU_CYCLE_1)
	s_or_b32 exec_lo, exec_lo, s6
	v_mov_b32_e32 v14, 0
	s_mov_b32 s6, exec_lo
	v_cmpx_ne_u16_e32 0, v17
	s_cbranch_execz .LBB77_286
; %bb.285:
	v_bfe_i32 v14, v17, 0, 16
	v_cvt_f32_i32_e32 v19, v16
	v_bfe_i32 v15, v15, 0, 16
	s_delay_alu instid0(VALU_DEP_3) | instskip(SKIP_1) | instid1(VALU_DEP_2)
	v_cvt_f32_i32_e32 v17, v14
	v_xor_b32_e32 v14, v16, v14
	v_rcp_iflag_f32_e32 v18, v17
	v_nop
	s_delay_alu instid0(TRANS32_DEP_1) | instskip(NEXT) | instid1(VALU_DEP_1)
	v_mul_f32_e32 v18, v19, v18
	v_trunc_f32_e32 v16, v18
	s_delay_alu instid0(VALU_DEP_1) | instskip(SKIP_1) | instid1(VALU_DEP_2)
	v_dual_fma_f32 v18, -v16, v17, v19 :: v_dual_ashrrev_i32 v14, 30, v14
	v_cvt_i32_f32_e32 v16, v16
	v_cmp_ge_f32_e64 vcc_lo, |v18|, |v17|
	s_delay_alu instid0(VALU_DEP_3) | instskip(NEXT) | instid1(VALU_DEP_1)
	v_or_b32_e32 v14, 1, v14
	v_cndmask_b32_e32 v14, 0, v14, vcc_lo
	s_delay_alu instid0(VALU_DEP_1) | instskip(NEXT) | instid1(VALU_DEP_1)
	v_add_nc_u32_e32 v14, v16, v14
	v_bfe_i32 v14, v14, 0, 16
	s_delay_alu instid0(VALU_DEP_1) | instskip(NEXT) | instid1(VALU_DEP_1)
	v_mul_i32_i24_e32 v14, v14, v15
	v_sub_nc_u32_e32 v15, 0, v14
	s_delay_alu instid0(VALU_DEP_1)
	v_max_i32_e32 v14, v14, v15
.LBB77_286:
	s_or_b32 exec_lo, exec_lo, s6
	global_load_u16 v15, v24, s[4:5]
	global_load_i16 v16, v23, s[2:3]
	s_wait_xcnt 0x0
	s_mov_b32 s3, 0
	s_mov_b32 s2, exec_lo
	s_wait_loadcnt 0x1
	v_sub_nc_u16 v17, 0, v15
	s_delay_alu instid0(VALU_DEP_1)
	v_max_i16 v17, v15, v17
	s_wait_loadcnt 0x0
	v_cmpx_ne_u32_e32 0, v16
	s_cbranch_execz .LBB77_290
; %bb.287:
	v_sub_nc_u16 v18, 0, v16
	s_delay_alu instid0(VALU_DEP_1) | instskip(SKIP_1) | instid1(VALU_DEP_2)
	v_max_i16 v19, v16, v18
	v_and_b32_e32 v18, 0xffff, v17
	v_and_b32_e32 v19, 0xffff, v19
.LBB77_288:                             ; =>This Inner Loop Header: Depth=1
	s_delay_alu instid0(VALU_DEP_1) | instskip(NEXT) | instid1(VALU_DEP_2)
	v_bfe_i32 v21, v18, 0, 16
	v_mov_b32_e32 v17, v19
	s_delay_alu instid0(VALU_DEP_2) | instskip(NEXT) | instid1(VALU_DEP_2)
	v_cvt_f32_i32_e32 v23, v21
	v_bfe_i32 v19, v17, 0, 16
	s_delay_alu instid0(VALU_DEP_1) | instskip(SKIP_1) | instid1(VALU_DEP_2)
	v_cvt_f32_i32_e32 v20, v19
	v_xor_b32_e32 v19, v21, v19
	v_rcp_iflag_f32_e32 v22, v20
	v_nop
	s_delay_alu instid0(TRANS32_DEP_1) | instskip(NEXT) | instid1(VALU_DEP_1)
	v_dual_ashrrev_i32 v19, 30, v19 :: v_dual_mul_f32 v21, v23, v22
	v_trunc_f32_e32 v21, v21
	s_delay_alu instid0(VALU_DEP_1) | instskip(SKIP_1) | instid1(VALU_DEP_2)
	v_dual_fma_f32 v22, -v21, v20, v23 :: v_dual_bitop2_b32 v19, 1, v19 bitop3:0x54
	v_cvt_i32_f32_e32 v21, v21
	v_cmp_ge_f32_e64 vcc_lo, |v22|, |v20|
	s_delay_alu instid0(VALU_DEP_3) | instskip(NEXT) | instid1(VALU_DEP_1)
	v_cndmask_b32_e32 v19, 0, v19, vcc_lo
	v_add_nc_u32_e32 v19, v21, v19
	s_delay_alu instid0(VALU_DEP_1) | instskip(NEXT) | instid1(VALU_DEP_1)
	v_mul_lo_u32 v19, v19, v17
	v_sub_nc_u32_e32 v19, v18, v19
	s_delay_alu instid0(VALU_DEP_1) | instskip(SKIP_1) | instid1(VALU_DEP_2)
	v_and_b32_e32 v18, 0xffff, v19
	v_bfe_i32 v19, v19, 0, 16
	v_cmp_eq_u32_e32 vcc_lo, 0, v18
	v_mov_b32_e32 v18, v17
	s_or_b32 s3, vcc_lo, s3
	s_delay_alu instid0(SALU_CYCLE_1)
	s_and_not1_b32 exec_lo, exec_lo, s3
	s_cbranch_execnz .LBB77_288
; %bb.289:
	s_or_b32 exec_lo, exec_lo, s3
.LBB77_290:
	s_delay_alu instid0(SALU_CYCLE_1)
	s_or_b32 exec_lo, exec_lo, s2
	v_mov_b32_e32 v18, 0
	s_mov_b32 s2, exec_lo
	v_cmpx_ne_u16_e32 0, v17
	s_cbranch_execz .LBB77_292
; %bb.291:
	v_bfe_i32 v17, v17, 0, 16
	v_cvt_f32_i32_e32 v20, v16
	v_bfe_i32 v15, v15, 0, 16
	s_delay_alu instid0(VALU_DEP_3) | instskip(SKIP_1) | instid1(VALU_DEP_2)
	v_cvt_f32_i32_e32 v18, v17
	v_xor_b32_e32 v16, v16, v17
	v_rcp_iflag_f32_e32 v19, v18
	s_delay_alu instid0(VALU_DEP_1)
	v_ashrrev_i32_e32 v16, 30, v16
	s_delay_alu instid0(TRANS32_DEP_1) | instid1(VALU_DEP_1)
	v_dual_mul_f32 v19, v20, v19 :: v_dual_bitop2_b32 v16, 1, v16 bitop3:0x54
	s_delay_alu instid0(VALU_DEP_1) | instskip(NEXT) | instid1(VALU_DEP_1)
	v_trunc_f32_e32 v17, v19
	v_fma_f32 v19, -v17, v18, v20
	v_cvt_i32_f32_e32 v17, v17
	s_delay_alu instid0(VALU_DEP_2) | instskip(SKIP_1) | instid1(VALU_DEP_1)
	v_cmp_ge_f32_e64 vcc_lo, |v19|, |v18|
	v_cndmask_b32_e32 v16, 0, v16, vcc_lo
	v_add_nc_u32_e32 v16, v17, v16
	s_delay_alu instid0(VALU_DEP_1) | instskip(NEXT) | instid1(VALU_DEP_1)
	v_bfe_i32 v16, v16, 0, 16
	v_mul_i32_i24_e32 v15, v16, v15
	s_delay_alu instid0(VALU_DEP_1) | instskip(NEXT) | instid1(VALU_DEP_1)
	v_sub_nc_u32_e32 v16, 0, v15
	v_max_i32_e32 v18, v15, v16
.LBB77_292:
	s_or_b32 exec_lo, exec_lo, s2
	s_clause 0x7
	global_store_b16 v1, v6, s[0:1]
	global_store_b16 v2, v7, s[0:1]
	global_store_b16 v3, v8, s[0:1]
	global_store_b16 v4, v9, s[0:1]
	global_store_b16 v5, v10, s[0:1]
	global_store_b16 v11, v13, s[0:1]
	global_store_b16 v0, v14, s[0:1]
	global_store_b16 v12, v18, s[0:1]
	s_endpgm
	.section	.rodata,"a",@progbits
	.p2align	6, 0x0
	.amdhsa_kernel _ZN2at6native32elementwise_kernel_manual_unrollILi128ELi8EZNS0_22gpu_kernel_impl_nocastIZZZNS0_15lcm_kernel_cudaERNS_18TensorIteratorBaseEENKUlvE_clEvENKUlvE3_clEvEUlssE_EEvS4_RKT_EUlibE_EEviT1_
		.amdhsa_group_segment_fixed_size 0
		.amdhsa_private_segment_fixed_size 0
		.amdhsa_kernarg_size 432
		.amdhsa_user_sgpr_count 2
		.amdhsa_user_sgpr_dispatch_ptr 0
		.amdhsa_user_sgpr_queue_ptr 0
		.amdhsa_user_sgpr_kernarg_segment_ptr 1
		.amdhsa_user_sgpr_dispatch_id 0
		.amdhsa_user_sgpr_kernarg_preload_length 0
		.amdhsa_user_sgpr_kernarg_preload_offset 0
		.amdhsa_user_sgpr_private_segment_size 0
		.amdhsa_wavefront_size32 1
		.amdhsa_uses_dynamic_stack 0
		.amdhsa_enable_private_segment 0
		.amdhsa_system_sgpr_workgroup_id_x 1
		.amdhsa_system_sgpr_workgroup_id_y 0
		.amdhsa_system_sgpr_workgroup_id_z 0
		.amdhsa_system_sgpr_workgroup_info 0
		.amdhsa_system_vgpr_workitem_id 0
		.amdhsa_next_free_vgpr 31
		.amdhsa_next_free_sgpr 46
		.amdhsa_named_barrier_count 0
		.amdhsa_reserve_vcc 1
		.amdhsa_float_round_mode_32 0
		.amdhsa_float_round_mode_16_64 0
		.amdhsa_float_denorm_mode_32 3
		.amdhsa_float_denorm_mode_16_64 3
		.amdhsa_fp16_overflow 0
		.amdhsa_memory_ordered 1
		.amdhsa_forward_progress 1
		.amdhsa_inst_pref_size 133
		.amdhsa_round_robin_scheduling 0
		.amdhsa_exception_fp_ieee_invalid_op 0
		.amdhsa_exception_fp_denorm_src 0
		.amdhsa_exception_fp_ieee_div_zero 0
		.amdhsa_exception_fp_ieee_overflow 0
		.amdhsa_exception_fp_ieee_underflow 0
		.amdhsa_exception_fp_ieee_inexact 0
		.amdhsa_exception_int_div_zero 0
	.end_amdhsa_kernel
	.section	.text._ZN2at6native32elementwise_kernel_manual_unrollILi128ELi8EZNS0_22gpu_kernel_impl_nocastIZZZNS0_15lcm_kernel_cudaERNS_18TensorIteratorBaseEENKUlvE_clEvENKUlvE3_clEvEUlssE_EEvS4_RKT_EUlibE_EEviT1_,"axG",@progbits,_ZN2at6native32elementwise_kernel_manual_unrollILi128ELi8EZNS0_22gpu_kernel_impl_nocastIZZZNS0_15lcm_kernel_cudaERNS_18TensorIteratorBaseEENKUlvE_clEvENKUlvE3_clEvEUlssE_EEvS4_RKT_EUlibE_EEviT1_,comdat
.Lfunc_end77:
	.size	_ZN2at6native32elementwise_kernel_manual_unrollILi128ELi8EZNS0_22gpu_kernel_impl_nocastIZZZNS0_15lcm_kernel_cudaERNS_18TensorIteratorBaseEENKUlvE_clEvENKUlvE3_clEvEUlssE_EEvS4_RKT_EUlibE_EEviT1_, .Lfunc_end77-_ZN2at6native32elementwise_kernel_manual_unrollILi128ELi8EZNS0_22gpu_kernel_impl_nocastIZZZNS0_15lcm_kernel_cudaERNS_18TensorIteratorBaseEENKUlvE_clEvENKUlvE3_clEvEUlssE_EEvS4_RKT_EUlibE_EEviT1_
                                        ; -- End function
	.set _ZN2at6native32elementwise_kernel_manual_unrollILi128ELi8EZNS0_22gpu_kernel_impl_nocastIZZZNS0_15lcm_kernel_cudaERNS_18TensorIteratorBaseEENKUlvE_clEvENKUlvE3_clEvEUlssE_EEvS4_RKT_EUlibE_EEviT1_.num_vgpr, 31
	.set _ZN2at6native32elementwise_kernel_manual_unrollILi128ELi8EZNS0_22gpu_kernel_impl_nocastIZZZNS0_15lcm_kernel_cudaERNS_18TensorIteratorBaseEENKUlvE_clEvENKUlvE3_clEvEUlssE_EEvS4_RKT_EUlibE_EEviT1_.num_agpr, 0
	.set _ZN2at6native32elementwise_kernel_manual_unrollILi128ELi8EZNS0_22gpu_kernel_impl_nocastIZZZNS0_15lcm_kernel_cudaERNS_18TensorIteratorBaseEENKUlvE_clEvENKUlvE3_clEvEUlssE_EEvS4_RKT_EUlibE_EEviT1_.numbered_sgpr, 46
	.set _ZN2at6native32elementwise_kernel_manual_unrollILi128ELi8EZNS0_22gpu_kernel_impl_nocastIZZZNS0_15lcm_kernel_cudaERNS_18TensorIteratorBaseEENKUlvE_clEvENKUlvE3_clEvEUlssE_EEvS4_RKT_EUlibE_EEviT1_.num_named_barrier, 0
	.set _ZN2at6native32elementwise_kernel_manual_unrollILi128ELi8EZNS0_22gpu_kernel_impl_nocastIZZZNS0_15lcm_kernel_cudaERNS_18TensorIteratorBaseEENKUlvE_clEvENKUlvE3_clEvEUlssE_EEvS4_RKT_EUlibE_EEviT1_.private_seg_size, 0
	.set _ZN2at6native32elementwise_kernel_manual_unrollILi128ELi8EZNS0_22gpu_kernel_impl_nocastIZZZNS0_15lcm_kernel_cudaERNS_18TensorIteratorBaseEENKUlvE_clEvENKUlvE3_clEvEUlssE_EEvS4_RKT_EUlibE_EEviT1_.uses_vcc, 1
	.set _ZN2at6native32elementwise_kernel_manual_unrollILi128ELi8EZNS0_22gpu_kernel_impl_nocastIZZZNS0_15lcm_kernel_cudaERNS_18TensorIteratorBaseEENKUlvE_clEvENKUlvE3_clEvEUlssE_EEvS4_RKT_EUlibE_EEviT1_.uses_flat_scratch, 0
	.set _ZN2at6native32elementwise_kernel_manual_unrollILi128ELi8EZNS0_22gpu_kernel_impl_nocastIZZZNS0_15lcm_kernel_cudaERNS_18TensorIteratorBaseEENKUlvE_clEvENKUlvE3_clEvEUlssE_EEvS4_RKT_EUlibE_EEviT1_.has_dyn_sized_stack, 0
	.set _ZN2at6native32elementwise_kernel_manual_unrollILi128ELi8EZNS0_22gpu_kernel_impl_nocastIZZZNS0_15lcm_kernel_cudaERNS_18TensorIteratorBaseEENKUlvE_clEvENKUlvE3_clEvEUlssE_EEvS4_RKT_EUlibE_EEviT1_.has_recursion, 0
	.set _ZN2at6native32elementwise_kernel_manual_unrollILi128ELi8EZNS0_22gpu_kernel_impl_nocastIZZZNS0_15lcm_kernel_cudaERNS_18TensorIteratorBaseEENKUlvE_clEvENKUlvE3_clEvEUlssE_EEvS4_RKT_EUlibE_EEviT1_.has_indirect_call, 0
	.section	.AMDGPU.csdata,"",@progbits
; Kernel info:
; codeLenInByte = 16952
; TotalNumSgprs: 48
; NumVgprs: 31
; ScratchSize: 0
; MemoryBound: 0
; FloatMode: 240
; IeeeMode: 1
; LDSByteSize: 0 bytes/workgroup (compile time only)
; SGPRBlocks: 0
; VGPRBlocks: 1
; NumSGPRsForWavesPerEU: 48
; NumVGPRsForWavesPerEU: 31
; NamedBarCnt: 0
; Occupancy: 16
; WaveLimiterHint : 1
; COMPUTE_PGM_RSRC2:SCRATCH_EN: 0
; COMPUTE_PGM_RSRC2:USER_SGPR: 2
; COMPUTE_PGM_RSRC2:TRAP_HANDLER: 0
; COMPUTE_PGM_RSRC2:TGID_X_EN: 1
; COMPUTE_PGM_RSRC2:TGID_Y_EN: 0
; COMPUTE_PGM_RSRC2:TGID_Z_EN: 0
; COMPUTE_PGM_RSRC2:TIDIG_COMP_CNT: 0
	.section	.text._ZN2at6native32elementwise_kernel_manual_unrollILi128ELi4EZNS0_15gpu_kernel_implIZZZNS0_15lcm_kernel_cudaERNS_18TensorIteratorBaseEENKUlvE_clEvENKUlvE3_clEvEUlssE_EEvS4_RKT_EUlibE_EEviT1_,"axG",@progbits,_ZN2at6native32elementwise_kernel_manual_unrollILi128ELi4EZNS0_15gpu_kernel_implIZZZNS0_15lcm_kernel_cudaERNS_18TensorIteratorBaseEENKUlvE_clEvENKUlvE3_clEvEUlssE_EEvS4_RKT_EUlibE_EEviT1_,comdat
	.globl	_ZN2at6native32elementwise_kernel_manual_unrollILi128ELi4EZNS0_15gpu_kernel_implIZZZNS0_15lcm_kernel_cudaERNS_18TensorIteratorBaseEENKUlvE_clEvENKUlvE3_clEvEUlssE_EEvS4_RKT_EUlibE_EEviT1_ ; -- Begin function _ZN2at6native32elementwise_kernel_manual_unrollILi128ELi4EZNS0_15gpu_kernel_implIZZZNS0_15lcm_kernel_cudaERNS_18TensorIteratorBaseEENKUlvE_clEvENKUlvE3_clEvEUlssE_EEvS4_RKT_EUlibE_EEviT1_
	.p2align	8
	.type	_ZN2at6native32elementwise_kernel_manual_unrollILi128ELi4EZNS0_15gpu_kernel_implIZZZNS0_15lcm_kernel_cudaERNS_18TensorIteratorBaseEENKUlvE_clEvENKUlvE3_clEvEUlssE_EEvS4_RKT_EUlibE_EEviT1_,@function
_ZN2at6native32elementwise_kernel_manual_unrollILi128ELi4EZNS0_15gpu_kernel_implIZZZNS0_15lcm_kernel_cudaERNS_18TensorIteratorBaseEENKUlvE_clEvENKUlvE3_clEvEUlssE_EEvS4_RKT_EUlibE_EEviT1_: ; @_ZN2at6native32elementwise_kernel_manual_unrollILi128ELi4EZNS0_15gpu_kernel_implIZZZNS0_15lcm_kernel_cudaERNS_18TensorIteratorBaseEENKUlvE_clEvENKUlvE3_clEvEUlssE_EEvS4_RKT_EUlibE_EEviT1_
; %bb.0:
	v_mov_b32_e32 v1, 0
	s_bfe_u32 s4, ttmp6, 0x4000c
	s_load_b32 s16, s[0:1], 0x0
	s_add_co_i32 s13, s4, 1
	s_load_b128 s[4:7], s[0:1], 0x8
	s_clause 0x1
	global_load_u16 v2, v1, s[0:1] offset:45
	global_load_i8 v3, v1, s[0:1] offset:47
	s_clause 0x1
	s_load_b64 s[2:3], s[0:1], 0x18
	s_load_b96 s[8:10], s[0:1], 0x20
	s_and_b32 s12, ttmp6, 15
	s_wait_xcnt 0x0
	s_mul_i32 s0, ttmp9, s13
	s_getreg_b32 s14, hwreg(HW_REG_IB_STS2, 6, 4)
	s_add_co_i32 s12, s12, s0
	s_mov_b32 s15, 0
	s_wait_loadcnt 0x1
	v_readfirstlane_b32 s11, v2
	s_wait_loadcnt 0x0
	v_readfirstlane_b32 s1, v3
	s_lshr_b32 s13, s11, 8
	s_cmp_eq_u32 s14, 0
	s_cselect_b32 s0, ttmp9, s12
	s_mov_b32 s12, 0
	v_lshl_or_b32 v10, s0, 9, v0
	s_mov_b32 s0, exec_lo
	s_delay_alu instid0(VALU_DEP_1) | instskip(SKIP_1) | instid1(VALU_DEP_1)
	v_or_b32_e32 v0, 0x180, v10
	s_wait_kmcnt 0x0
	v_cmpx_le_i32_e64 s16, v0
	s_xor_b32 s14, exec_lo, s0
	s_cbranch_execz .LBB78_1539
; %bb.1:
	s_mov_b32 s23, -1
	s_mov_b32 s20, 0
	s_mov_b32 s18, 0
	s_mov_b32 s17, 0
	s_mov_b32 s19, exec_lo
	v_cmpx_gt_i32_e64 s16, v10
	s_cbranch_execz .LBB78_380
; %bb.2:
	v_mul_lo_u32 v0, v10, s9
	s_and_b32 s0, s13, 0xff
	s_delay_alu instid0(SALU_CYCLE_1) | instskip(NEXT) | instid1(VALU_DEP_1)
	s_cmp_lt_i32 s0, 11
	v_ashrrev_i32_e32 v1, 31, v0
	s_delay_alu instid0(VALU_DEP_1)
	v_add_nc_u64_e32 v[2:3], s[6:7], v[0:1]
	s_cbranch_scc1 .LBB78_9
; %bb.3:
	s_and_b32 s15, 0xffff, s0
	s_delay_alu instid0(SALU_CYCLE_1)
	s_cmp_gt_i32 s15, 25
	s_cbranch_scc0 .LBB78_18
; %bb.4:
	s_cmp_gt_i32 s15, 28
	s_cbranch_scc0 .LBB78_34
; %bb.5:
	;; [unrolled: 3-line block ×4, first 2 shown]
	s_cmp_eq_u32 s15, 46
	s_mov_b32 s21, 0
	s_cbranch_scc0 .LBB78_43
; %bb.8:
	global_load_b32 v0, v[2:3], off
	s_mov_b32 s17, -1
	s_wait_loadcnt 0x0
	v_lshlrev_b32_e32 v0, 16, v0
	s_delay_alu instid0(VALU_DEP_1)
	v_cvt_i32_f32_e32 v0, v0
	s_branch .LBB78_45
.LBB78_9:
                                        ; implicit-def: $vgpr0
	s_cbranch_execnz .LBB78_107
.LBB78_10:
	s_and_not1_b32 vcc_lo, exec_lo, s17
	s_cbranch_vccnz .LBB78_154
.LBB78_11:
	s_wait_xcnt 0x0
	v_mul_lo_u32 v2, v10, s10
	s_and_b32 s0, s1, 0xff
	s_delay_alu instid0(SALU_CYCLE_1) | instskip(NEXT) | instid1(VALU_DEP_1)
	s_cmp_lt_i32 s0, 11
	v_ashrrev_i32_e32 v3, 31, v2
	s_delay_alu instid0(VALU_DEP_1)
	v_add_nc_u64_e32 v[2:3], s[2:3], v[2:3]
	s_cbranch_scc1 .LBB78_19
; %bb.12:
	s_and_b32 s15, 0xffff, s0
	s_delay_alu instid0(SALU_CYCLE_1)
	s_cmp_gt_i32 s15, 25
	s_cbranch_scc0 .LBB78_35
; %bb.13:
	s_cmp_gt_i32 s15, 28
	s_cbranch_scc0 .LBB78_38
; %bb.14:
	;; [unrolled: 3-line block ×4, first 2 shown]
	s_cmp_eq_u32 s15, 46
	s_mov_b32 s22, 0
	s_cbranch_scc0 .LBB78_155
; %bb.17:
	s_wait_loadcnt 0x0
	global_load_b32 v1, v[2:3], off
	s_mov_b32 s21, -1
	s_mov_b32 s17, 0
	s_wait_loadcnt 0x0
	v_lshlrev_b32_e32 v1, 16, v1
	s_delay_alu instid0(VALU_DEP_1)
	v_cvt_i32_f32_e32 v4, v1
	s_branch .LBB78_157
.LBB78_18:
                                        ; implicit-def: $vgpr0
	s_cbranch_execnz .LBB78_74
	s_branch .LBB78_106
.LBB78_19:
	s_mov_b32 s17, 0
	s_mov_b32 s21, 0
                                        ; implicit-def: $vgpr4
	s_cbranch_execnz .LBB78_329
.LBB78_20:
	s_and_not1_b32 vcc_lo, exec_lo, s21
	s_cbranch_vccnz .LBB78_377
.LBB78_21:
	s_wait_loadcnt 0x0
	s_delay_alu instid0(VALU_DEP_1) | instskip(SKIP_2) | instid1(VALU_DEP_1)
	v_sub_nc_u16 v1, 0, v4
	s_mov_b32 s15, 0
	s_mov_b32 s0, exec_lo
	v_max_i16 v1, v4, v1
	v_cmpx_ne_u16_e32 0, v0
	s_cbranch_execz .LBB78_25
; %bb.22:
	v_sub_nc_u16 v2, 0, v0
	s_delay_alu instid0(VALU_DEP_1) | instskip(SKIP_1) | instid1(VALU_DEP_2)
	v_max_i16 v3, v0, v2
	v_and_b32_e32 v2, 0xffff, v1
	v_and_b32_e32 v3, 0xffff, v3
.LBB78_23:                              ; =>This Inner Loop Header: Depth=1
	s_delay_alu instid0(VALU_DEP_1) | instskip(NEXT) | instid1(VALU_DEP_2)
	v_bfe_i32 v6, v2, 0, 16
	v_mov_b32_e32 v1, v3
	s_delay_alu instid0(VALU_DEP_2) | instskip(NEXT) | instid1(VALU_DEP_2)
	v_cvt_f32_i32_e32 v8, v6
	v_bfe_i32 v3, v1, 0, 16
	s_delay_alu instid0(VALU_DEP_1) | instskip(SKIP_1) | instid1(VALU_DEP_2)
	v_cvt_f32_i32_e32 v5, v3
	v_xor_b32_e32 v3, v6, v3
	v_rcp_iflag_f32_e32 v7, v5
	v_nop
	s_delay_alu instid0(TRANS32_DEP_1) | instskip(NEXT) | instid1(VALU_DEP_1)
	v_mul_f32_e32 v6, v8, v7
	v_trunc_f32_e32 v6, v6
	s_delay_alu instid0(VALU_DEP_1) | instskip(NEXT) | instid1(VALU_DEP_1)
	v_dual_ashrrev_i32 v3, 30, v3 :: v_dual_fma_f32 v7, -v6, v5, v8
	v_or_b32_e32 v3, 1, v3
	v_cvt_i32_f32_e32 v6, v6
	s_delay_alu instid0(VALU_DEP_3) | instskip(NEXT) | instid1(VALU_DEP_3)
	v_cmp_ge_f32_e64 vcc_lo, |v7|, |v5|
	v_cndmask_b32_e32 v3, 0, v3, vcc_lo
	s_delay_alu instid0(VALU_DEP_1) | instskip(NEXT) | instid1(VALU_DEP_1)
	v_add_nc_u32_e32 v3, v6, v3
	v_mul_lo_u32 v3, v3, v1
	s_delay_alu instid0(VALU_DEP_1) | instskip(NEXT) | instid1(VALU_DEP_1)
	v_sub_nc_u32_e32 v3, v2, v3
	v_and_b32_e32 v2, 0xffff, v3
	v_bfe_i32 v3, v3, 0, 16
	s_delay_alu instid0(VALU_DEP_2) | instskip(SKIP_2) | instid1(SALU_CYCLE_1)
	v_cmp_eq_u32_e32 vcc_lo, 0, v2
	v_mov_b32_e32 v2, v1
	s_or_b32 s15, vcc_lo, s15
	s_and_not1_b32 exec_lo, exec_lo, s15
	s_cbranch_execnz .LBB78_23
; %bb.24:
	s_or_b32 exec_lo, exec_lo, s15
.LBB78_25:
	s_delay_alu instid0(SALU_CYCLE_1)
	s_or_b32 exec_lo, exec_lo, s0
	v_mov_b32_e32 v5, 0
	s_mov_b32 s0, exec_lo
	v_cmpx_ne_u16_e32 0, v1
	s_cbranch_execz .LBB78_27
; %bb.26:
	v_bfe_i32 v1, v1, 0, 16
	v_bfe_i32 v0, v0, 0, 16
	s_delay_alu instid0(VALU_DEP_2) | instskip(NEXT) | instid1(VALU_DEP_2)
	v_cvt_f32_i32_e32 v2, v1
	v_cvt_f32_i32_e32 v5, v0
	v_xor_b32_e32 v0, v0, v1
	s_delay_alu instid0(VALU_DEP_3) | instskip(SKIP_1) | instid1(TRANS32_DEP_1)
	v_rcp_iflag_f32_e32 v3, v2
	v_nop
	v_mul_f32_e32 v3, v5, v3
	s_delay_alu instid0(VALU_DEP_1) | instskip(NEXT) | instid1(VALU_DEP_1)
	v_trunc_f32_e32 v1, v3
	v_dual_ashrrev_i32 v0, 30, v0 :: v_dual_fma_f32 v3, -v1, v2, v5
	s_delay_alu instid0(VALU_DEP_1) | instskip(SKIP_1) | instid1(VALU_DEP_3)
	v_or_b32_e32 v0, 1, v0
	v_cvt_i32_f32_e32 v1, v1
	v_cmp_ge_f32_e64 vcc_lo, |v3|, |v2|
	s_delay_alu instid0(VALU_DEP_3) | instskip(NEXT) | instid1(VALU_DEP_1)
	v_cndmask_b32_e32 v0, 0, v0, vcc_lo
	v_add_nc_u32_e32 v0, v1, v0
	v_bfe_i32 v1, v4, 0, 16
	s_delay_alu instid0(VALU_DEP_2) | instskip(NEXT) | instid1(VALU_DEP_1)
	v_bfe_i32 v0, v0, 0, 16
	v_mul_i32_i24_e32 v0, v0, v1
	s_delay_alu instid0(VALU_DEP_1) | instskip(NEXT) | instid1(VALU_DEP_1)
	v_sub_nc_u32_e32 v1, 0, v0
	v_max_i32_e32 v5, v0, v1
.LBB78_27:
	s_or_b32 exec_lo, exec_lo, s0
	v_mul_lo_u32 v0, v10, s8
	s_and_b32 s15, s11, 0xff
	s_delay_alu instid0(SALU_CYCLE_1) | instskip(NEXT) | instid1(VALU_DEP_1)
	s_cmp_lt_i32 s15, 11
	v_ashrrev_i32_e32 v1, 31, v0
	s_delay_alu instid0(VALU_DEP_1)
	v_add_nc_u64_e32 v[0:1], s[4:5], v[0:1]
	s_cbranch_scc1 .LBB78_36
; %bb.28:
	s_and_b32 s21, 0xffff, s15
	s_delay_alu instid0(SALU_CYCLE_1)
	s_cmp_gt_i32 s21, 25
	s_cbranch_scc0 .LBB78_39
; %bb.29:
	s_cmp_gt_i32 s21, 28
	s_cbranch_scc0 .LBB78_42
; %bb.30:
	;; [unrolled: 3-line block ×4, first 2 shown]
	s_mov_b32 s23, 0
	s_mov_b32 s0, -1
	s_cmp_eq_u32 s21, 46
	s_mov_b32 s22, 0
	s_cbranch_scc0 .LBB78_161
; %bb.33:
	v_bfe_i32 v2, v5, 0, 16
	s_mov_b32 s22, -1
	s_mov_b32 s0, 0
	s_delay_alu instid0(VALU_DEP_1) | instskip(NEXT) | instid1(VALU_DEP_1)
	v_cvt_f32_i32_e32 v2, v2
	v_bfe_u32 v3, v2, 16, 1
	s_delay_alu instid0(VALU_DEP_1) | instskip(NEXT) | instid1(VALU_DEP_1)
	v_add3_u32 v2, v2, v3, 0x7fff
	v_lshrrev_b32_e32 v2, 16, v2
	global_store_b32 v[0:1], v2, off
	s_branch .LBB78_161
.LBB78_34:
	s_mov_b32 s21, -1
                                        ; implicit-def: $vgpr0
	s_branch .LBB78_57
.LBB78_35:
	s_mov_b32 s22, -1
	s_mov_b32 s17, 0
	s_mov_b32 s21, 0
                                        ; implicit-def: $vgpr4
	s_branch .LBB78_295
.LBB78_36:
	s_mov_b32 s21, -1
	s_mov_b32 s0, 0
	s_mov_b32 s22, 0
	s_branch .LBB78_230
.LBB78_37:
	s_mov_b32 s21, -1
                                        ; implicit-def: $vgpr0
	s_branch .LBB78_52
.LBB78_38:
	s_mov_b32 s22, -1
	s_mov_b32 s17, 0
	s_mov_b32 s21, 0
                                        ; implicit-def: $vgpr4
	s_branch .LBB78_278
.LBB78_39:
	s_mov_b32 s23, -1
	s_mov_b32 s0, 0
	s_mov_b32 s22, 0
	s_branch .LBB78_188
.LBB78_40:
	s_mov_b32 s21, -1
	s_branch .LBB78_44
.LBB78_41:
	s_mov_b32 s22, -1
	s_mov_b32 s17, 0
	s_mov_b32 s21, 0
                                        ; implicit-def: $vgpr4
	s_branch .LBB78_273
.LBB78_42:
	s_mov_b32 s23, -1
	s_mov_b32 s0, 0
	s_mov_b32 s22, 0
	s_branch .LBB78_171
.LBB78_43:
	s_mov_b32 s18, -1
.LBB78_44:
                                        ; implicit-def: $vgpr0
.LBB78_45:
	s_and_b32 vcc_lo, exec_lo, s21
	s_cbranch_vccz .LBB78_51
; %bb.46:
	s_cmp_eq_u32 s15, 44
	s_cbranch_scc0 .LBB78_50
; %bb.47:
	global_load_u8 v0, v[2:3], off
	s_mov_b32 s18, 0
	s_mov_b32 s17, -1
	s_wait_loadcnt 0x0
	v_lshlrev_b32_e32 v1, 23, v0
	v_cmp_ne_u32_e32 vcc_lo, 0, v0
	s_delay_alu instid0(VALU_DEP_2) | instskip(NEXT) | instid1(VALU_DEP_1)
	v_cvt_i32_f32_e32 v1, v1
	v_cndmask_b32_e32 v0, 0, v1, vcc_lo
	s_branch .LBB78_51
.LBB78_48:
	s_mov_b32 s22, -1
	s_mov_b32 s17, 0
	s_branch .LBB78_156
.LBB78_49:
	s_mov_b32 s23, -1
	s_mov_b32 s0, 0
	s_mov_b32 s22, 0
	s_branch .LBB78_167
.LBB78_50:
	s_mov_b32 s18, -1
                                        ; implicit-def: $vgpr0
.LBB78_51:
	s_mov_b32 s21, 0
.LBB78_52:
	s_delay_alu instid0(SALU_CYCLE_1)
	s_and_b32 vcc_lo, exec_lo, s21
	s_cbranch_vccz .LBB78_56
; %bb.53:
	s_cmp_eq_u32 s15, 29
	s_cbranch_scc0 .LBB78_55
; %bb.54:
	global_load_b64 v[0:1], v[2:3], off
	s_mov_b32 s17, -1
	s_mov_b32 s18, 0
	s_branch .LBB78_56
.LBB78_55:
	s_mov_b32 s18, -1
                                        ; implicit-def: $vgpr0
.LBB78_56:
	s_mov_b32 s21, 0
.LBB78_57:
	s_delay_alu instid0(SALU_CYCLE_1)
	s_and_b32 vcc_lo, exec_lo, s21
	s_cbranch_vccz .LBB78_73
; %bb.58:
	s_cmp_lt_i32 s15, 27
	s_cbranch_scc1 .LBB78_61
; %bb.59:
	s_cmp_gt_i32 s15, 27
	s_cbranch_scc0 .LBB78_62
; %bb.60:
	s_wait_loadcnt 0x0
	global_load_b32 v0, v[2:3], off
	s_mov_b32 s17, 0
	s_branch .LBB78_63
.LBB78_61:
	s_mov_b32 s17, -1
                                        ; implicit-def: $vgpr0
	s_branch .LBB78_66
.LBB78_62:
	s_mov_b32 s17, -1
                                        ; implicit-def: $vgpr0
.LBB78_63:
	s_delay_alu instid0(SALU_CYCLE_1)
	s_and_not1_b32 vcc_lo, exec_lo, s17
	s_cbranch_vccnz .LBB78_65
; %bb.64:
	s_wait_loadcnt 0x0
	global_load_u16 v0, v[2:3], off
.LBB78_65:
	s_mov_b32 s17, 0
.LBB78_66:
	s_delay_alu instid0(SALU_CYCLE_1)
	s_and_not1_b32 vcc_lo, exec_lo, s17
	s_cbranch_vccnz .LBB78_72
; %bb.67:
	s_wait_loadcnt 0x0
	global_load_u8 v1, v[2:3], off
	s_mov_b32 s21, 0
	s_mov_b32 s17, exec_lo
	s_wait_loadcnt 0x0
	v_cmpx_lt_i16_e32 0x7f, v1
	s_xor_b32 s17, exec_lo, s17
	s_cbranch_execz .LBB78_83
; %bb.68:
	v_cmp_ne_u16_e32 vcc_lo, 0x80, v1
	s_and_b32 s21, vcc_lo, exec_lo
	s_and_not1_saveexec_b32 s17, s17
	s_cbranch_execnz .LBB78_84
.LBB78_69:
	s_or_b32 exec_lo, exec_lo, s17
	v_mov_b32_e32 v0, 0
	s_and_saveexec_b32 s17, s21
	s_cbranch_execz .LBB78_71
.LBB78_70:
	v_and_b32_e32 v0, 0xffff, v1
	s_delay_alu instid0(VALU_DEP_1) | instskip(SKIP_1) | instid1(VALU_DEP_2)
	v_and_b32_e32 v4, 7, v0
	v_bfe_u32 v7, v0, 3, 4
	v_clz_i32_u32_e32 v5, v4
	s_delay_alu instid0(VALU_DEP_2) | instskip(NEXT) | instid1(VALU_DEP_2)
	v_cmp_eq_u32_e32 vcc_lo, 0, v7
	v_min_u32_e32 v5, 32, v5
	s_delay_alu instid0(VALU_DEP_1) | instskip(NEXT) | instid1(VALU_DEP_1)
	v_subrev_nc_u32_e32 v6, 28, v5
	v_dual_lshlrev_b32 v0, v6, v0 :: v_dual_sub_nc_u32 v5, 29, v5
	s_delay_alu instid0(VALU_DEP_1) | instskip(NEXT) | instid1(VALU_DEP_1)
	v_dual_lshlrev_b32 v1, 24, v1 :: v_dual_bitop2_b32 v0, 7, v0 bitop3:0x40
	v_dual_cndmask_b32 v0, v4, v0 :: v_dual_cndmask_b32 v5, v7, v5
	s_delay_alu instid0(VALU_DEP_2) | instskip(NEXT) | instid1(VALU_DEP_2)
	v_and_b32_e32 v1, 0x80000000, v1
	v_lshlrev_b32_e32 v0, 20, v0
	s_delay_alu instid0(VALU_DEP_3) | instskip(NEXT) | instid1(VALU_DEP_1)
	v_lshl_add_u32 v4, v5, 23, 0x3b800000
	v_or3_b32 v0, v1, v4, v0
	s_delay_alu instid0(VALU_DEP_1)
	v_cvt_i32_f32_e32 v0, v0
.LBB78_71:
	s_or_b32 exec_lo, exec_lo, s17
.LBB78_72:
	s_mov_b32 s17, -1
.LBB78_73:
	s_branch .LBB78_106
.LBB78_74:
	s_cmp_gt_i32 s15, 22
	s_cbranch_scc0 .LBB78_82
; %bb.75:
	s_cmp_lt_i32 s15, 24
	s_cbranch_scc1 .LBB78_85
; %bb.76:
	s_cmp_gt_i32 s15, 24
	s_cbranch_scc0 .LBB78_86
; %bb.77:
	s_wait_loadcnt 0x0
	global_load_u8 v1, v[2:3], off
	s_mov_b32 s21, 0
	s_mov_b32 s17, exec_lo
	s_wait_loadcnt 0x0
	v_cmpx_lt_i16_e32 0x7f, v1
	s_xor_b32 s17, exec_lo, s17
	s_cbranch_execz .LBB78_98
; %bb.78:
	v_cmp_ne_u16_e32 vcc_lo, 0x80, v1
	s_and_b32 s21, vcc_lo, exec_lo
	s_and_not1_saveexec_b32 s17, s17
	s_cbranch_execnz .LBB78_99
.LBB78_79:
	s_or_b32 exec_lo, exec_lo, s17
	v_mov_b32_e32 v0, 0
	s_and_saveexec_b32 s17, s21
	s_cbranch_execz .LBB78_81
.LBB78_80:
	v_and_b32_e32 v0, 0xffff, v1
	s_delay_alu instid0(VALU_DEP_1) | instskip(SKIP_1) | instid1(VALU_DEP_2)
	v_and_b32_e32 v4, 3, v0
	v_bfe_u32 v7, v0, 2, 5
	v_clz_i32_u32_e32 v5, v4
	s_delay_alu instid0(VALU_DEP_2) | instskip(NEXT) | instid1(VALU_DEP_2)
	v_cmp_eq_u32_e32 vcc_lo, 0, v7
	v_min_u32_e32 v5, 32, v5
	s_delay_alu instid0(VALU_DEP_1) | instskip(NEXT) | instid1(VALU_DEP_1)
	v_subrev_nc_u32_e32 v6, 29, v5
	v_dual_lshlrev_b32 v0, v6, v0 :: v_dual_sub_nc_u32 v5, 30, v5
	s_delay_alu instid0(VALU_DEP_1) | instskip(NEXT) | instid1(VALU_DEP_1)
	v_dual_lshlrev_b32 v1, 24, v1 :: v_dual_bitop2_b32 v0, 3, v0 bitop3:0x40
	v_dual_cndmask_b32 v0, v4, v0 :: v_dual_cndmask_b32 v5, v7, v5
	s_delay_alu instid0(VALU_DEP_2) | instskip(NEXT) | instid1(VALU_DEP_2)
	v_and_b32_e32 v1, 0x80000000, v1
	v_lshlrev_b32_e32 v0, 21, v0
	s_delay_alu instid0(VALU_DEP_3) | instskip(NEXT) | instid1(VALU_DEP_1)
	v_lshl_add_u32 v4, v5, 23, 0x37800000
	v_or3_b32 v0, v1, v4, v0
	s_delay_alu instid0(VALU_DEP_1)
	v_cvt_i32_f32_e32 v0, v0
.LBB78_81:
	s_or_b32 exec_lo, exec_lo, s17
	s_mov_b32 s17, 0
	s_branch .LBB78_87
.LBB78_82:
	s_mov_b32 s21, -1
                                        ; implicit-def: $vgpr0
	s_branch .LBB78_93
.LBB78_83:
	s_and_not1_saveexec_b32 s17, s17
	s_cbranch_execz .LBB78_69
.LBB78_84:
	v_cmp_ne_u16_e32 vcc_lo, 0, v1
	s_and_not1_b32 s21, s21, exec_lo
	s_and_b32 s22, vcc_lo, exec_lo
	s_delay_alu instid0(SALU_CYCLE_1)
	s_or_b32 s21, s21, s22
	s_or_b32 exec_lo, exec_lo, s17
	v_mov_b32_e32 v0, 0
	s_and_saveexec_b32 s17, s21
	s_cbranch_execnz .LBB78_70
	s_branch .LBB78_71
.LBB78_85:
	s_mov_b32 s17, -1
                                        ; implicit-def: $vgpr0
	s_branch .LBB78_90
.LBB78_86:
	s_mov_b32 s17, -1
                                        ; implicit-def: $vgpr0
.LBB78_87:
	s_delay_alu instid0(SALU_CYCLE_1)
	s_and_b32 vcc_lo, exec_lo, s17
	s_cbranch_vccz .LBB78_89
; %bb.88:
	s_wait_loadcnt 0x0
	global_load_u8 v0, v[2:3], off
	s_wait_loadcnt 0x0
	v_lshlrev_b32_e32 v0, 24, v0
	s_delay_alu instid0(VALU_DEP_1) | instskip(NEXT) | instid1(VALU_DEP_1)
	v_and_b32_e32 v1, 0x7f000000, v0
	v_clz_i32_u32_e32 v4, v1
	v_cmp_ne_u32_e32 vcc_lo, 0, v1
	v_add_nc_u32_e32 v6, 0x1000000, v1
	s_delay_alu instid0(VALU_DEP_3) | instskip(NEXT) | instid1(VALU_DEP_1)
	v_min_u32_e32 v4, 32, v4
	v_sub_nc_u32_e64 v4, v4, 4 clamp
	s_delay_alu instid0(VALU_DEP_1) | instskip(NEXT) | instid1(VALU_DEP_1)
	v_dual_lshlrev_b32 v5, v4, v1 :: v_dual_lshlrev_b32 v4, 23, v4
	v_lshrrev_b32_e32 v5, 4, v5
	s_delay_alu instid0(VALU_DEP_1) | instskip(NEXT) | instid1(VALU_DEP_1)
	v_dual_sub_nc_u32 v4, v5, v4 :: v_dual_ashrrev_i32 v5, 8, v6
	v_add_nc_u32_e32 v4, 0x3c000000, v4
	s_delay_alu instid0(VALU_DEP_1) | instskip(NEXT) | instid1(VALU_DEP_1)
	v_and_or_b32 v4, 0x7f800000, v5, v4
	v_cndmask_b32_e32 v1, 0, v4, vcc_lo
	s_delay_alu instid0(VALU_DEP_1) | instskip(NEXT) | instid1(VALU_DEP_1)
	v_and_or_b32 v0, 0x80000000, v0, v1
	v_cvt_i32_f32_e32 v0, v0
.LBB78_89:
	s_mov_b32 s17, 0
.LBB78_90:
	s_delay_alu instid0(SALU_CYCLE_1)
	s_and_not1_b32 vcc_lo, exec_lo, s17
	s_cbranch_vccnz .LBB78_92
; %bb.91:
	s_wait_loadcnt 0x0
	global_load_u8 v0, v[2:3], off
	s_wait_loadcnt 0x0
	v_lshlrev_b32_e32 v1, 25, v0
	v_lshlrev_b16 v0, 8, v0
	s_delay_alu instid0(VALU_DEP_1) | instskip(SKIP_1) | instid1(VALU_DEP_2)
	v_and_or_b32 v5, 0x7f00, v0, 0.5
	v_bfe_i32 v0, v0, 0, 16
	v_add_f32_e32 v5, -0.5, v5
	v_lshrrev_b32_e32 v4, 4, v1
	v_cmp_gt_u32_e32 vcc_lo, 0x8000000, v1
	s_delay_alu instid0(VALU_DEP_2) | instskip(NEXT) | instid1(VALU_DEP_1)
	v_or_b32_e32 v4, 0x70000000, v4
	v_mul_f32_e32 v4, 0x7800000, v4
	s_delay_alu instid0(VALU_DEP_1) | instskip(NEXT) | instid1(VALU_DEP_1)
	v_cndmask_b32_e32 v1, v4, v5, vcc_lo
	v_and_or_b32 v0, 0x80000000, v0, v1
	s_delay_alu instid0(VALU_DEP_1)
	v_cvt_i32_f32_e32 v0, v0
.LBB78_92:
	s_mov_b32 s21, 0
	s_mov_b32 s17, -1
.LBB78_93:
	s_and_not1_b32 vcc_lo, exec_lo, s21
	s_cbranch_vccnz .LBB78_106
; %bb.94:
	s_cmp_gt_i32 s15, 14
	s_cbranch_scc0 .LBB78_97
; %bb.95:
	s_cmp_eq_u32 s15, 15
	s_cbranch_scc0 .LBB78_100
; %bb.96:
	s_wait_loadcnt 0x0
	global_load_u16 v0, v[2:3], off
	s_mov_b32 s17, -1
	s_mov_b32 s18, 0
	s_wait_loadcnt 0x0
	v_lshlrev_b32_e32 v0, 16, v0
	s_delay_alu instid0(VALU_DEP_1)
	v_cvt_i32_f32_e32 v0, v0
	s_branch .LBB78_101
.LBB78_97:
	s_mov_b32 s21, -1
                                        ; implicit-def: $vgpr0
	s_branch .LBB78_102
.LBB78_98:
	s_and_not1_saveexec_b32 s17, s17
	s_cbranch_execz .LBB78_79
.LBB78_99:
	v_cmp_ne_u16_e32 vcc_lo, 0, v1
	s_and_not1_b32 s21, s21, exec_lo
	s_and_b32 s22, vcc_lo, exec_lo
	s_delay_alu instid0(SALU_CYCLE_1)
	s_or_b32 s21, s21, s22
	s_or_b32 exec_lo, exec_lo, s17
	v_mov_b32_e32 v0, 0
	s_and_saveexec_b32 s17, s21
	s_cbranch_execnz .LBB78_80
	s_branch .LBB78_81
.LBB78_100:
	s_mov_b32 s18, -1
                                        ; implicit-def: $vgpr0
.LBB78_101:
	s_mov_b32 s21, 0
.LBB78_102:
	s_delay_alu instid0(SALU_CYCLE_1)
	s_and_b32 vcc_lo, exec_lo, s21
	s_cbranch_vccz .LBB78_106
; %bb.103:
	s_cmp_eq_u32 s15, 11
	s_cbranch_scc0 .LBB78_105
; %bb.104:
	s_wait_loadcnt 0x0
	global_load_u8 v0, v[2:3], off
	s_mov_b32 s18, 0
	s_mov_b32 s17, -1
	s_wait_loadcnt 0x0
	v_cmp_ne_u16_e32 vcc_lo, 0, v0
	v_cndmask_b32_e64 v0, 0, 1, vcc_lo
	s_branch .LBB78_106
.LBB78_105:
	s_mov_b32 s18, -1
                                        ; implicit-def: $vgpr0
.LBB78_106:
	s_branch .LBB78_10
.LBB78_107:
	s_and_b32 s0, 0xffff, s0
	s_delay_alu instid0(SALU_CYCLE_1)
	s_cmp_lt_i32 s0, 5
	s_cbranch_scc1 .LBB78_112
; %bb.108:
	s_cmp_lt_i32 s0, 8
	s_cbranch_scc1 .LBB78_113
; %bb.109:
	;; [unrolled: 3-line block ×3, first 2 shown]
	s_cmp_gt_i32 s0, 9
	s_cbranch_scc0 .LBB78_115
; %bb.111:
	s_wait_loadcnt 0x0
	global_load_b64 v[0:1], v[2:3], off
	s_mov_b32 s15, 0
	s_wait_loadcnt 0x0
	v_cvt_i32_f64_e32 v0, v[0:1]
	s_branch .LBB78_116
.LBB78_112:
                                        ; implicit-def: $vgpr0
	s_branch .LBB78_134
.LBB78_113:
	s_mov_b32 s15, -1
                                        ; implicit-def: $vgpr0
	s_branch .LBB78_122
.LBB78_114:
	s_mov_b32 s15, -1
                                        ; implicit-def: $vgpr0
	s_branch .LBB78_119
.LBB78_115:
	s_mov_b32 s15, -1
                                        ; implicit-def: $vgpr0
.LBB78_116:
	s_delay_alu instid0(SALU_CYCLE_1)
	s_and_not1_b32 vcc_lo, exec_lo, s15
	s_cbranch_vccnz .LBB78_118
; %bb.117:
	s_wait_loadcnt 0x0
	global_load_b32 v0, v[2:3], off
	s_wait_loadcnt 0x0
	v_cvt_i32_f32_e32 v0, v0
.LBB78_118:
	s_mov_b32 s15, 0
.LBB78_119:
	s_delay_alu instid0(SALU_CYCLE_1)
	s_and_not1_b32 vcc_lo, exec_lo, s15
	s_cbranch_vccnz .LBB78_121
; %bb.120:
	s_wait_loadcnt 0x0
	global_load_b32 v0, v[2:3], off
	s_wait_loadcnt 0x0
	v_cvt_i16_f16_e32 v0, v0
.LBB78_121:
	s_mov_b32 s15, 0
.LBB78_122:
	s_delay_alu instid0(SALU_CYCLE_1)
	s_and_not1_b32 vcc_lo, exec_lo, s15
	s_cbranch_vccnz .LBB78_133
; %bb.123:
	s_cmp_lt_i32 s0, 6
	s_cbranch_scc1 .LBB78_126
; %bb.124:
	s_cmp_gt_i32 s0, 6
	s_cbranch_scc0 .LBB78_127
; %bb.125:
	s_wait_loadcnt 0x0
	global_load_b64 v[0:1], v[2:3], off
	s_mov_b32 s15, 0
	s_wait_loadcnt 0x0
	v_cvt_i32_f64_e32 v0, v[0:1]
	s_branch .LBB78_128
.LBB78_126:
	s_mov_b32 s15, -1
                                        ; implicit-def: $vgpr0
	s_branch .LBB78_131
.LBB78_127:
	s_mov_b32 s15, -1
                                        ; implicit-def: $vgpr0
.LBB78_128:
	s_delay_alu instid0(SALU_CYCLE_1)
	s_and_not1_b32 vcc_lo, exec_lo, s15
	s_cbranch_vccnz .LBB78_130
; %bb.129:
	s_wait_loadcnt 0x0
	global_load_b32 v0, v[2:3], off
	s_wait_loadcnt 0x0
	v_cvt_i32_f32_e32 v0, v0
.LBB78_130:
	s_mov_b32 s15, 0
.LBB78_131:
	s_delay_alu instid0(SALU_CYCLE_1)
	s_and_not1_b32 vcc_lo, exec_lo, s15
	s_cbranch_vccnz .LBB78_133
; %bb.132:
	s_wait_loadcnt 0x0
	global_load_u16 v0, v[2:3], off
	s_wait_loadcnt 0x0
	v_cvt_i16_f16_e32 v0, v0
.LBB78_133:
	s_cbranch_execnz .LBB78_153
.LBB78_134:
	s_cmp_lt_i32 s0, 2
	s_cbranch_scc1 .LBB78_138
; %bb.135:
	s_cmp_lt_i32 s0, 3
	s_cbranch_scc1 .LBB78_139
; %bb.136:
	s_cmp_gt_i32 s0, 3
	s_cbranch_scc0 .LBB78_140
; %bb.137:
	s_wait_loadcnt 0x0
	global_load_b64 v[0:1], v[2:3], off
	s_mov_b32 s15, 0
	s_branch .LBB78_141
.LBB78_138:
	s_mov_b32 s15, -1
                                        ; implicit-def: $vgpr0
	s_branch .LBB78_147
.LBB78_139:
	s_mov_b32 s15, -1
                                        ; implicit-def: $vgpr0
	s_branch .LBB78_144
.LBB78_140:
	s_mov_b32 s15, -1
                                        ; implicit-def: $vgpr0
.LBB78_141:
	s_delay_alu instid0(SALU_CYCLE_1)
	s_and_not1_b32 vcc_lo, exec_lo, s15
	s_cbranch_vccnz .LBB78_143
; %bb.142:
	s_wait_loadcnt 0x0
	global_load_b32 v0, v[2:3], off
.LBB78_143:
	s_mov_b32 s15, 0
.LBB78_144:
	s_delay_alu instid0(SALU_CYCLE_1)
	s_and_not1_b32 vcc_lo, exec_lo, s15
	s_cbranch_vccnz .LBB78_146
; %bb.145:
	s_wait_loadcnt 0x0
	global_load_u16 v0, v[2:3], off
.LBB78_146:
	s_mov_b32 s15, 0
.LBB78_147:
	s_delay_alu instid0(SALU_CYCLE_1)
	s_and_not1_b32 vcc_lo, exec_lo, s15
	s_cbranch_vccnz .LBB78_153
; %bb.148:
	s_cmp_gt_i32 s0, 0
	s_mov_b32 s0, 0
	s_cbranch_scc0 .LBB78_150
; %bb.149:
	s_wait_loadcnt 0x0
	global_load_i8 v0, v[2:3], off
	s_branch .LBB78_151
.LBB78_150:
	s_mov_b32 s0, -1
                                        ; implicit-def: $vgpr0
.LBB78_151:
	s_delay_alu instid0(SALU_CYCLE_1)
	s_and_not1_b32 vcc_lo, exec_lo, s0
	s_cbranch_vccnz .LBB78_153
; %bb.152:
	s_wait_loadcnt 0x0
	global_load_u8 v0, v[2:3], off
.LBB78_153:
	s_branch .LBB78_11
.LBB78_154:
	s_mov_b32 s0, 0
	s_mov_b32 s17, 0
	s_branch .LBB78_378
.LBB78_155:
	s_mov_b32 s17, -1
.LBB78_156:
	s_mov_b32 s21, 0
                                        ; implicit-def: $vgpr4
.LBB78_157:
	s_and_b32 vcc_lo, exec_lo, s22
	s_cbranch_vccz .LBB78_272
; %bb.158:
	s_cmp_eq_u32 s15, 44
	s_cbranch_scc0 .LBB78_271
; %bb.159:
	s_wait_loadcnt 0x0
	global_load_u8 v1, v[2:3], off
	s_mov_b32 s17, 0
	s_mov_b32 s21, -1
	s_wait_loadcnt 0x0
	v_lshlrev_b32_e32 v4, 23, v1
	v_cmp_ne_u32_e32 vcc_lo, 0, v1
	s_delay_alu instid0(VALU_DEP_2) | instskip(NEXT) | instid1(VALU_DEP_1)
	v_cvt_i32_f32_e32 v4, v4
	v_cndmask_b32_e32 v4, 0, v4, vcc_lo
	s_branch .LBB78_272
.LBB78_160:
	s_mov_b32 s23, -1
	s_mov_b32 s0, 0
	s_mov_b32 s22, 0
.LBB78_161:
	s_and_b32 vcc_lo, exec_lo, s23
	s_cbranch_vccz .LBB78_166
; %bb.162:
	s_cmp_eq_u32 s21, 44
	s_mov_b32 s0, -1
	s_cbranch_scc0 .LBB78_166
; %bb.163:
	s_wait_xcnt 0x0
	v_bfe_i32 v2, v5, 0, 16
	v_mov_b32_e32 v3, 0xff
	s_mov_b32 s22, exec_lo
	s_delay_alu instid0(VALU_DEP_2) | instskip(NEXT) | instid1(VALU_DEP_1)
	v_cvt_f32_i32_e32 v2, v2
	v_bfe_u32 v4, v2, 23, 8
	s_delay_alu instid0(VALU_DEP_1)
	v_cmpx_ne_u32_e32 0xff, v4
	s_cbranch_execz .LBB78_165
; %bb.164:
	v_and_b32_e32 v3, 0x400000, v2
	v_and_or_b32 v4, 0x3fffff, v2, v4
	v_lshrrev_b32_e32 v2, 23, v2
	s_delay_alu instid0(VALU_DEP_3) | instskip(NEXT) | instid1(VALU_DEP_3)
	v_cmp_ne_u32_e32 vcc_lo, 0, v3
	v_cmp_ne_u32_e64 s0, 0, v4
	s_and_b32 s0, vcc_lo, s0
	s_delay_alu instid0(SALU_CYCLE_1) | instskip(NEXT) | instid1(VALU_DEP_1)
	v_cndmask_b32_e64 v3, 0, 1, s0
	v_add_nc_u32_e32 v3, v2, v3
.LBB78_165:
	s_or_b32 exec_lo, exec_lo, s22
	s_mov_b32 s22, -1
	s_mov_b32 s0, 0
	global_store_b8 v[0:1], v3, off
.LBB78_166:
	s_mov_b32 s23, 0
.LBB78_167:
	s_delay_alu instid0(SALU_CYCLE_1)
	s_and_b32 vcc_lo, exec_lo, s23
	s_cbranch_vccz .LBB78_170
; %bb.168:
	s_cmp_eq_u32 s21, 29
	s_mov_b32 s0, -1
	s_cbranch_scc0 .LBB78_170
; %bb.169:
	s_wait_xcnt 0x0
	v_bfe_i32 v2, v5, 0, 16
	s_mov_b32 s0, 0
	s_mov_b32 s22, -1
	s_mov_b32 s23, 0
	s_delay_alu instid0(VALU_DEP_1)
	v_ashrrev_i32_e32 v3, 31, v2
	global_store_b64 v[0:1], v[2:3], off
	s_branch .LBB78_171
.LBB78_170:
	s_mov_b32 s23, 0
.LBB78_171:
	s_delay_alu instid0(SALU_CYCLE_1)
	s_and_b32 vcc_lo, exec_lo, s23
	s_cbranch_vccz .LBB78_187
; %bb.172:
	s_cmp_lt_i32 s21, 27
	s_mov_b32 s22, -1
	s_cbranch_scc1 .LBB78_178
; %bb.173:
	s_cmp_gt_i32 s21, 27
	s_cbranch_scc0 .LBB78_175
; %bb.174:
	s_wait_xcnt 0x0
	v_bfe_i32 v2, v5, 0, 16
	s_mov_b32 s22, 0
	global_store_b32 v[0:1], v2, off
.LBB78_175:
	s_and_not1_b32 vcc_lo, exec_lo, s22
	s_cbranch_vccnz .LBB78_177
; %bb.176:
	global_store_b16 v[0:1], v5, off
.LBB78_177:
	s_mov_b32 s22, 0
.LBB78_178:
	s_delay_alu instid0(SALU_CYCLE_1)
	s_and_not1_b32 vcc_lo, exec_lo, s22
	s_cbranch_vccnz .LBB78_186
; %bb.179:
	s_wait_xcnt 0x0
	v_bfe_i32 v2, v5, 0, 16
	v_mov_b32_e32 v4, 0x80
	s_mov_b32 s22, exec_lo
	s_delay_alu instid0(VALU_DEP_2) | instskip(NEXT) | instid1(VALU_DEP_1)
	v_cvt_f32_i32_e32 v2, v2
	v_and_b32_e32 v3, 0x7fffffff, v2
	s_delay_alu instid0(VALU_DEP_1)
	v_cmpx_gt_u32_e32 0x43800000, v3
	s_cbranch_execz .LBB78_185
; %bb.180:
	v_cmp_lt_u32_e32 vcc_lo, 0x3bffffff, v3
	s_mov_b32 s23, 0
                                        ; implicit-def: $vgpr3
	s_and_saveexec_b32 s24, vcc_lo
	s_delay_alu instid0(SALU_CYCLE_1)
	s_xor_b32 s24, exec_lo, s24
	s_cbranch_execz .LBB78_409
; %bb.181:
	v_bfe_u32 v3, v2, 20, 1
	s_mov_b32 s23, exec_lo
	s_delay_alu instid0(VALU_DEP_1) | instskip(NEXT) | instid1(VALU_DEP_1)
	v_add3_u32 v3, v2, v3, 0x487ffff
	v_lshrrev_b32_e32 v3, 20, v3
	s_and_not1_saveexec_b32 s24, s24
	s_cbranch_execnz .LBB78_410
.LBB78_182:
	s_or_b32 exec_lo, exec_lo, s24
	v_mov_b32_e32 v4, 0
	s_and_saveexec_b32 s24, s23
.LBB78_183:
	v_lshrrev_b32_e32 v2, 24, v2
	s_delay_alu instid0(VALU_DEP_1)
	v_and_or_b32 v4, 0x80, v2, v3
.LBB78_184:
	s_or_b32 exec_lo, exec_lo, s24
.LBB78_185:
	s_delay_alu instid0(SALU_CYCLE_1)
	s_or_b32 exec_lo, exec_lo, s22
	global_store_b8 v[0:1], v4, off
.LBB78_186:
	s_mov_b32 s22, -1
.LBB78_187:
	s_mov_b32 s23, 0
.LBB78_188:
	s_delay_alu instid0(SALU_CYCLE_1)
	s_and_b32 vcc_lo, exec_lo, s23
	s_cbranch_vccz .LBB78_229
; %bb.189:
	s_cmp_gt_i32 s21, 22
	s_mov_b32 s23, -1
	s_cbranch_scc0 .LBB78_221
; %bb.190:
	s_cmp_lt_i32 s21, 24
	s_mov_b32 s22, -1
	s_cbranch_scc1 .LBB78_210
; %bb.191:
	s_cmp_gt_i32 s21, 24
	s_cbranch_scc0 .LBB78_199
; %bb.192:
	s_wait_xcnt 0x0
	v_bfe_i32 v2, v5, 0, 16
	v_mov_b32_e32 v4, 0x80
	s_mov_b32 s22, exec_lo
	s_delay_alu instid0(VALU_DEP_2) | instskip(NEXT) | instid1(VALU_DEP_1)
	v_cvt_f32_i32_e32 v2, v2
	v_and_b32_e32 v3, 0x7fffffff, v2
	s_delay_alu instid0(VALU_DEP_1)
	v_cmpx_gt_u32_e32 0x47800000, v3
	s_cbranch_execz .LBB78_198
; %bb.193:
	v_cmp_lt_u32_e32 vcc_lo, 0x37ffffff, v3
	s_mov_b32 s23, 0
                                        ; implicit-def: $vgpr3
	s_and_saveexec_b32 s24, vcc_lo
	s_delay_alu instid0(SALU_CYCLE_1)
	s_xor_b32 s24, exec_lo, s24
	s_cbranch_execz .LBB78_524
; %bb.194:
	v_bfe_u32 v3, v2, 21, 1
	s_mov_b32 s23, exec_lo
	s_delay_alu instid0(VALU_DEP_1) | instskip(NEXT) | instid1(VALU_DEP_1)
	v_add3_u32 v3, v2, v3, 0x88fffff
	v_lshrrev_b32_e32 v3, 21, v3
	s_and_not1_saveexec_b32 s24, s24
	s_cbranch_execnz .LBB78_525
.LBB78_195:
	s_or_b32 exec_lo, exec_lo, s24
	v_mov_b32_e32 v4, 0
	s_and_saveexec_b32 s24, s23
.LBB78_196:
	v_lshrrev_b32_e32 v2, 24, v2
	s_delay_alu instid0(VALU_DEP_1)
	v_and_or_b32 v4, 0x80, v2, v3
.LBB78_197:
	s_or_b32 exec_lo, exec_lo, s24
.LBB78_198:
	s_delay_alu instid0(SALU_CYCLE_1)
	s_or_b32 exec_lo, exec_lo, s22
	s_mov_b32 s22, 0
	global_store_b8 v[0:1], v4, off
.LBB78_199:
	s_and_b32 vcc_lo, exec_lo, s22
	s_cbranch_vccz .LBB78_209
; %bb.200:
	s_wait_xcnt 0x0
	v_bfe_i32 v2, v5, 0, 16
	s_mov_b32 s22, exec_lo
                                        ; implicit-def: $vgpr3
	s_delay_alu instid0(VALU_DEP_1) | instskip(NEXT) | instid1(VALU_DEP_1)
	v_cvt_f32_i32_e32 v2, v2
	v_and_b32_e32 v4, 0x7fffffff, v2
	s_delay_alu instid0(VALU_DEP_1)
	v_cmpx_gt_u32_e32 0x43f00000, v4
	s_xor_b32 s22, exec_lo, s22
	s_cbranch_execz .LBB78_206
; %bb.201:
	s_mov_b32 s23, exec_lo
                                        ; implicit-def: $vgpr3
	v_cmpx_lt_u32_e32 0x3c7fffff, v4
	s_xor_b32 s23, exec_lo, s23
; %bb.202:
	v_bfe_u32 v3, v2, 20, 1
	s_delay_alu instid0(VALU_DEP_1) | instskip(NEXT) | instid1(VALU_DEP_1)
	v_add3_u32 v3, v2, v3, 0x407ffff
	v_and_b32_e32 v4, 0xff00000, v3
	v_lshrrev_b32_e32 v3, 20, v3
	s_delay_alu instid0(VALU_DEP_2) | instskip(NEXT) | instid1(VALU_DEP_2)
	v_cmp_ne_u32_e32 vcc_lo, 0x7f00000, v4
	v_cndmask_b32_e32 v3, 0x7e, v3, vcc_lo
; %bb.203:
	s_and_not1_saveexec_b32 s23, s23
; %bb.204:
	v_add_f32_e64 v3, 0x46800000, |v2|
; %bb.205:
	s_or_b32 exec_lo, exec_lo, s23
                                        ; implicit-def: $vgpr4
.LBB78_206:
	s_and_not1_saveexec_b32 s22, s22
; %bb.207:
	v_mov_b32_e32 v3, 0x7f
	v_cmp_lt_u32_e32 vcc_lo, 0x7f800000, v4
	s_delay_alu instid0(VALU_DEP_2)
	v_cndmask_b32_e32 v3, 0x7e, v3, vcc_lo
; %bb.208:
	s_or_b32 exec_lo, exec_lo, s22
	v_lshrrev_b32_e32 v2, 24, v2
	s_delay_alu instid0(VALU_DEP_1)
	v_and_or_b32 v2, 0x80, v2, v3
	global_store_b8 v[0:1], v2, off
.LBB78_209:
	s_mov_b32 s22, 0
.LBB78_210:
	s_delay_alu instid0(SALU_CYCLE_1)
	s_and_not1_b32 vcc_lo, exec_lo, s22
	s_cbranch_vccnz .LBB78_220
; %bb.211:
	s_wait_xcnt 0x0
	v_bfe_i32 v2, v5, 0, 16
	s_mov_b32 s22, exec_lo
                                        ; implicit-def: $vgpr3
	s_delay_alu instid0(VALU_DEP_1) | instskip(NEXT) | instid1(VALU_DEP_1)
	v_cvt_f32_i32_e32 v2, v2
	v_and_b32_e32 v4, 0x7fffffff, v2
	s_delay_alu instid0(VALU_DEP_1)
	v_cmpx_gt_u32_e32 0x47800000, v4
	s_xor_b32 s22, exec_lo, s22
	s_cbranch_execz .LBB78_217
; %bb.212:
	s_mov_b32 s23, exec_lo
                                        ; implicit-def: $vgpr3
	v_cmpx_lt_u32_e32 0x387fffff, v4
	s_xor_b32 s23, exec_lo, s23
; %bb.213:
	v_bfe_u32 v3, v2, 21, 1
	s_delay_alu instid0(VALU_DEP_1) | instskip(NEXT) | instid1(VALU_DEP_1)
	v_add3_u32 v3, v2, v3, 0x80fffff
	v_lshrrev_b32_e32 v3, 21, v3
; %bb.214:
	s_and_not1_saveexec_b32 s23, s23
; %bb.215:
	v_add_f32_e64 v3, 0x43000000, |v2|
; %bb.216:
	s_or_b32 exec_lo, exec_lo, s23
                                        ; implicit-def: $vgpr4
.LBB78_217:
	s_and_not1_saveexec_b32 s22, s22
; %bb.218:
	v_mov_b32_e32 v3, 0x7f
	v_cmp_lt_u32_e32 vcc_lo, 0x7f800000, v4
	s_delay_alu instid0(VALU_DEP_2)
	v_cndmask_b32_e32 v3, 0x7c, v3, vcc_lo
; %bb.219:
	s_or_b32 exec_lo, exec_lo, s22
	v_lshrrev_b32_e32 v2, 24, v2
	s_delay_alu instid0(VALU_DEP_1)
	v_and_or_b32 v2, 0x80, v2, v3
	global_store_b8 v[0:1], v2, off
.LBB78_220:
	s_mov_b32 s23, 0
	s_mov_b32 s22, -1
.LBB78_221:
	s_and_not1_b32 vcc_lo, exec_lo, s23
	s_cbranch_vccnz .LBB78_229
; %bb.222:
	s_cmp_gt_i32 s21, 14
	s_mov_b32 s23, -1
	s_cbranch_scc0 .LBB78_226
; %bb.223:
	s_cmp_eq_u32 s21, 15
	s_mov_b32 s0, -1
	s_cbranch_scc0 .LBB78_225
; %bb.224:
	s_wait_xcnt 0x0
	v_bfe_i32 v2, v5, 0, 16
	s_mov_b32 s22, -1
	s_mov_b32 s0, 0
	s_delay_alu instid0(VALU_DEP_1) | instskip(NEXT) | instid1(VALU_DEP_1)
	v_cvt_f32_i32_e32 v2, v2
	v_bfe_u32 v3, v2, 16, 1
	s_delay_alu instid0(VALU_DEP_1)
	v_add3_u32 v2, v2, v3, 0x7fff
	global_store_d16_hi_b16 v[0:1], v2, off
.LBB78_225:
	s_mov_b32 s23, 0
.LBB78_226:
	s_delay_alu instid0(SALU_CYCLE_1)
	s_and_b32 vcc_lo, exec_lo, s23
	s_cbranch_vccz .LBB78_229
; %bb.227:
	s_cmp_eq_u32 s21, 11
	s_mov_b32 s0, -1
	s_cbranch_scc0 .LBB78_229
; %bb.228:
	v_cmp_ne_u16_e32 vcc_lo, 0, v5
	s_mov_b32 s0, 0
	s_mov_b32 s22, -1
	s_wait_xcnt 0x0
	v_cndmask_b32_e64 v2, 0, 1, vcc_lo
	global_store_b8 v[0:1], v2, off
.LBB78_229:
	s_mov_b32 s21, 0
.LBB78_230:
	s_delay_alu instid0(SALU_CYCLE_1)
	s_and_b32 vcc_lo, exec_lo, s21
	s_cbranch_vccz .LBB78_269
; %bb.231:
	s_and_b32 s15, 0xffff, s15
	s_mov_b32 s21, -1
	s_cmp_lt_i32 s15, 5
	s_cbranch_scc1 .LBB78_252
; %bb.232:
	s_cmp_lt_i32 s15, 8
	s_cbranch_scc1 .LBB78_242
; %bb.233:
	;; [unrolled: 3-line block ×3, first 2 shown]
	s_cmp_gt_i32 s15, 9
	s_cbranch_scc0 .LBB78_236
; %bb.235:
	s_wait_xcnt 0x0
	v_bfe_i32 v2, v5, 0, 16
	v_mov_b32_e32 v8, 0
	s_mov_b32 s21, 0
	s_delay_alu instid0(VALU_DEP_2) | instskip(NEXT) | instid1(VALU_DEP_2)
	v_cvt_f64_i32_e32 v[6:7], v2
	v_mov_b32_e32 v9, v8
	global_store_b128 v[0:1], v[6:9], off
.LBB78_236:
	s_and_not1_b32 vcc_lo, exec_lo, s21
	s_cbranch_vccnz .LBB78_238
; %bb.237:
	s_wait_xcnt 0x0
	v_bfe_i32 v2, v5, 0, 16
	v_mov_b32_e32 v3, 0
	s_delay_alu instid0(VALU_DEP_2)
	v_cvt_f32_i32_e32 v2, v2
	global_store_b64 v[0:1], v[2:3], off
.LBB78_238:
	s_mov_b32 s21, 0
.LBB78_239:
	s_delay_alu instid0(SALU_CYCLE_1)
	s_and_not1_b32 vcc_lo, exec_lo, s21
	s_cbranch_vccnz .LBB78_241
; %bb.240:
	s_wait_xcnt 0x0
	v_cvt_f16_i16_e32 v2, v5
	s_delay_alu instid0(VALU_DEP_1)
	v_and_b32_e32 v2, 0xffff, v2
	global_store_b32 v[0:1], v2, off
.LBB78_241:
	s_mov_b32 s21, 0
.LBB78_242:
	s_delay_alu instid0(SALU_CYCLE_1)
	s_and_not1_b32 vcc_lo, exec_lo, s21
	s_cbranch_vccnz .LBB78_251
; %bb.243:
	s_cmp_lt_i32 s15, 6
	s_mov_b32 s21, -1
	s_cbranch_scc1 .LBB78_249
; %bb.244:
	s_cmp_gt_i32 s15, 6
	s_cbranch_scc0 .LBB78_246
; %bb.245:
	s_wait_xcnt 0x0
	v_bfe_i32 v2, v5, 0, 16
	s_mov_b32 s21, 0
	s_delay_alu instid0(VALU_DEP_1)
	v_cvt_f64_i32_e32 v[2:3], v2
	global_store_b64 v[0:1], v[2:3], off
.LBB78_246:
	s_and_not1_b32 vcc_lo, exec_lo, s21
	s_cbranch_vccnz .LBB78_248
; %bb.247:
	s_wait_xcnt 0x0
	v_bfe_i32 v2, v5, 0, 16
	s_delay_alu instid0(VALU_DEP_1)
	v_cvt_f32_i32_e32 v2, v2
	global_store_b32 v[0:1], v2, off
.LBB78_248:
	s_mov_b32 s21, 0
.LBB78_249:
	s_delay_alu instid0(SALU_CYCLE_1)
	s_and_not1_b32 vcc_lo, exec_lo, s21
	s_cbranch_vccnz .LBB78_251
; %bb.250:
	s_wait_xcnt 0x0
	v_cvt_f16_i16_e32 v2, v5
	global_store_b16 v[0:1], v2, off
.LBB78_251:
	s_mov_b32 s21, 0
.LBB78_252:
	s_delay_alu instid0(SALU_CYCLE_1)
	s_and_not1_b32 vcc_lo, exec_lo, s21
	s_cbranch_vccnz .LBB78_268
; %bb.253:
	s_cmp_lt_i32 s15, 2
	s_mov_b32 s21, -1
	s_cbranch_scc1 .LBB78_263
; %bb.254:
	s_cmp_lt_i32 s15, 3
	s_cbranch_scc1 .LBB78_260
; %bb.255:
	s_wait_xcnt 0x0
	v_bfe_i32 v2, v5, 0, 16
	s_cmp_gt_i32 s15, 3
	s_cbranch_scc0 .LBB78_257
; %bb.256:
	s_delay_alu instid0(VALU_DEP_1)
	v_ashrrev_i32_e32 v3, 31, v2
	s_mov_b32 s21, 0
	global_store_b64 v[0:1], v[2:3], off
.LBB78_257:
	s_and_not1_b32 vcc_lo, exec_lo, s21
	s_cbranch_vccnz .LBB78_259
; %bb.258:
	global_store_b32 v[0:1], v2, off
.LBB78_259:
	s_mov_b32 s21, 0
.LBB78_260:
	s_delay_alu instid0(SALU_CYCLE_1)
	s_and_not1_b32 vcc_lo, exec_lo, s21
	s_cbranch_vccnz .LBB78_262
; %bb.261:
	global_store_b16 v[0:1], v5, off
.LBB78_262:
	s_mov_b32 s21, 0
.LBB78_263:
	s_delay_alu instid0(SALU_CYCLE_1)
	s_and_not1_b32 vcc_lo, exec_lo, s21
	s_cbranch_vccnz .LBB78_268
; %bb.264:
	s_cmp_gt_i32 s15, 0
	s_mov_b32 s15, -1
	s_cbranch_scc0 .LBB78_266
; %bb.265:
	s_mov_b32 s15, 0
	global_store_b8 v[0:1], v5, off
.LBB78_266:
	s_and_not1_b32 vcc_lo, exec_lo, s15
	s_cbranch_vccnz .LBB78_268
; %bb.267:
	global_store_b8 v[0:1], v5, off
.LBB78_268:
	s_mov_b32 s22, -1
.LBB78_269:
	s_delay_alu instid0(SALU_CYCLE_1)
	s_and_not1_b32 vcc_lo, exec_lo, s22
	s_cbranch_vccnz .LBB78_378
; %bb.270:
	v_add_nc_u32_e32 v10, 0x80, v10
	s_mov_b32 s21, -1
	s_branch .LBB78_379
.LBB78_271:
	s_mov_b32 s17, -1
                                        ; implicit-def: $vgpr4
.LBB78_272:
	s_mov_b32 s22, 0
.LBB78_273:
	s_delay_alu instid0(SALU_CYCLE_1)
	s_and_b32 vcc_lo, exec_lo, s22
	s_cbranch_vccz .LBB78_277
; %bb.274:
	s_cmp_eq_u32 s15, 29
	s_cbranch_scc0 .LBB78_276
; %bb.275:
	global_load_b64 v[4:5], v[2:3], off
	s_mov_b32 s21, -1
	s_mov_b32 s17, 0
	s_branch .LBB78_277
.LBB78_276:
	s_mov_b32 s17, -1
                                        ; implicit-def: $vgpr4
.LBB78_277:
	s_mov_b32 s22, 0
.LBB78_278:
	s_delay_alu instid0(SALU_CYCLE_1)
	s_and_b32 vcc_lo, exec_lo, s22
	s_cbranch_vccz .LBB78_294
; %bb.279:
	s_cmp_lt_i32 s15, 27
	s_cbranch_scc1 .LBB78_282
; %bb.280:
	s_cmp_gt_i32 s15, 27
	s_cbranch_scc0 .LBB78_283
; %bb.281:
	s_wait_loadcnt 0x0
	global_load_b32 v4, v[2:3], off
	s_mov_b32 s21, 0
	s_branch .LBB78_284
.LBB78_282:
	s_mov_b32 s21, -1
                                        ; implicit-def: $vgpr4
	s_branch .LBB78_287
.LBB78_283:
	s_mov_b32 s21, -1
                                        ; implicit-def: $vgpr4
.LBB78_284:
	s_delay_alu instid0(SALU_CYCLE_1)
	s_and_not1_b32 vcc_lo, exec_lo, s21
	s_cbranch_vccnz .LBB78_286
; %bb.285:
	s_wait_loadcnt 0x0
	global_load_u16 v4, v[2:3], off
.LBB78_286:
	s_mov_b32 s21, 0
.LBB78_287:
	s_delay_alu instid0(SALU_CYCLE_1)
	s_and_not1_b32 vcc_lo, exec_lo, s21
	s_cbranch_vccnz .LBB78_293
; %bb.288:
	s_wait_loadcnt 0x0
	global_load_u8 v1, v[2:3], off
	s_mov_b32 s22, 0
	s_mov_b32 s21, exec_lo
	s_wait_loadcnt 0x0
	v_cmpx_lt_i16_e32 0x7f, v1
	s_xor_b32 s21, exec_lo, s21
	s_cbranch_execz .LBB78_305
; %bb.289:
	v_cmp_ne_u16_e32 vcc_lo, 0x80, v1
	s_and_b32 s22, vcc_lo, exec_lo
	s_and_not1_saveexec_b32 s21, s21
	s_cbranch_execnz .LBB78_306
.LBB78_290:
	s_or_b32 exec_lo, exec_lo, s21
	v_mov_b32_e32 v4, 0
	s_and_saveexec_b32 s21, s22
	s_cbranch_execz .LBB78_292
.LBB78_291:
	v_and_b32_e32 v4, 0xffff, v1
	s_delay_alu instid0(VALU_DEP_1) | instskip(SKIP_1) | instid1(VALU_DEP_2)
	v_and_b32_e32 v5, 7, v4
	v_bfe_u32 v8, v4, 3, 4
	v_clz_i32_u32_e32 v6, v5
	s_delay_alu instid0(VALU_DEP_2) | instskip(NEXT) | instid1(VALU_DEP_2)
	v_cmp_eq_u32_e32 vcc_lo, 0, v8
	v_min_u32_e32 v6, 32, v6
	s_delay_alu instid0(VALU_DEP_1) | instskip(NEXT) | instid1(VALU_DEP_1)
	v_subrev_nc_u32_e32 v7, 28, v6
	v_dual_lshlrev_b32 v4, v7, v4 :: v_dual_sub_nc_u32 v6, 29, v6
	s_delay_alu instid0(VALU_DEP_1) | instskip(NEXT) | instid1(VALU_DEP_1)
	v_dual_lshlrev_b32 v1, 24, v1 :: v_dual_bitop2_b32 v4, 7, v4 bitop3:0x40
	v_dual_cndmask_b32 v6, v8, v6, vcc_lo :: v_dual_cndmask_b32 v4, v5, v4, vcc_lo
	s_delay_alu instid0(VALU_DEP_2) | instskip(NEXT) | instid1(VALU_DEP_2)
	v_and_b32_e32 v1, 0x80000000, v1
	v_lshl_add_u32 v5, v6, 23, 0x3b800000
	s_delay_alu instid0(VALU_DEP_3) | instskip(NEXT) | instid1(VALU_DEP_1)
	v_lshlrev_b32_e32 v4, 20, v4
	v_or3_b32 v1, v1, v5, v4
	s_delay_alu instid0(VALU_DEP_1)
	v_cvt_i32_f32_e32 v4, v1
.LBB78_292:
	s_or_b32 exec_lo, exec_lo, s21
.LBB78_293:
	s_mov_b32 s21, -1
.LBB78_294:
	s_mov_b32 s22, 0
.LBB78_295:
	s_delay_alu instid0(SALU_CYCLE_1)
	s_and_b32 vcc_lo, exec_lo, s22
	s_cbranch_vccz .LBB78_328
; %bb.296:
	s_cmp_gt_i32 s15, 22
	s_cbranch_scc0 .LBB78_304
; %bb.297:
	s_cmp_lt_i32 s15, 24
	s_cbranch_scc1 .LBB78_307
; %bb.298:
	s_cmp_gt_i32 s15, 24
	s_cbranch_scc0 .LBB78_308
; %bb.299:
	s_wait_loadcnt 0x0
	global_load_u8 v1, v[2:3], off
	s_mov_b32 s22, 0
	s_mov_b32 s21, exec_lo
	s_wait_loadcnt 0x0
	v_cmpx_lt_i16_e32 0x7f, v1
	s_xor_b32 s21, exec_lo, s21
	s_cbranch_execz .LBB78_320
; %bb.300:
	v_cmp_ne_u16_e32 vcc_lo, 0x80, v1
	s_and_b32 s22, vcc_lo, exec_lo
	s_and_not1_saveexec_b32 s21, s21
	s_cbranch_execnz .LBB78_321
.LBB78_301:
	s_or_b32 exec_lo, exec_lo, s21
	v_mov_b32_e32 v4, 0
	s_and_saveexec_b32 s21, s22
	s_cbranch_execz .LBB78_303
.LBB78_302:
	v_and_b32_e32 v4, 0xffff, v1
	s_delay_alu instid0(VALU_DEP_1) | instskip(SKIP_1) | instid1(VALU_DEP_2)
	v_and_b32_e32 v5, 3, v4
	v_bfe_u32 v8, v4, 2, 5
	v_clz_i32_u32_e32 v6, v5
	s_delay_alu instid0(VALU_DEP_2) | instskip(NEXT) | instid1(VALU_DEP_2)
	v_cmp_eq_u32_e32 vcc_lo, 0, v8
	v_min_u32_e32 v6, 32, v6
	s_delay_alu instid0(VALU_DEP_1) | instskip(NEXT) | instid1(VALU_DEP_1)
	v_subrev_nc_u32_e32 v7, 29, v6
	v_dual_lshlrev_b32 v4, v7, v4 :: v_dual_sub_nc_u32 v6, 30, v6
	s_delay_alu instid0(VALU_DEP_1) | instskip(NEXT) | instid1(VALU_DEP_1)
	v_dual_lshlrev_b32 v1, 24, v1 :: v_dual_bitop2_b32 v4, 3, v4 bitop3:0x40
	v_dual_cndmask_b32 v6, v8, v6, vcc_lo :: v_dual_cndmask_b32 v4, v5, v4, vcc_lo
	s_delay_alu instid0(VALU_DEP_2) | instskip(NEXT) | instid1(VALU_DEP_2)
	v_and_b32_e32 v1, 0x80000000, v1
	v_lshl_add_u32 v5, v6, 23, 0x37800000
	s_delay_alu instid0(VALU_DEP_3) | instskip(NEXT) | instid1(VALU_DEP_1)
	v_lshlrev_b32_e32 v4, 21, v4
	v_or3_b32 v1, v1, v5, v4
	s_delay_alu instid0(VALU_DEP_1)
	v_cvt_i32_f32_e32 v4, v1
.LBB78_303:
	s_or_b32 exec_lo, exec_lo, s21
	s_mov_b32 s21, 0
	s_branch .LBB78_309
.LBB78_304:
	s_mov_b32 s22, -1
                                        ; implicit-def: $vgpr4
	s_branch .LBB78_315
.LBB78_305:
	s_and_not1_saveexec_b32 s21, s21
	s_cbranch_execz .LBB78_290
.LBB78_306:
	v_cmp_ne_u16_e32 vcc_lo, 0, v1
	s_and_not1_b32 s22, s22, exec_lo
	s_and_b32 s23, vcc_lo, exec_lo
	s_delay_alu instid0(SALU_CYCLE_1)
	s_or_b32 s22, s22, s23
	s_or_b32 exec_lo, exec_lo, s21
	v_mov_b32_e32 v4, 0
	s_and_saveexec_b32 s21, s22
	s_cbranch_execnz .LBB78_291
	s_branch .LBB78_292
.LBB78_307:
	s_mov_b32 s21, -1
                                        ; implicit-def: $vgpr4
	s_branch .LBB78_312
.LBB78_308:
	s_mov_b32 s21, -1
                                        ; implicit-def: $vgpr4
.LBB78_309:
	s_delay_alu instid0(SALU_CYCLE_1)
	s_and_b32 vcc_lo, exec_lo, s21
	s_cbranch_vccz .LBB78_311
; %bb.310:
	s_wait_loadcnt 0x0
	global_load_u8 v1, v[2:3], off
	s_wait_loadcnt 0x0
	v_lshlrev_b32_e32 v1, 24, v1
	s_delay_alu instid0(VALU_DEP_1) | instskip(NEXT) | instid1(VALU_DEP_1)
	v_and_b32_e32 v4, 0x7f000000, v1
	v_clz_i32_u32_e32 v5, v4
	v_cmp_ne_u32_e32 vcc_lo, 0, v4
	v_add_nc_u32_e32 v7, 0x1000000, v4
	s_delay_alu instid0(VALU_DEP_3) | instskip(NEXT) | instid1(VALU_DEP_1)
	v_min_u32_e32 v5, 32, v5
	v_sub_nc_u32_e64 v5, v5, 4 clamp
	s_delay_alu instid0(VALU_DEP_1) | instskip(NEXT) | instid1(VALU_DEP_1)
	v_dual_lshlrev_b32 v6, v5, v4 :: v_dual_lshlrev_b32 v5, 23, v5
	v_lshrrev_b32_e32 v6, 4, v6
	s_delay_alu instid0(VALU_DEP_1) | instskip(NEXT) | instid1(VALU_DEP_1)
	v_dual_sub_nc_u32 v5, v6, v5 :: v_dual_ashrrev_i32 v6, 8, v7
	v_add_nc_u32_e32 v5, 0x3c000000, v5
	s_delay_alu instid0(VALU_DEP_1) | instskip(NEXT) | instid1(VALU_DEP_1)
	v_and_or_b32 v5, 0x7f800000, v6, v5
	v_cndmask_b32_e32 v4, 0, v5, vcc_lo
	s_delay_alu instid0(VALU_DEP_1) | instskip(NEXT) | instid1(VALU_DEP_1)
	v_and_or_b32 v1, 0x80000000, v1, v4
	v_cvt_i32_f32_e32 v4, v1
.LBB78_311:
	s_mov_b32 s21, 0
.LBB78_312:
	s_delay_alu instid0(SALU_CYCLE_1)
	s_and_not1_b32 vcc_lo, exec_lo, s21
	s_cbranch_vccnz .LBB78_314
; %bb.313:
	s_wait_loadcnt 0x0
	global_load_u8 v1, v[2:3], off
	s_wait_loadcnt 0x0
	v_lshlrev_b32_e32 v4, 25, v1
	v_lshlrev_b16 v1, 8, v1
	s_delay_alu instid0(VALU_DEP_1) | instskip(SKIP_1) | instid1(VALU_DEP_2)
	v_and_or_b32 v6, 0x7f00, v1, 0.5
	v_bfe_i32 v1, v1, 0, 16
	v_dual_add_f32 v6, -0.5, v6 :: v_dual_lshrrev_b32 v5, 4, v4
	v_cmp_gt_u32_e32 vcc_lo, 0x8000000, v4
	s_delay_alu instid0(VALU_DEP_2) | instskip(NEXT) | instid1(VALU_DEP_1)
	v_or_b32_e32 v5, 0x70000000, v5
	v_mul_f32_e32 v5, 0x7800000, v5
	s_delay_alu instid0(VALU_DEP_1) | instskip(NEXT) | instid1(VALU_DEP_1)
	v_cndmask_b32_e32 v4, v5, v6, vcc_lo
	v_and_or_b32 v1, 0x80000000, v1, v4
	s_delay_alu instid0(VALU_DEP_1)
	v_cvt_i32_f32_e32 v4, v1
.LBB78_314:
	s_mov_b32 s22, 0
	s_mov_b32 s21, -1
.LBB78_315:
	s_and_not1_b32 vcc_lo, exec_lo, s22
	s_cbranch_vccnz .LBB78_328
; %bb.316:
	s_cmp_gt_i32 s15, 14
	s_cbranch_scc0 .LBB78_319
; %bb.317:
	s_cmp_eq_u32 s15, 15
	s_cbranch_scc0 .LBB78_322
; %bb.318:
	s_wait_loadcnt 0x0
	global_load_u16 v1, v[2:3], off
	s_mov_b32 s21, -1
	s_mov_b32 s17, 0
	s_wait_loadcnt 0x0
	v_lshlrev_b32_e32 v1, 16, v1
	s_delay_alu instid0(VALU_DEP_1)
	v_cvt_i32_f32_e32 v4, v1
	s_branch .LBB78_323
.LBB78_319:
	s_mov_b32 s22, -1
                                        ; implicit-def: $vgpr4
	s_branch .LBB78_324
.LBB78_320:
	s_and_not1_saveexec_b32 s21, s21
	s_cbranch_execz .LBB78_301
.LBB78_321:
	v_cmp_ne_u16_e32 vcc_lo, 0, v1
	s_and_not1_b32 s22, s22, exec_lo
	s_and_b32 s23, vcc_lo, exec_lo
	s_delay_alu instid0(SALU_CYCLE_1)
	s_or_b32 s22, s22, s23
	s_or_b32 exec_lo, exec_lo, s21
	v_mov_b32_e32 v4, 0
	s_and_saveexec_b32 s21, s22
	s_cbranch_execnz .LBB78_302
	s_branch .LBB78_303
.LBB78_322:
	s_mov_b32 s17, -1
                                        ; implicit-def: $vgpr4
.LBB78_323:
	s_mov_b32 s22, 0
.LBB78_324:
	s_delay_alu instid0(SALU_CYCLE_1)
	s_and_b32 vcc_lo, exec_lo, s22
	s_cbranch_vccz .LBB78_328
; %bb.325:
	s_cmp_eq_u32 s15, 11
	s_cbranch_scc0 .LBB78_327
; %bb.326:
	s_wait_loadcnt 0x0
	global_load_u8 v1, v[2:3], off
	s_mov_b32 s17, 0
	s_mov_b32 s21, -1
	s_wait_loadcnt 0x0
	v_cmp_ne_u16_e32 vcc_lo, 0, v1
	v_cndmask_b32_e64 v4, 0, 1, vcc_lo
	s_branch .LBB78_328
.LBB78_327:
	s_mov_b32 s17, -1
                                        ; implicit-def: $vgpr4
.LBB78_328:
	s_branch .LBB78_20
.LBB78_329:
	s_and_b32 s0, 0xffff, s0
	s_delay_alu instid0(SALU_CYCLE_1)
	s_cmp_lt_i32 s0, 5
	s_cbranch_scc1 .LBB78_334
; %bb.330:
	s_cmp_lt_i32 s0, 8
	s_cbranch_scc1 .LBB78_335
; %bb.331:
	;; [unrolled: 3-line block ×3, first 2 shown]
	s_cmp_gt_i32 s0, 9
	s_cbranch_scc0 .LBB78_337
; %bb.333:
	s_wait_loadcnt 0x0
	global_load_b64 v[4:5], v[2:3], off
	s_mov_b32 s15, 0
	s_wait_loadcnt 0x0
	v_cvt_i32_f64_e32 v4, v[4:5]
	s_branch .LBB78_338
.LBB78_334:
	s_mov_b32 s15, -1
                                        ; implicit-def: $vgpr4
	s_branch .LBB78_356
.LBB78_335:
	s_mov_b32 s15, -1
                                        ; implicit-def: $vgpr4
	s_branch .LBB78_344
.LBB78_336:
	s_mov_b32 s15, -1
                                        ; implicit-def: $vgpr4
	s_branch .LBB78_341
.LBB78_337:
	s_mov_b32 s15, -1
                                        ; implicit-def: $vgpr4
.LBB78_338:
	s_delay_alu instid0(SALU_CYCLE_1)
	s_and_not1_b32 vcc_lo, exec_lo, s15
	s_cbranch_vccnz .LBB78_340
; %bb.339:
	s_wait_loadcnt 0x0
	global_load_b32 v1, v[2:3], off
	s_wait_loadcnt 0x0
	v_cvt_i32_f32_e32 v4, v1
.LBB78_340:
	s_mov_b32 s15, 0
.LBB78_341:
	s_delay_alu instid0(SALU_CYCLE_1)
	s_and_not1_b32 vcc_lo, exec_lo, s15
	s_cbranch_vccnz .LBB78_343
; %bb.342:
	s_wait_loadcnt 0x0
	global_load_b32 v1, v[2:3], off
	s_wait_loadcnt 0x0
	v_cvt_i16_f16_e32 v4, v1
.LBB78_343:
	s_mov_b32 s15, 0
.LBB78_344:
	s_delay_alu instid0(SALU_CYCLE_1)
	s_and_not1_b32 vcc_lo, exec_lo, s15
	s_cbranch_vccnz .LBB78_355
; %bb.345:
	s_cmp_lt_i32 s0, 6
	s_cbranch_scc1 .LBB78_348
; %bb.346:
	s_cmp_gt_i32 s0, 6
	s_cbranch_scc0 .LBB78_349
; %bb.347:
	s_wait_loadcnt 0x0
	global_load_b64 v[4:5], v[2:3], off
	s_mov_b32 s15, 0
	s_wait_loadcnt 0x0
	v_cvt_i32_f64_e32 v4, v[4:5]
	s_branch .LBB78_350
.LBB78_348:
	s_mov_b32 s15, -1
                                        ; implicit-def: $vgpr4
	s_branch .LBB78_353
.LBB78_349:
	s_mov_b32 s15, -1
                                        ; implicit-def: $vgpr4
.LBB78_350:
	s_delay_alu instid0(SALU_CYCLE_1)
	s_and_not1_b32 vcc_lo, exec_lo, s15
	s_cbranch_vccnz .LBB78_352
; %bb.351:
	s_wait_loadcnt 0x0
	global_load_b32 v1, v[2:3], off
	s_wait_loadcnt 0x0
	v_cvt_i32_f32_e32 v4, v1
.LBB78_352:
	s_mov_b32 s15, 0
.LBB78_353:
	s_delay_alu instid0(SALU_CYCLE_1)
	s_and_not1_b32 vcc_lo, exec_lo, s15
	s_cbranch_vccnz .LBB78_355
; %bb.354:
	s_wait_loadcnt 0x0
	global_load_u16 v1, v[2:3], off
	s_wait_loadcnt 0x0
	v_cvt_i16_f16_e32 v4, v1
.LBB78_355:
	s_mov_b32 s15, 0
.LBB78_356:
	s_delay_alu instid0(SALU_CYCLE_1)
	s_and_not1_b32 vcc_lo, exec_lo, s15
	s_cbranch_vccnz .LBB78_376
; %bb.357:
	s_cmp_lt_i32 s0, 2
	s_cbranch_scc1 .LBB78_361
; %bb.358:
	s_cmp_lt_i32 s0, 3
	s_cbranch_scc1 .LBB78_362
; %bb.359:
	s_cmp_gt_i32 s0, 3
	s_cbranch_scc0 .LBB78_363
; %bb.360:
	s_wait_loadcnt 0x0
	global_load_b64 v[4:5], v[2:3], off
	s_mov_b32 s15, 0
	s_branch .LBB78_364
.LBB78_361:
	s_mov_b32 s15, -1
                                        ; implicit-def: $vgpr4
	s_branch .LBB78_370
.LBB78_362:
	s_mov_b32 s15, -1
                                        ; implicit-def: $vgpr4
	s_branch .LBB78_367
.LBB78_363:
	s_mov_b32 s15, -1
                                        ; implicit-def: $vgpr4
.LBB78_364:
	s_delay_alu instid0(SALU_CYCLE_1)
	s_and_not1_b32 vcc_lo, exec_lo, s15
	s_cbranch_vccnz .LBB78_366
; %bb.365:
	s_wait_loadcnt 0x0
	global_load_b32 v4, v[2:3], off
.LBB78_366:
	s_mov_b32 s15, 0
.LBB78_367:
	s_delay_alu instid0(SALU_CYCLE_1)
	s_and_not1_b32 vcc_lo, exec_lo, s15
	s_cbranch_vccnz .LBB78_369
; %bb.368:
	s_wait_loadcnt 0x0
	global_load_u16 v4, v[2:3], off
.LBB78_369:
	s_mov_b32 s15, 0
.LBB78_370:
	s_delay_alu instid0(SALU_CYCLE_1)
	s_and_not1_b32 vcc_lo, exec_lo, s15
	s_cbranch_vccnz .LBB78_376
; %bb.371:
	s_cmp_gt_i32 s0, 0
	s_mov_b32 s0, 0
	s_cbranch_scc0 .LBB78_373
; %bb.372:
	s_wait_loadcnt 0x0
	global_load_i8 v4, v[2:3], off
	s_branch .LBB78_374
.LBB78_373:
	s_mov_b32 s0, -1
                                        ; implicit-def: $vgpr4
.LBB78_374:
	s_delay_alu instid0(SALU_CYCLE_1)
	s_and_not1_b32 vcc_lo, exec_lo, s0
	s_cbranch_vccnz .LBB78_376
; %bb.375:
	s_wait_loadcnt 0x0
	global_load_u8 v4, v[2:3], off
.LBB78_376:
	s_branch .LBB78_21
.LBB78_377:
	s_mov_b32 s0, 0
.LBB78_378:
	s_mov_b32 s21, 0
                                        ; implicit-def: $vgpr10
.LBB78_379:
	s_and_b32 s15, s0, exec_lo
	s_and_b32 s17, s17, exec_lo
	s_and_b32 s18, s18, exec_lo
	s_or_not1_b32 s23, s21, exec_lo
.LBB78_380:
	s_wait_xcnt 0x0
	s_or_b32 exec_lo, exec_lo, s19
	s_mov_b32 s22, 0
	s_mov_b32 s21, 0
                                        ; implicit-def: $sgpr0
                                        ; implicit-def: $vgpr2_vgpr3
                                        ; implicit-def: $vgpr0
	s_and_saveexec_b32 s19, s23
	s_cbranch_execz .LBB78_389
; %bb.381:
	s_mov_b32 s25, -1
	s_mov_b32 s20, s18
	s_mov_b32 s22, s17
	;; [unrolled: 1-line block ×3, first 2 shown]
	s_mov_b32 s23, exec_lo
	v_cmpx_gt_i32_e64 s16, v10
	s_cbranch_execz .LBB78_771
; %bb.382:
	s_wait_loadcnt 0x0
	v_mul_lo_u32 v0, v10, s9
	s_and_b32 s0, s13, 0xff
	s_delay_alu instid0(SALU_CYCLE_1) | instskip(NEXT) | instid1(VALU_DEP_1)
	s_cmp_lt_i32 s0, 11
	v_ashrrev_i32_e32 v1, 31, v0
	s_delay_alu instid0(VALU_DEP_1)
	v_add_nc_u64_e32 v[2:3], s[6:7], v[0:1]
	s_cbranch_scc1 .LBB78_392
; %bb.383:
	s_and_b32 s21, 0xffff, s0
	s_delay_alu instid0(SALU_CYCLE_1)
	s_cmp_gt_i32 s21, 25
	s_cbranch_scc0 .LBB78_401
; %bb.384:
	s_cmp_gt_i32 s21, 28
	s_cbranch_scc0 .LBB78_403
; %bb.385:
	s_cmp_gt_i32 s21, 43
	s_cbranch_scc0 .LBB78_405
; %bb.386:
	s_cmp_gt_i32 s21, 45
	s_cbranch_scc0 .LBB78_407
; %bb.387:
	s_cmp_eq_u32 s21, 46
	s_mov_b32 s24, 0
	s_cbranch_scc0 .LBB78_411
; %bb.388:
	global_load_b32 v0, v[2:3], off
	s_mov_b32 s22, -1
	s_mov_b32 s20, 0
	s_wait_loadcnt 0x0
	v_lshlrev_b32_e32 v0, 16, v0
	s_delay_alu instid0(VALU_DEP_1)
	v_cvt_i32_f32_e32 v0, v0
	s_branch .LBB78_413
.LBB78_389:
	s_or_b32 exec_lo, exec_lo, s19
	s_mov_b32 s16, 0
	s_and_saveexec_b32 s19, s18
	s_cbranch_execnz .LBB78_1241
.LBB78_390:
	s_or_b32 exec_lo, exec_lo, s19
	s_and_saveexec_b32 s18, s20
	s_delay_alu instid0(SALU_CYCLE_1)
	s_xor_b32 s18, exec_lo, s18
	s_cbranch_execz .LBB78_1242
.LBB78_391:
	s_wait_loadcnt 0x0
	global_load_u8 v0, v[2:3], off
	s_or_b32 s21, s21, exec_lo
	s_wait_loadcnt 0x0
	v_cmp_ne_u16_e32 vcc_lo, 0, v0
	v_cndmask_b32_e64 v0, 0, 1, vcc_lo
	s_wait_xcnt 0x0
	s_or_b32 exec_lo, exec_lo, s18
	s_and_saveexec_b32 s18, s22
	s_cbranch_execz .LBB78_1288
	s_branch .LBB78_1243
.LBB78_392:
	s_mov_b32 s22, 0
	s_mov_b32 s20, s18
                                        ; implicit-def: $vgpr0
	s_cbranch_execnz .LBB78_475
.LBB78_393:
	s_and_not1_b32 vcc_lo, exec_lo, s22
	s_cbranch_vccnz .LBB78_523
.LBB78_394:
	s_wait_xcnt 0x0
	v_mul_lo_u32 v2, v10, s10
	s_and_b32 s0, s1, 0xff
	s_delay_alu instid0(SALU_CYCLE_1) | instskip(NEXT) | instid1(VALU_DEP_1)
	s_cmp_lt_i32 s0, 11
	v_ashrrev_i32_e32 v3, 31, v2
	s_delay_alu instid0(VALU_DEP_1)
	v_add_nc_u64_e32 v[2:3], s[2:3], v[2:3]
	s_cbranch_scc1 .LBB78_402
; %bb.395:
	s_and_b32 s21, 0xffff, s0
	s_delay_alu instid0(SALU_CYCLE_1)
	s_cmp_gt_i32 s21, 25
	s_cbranch_scc0 .LBB78_404
; %bb.396:
	s_cmp_gt_i32 s21, 28
	s_cbranch_scc0 .LBB78_406
; %bb.397:
	;; [unrolled: 3-line block ×4, first 2 shown]
	s_cmp_eq_u32 s21, 46
	s_mov_b32 s25, 0
	s_cbranch_scc0 .LBB78_526
; %bb.400:
	s_wait_loadcnt 0x0
	global_load_b32 v1, v[2:3], off
	s_mov_b32 s24, -1
	s_mov_b32 s22, 0
	s_wait_loadcnt 0x0
	v_lshlrev_b32_e32 v1, 16, v1
	s_delay_alu instid0(VALU_DEP_1)
	v_cvt_i32_f32_e32 v4, v1
	s_branch .LBB78_528
.LBB78_401:
	s_mov_b32 s24, -1
	s_mov_b32 s22, 0
	s_mov_b32 s20, s18
                                        ; implicit-def: $vgpr0
	s_branch .LBB78_441
.LBB78_402:
	s_mov_b32 s21, -1
	s_mov_b32 s24, 0
	s_mov_b32 s22, s17
                                        ; implicit-def: $vgpr4
	s_branch .LBB78_589
.LBB78_403:
	s_mov_b32 s24, -1
	s_mov_b32 s22, 0
	s_mov_b32 s20, s18
                                        ; implicit-def: $vgpr0
	s_branch .LBB78_424
.LBB78_404:
	s_mov_b32 s25, -1
	s_mov_b32 s24, 0
	s_mov_b32 s22, s17
                                        ; implicit-def: $vgpr4
	s_branch .LBB78_555
.LBB78_405:
	s_mov_b32 s24, -1
	s_mov_b32 s22, 0
	s_mov_b32 s20, s18
                                        ; implicit-def: $vgpr0
	s_branch .LBB78_419
.LBB78_406:
	s_mov_b32 s25, -1
	s_mov_b32 s24, 0
	s_mov_b32 s22, s17
                                        ; implicit-def: $vgpr4
	s_branch .LBB78_538
.LBB78_407:
	s_mov_b32 s24, -1
	s_mov_b32 s22, 0
	s_mov_b32 s20, s18
	s_branch .LBB78_412
.LBB78_408:
	s_mov_b32 s25, -1
	s_mov_b32 s24, 0
	s_mov_b32 s22, s17
                                        ; implicit-def: $vgpr4
	s_branch .LBB78_533
.LBB78_409:
	s_and_not1_saveexec_b32 s24, s24
	s_cbranch_execz .LBB78_182
.LBB78_410:
	v_add_f32_e64 v3, 0x46000000, |v2|
	s_and_not1_b32 s23, s23, exec_lo
	s_delay_alu instid0(VALU_DEP_1) | instskip(NEXT) | instid1(VALU_DEP_1)
	v_and_b32_e32 v3, 0xff, v3
	v_cmp_ne_u32_e32 vcc_lo, 0, v3
	s_and_b32 s25, vcc_lo, exec_lo
	s_delay_alu instid0(SALU_CYCLE_1)
	s_or_b32 s23, s23, s25
	s_or_b32 exec_lo, exec_lo, s24
	v_mov_b32_e32 v4, 0
	s_and_saveexec_b32 s24, s23
	s_cbranch_execnz .LBB78_183
	s_branch .LBB78_184
.LBB78_411:
	s_mov_b32 s20, -1
	s_mov_b32 s22, 0
.LBB78_412:
                                        ; implicit-def: $vgpr0
.LBB78_413:
	s_and_b32 vcc_lo, exec_lo, s24
	s_cbranch_vccz .LBB78_418
; %bb.414:
	s_cmp_eq_u32 s21, 44
	s_cbranch_scc0 .LBB78_417
; %bb.415:
	global_load_u8 v0, v[2:3], off
	s_mov_b32 s20, 0
	s_mov_b32 s22, -1
	s_wait_loadcnt 0x0
	v_lshlrev_b32_e32 v1, 23, v0
	v_cmp_ne_u32_e32 vcc_lo, 0, v0
	s_delay_alu instid0(VALU_DEP_2) | instskip(NEXT) | instid1(VALU_DEP_1)
	v_cvt_i32_f32_e32 v1, v1
	v_cndmask_b32_e32 v0, 0, v1, vcc_lo
	s_branch .LBB78_418
.LBB78_416:
	s_mov_b32 s25, -1
	s_mov_b32 s24, 0
	s_mov_b32 s22, s17
	s_branch .LBB78_527
.LBB78_417:
	s_mov_b32 s20, -1
                                        ; implicit-def: $vgpr0
.LBB78_418:
	s_mov_b32 s24, 0
.LBB78_419:
	s_delay_alu instid0(SALU_CYCLE_1)
	s_and_b32 vcc_lo, exec_lo, s24
	s_cbranch_vccz .LBB78_423
; %bb.420:
	s_cmp_eq_u32 s21, 29
	s_cbranch_scc0 .LBB78_422
; %bb.421:
	global_load_b64 v[0:1], v[2:3], off
	s_mov_b32 s22, -1
	s_mov_b32 s20, 0
	s_branch .LBB78_423
.LBB78_422:
	s_mov_b32 s20, -1
                                        ; implicit-def: $vgpr0
.LBB78_423:
	s_mov_b32 s24, 0
.LBB78_424:
	s_delay_alu instid0(SALU_CYCLE_1)
	s_and_b32 vcc_lo, exec_lo, s24
	s_cbranch_vccz .LBB78_440
; %bb.425:
	s_cmp_lt_i32 s21, 27
	s_cbranch_scc1 .LBB78_428
; %bb.426:
	s_cmp_gt_i32 s21, 27
	s_cbranch_scc0 .LBB78_429
; %bb.427:
	s_wait_loadcnt 0x0
	global_load_b32 v0, v[2:3], off
	s_mov_b32 s22, 0
	s_branch .LBB78_430
.LBB78_428:
	s_mov_b32 s22, -1
                                        ; implicit-def: $vgpr0
	s_branch .LBB78_433
.LBB78_429:
	s_mov_b32 s22, -1
                                        ; implicit-def: $vgpr0
.LBB78_430:
	s_delay_alu instid0(SALU_CYCLE_1)
	s_and_not1_b32 vcc_lo, exec_lo, s22
	s_cbranch_vccnz .LBB78_432
; %bb.431:
	s_wait_loadcnt 0x0
	global_load_u16 v0, v[2:3], off
.LBB78_432:
	s_mov_b32 s22, 0
.LBB78_433:
	s_delay_alu instid0(SALU_CYCLE_1)
	s_and_not1_b32 vcc_lo, exec_lo, s22
	s_cbranch_vccnz .LBB78_439
; %bb.434:
	s_wait_loadcnt 0x0
	global_load_u8 v1, v[2:3], off
	s_mov_b32 s24, 0
	s_mov_b32 s22, exec_lo
	s_wait_loadcnt 0x0
	v_cmpx_lt_i16_e32 0x7f, v1
	s_xor_b32 s22, exec_lo, s22
	s_cbranch_execz .LBB78_451
; %bb.435:
	v_cmp_ne_u16_e32 vcc_lo, 0x80, v1
	s_and_b32 s24, vcc_lo, exec_lo
	s_and_not1_saveexec_b32 s22, s22
	s_cbranch_execnz .LBB78_452
.LBB78_436:
	s_or_b32 exec_lo, exec_lo, s22
	v_mov_b32_e32 v0, 0
	s_and_saveexec_b32 s22, s24
	s_cbranch_execz .LBB78_438
.LBB78_437:
	v_and_b32_e32 v0, 0xffff, v1
	s_delay_alu instid0(VALU_DEP_1) | instskip(SKIP_1) | instid1(VALU_DEP_2)
	v_and_b32_e32 v4, 7, v0
	v_bfe_u32 v7, v0, 3, 4
	v_clz_i32_u32_e32 v5, v4
	s_delay_alu instid0(VALU_DEP_2) | instskip(NEXT) | instid1(VALU_DEP_2)
	v_cmp_eq_u32_e32 vcc_lo, 0, v7
	v_min_u32_e32 v5, 32, v5
	s_delay_alu instid0(VALU_DEP_1) | instskip(NEXT) | instid1(VALU_DEP_1)
	v_subrev_nc_u32_e32 v6, 28, v5
	v_dual_lshlrev_b32 v0, v6, v0 :: v_dual_sub_nc_u32 v5, 29, v5
	s_delay_alu instid0(VALU_DEP_1) | instskip(NEXT) | instid1(VALU_DEP_1)
	v_dual_lshlrev_b32 v1, 24, v1 :: v_dual_bitop2_b32 v0, 7, v0 bitop3:0x40
	v_dual_cndmask_b32 v0, v4, v0 :: v_dual_cndmask_b32 v5, v7, v5
	s_delay_alu instid0(VALU_DEP_2) | instskip(NEXT) | instid1(VALU_DEP_2)
	v_and_b32_e32 v1, 0x80000000, v1
	v_lshlrev_b32_e32 v0, 20, v0
	s_delay_alu instid0(VALU_DEP_3) | instskip(NEXT) | instid1(VALU_DEP_1)
	v_lshl_add_u32 v4, v5, 23, 0x3b800000
	v_or3_b32 v0, v1, v4, v0
	s_delay_alu instid0(VALU_DEP_1)
	v_cvt_i32_f32_e32 v0, v0
.LBB78_438:
	s_or_b32 exec_lo, exec_lo, s22
.LBB78_439:
	s_mov_b32 s22, -1
.LBB78_440:
	s_mov_b32 s24, 0
.LBB78_441:
	s_delay_alu instid0(SALU_CYCLE_1)
	s_and_b32 vcc_lo, exec_lo, s24
	s_cbranch_vccz .LBB78_474
; %bb.442:
	s_cmp_gt_i32 s21, 22
	s_cbranch_scc0 .LBB78_450
; %bb.443:
	s_cmp_lt_i32 s21, 24
	s_cbranch_scc1 .LBB78_453
; %bb.444:
	s_cmp_gt_i32 s21, 24
	s_cbranch_scc0 .LBB78_454
; %bb.445:
	s_wait_loadcnt 0x0
	global_load_u8 v1, v[2:3], off
	s_mov_b32 s24, 0
	s_mov_b32 s22, exec_lo
	s_wait_loadcnt 0x0
	v_cmpx_lt_i16_e32 0x7f, v1
	s_xor_b32 s22, exec_lo, s22
	s_cbranch_execz .LBB78_466
; %bb.446:
	v_cmp_ne_u16_e32 vcc_lo, 0x80, v1
	s_and_b32 s24, vcc_lo, exec_lo
	s_and_not1_saveexec_b32 s22, s22
	s_cbranch_execnz .LBB78_467
.LBB78_447:
	s_or_b32 exec_lo, exec_lo, s22
	v_mov_b32_e32 v0, 0
	s_and_saveexec_b32 s22, s24
	s_cbranch_execz .LBB78_449
.LBB78_448:
	v_and_b32_e32 v0, 0xffff, v1
	s_delay_alu instid0(VALU_DEP_1) | instskip(SKIP_1) | instid1(VALU_DEP_2)
	v_and_b32_e32 v4, 3, v0
	v_bfe_u32 v7, v0, 2, 5
	v_clz_i32_u32_e32 v5, v4
	s_delay_alu instid0(VALU_DEP_2) | instskip(NEXT) | instid1(VALU_DEP_2)
	v_cmp_eq_u32_e32 vcc_lo, 0, v7
	v_min_u32_e32 v5, 32, v5
	s_delay_alu instid0(VALU_DEP_1) | instskip(NEXT) | instid1(VALU_DEP_1)
	v_subrev_nc_u32_e32 v6, 29, v5
	v_dual_lshlrev_b32 v0, v6, v0 :: v_dual_sub_nc_u32 v5, 30, v5
	s_delay_alu instid0(VALU_DEP_1) | instskip(NEXT) | instid1(VALU_DEP_1)
	v_dual_lshlrev_b32 v1, 24, v1 :: v_dual_bitop2_b32 v0, 3, v0 bitop3:0x40
	v_dual_cndmask_b32 v0, v4, v0 :: v_dual_cndmask_b32 v5, v7, v5
	s_delay_alu instid0(VALU_DEP_2) | instskip(NEXT) | instid1(VALU_DEP_2)
	v_and_b32_e32 v1, 0x80000000, v1
	v_lshlrev_b32_e32 v0, 21, v0
	s_delay_alu instid0(VALU_DEP_3) | instskip(NEXT) | instid1(VALU_DEP_1)
	v_lshl_add_u32 v4, v5, 23, 0x37800000
	v_or3_b32 v0, v1, v4, v0
	s_delay_alu instid0(VALU_DEP_1)
	v_cvt_i32_f32_e32 v0, v0
.LBB78_449:
	s_or_b32 exec_lo, exec_lo, s22
	s_mov_b32 s22, 0
	s_branch .LBB78_455
.LBB78_450:
	s_mov_b32 s24, -1
                                        ; implicit-def: $vgpr0
	s_branch .LBB78_461
.LBB78_451:
	s_and_not1_saveexec_b32 s22, s22
	s_cbranch_execz .LBB78_436
.LBB78_452:
	v_cmp_ne_u16_e32 vcc_lo, 0, v1
	s_and_not1_b32 s24, s24, exec_lo
	s_and_b32 s25, vcc_lo, exec_lo
	s_delay_alu instid0(SALU_CYCLE_1)
	s_or_b32 s24, s24, s25
	s_or_b32 exec_lo, exec_lo, s22
	v_mov_b32_e32 v0, 0
	s_and_saveexec_b32 s22, s24
	s_cbranch_execnz .LBB78_437
	s_branch .LBB78_438
.LBB78_453:
	s_mov_b32 s22, -1
                                        ; implicit-def: $vgpr0
	s_branch .LBB78_458
.LBB78_454:
	s_mov_b32 s22, -1
                                        ; implicit-def: $vgpr0
.LBB78_455:
	s_delay_alu instid0(SALU_CYCLE_1)
	s_and_b32 vcc_lo, exec_lo, s22
	s_cbranch_vccz .LBB78_457
; %bb.456:
	s_wait_loadcnt 0x0
	global_load_u8 v0, v[2:3], off
	s_wait_loadcnt 0x0
	v_lshlrev_b32_e32 v0, 24, v0
	s_delay_alu instid0(VALU_DEP_1) | instskip(NEXT) | instid1(VALU_DEP_1)
	v_and_b32_e32 v1, 0x7f000000, v0
	v_clz_i32_u32_e32 v4, v1
	v_cmp_ne_u32_e32 vcc_lo, 0, v1
	v_add_nc_u32_e32 v6, 0x1000000, v1
	s_delay_alu instid0(VALU_DEP_3) | instskip(NEXT) | instid1(VALU_DEP_1)
	v_min_u32_e32 v4, 32, v4
	v_sub_nc_u32_e64 v4, v4, 4 clamp
	s_delay_alu instid0(VALU_DEP_1) | instskip(NEXT) | instid1(VALU_DEP_1)
	v_dual_lshlrev_b32 v5, v4, v1 :: v_dual_lshlrev_b32 v4, 23, v4
	v_lshrrev_b32_e32 v5, 4, v5
	s_delay_alu instid0(VALU_DEP_1) | instskip(NEXT) | instid1(VALU_DEP_1)
	v_dual_sub_nc_u32 v4, v5, v4 :: v_dual_ashrrev_i32 v5, 8, v6
	v_add_nc_u32_e32 v4, 0x3c000000, v4
	s_delay_alu instid0(VALU_DEP_1) | instskip(NEXT) | instid1(VALU_DEP_1)
	v_and_or_b32 v4, 0x7f800000, v5, v4
	v_cndmask_b32_e32 v1, 0, v4, vcc_lo
	s_delay_alu instid0(VALU_DEP_1) | instskip(NEXT) | instid1(VALU_DEP_1)
	v_and_or_b32 v0, 0x80000000, v0, v1
	v_cvt_i32_f32_e32 v0, v0
.LBB78_457:
	s_mov_b32 s22, 0
.LBB78_458:
	s_delay_alu instid0(SALU_CYCLE_1)
	s_and_not1_b32 vcc_lo, exec_lo, s22
	s_cbranch_vccnz .LBB78_460
; %bb.459:
	s_wait_loadcnt 0x0
	global_load_u8 v0, v[2:3], off
	s_wait_loadcnt 0x0
	v_lshlrev_b32_e32 v1, 25, v0
	v_lshlrev_b16 v0, 8, v0
	s_delay_alu instid0(VALU_DEP_1) | instskip(SKIP_1) | instid1(VALU_DEP_2)
	v_and_or_b32 v5, 0x7f00, v0, 0.5
	v_bfe_i32 v0, v0, 0, 16
	v_add_f32_e32 v5, -0.5, v5
	v_lshrrev_b32_e32 v4, 4, v1
	v_cmp_gt_u32_e32 vcc_lo, 0x8000000, v1
	s_delay_alu instid0(VALU_DEP_2) | instskip(NEXT) | instid1(VALU_DEP_1)
	v_or_b32_e32 v4, 0x70000000, v4
	v_mul_f32_e32 v4, 0x7800000, v4
	s_delay_alu instid0(VALU_DEP_1) | instskip(NEXT) | instid1(VALU_DEP_1)
	v_cndmask_b32_e32 v1, v4, v5, vcc_lo
	v_and_or_b32 v0, 0x80000000, v0, v1
	s_delay_alu instid0(VALU_DEP_1)
	v_cvt_i32_f32_e32 v0, v0
.LBB78_460:
	s_mov_b32 s24, 0
	s_mov_b32 s22, -1
.LBB78_461:
	s_and_not1_b32 vcc_lo, exec_lo, s24
	s_cbranch_vccnz .LBB78_474
; %bb.462:
	s_cmp_gt_i32 s21, 14
	s_cbranch_scc0 .LBB78_465
; %bb.463:
	s_cmp_eq_u32 s21, 15
	s_cbranch_scc0 .LBB78_468
; %bb.464:
	s_wait_loadcnt 0x0
	global_load_u16 v0, v[2:3], off
	s_mov_b32 s22, -1
	s_mov_b32 s20, 0
	s_wait_loadcnt 0x0
	v_lshlrev_b32_e32 v0, 16, v0
	s_delay_alu instid0(VALU_DEP_1)
	v_cvt_i32_f32_e32 v0, v0
	s_branch .LBB78_469
.LBB78_465:
	s_mov_b32 s24, -1
                                        ; implicit-def: $vgpr0
	s_branch .LBB78_470
.LBB78_466:
	s_and_not1_saveexec_b32 s22, s22
	s_cbranch_execz .LBB78_447
.LBB78_467:
	v_cmp_ne_u16_e32 vcc_lo, 0, v1
	s_and_not1_b32 s24, s24, exec_lo
	s_and_b32 s25, vcc_lo, exec_lo
	s_delay_alu instid0(SALU_CYCLE_1)
	s_or_b32 s24, s24, s25
	s_or_b32 exec_lo, exec_lo, s22
	v_mov_b32_e32 v0, 0
	s_and_saveexec_b32 s22, s24
	s_cbranch_execnz .LBB78_448
	s_branch .LBB78_449
.LBB78_468:
	s_mov_b32 s20, -1
                                        ; implicit-def: $vgpr0
.LBB78_469:
	s_mov_b32 s24, 0
.LBB78_470:
	s_delay_alu instid0(SALU_CYCLE_1)
	s_and_b32 vcc_lo, exec_lo, s24
	s_cbranch_vccz .LBB78_474
; %bb.471:
	s_cmp_eq_u32 s21, 11
	s_cbranch_scc0 .LBB78_473
; %bb.472:
	s_wait_loadcnt 0x0
	global_load_u8 v0, v[2:3], off
	s_mov_b32 s20, 0
	s_mov_b32 s22, -1
	s_wait_loadcnt 0x0
	v_cmp_ne_u16_e32 vcc_lo, 0, v0
	v_cndmask_b32_e64 v0, 0, 1, vcc_lo
	s_branch .LBB78_474
.LBB78_473:
	s_mov_b32 s20, -1
                                        ; implicit-def: $vgpr0
.LBB78_474:
	s_branch .LBB78_393
.LBB78_475:
	s_and_b32 s0, 0xffff, s0
	s_delay_alu instid0(SALU_CYCLE_1)
	s_cmp_lt_i32 s0, 5
	s_cbranch_scc1 .LBB78_480
; %bb.476:
	s_cmp_lt_i32 s0, 8
	s_cbranch_scc1 .LBB78_481
; %bb.477:
	;; [unrolled: 3-line block ×3, first 2 shown]
	s_cmp_gt_i32 s0, 9
	s_cbranch_scc0 .LBB78_483
; %bb.479:
	s_wait_loadcnt 0x0
	global_load_b64 v[0:1], v[2:3], off
	s_mov_b32 s21, 0
	s_wait_loadcnt 0x0
	v_cvt_i32_f64_e32 v0, v[0:1]
	s_branch .LBB78_484
.LBB78_480:
	s_mov_b32 s21, -1
                                        ; implicit-def: $vgpr0
	s_branch .LBB78_502
.LBB78_481:
	s_mov_b32 s21, -1
                                        ; implicit-def: $vgpr0
	s_branch .LBB78_490
.LBB78_482:
	s_mov_b32 s21, -1
                                        ; implicit-def: $vgpr0
	s_branch .LBB78_487
.LBB78_483:
	s_mov_b32 s21, -1
                                        ; implicit-def: $vgpr0
.LBB78_484:
	s_delay_alu instid0(SALU_CYCLE_1)
	s_and_not1_b32 vcc_lo, exec_lo, s21
	s_cbranch_vccnz .LBB78_486
; %bb.485:
	s_wait_loadcnt 0x0
	global_load_b32 v0, v[2:3], off
	s_wait_loadcnt 0x0
	v_cvt_i32_f32_e32 v0, v0
.LBB78_486:
	s_mov_b32 s21, 0
.LBB78_487:
	s_delay_alu instid0(SALU_CYCLE_1)
	s_and_not1_b32 vcc_lo, exec_lo, s21
	s_cbranch_vccnz .LBB78_489
; %bb.488:
	s_wait_loadcnt 0x0
	global_load_b32 v0, v[2:3], off
	s_wait_loadcnt 0x0
	v_cvt_i16_f16_e32 v0, v0
.LBB78_489:
	s_mov_b32 s21, 0
.LBB78_490:
	s_delay_alu instid0(SALU_CYCLE_1)
	s_and_not1_b32 vcc_lo, exec_lo, s21
	s_cbranch_vccnz .LBB78_501
; %bb.491:
	s_cmp_lt_i32 s0, 6
	s_cbranch_scc1 .LBB78_494
; %bb.492:
	s_cmp_gt_i32 s0, 6
	s_cbranch_scc0 .LBB78_495
; %bb.493:
	s_wait_loadcnt 0x0
	global_load_b64 v[0:1], v[2:3], off
	s_mov_b32 s21, 0
	s_wait_loadcnt 0x0
	v_cvt_i32_f64_e32 v0, v[0:1]
	s_branch .LBB78_496
.LBB78_494:
	s_mov_b32 s21, -1
                                        ; implicit-def: $vgpr0
	s_branch .LBB78_499
.LBB78_495:
	s_mov_b32 s21, -1
                                        ; implicit-def: $vgpr0
.LBB78_496:
	s_delay_alu instid0(SALU_CYCLE_1)
	s_and_not1_b32 vcc_lo, exec_lo, s21
	s_cbranch_vccnz .LBB78_498
; %bb.497:
	s_wait_loadcnt 0x0
	global_load_b32 v0, v[2:3], off
	s_wait_loadcnt 0x0
	v_cvt_i32_f32_e32 v0, v0
.LBB78_498:
	s_mov_b32 s21, 0
.LBB78_499:
	s_delay_alu instid0(SALU_CYCLE_1)
	s_and_not1_b32 vcc_lo, exec_lo, s21
	s_cbranch_vccnz .LBB78_501
; %bb.500:
	s_wait_loadcnt 0x0
	global_load_u16 v0, v[2:3], off
	s_wait_loadcnt 0x0
	v_cvt_i16_f16_e32 v0, v0
.LBB78_501:
	s_mov_b32 s21, 0
.LBB78_502:
	s_delay_alu instid0(SALU_CYCLE_1)
	s_and_not1_b32 vcc_lo, exec_lo, s21
	s_cbranch_vccnz .LBB78_522
; %bb.503:
	s_cmp_lt_i32 s0, 2
	s_cbranch_scc1 .LBB78_507
; %bb.504:
	s_cmp_lt_i32 s0, 3
	s_cbranch_scc1 .LBB78_508
; %bb.505:
	s_cmp_gt_i32 s0, 3
	s_cbranch_scc0 .LBB78_509
; %bb.506:
	s_wait_loadcnt 0x0
	global_load_b64 v[0:1], v[2:3], off
	s_mov_b32 s21, 0
	s_branch .LBB78_510
.LBB78_507:
	s_mov_b32 s21, -1
                                        ; implicit-def: $vgpr0
	s_branch .LBB78_516
.LBB78_508:
	s_mov_b32 s21, -1
                                        ; implicit-def: $vgpr0
	s_branch .LBB78_513
.LBB78_509:
	s_mov_b32 s21, -1
                                        ; implicit-def: $vgpr0
.LBB78_510:
	s_delay_alu instid0(SALU_CYCLE_1)
	s_and_not1_b32 vcc_lo, exec_lo, s21
	s_cbranch_vccnz .LBB78_512
; %bb.511:
	s_wait_loadcnt 0x0
	global_load_b32 v0, v[2:3], off
.LBB78_512:
	s_mov_b32 s21, 0
.LBB78_513:
	s_delay_alu instid0(SALU_CYCLE_1)
	s_and_not1_b32 vcc_lo, exec_lo, s21
	s_cbranch_vccnz .LBB78_515
; %bb.514:
	s_wait_loadcnt 0x0
	global_load_u16 v0, v[2:3], off
.LBB78_515:
	s_mov_b32 s21, 0
.LBB78_516:
	s_delay_alu instid0(SALU_CYCLE_1)
	s_and_not1_b32 vcc_lo, exec_lo, s21
	s_cbranch_vccnz .LBB78_522
; %bb.517:
	s_cmp_gt_i32 s0, 0
	s_mov_b32 s0, 0
	s_cbranch_scc0 .LBB78_519
; %bb.518:
	s_wait_loadcnt 0x0
	global_load_i8 v0, v[2:3], off
	s_branch .LBB78_520
.LBB78_519:
	s_mov_b32 s0, -1
                                        ; implicit-def: $vgpr0
.LBB78_520:
	s_delay_alu instid0(SALU_CYCLE_1)
	s_and_not1_b32 vcc_lo, exec_lo, s0
	s_cbranch_vccnz .LBB78_522
; %bb.521:
	s_wait_loadcnt 0x0
	global_load_u8 v0, v[2:3], off
.LBB78_522:
	s_branch .LBB78_394
.LBB78_523:
	s_mov_b32 s24, 0
	s_mov_b32 s0, s15
	;; [unrolled: 1-line block ×3, first 2 shown]
	s_branch .LBB78_769
.LBB78_524:
	s_and_not1_saveexec_b32 s24, s24
	s_cbranch_execz .LBB78_195
.LBB78_525:
	v_add_f32_e64 v3, 0x42800000, |v2|
	s_and_not1_b32 s23, s23, exec_lo
	s_delay_alu instid0(VALU_DEP_1) | instskip(NEXT) | instid1(VALU_DEP_1)
	v_and_b32_e32 v3, 0xff, v3
	v_cmp_ne_u32_e32 vcc_lo, 0, v3
	s_and_b32 s25, vcc_lo, exec_lo
	s_delay_alu instid0(SALU_CYCLE_1)
	s_or_b32 s23, s23, s25
	s_or_b32 exec_lo, exec_lo, s24
	v_mov_b32_e32 v4, 0
	s_and_saveexec_b32 s24, s23
	s_cbranch_execnz .LBB78_196
	s_branch .LBB78_197
.LBB78_526:
	s_mov_b32 s22, -1
	s_mov_b32 s24, 0
.LBB78_527:
                                        ; implicit-def: $vgpr4
.LBB78_528:
	s_and_b32 vcc_lo, exec_lo, s25
	s_cbranch_vccz .LBB78_532
; %bb.529:
	s_cmp_eq_u32 s21, 44
	s_cbranch_scc0 .LBB78_531
; %bb.530:
	s_wait_loadcnt 0x0
	global_load_u8 v1, v[2:3], off
	s_mov_b32 s22, 0
	s_mov_b32 s24, -1
	s_wait_loadcnt 0x0
	v_lshlrev_b32_e32 v4, 23, v1
	v_cmp_ne_u32_e32 vcc_lo, 0, v1
	s_delay_alu instid0(VALU_DEP_2) | instskip(NEXT) | instid1(VALU_DEP_1)
	v_cvt_i32_f32_e32 v4, v4
	v_cndmask_b32_e32 v4, 0, v4, vcc_lo
	s_branch .LBB78_532
.LBB78_531:
	s_mov_b32 s22, -1
                                        ; implicit-def: $vgpr4
.LBB78_532:
	s_mov_b32 s25, 0
.LBB78_533:
	s_delay_alu instid0(SALU_CYCLE_1)
	s_and_b32 vcc_lo, exec_lo, s25
	s_cbranch_vccz .LBB78_537
; %bb.534:
	s_cmp_eq_u32 s21, 29
	s_cbranch_scc0 .LBB78_536
; %bb.535:
	global_load_b64 v[4:5], v[2:3], off
	s_mov_b32 s24, -1
	s_mov_b32 s22, 0
	s_branch .LBB78_537
.LBB78_536:
	s_mov_b32 s22, -1
                                        ; implicit-def: $vgpr4
.LBB78_537:
	s_mov_b32 s25, 0
.LBB78_538:
	s_delay_alu instid0(SALU_CYCLE_1)
	s_and_b32 vcc_lo, exec_lo, s25
	s_cbranch_vccz .LBB78_554
; %bb.539:
	s_cmp_lt_i32 s21, 27
	s_cbranch_scc1 .LBB78_542
; %bb.540:
	s_cmp_gt_i32 s21, 27
	s_cbranch_scc0 .LBB78_543
; %bb.541:
	s_wait_loadcnt 0x0
	global_load_b32 v4, v[2:3], off
	s_mov_b32 s24, 0
	s_branch .LBB78_544
.LBB78_542:
	s_mov_b32 s24, -1
                                        ; implicit-def: $vgpr4
	s_branch .LBB78_547
.LBB78_543:
	s_mov_b32 s24, -1
                                        ; implicit-def: $vgpr4
.LBB78_544:
	s_delay_alu instid0(SALU_CYCLE_1)
	s_and_not1_b32 vcc_lo, exec_lo, s24
	s_cbranch_vccnz .LBB78_546
; %bb.545:
	s_wait_loadcnt 0x0
	global_load_u16 v4, v[2:3], off
.LBB78_546:
	s_mov_b32 s24, 0
.LBB78_547:
	s_delay_alu instid0(SALU_CYCLE_1)
	s_and_not1_b32 vcc_lo, exec_lo, s24
	s_cbranch_vccnz .LBB78_553
; %bb.548:
	s_wait_loadcnt 0x0
	global_load_u8 v1, v[2:3], off
	s_mov_b32 s25, 0
	s_mov_b32 s24, exec_lo
	s_wait_loadcnt 0x0
	v_cmpx_lt_i16_e32 0x7f, v1
	s_xor_b32 s24, exec_lo, s24
	s_cbranch_execz .LBB78_565
; %bb.549:
	v_cmp_ne_u16_e32 vcc_lo, 0x80, v1
	s_and_b32 s25, vcc_lo, exec_lo
	s_and_not1_saveexec_b32 s24, s24
	s_cbranch_execnz .LBB78_566
.LBB78_550:
	s_or_b32 exec_lo, exec_lo, s24
	v_mov_b32_e32 v4, 0
	s_and_saveexec_b32 s24, s25
	s_cbranch_execz .LBB78_552
.LBB78_551:
	v_and_b32_e32 v4, 0xffff, v1
	s_delay_alu instid0(VALU_DEP_1) | instskip(SKIP_1) | instid1(VALU_DEP_2)
	v_and_b32_e32 v5, 7, v4
	v_bfe_u32 v8, v4, 3, 4
	v_clz_i32_u32_e32 v6, v5
	s_delay_alu instid0(VALU_DEP_2) | instskip(NEXT) | instid1(VALU_DEP_2)
	v_cmp_eq_u32_e32 vcc_lo, 0, v8
	v_min_u32_e32 v6, 32, v6
	s_delay_alu instid0(VALU_DEP_1) | instskip(NEXT) | instid1(VALU_DEP_1)
	v_subrev_nc_u32_e32 v7, 28, v6
	v_dual_lshlrev_b32 v4, v7, v4 :: v_dual_sub_nc_u32 v6, 29, v6
	s_delay_alu instid0(VALU_DEP_1) | instskip(NEXT) | instid1(VALU_DEP_1)
	v_dual_lshlrev_b32 v1, 24, v1 :: v_dual_bitop2_b32 v4, 7, v4 bitop3:0x40
	v_dual_cndmask_b32 v6, v8, v6, vcc_lo :: v_dual_cndmask_b32 v4, v5, v4, vcc_lo
	s_delay_alu instid0(VALU_DEP_2) | instskip(NEXT) | instid1(VALU_DEP_2)
	v_and_b32_e32 v1, 0x80000000, v1
	v_lshl_add_u32 v5, v6, 23, 0x3b800000
	s_delay_alu instid0(VALU_DEP_3) | instskip(NEXT) | instid1(VALU_DEP_1)
	v_lshlrev_b32_e32 v4, 20, v4
	v_or3_b32 v1, v1, v5, v4
	s_delay_alu instid0(VALU_DEP_1)
	v_cvt_i32_f32_e32 v4, v1
.LBB78_552:
	s_or_b32 exec_lo, exec_lo, s24
.LBB78_553:
	s_mov_b32 s24, -1
.LBB78_554:
	s_mov_b32 s25, 0
.LBB78_555:
	s_delay_alu instid0(SALU_CYCLE_1)
	s_and_b32 vcc_lo, exec_lo, s25
	s_cbranch_vccz .LBB78_588
; %bb.556:
	s_cmp_gt_i32 s21, 22
	s_cbranch_scc0 .LBB78_564
; %bb.557:
	s_cmp_lt_i32 s21, 24
	s_cbranch_scc1 .LBB78_567
; %bb.558:
	s_cmp_gt_i32 s21, 24
	s_cbranch_scc0 .LBB78_568
; %bb.559:
	s_wait_loadcnt 0x0
	global_load_u8 v1, v[2:3], off
	s_mov_b32 s25, 0
	s_mov_b32 s24, exec_lo
	s_wait_loadcnt 0x0
	v_cmpx_lt_i16_e32 0x7f, v1
	s_xor_b32 s24, exec_lo, s24
	s_cbranch_execz .LBB78_580
; %bb.560:
	v_cmp_ne_u16_e32 vcc_lo, 0x80, v1
	s_and_b32 s25, vcc_lo, exec_lo
	s_and_not1_saveexec_b32 s24, s24
	s_cbranch_execnz .LBB78_581
.LBB78_561:
	s_or_b32 exec_lo, exec_lo, s24
	v_mov_b32_e32 v4, 0
	s_and_saveexec_b32 s24, s25
	s_cbranch_execz .LBB78_563
.LBB78_562:
	v_and_b32_e32 v4, 0xffff, v1
	s_delay_alu instid0(VALU_DEP_1) | instskip(SKIP_1) | instid1(VALU_DEP_2)
	v_and_b32_e32 v5, 3, v4
	v_bfe_u32 v8, v4, 2, 5
	v_clz_i32_u32_e32 v6, v5
	s_delay_alu instid0(VALU_DEP_2) | instskip(NEXT) | instid1(VALU_DEP_2)
	v_cmp_eq_u32_e32 vcc_lo, 0, v8
	v_min_u32_e32 v6, 32, v6
	s_delay_alu instid0(VALU_DEP_1) | instskip(NEXT) | instid1(VALU_DEP_1)
	v_subrev_nc_u32_e32 v7, 29, v6
	v_dual_lshlrev_b32 v4, v7, v4 :: v_dual_sub_nc_u32 v6, 30, v6
	s_delay_alu instid0(VALU_DEP_1) | instskip(NEXT) | instid1(VALU_DEP_1)
	v_dual_lshlrev_b32 v1, 24, v1 :: v_dual_bitop2_b32 v4, 3, v4 bitop3:0x40
	v_dual_cndmask_b32 v6, v8, v6, vcc_lo :: v_dual_cndmask_b32 v4, v5, v4, vcc_lo
	s_delay_alu instid0(VALU_DEP_2) | instskip(NEXT) | instid1(VALU_DEP_2)
	v_and_b32_e32 v1, 0x80000000, v1
	v_lshl_add_u32 v5, v6, 23, 0x37800000
	s_delay_alu instid0(VALU_DEP_3) | instskip(NEXT) | instid1(VALU_DEP_1)
	v_lshlrev_b32_e32 v4, 21, v4
	v_or3_b32 v1, v1, v5, v4
	s_delay_alu instid0(VALU_DEP_1)
	v_cvt_i32_f32_e32 v4, v1
.LBB78_563:
	s_or_b32 exec_lo, exec_lo, s24
	s_mov_b32 s24, 0
	s_branch .LBB78_569
.LBB78_564:
	s_mov_b32 s25, -1
                                        ; implicit-def: $vgpr4
	s_branch .LBB78_575
.LBB78_565:
	s_and_not1_saveexec_b32 s24, s24
	s_cbranch_execz .LBB78_550
.LBB78_566:
	v_cmp_ne_u16_e32 vcc_lo, 0, v1
	s_and_not1_b32 s25, s25, exec_lo
	s_and_b32 s26, vcc_lo, exec_lo
	s_delay_alu instid0(SALU_CYCLE_1)
	s_or_b32 s25, s25, s26
	s_or_b32 exec_lo, exec_lo, s24
	v_mov_b32_e32 v4, 0
	s_and_saveexec_b32 s24, s25
	s_cbranch_execnz .LBB78_551
	s_branch .LBB78_552
.LBB78_567:
	s_mov_b32 s24, -1
                                        ; implicit-def: $vgpr4
	s_branch .LBB78_572
.LBB78_568:
	s_mov_b32 s24, -1
                                        ; implicit-def: $vgpr4
.LBB78_569:
	s_delay_alu instid0(SALU_CYCLE_1)
	s_and_b32 vcc_lo, exec_lo, s24
	s_cbranch_vccz .LBB78_571
; %bb.570:
	s_wait_loadcnt 0x0
	global_load_u8 v1, v[2:3], off
	s_wait_loadcnt 0x0
	v_lshlrev_b32_e32 v1, 24, v1
	s_delay_alu instid0(VALU_DEP_1) | instskip(NEXT) | instid1(VALU_DEP_1)
	v_and_b32_e32 v4, 0x7f000000, v1
	v_clz_i32_u32_e32 v5, v4
	v_cmp_ne_u32_e32 vcc_lo, 0, v4
	v_add_nc_u32_e32 v7, 0x1000000, v4
	s_delay_alu instid0(VALU_DEP_3) | instskip(NEXT) | instid1(VALU_DEP_1)
	v_min_u32_e32 v5, 32, v5
	v_sub_nc_u32_e64 v5, v5, 4 clamp
	s_delay_alu instid0(VALU_DEP_1) | instskip(NEXT) | instid1(VALU_DEP_1)
	v_dual_lshlrev_b32 v6, v5, v4 :: v_dual_lshlrev_b32 v5, 23, v5
	v_lshrrev_b32_e32 v6, 4, v6
	s_delay_alu instid0(VALU_DEP_1) | instskip(NEXT) | instid1(VALU_DEP_1)
	v_dual_sub_nc_u32 v5, v6, v5 :: v_dual_ashrrev_i32 v6, 8, v7
	v_add_nc_u32_e32 v5, 0x3c000000, v5
	s_delay_alu instid0(VALU_DEP_1) | instskip(NEXT) | instid1(VALU_DEP_1)
	v_and_or_b32 v5, 0x7f800000, v6, v5
	v_cndmask_b32_e32 v4, 0, v5, vcc_lo
	s_delay_alu instid0(VALU_DEP_1) | instskip(NEXT) | instid1(VALU_DEP_1)
	v_and_or_b32 v1, 0x80000000, v1, v4
	v_cvt_i32_f32_e32 v4, v1
.LBB78_571:
	s_mov_b32 s24, 0
.LBB78_572:
	s_delay_alu instid0(SALU_CYCLE_1)
	s_and_not1_b32 vcc_lo, exec_lo, s24
	s_cbranch_vccnz .LBB78_574
; %bb.573:
	s_wait_loadcnt 0x0
	global_load_u8 v1, v[2:3], off
	s_wait_loadcnt 0x0
	v_lshlrev_b32_e32 v4, 25, v1
	v_lshlrev_b16 v1, 8, v1
	s_delay_alu instid0(VALU_DEP_1) | instskip(SKIP_1) | instid1(VALU_DEP_2)
	v_and_or_b32 v6, 0x7f00, v1, 0.5
	v_bfe_i32 v1, v1, 0, 16
	v_dual_add_f32 v6, -0.5, v6 :: v_dual_lshrrev_b32 v5, 4, v4
	v_cmp_gt_u32_e32 vcc_lo, 0x8000000, v4
	s_delay_alu instid0(VALU_DEP_2) | instskip(NEXT) | instid1(VALU_DEP_1)
	v_or_b32_e32 v5, 0x70000000, v5
	v_mul_f32_e32 v5, 0x7800000, v5
	s_delay_alu instid0(VALU_DEP_1) | instskip(NEXT) | instid1(VALU_DEP_1)
	v_cndmask_b32_e32 v4, v5, v6, vcc_lo
	v_and_or_b32 v1, 0x80000000, v1, v4
	s_delay_alu instid0(VALU_DEP_1)
	v_cvt_i32_f32_e32 v4, v1
.LBB78_574:
	s_mov_b32 s25, 0
	s_mov_b32 s24, -1
.LBB78_575:
	s_and_not1_b32 vcc_lo, exec_lo, s25
	s_cbranch_vccnz .LBB78_588
; %bb.576:
	s_cmp_gt_i32 s21, 14
	s_cbranch_scc0 .LBB78_579
; %bb.577:
	s_cmp_eq_u32 s21, 15
	s_cbranch_scc0 .LBB78_582
; %bb.578:
	s_wait_loadcnt 0x0
	global_load_u16 v1, v[2:3], off
	s_mov_b32 s24, -1
	s_mov_b32 s22, 0
	s_wait_loadcnt 0x0
	v_lshlrev_b32_e32 v1, 16, v1
	s_delay_alu instid0(VALU_DEP_1)
	v_cvt_i32_f32_e32 v4, v1
	s_branch .LBB78_583
.LBB78_579:
	s_mov_b32 s25, -1
                                        ; implicit-def: $vgpr4
	s_branch .LBB78_584
.LBB78_580:
	s_and_not1_saveexec_b32 s24, s24
	s_cbranch_execz .LBB78_561
.LBB78_581:
	v_cmp_ne_u16_e32 vcc_lo, 0, v1
	s_and_not1_b32 s25, s25, exec_lo
	s_and_b32 s26, vcc_lo, exec_lo
	s_delay_alu instid0(SALU_CYCLE_1)
	s_or_b32 s25, s25, s26
	s_or_b32 exec_lo, exec_lo, s24
	v_mov_b32_e32 v4, 0
	s_and_saveexec_b32 s24, s25
	s_cbranch_execnz .LBB78_562
	s_branch .LBB78_563
.LBB78_582:
	s_mov_b32 s22, -1
                                        ; implicit-def: $vgpr4
.LBB78_583:
	s_mov_b32 s25, 0
.LBB78_584:
	s_delay_alu instid0(SALU_CYCLE_1)
	s_and_b32 vcc_lo, exec_lo, s25
	s_cbranch_vccz .LBB78_588
; %bb.585:
	s_cmp_eq_u32 s21, 11
	s_cbranch_scc0 .LBB78_587
; %bb.586:
	s_wait_loadcnt 0x0
	global_load_u8 v1, v[2:3], off
	s_mov_b32 s22, 0
	s_mov_b32 s24, -1
	s_wait_loadcnt 0x0
	v_cmp_ne_u16_e32 vcc_lo, 0, v1
	v_cndmask_b32_e64 v4, 0, 1, vcc_lo
	s_branch .LBB78_588
.LBB78_587:
	s_mov_b32 s22, -1
                                        ; implicit-def: $vgpr4
.LBB78_588:
	s_mov_b32 s21, 0
.LBB78_589:
	s_delay_alu instid0(SALU_CYCLE_1)
	s_and_b32 vcc_lo, exec_lo, s21
	s_cbranch_vccz .LBB78_638
; %bb.590:
	s_and_b32 s0, 0xffff, s0
	s_delay_alu instid0(SALU_CYCLE_1)
	s_cmp_lt_i32 s0, 5
	s_cbranch_scc1 .LBB78_595
; %bb.591:
	s_cmp_lt_i32 s0, 8
	s_cbranch_scc1 .LBB78_596
; %bb.592:
	;; [unrolled: 3-line block ×3, first 2 shown]
	s_cmp_gt_i32 s0, 9
	s_cbranch_scc0 .LBB78_598
; %bb.594:
	s_wait_loadcnt 0x0
	global_load_b64 v[4:5], v[2:3], off
	s_mov_b32 s21, 0
	s_wait_loadcnt 0x0
	v_cvt_i32_f64_e32 v4, v[4:5]
	s_branch .LBB78_599
.LBB78_595:
	s_mov_b32 s21, -1
                                        ; implicit-def: $vgpr4
	s_branch .LBB78_617
.LBB78_596:
	s_mov_b32 s21, -1
                                        ; implicit-def: $vgpr4
	s_branch .LBB78_605
.LBB78_597:
	s_mov_b32 s21, -1
                                        ; implicit-def: $vgpr4
	s_branch .LBB78_602
.LBB78_598:
	s_mov_b32 s21, -1
                                        ; implicit-def: $vgpr4
.LBB78_599:
	s_delay_alu instid0(SALU_CYCLE_1)
	s_and_not1_b32 vcc_lo, exec_lo, s21
	s_cbranch_vccnz .LBB78_601
; %bb.600:
	s_wait_loadcnt 0x0
	global_load_b32 v1, v[2:3], off
	s_wait_loadcnt 0x0
	v_cvt_i32_f32_e32 v4, v1
.LBB78_601:
	s_mov_b32 s21, 0
.LBB78_602:
	s_delay_alu instid0(SALU_CYCLE_1)
	s_and_not1_b32 vcc_lo, exec_lo, s21
	s_cbranch_vccnz .LBB78_604
; %bb.603:
	s_wait_loadcnt 0x0
	global_load_b32 v1, v[2:3], off
	s_wait_loadcnt 0x0
	v_cvt_i16_f16_e32 v4, v1
.LBB78_604:
	s_mov_b32 s21, 0
.LBB78_605:
	s_delay_alu instid0(SALU_CYCLE_1)
	s_and_not1_b32 vcc_lo, exec_lo, s21
	s_cbranch_vccnz .LBB78_616
; %bb.606:
	s_cmp_lt_i32 s0, 6
	s_cbranch_scc1 .LBB78_609
; %bb.607:
	s_cmp_gt_i32 s0, 6
	s_cbranch_scc0 .LBB78_610
; %bb.608:
	s_wait_loadcnt 0x0
	global_load_b64 v[4:5], v[2:3], off
	s_mov_b32 s21, 0
	s_wait_loadcnt 0x0
	v_cvt_i32_f64_e32 v4, v[4:5]
	s_branch .LBB78_611
.LBB78_609:
	s_mov_b32 s21, -1
                                        ; implicit-def: $vgpr4
	s_branch .LBB78_614
.LBB78_610:
	s_mov_b32 s21, -1
                                        ; implicit-def: $vgpr4
.LBB78_611:
	s_delay_alu instid0(SALU_CYCLE_1)
	s_and_not1_b32 vcc_lo, exec_lo, s21
	s_cbranch_vccnz .LBB78_613
; %bb.612:
	s_wait_loadcnt 0x0
	global_load_b32 v1, v[2:3], off
	s_wait_loadcnt 0x0
	v_cvt_i32_f32_e32 v4, v1
.LBB78_613:
	s_mov_b32 s21, 0
.LBB78_614:
	s_delay_alu instid0(SALU_CYCLE_1)
	s_and_not1_b32 vcc_lo, exec_lo, s21
	s_cbranch_vccnz .LBB78_616
; %bb.615:
	s_wait_loadcnt 0x0
	global_load_u16 v1, v[2:3], off
	s_wait_loadcnt 0x0
	v_cvt_i16_f16_e32 v4, v1
.LBB78_616:
	s_mov_b32 s21, 0
.LBB78_617:
	s_delay_alu instid0(SALU_CYCLE_1)
	s_and_not1_b32 vcc_lo, exec_lo, s21
	s_cbranch_vccnz .LBB78_637
; %bb.618:
	s_cmp_lt_i32 s0, 2
	s_cbranch_scc1 .LBB78_622
; %bb.619:
	s_cmp_lt_i32 s0, 3
	s_cbranch_scc1 .LBB78_623
; %bb.620:
	s_cmp_gt_i32 s0, 3
	s_cbranch_scc0 .LBB78_624
; %bb.621:
	s_wait_loadcnt 0x0
	global_load_b64 v[4:5], v[2:3], off
	s_mov_b32 s21, 0
	s_branch .LBB78_625
.LBB78_622:
	s_mov_b32 s21, -1
                                        ; implicit-def: $vgpr4
	s_branch .LBB78_631
.LBB78_623:
	s_mov_b32 s21, -1
                                        ; implicit-def: $vgpr4
	s_branch .LBB78_628
.LBB78_624:
	s_mov_b32 s21, -1
                                        ; implicit-def: $vgpr4
.LBB78_625:
	s_delay_alu instid0(SALU_CYCLE_1)
	s_and_not1_b32 vcc_lo, exec_lo, s21
	s_cbranch_vccnz .LBB78_627
; %bb.626:
	s_wait_loadcnt 0x0
	global_load_b32 v4, v[2:3], off
.LBB78_627:
	s_mov_b32 s21, 0
.LBB78_628:
	s_delay_alu instid0(SALU_CYCLE_1)
	s_and_not1_b32 vcc_lo, exec_lo, s21
	s_cbranch_vccnz .LBB78_630
; %bb.629:
	s_wait_loadcnt 0x0
	global_load_u16 v4, v[2:3], off
.LBB78_630:
	s_mov_b32 s21, 0
.LBB78_631:
	s_delay_alu instid0(SALU_CYCLE_1)
	s_and_not1_b32 vcc_lo, exec_lo, s21
	s_cbranch_vccnz .LBB78_637
; %bb.632:
	s_cmp_gt_i32 s0, 0
	s_mov_b32 s0, 0
	s_cbranch_scc0 .LBB78_634
; %bb.633:
	s_wait_loadcnt 0x0
	global_load_i8 v4, v[2:3], off
	s_branch .LBB78_635
.LBB78_634:
	s_mov_b32 s0, -1
                                        ; implicit-def: $vgpr4
.LBB78_635:
	s_delay_alu instid0(SALU_CYCLE_1)
	s_and_not1_b32 vcc_lo, exec_lo, s0
	s_cbranch_vccnz .LBB78_637
; %bb.636:
	s_wait_loadcnt 0x0
	global_load_u8 v4, v[2:3], off
.LBB78_637:
	s_mov_b32 s24, -1
.LBB78_638:
	s_delay_alu instid0(SALU_CYCLE_1)
	s_and_not1_b32 vcc_lo, exec_lo, s24
	s_cbranch_vccnz .LBB78_652
; %bb.639:
	s_wait_loadcnt 0x0
	s_delay_alu instid0(VALU_DEP_1) | instskip(SKIP_2) | instid1(VALU_DEP_1)
	v_sub_nc_u16 v1, 0, v4
	s_mov_b32 s21, 0
	s_mov_b32 s0, exec_lo
	v_max_i16 v1, v4, v1
	s_wait_xcnt 0x0
	v_cmpx_ne_u16_e32 0, v0
	s_cbranch_execz .LBB78_643
; %bb.640:
	v_sub_nc_u16 v2, 0, v0
	s_delay_alu instid0(VALU_DEP_1) | instskip(SKIP_1) | instid1(VALU_DEP_2)
	v_max_i16 v3, v0, v2
	v_and_b32_e32 v2, 0xffff, v1
	v_and_b32_e32 v3, 0xffff, v3
.LBB78_641:                             ; =>This Inner Loop Header: Depth=1
	s_delay_alu instid0(VALU_DEP_1) | instskip(NEXT) | instid1(VALU_DEP_2)
	v_bfe_i32 v6, v2, 0, 16
	v_mov_b32_e32 v1, v3
	s_delay_alu instid0(VALU_DEP_2) | instskip(NEXT) | instid1(VALU_DEP_2)
	v_cvt_f32_i32_e32 v8, v6
	v_bfe_i32 v3, v1, 0, 16
	s_delay_alu instid0(VALU_DEP_1) | instskip(SKIP_1) | instid1(VALU_DEP_2)
	v_cvt_f32_i32_e32 v5, v3
	v_xor_b32_e32 v3, v6, v3
	v_rcp_iflag_f32_e32 v7, v5
	v_nop
	s_delay_alu instid0(TRANS32_DEP_1) | instskip(NEXT) | instid1(VALU_DEP_1)
	v_mul_f32_e32 v6, v8, v7
	v_trunc_f32_e32 v6, v6
	s_delay_alu instid0(VALU_DEP_1) | instskip(NEXT) | instid1(VALU_DEP_1)
	v_dual_ashrrev_i32 v3, 30, v3 :: v_dual_fma_f32 v7, -v6, v5, v8
	v_or_b32_e32 v3, 1, v3
	v_cvt_i32_f32_e32 v6, v6
	s_delay_alu instid0(VALU_DEP_3) | instskip(NEXT) | instid1(VALU_DEP_3)
	v_cmp_ge_f32_e64 vcc_lo, |v7|, |v5|
	v_cndmask_b32_e32 v3, 0, v3, vcc_lo
	s_delay_alu instid0(VALU_DEP_1) | instskip(NEXT) | instid1(VALU_DEP_1)
	v_add_nc_u32_e32 v3, v6, v3
	v_mul_lo_u32 v3, v3, v1
	s_delay_alu instid0(VALU_DEP_1) | instskip(NEXT) | instid1(VALU_DEP_1)
	v_sub_nc_u32_e32 v3, v2, v3
	v_and_b32_e32 v2, 0xffff, v3
	v_bfe_i32 v3, v3, 0, 16
	s_delay_alu instid0(VALU_DEP_2) | instskip(SKIP_2) | instid1(SALU_CYCLE_1)
	v_cmp_eq_u32_e32 vcc_lo, 0, v2
	v_mov_b32_e32 v2, v1
	s_or_b32 s21, vcc_lo, s21
	s_and_not1_b32 exec_lo, exec_lo, s21
	s_cbranch_execnz .LBB78_641
; %bb.642:
	s_or_b32 exec_lo, exec_lo, s21
.LBB78_643:
	s_delay_alu instid0(SALU_CYCLE_1)
	s_or_b32 exec_lo, exec_lo, s0
	v_mov_b32_e32 v5, 0
	s_mov_b32 s0, exec_lo
	v_cmpx_ne_u16_e32 0, v1
	s_cbranch_execz .LBB78_645
; %bb.644:
	v_bfe_i32 v1, v1, 0, 16
	v_bfe_i32 v0, v0, 0, 16
	s_delay_alu instid0(VALU_DEP_2) | instskip(NEXT) | instid1(VALU_DEP_2)
	v_cvt_f32_i32_e32 v2, v1
	v_cvt_f32_i32_e32 v5, v0
	v_xor_b32_e32 v0, v0, v1
	s_delay_alu instid0(VALU_DEP_3) | instskip(SKIP_1) | instid1(TRANS32_DEP_1)
	v_rcp_iflag_f32_e32 v3, v2
	v_nop
	v_mul_f32_e32 v3, v5, v3
	s_delay_alu instid0(VALU_DEP_1) | instskip(NEXT) | instid1(VALU_DEP_1)
	v_trunc_f32_e32 v1, v3
	v_dual_ashrrev_i32 v0, 30, v0 :: v_dual_fma_f32 v3, -v1, v2, v5
	s_delay_alu instid0(VALU_DEP_1) | instskip(SKIP_1) | instid1(VALU_DEP_3)
	v_or_b32_e32 v0, 1, v0
	v_cvt_i32_f32_e32 v1, v1
	v_cmp_ge_f32_e64 vcc_lo, |v3|, |v2|
	s_delay_alu instid0(VALU_DEP_3) | instskip(NEXT) | instid1(VALU_DEP_1)
	v_cndmask_b32_e32 v0, 0, v0, vcc_lo
	v_add_nc_u32_e32 v0, v1, v0
	v_bfe_i32 v1, v4, 0, 16
	s_delay_alu instid0(VALU_DEP_2) | instskip(NEXT) | instid1(VALU_DEP_1)
	v_bfe_i32 v0, v0, 0, 16
	v_mul_i32_i24_e32 v0, v0, v1
	s_delay_alu instid0(VALU_DEP_1) | instskip(NEXT) | instid1(VALU_DEP_1)
	v_sub_nc_u32_e32 v1, 0, v0
	v_max_i32_e32 v5, v0, v1
.LBB78_645:
	s_or_b32 exec_lo, exec_lo, s0
	v_mul_lo_u32 v0, v10, s8
	s_and_b32 s21, s11, 0xff
	s_delay_alu instid0(SALU_CYCLE_1) | instskip(NEXT) | instid1(VALU_DEP_1)
	s_cmp_lt_i32 s21, 11
	v_ashrrev_i32_e32 v1, 31, v0
	s_delay_alu instid0(VALU_DEP_1)
	v_add_nc_u64_e32 v[0:1], s[4:5], v[0:1]
	s_cbranch_scc1 .LBB78_653
; %bb.646:
	s_and_b32 s24, 0xffff, s21
	s_delay_alu instid0(SALU_CYCLE_1)
	s_cmp_gt_i32 s24, 25
	s_cbranch_scc0 .LBB78_654
; %bb.647:
	s_cmp_gt_i32 s24, 28
	s_cbranch_scc0 .LBB78_655
; %bb.648:
	;; [unrolled: 3-line block ×4, first 2 shown]
	s_mov_b32 s26, 0
	s_mov_b32 s0, -1
	s_cmp_eq_u32 s24, 46
	s_mov_b32 s25, 0
	s_cbranch_scc0 .LBB78_658
; %bb.651:
	v_bfe_i32 v2, v5, 0, 16
	s_mov_b32 s25, -1
	s_mov_b32 s0, 0
	s_delay_alu instid0(VALU_DEP_1) | instskip(NEXT) | instid1(VALU_DEP_1)
	v_cvt_f32_i32_e32 v2, v2
	v_bfe_u32 v3, v2, 16, 1
	s_delay_alu instid0(VALU_DEP_1) | instskip(NEXT) | instid1(VALU_DEP_1)
	v_add3_u32 v2, v2, v3, 0x7fff
	v_lshrrev_b32_e32 v2, 16, v2
	global_store_b32 v[0:1], v2, off
	s_branch .LBB78_658
.LBB78_652:
	s_mov_b32 s24, 0
	s_mov_b32 s0, s15
	s_branch .LBB78_769
.LBB78_653:
	s_mov_b32 s24, -1
	s_mov_b32 s25, 0
	s_mov_b32 s0, s15
	s_branch .LBB78_727
.LBB78_654:
	s_mov_b32 s26, -1
	s_mov_b32 s25, 0
	s_mov_b32 s0, s15
	s_branch .LBB78_685
.LBB78_655:
	s_mov_b32 s26, -1
	s_mov_b32 s25, 0
	s_mov_b32 s0, s15
	s_branch .LBB78_668
.LBB78_656:
	s_mov_b32 s26, -1
	s_mov_b32 s25, 0
	s_mov_b32 s0, s15
	s_branch .LBB78_664
.LBB78_657:
	s_mov_b32 s26, -1
	s_mov_b32 s25, 0
	s_mov_b32 s0, s15
.LBB78_658:
	s_and_b32 vcc_lo, exec_lo, s26
	s_cbranch_vccz .LBB78_663
; %bb.659:
	s_cmp_eq_u32 s24, 44
	s_mov_b32 s0, -1
	s_cbranch_scc0 .LBB78_663
; %bb.660:
	s_wait_xcnt 0x0
	v_bfe_i32 v2, v5, 0, 16
	v_mov_b32_e32 v3, 0xff
	s_mov_b32 s25, exec_lo
	s_delay_alu instid0(VALU_DEP_2) | instskip(NEXT) | instid1(VALU_DEP_1)
	v_cvt_f32_i32_e32 v2, v2
	v_bfe_u32 v4, v2, 23, 8
	s_delay_alu instid0(VALU_DEP_1)
	v_cmpx_ne_u32_e32 0xff, v4
	s_cbranch_execz .LBB78_662
; %bb.661:
	v_and_b32_e32 v3, 0x400000, v2
	v_and_or_b32 v4, 0x3fffff, v2, v4
	v_lshrrev_b32_e32 v2, 23, v2
	s_delay_alu instid0(VALU_DEP_3) | instskip(NEXT) | instid1(VALU_DEP_3)
	v_cmp_ne_u32_e32 vcc_lo, 0, v3
	v_cmp_ne_u32_e64 s0, 0, v4
	s_and_b32 s0, vcc_lo, s0
	s_delay_alu instid0(SALU_CYCLE_1) | instskip(NEXT) | instid1(VALU_DEP_1)
	v_cndmask_b32_e64 v3, 0, 1, s0
	v_add_nc_u32_e32 v3, v2, v3
.LBB78_662:
	s_or_b32 exec_lo, exec_lo, s25
	s_mov_b32 s25, -1
	s_mov_b32 s0, 0
	global_store_b8 v[0:1], v3, off
.LBB78_663:
	s_mov_b32 s26, 0
.LBB78_664:
	s_delay_alu instid0(SALU_CYCLE_1)
	s_and_b32 vcc_lo, exec_lo, s26
	s_cbranch_vccz .LBB78_667
; %bb.665:
	s_cmp_eq_u32 s24, 29
	s_mov_b32 s0, -1
	s_cbranch_scc0 .LBB78_667
; %bb.666:
	s_wait_xcnt 0x0
	v_bfe_i32 v2, v5, 0, 16
	s_mov_b32 s0, 0
	s_mov_b32 s25, -1
	s_mov_b32 s26, 0
	s_delay_alu instid0(VALU_DEP_1)
	v_ashrrev_i32_e32 v3, 31, v2
	global_store_b64 v[0:1], v[2:3], off
	s_branch .LBB78_668
.LBB78_667:
	s_mov_b32 s26, 0
.LBB78_668:
	s_delay_alu instid0(SALU_CYCLE_1)
	s_and_b32 vcc_lo, exec_lo, s26
	s_cbranch_vccz .LBB78_684
; %bb.669:
	s_cmp_lt_i32 s24, 27
	s_mov_b32 s25, -1
	s_cbranch_scc1 .LBB78_675
; %bb.670:
	s_cmp_gt_i32 s24, 27
	s_cbranch_scc0 .LBB78_672
; %bb.671:
	s_wait_xcnt 0x0
	v_bfe_i32 v2, v5, 0, 16
	s_mov_b32 s25, 0
	global_store_b32 v[0:1], v2, off
.LBB78_672:
	s_and_not1_b32 vcc_lo, exec_lo, s25
	s_cbranch_vccnz .LBB78_674
; %bb.673:
	global_store_b16 v[0:1], v5, off
.LBB78_674:
	s_mov_b32 s25, 0
.LBB78_675:
	s_delay_alu instid0(SALU_CYCLE_1)
	s_and_not1_b32 vcc_lo, exec_lo, s25
	s_cbranch_vccnz .LBB78_683
; %bb.676:
	s_wait_xcnt 0x0
	v_bfe_i32 v2, v5, 0, 16
	v_mov_b32_e32 v4, 0x80
	s_mov_b32 s25, exec_lo
	s_delay_alu instid0(VALU_DEP_2) | instskip(NEXT) | instid1(VALU_DEP_1)
	v_cvt_f32_i32_e32 v2, v2
	v_and_b32_e32 v3, 0x7fffffff, v2
	s_delay_alu instid0(VALU_DEP_1)
	v_cmpx_gt_u32_e32 0x43800000, v3
	s_cbranch_execz .LBB78_682
; %bb.677:
	v_cmp_lt_u32_e32 vcc_lo, 0x3bffffff, v3
	s_mov_b32 s26, 0
                                        ; implicit-def: $vgpr3
	s_and_saveexec_b32 s27, vcc_lo
	s_delay_alu instid0(SALU_CYCLE_1)
	s_xor_b32 s27, exec_lo, s27
	s_cbranch_execz .LBB78_785
; %bb.678:
	v_bfe_u32 v3, v2, 20, 1
	s_mov_b32 s26, exec_lo
	s_delay_alu instid0(VALU_DEP_1) | instskip(NEXT) | instid1(VALU_DEP_1)
	v_add3_u32 v3, v2, v3, 0x487ffff
	v_lshrrev_b32_e32 v3, 20, v3
	s_and_not1_saveexec_b32 s27, s27
	s_cbranch_execnz .LBB78_786
.LBB78_679:
	s_or_b32 exec_lo, exec_lo, s27
	v_mov_b32_e32 v4, 0
	s_and_saveexec_b32 s27, s26
.LBB78_680:
	v_lshrrev_b32_e32 v2, 24, v2
	s_delay_alu instid0(VALU_DEP_1)
	v_and_or_b32 v4, 0x80, v2, v3
.LBB78_681:
	s_or_b32 exec_lo, exec_lo, s27
.LBB78_682:
	s_delay_alu instid0(SALU_CYCLE_1)
	s_or_b32 exec_lo, exec_lo, s25
	global_store_b8 v[0:1], v4, off
.LBB78_683:
	s_mov_b32 s25, -1
.LBB78_684:
	s_mov_b32 s26, 0
.LBB78_685:
	s_delay_alu instid0(SALU_CYCLE_1)
	s_and_b32 vcc_lo, exec_lo, s26
	s_cbranch_vccz .LBB78_726
; %bb.686:
	s_cmp_gt_i32 s24, 22
	s_mov_b32 s26, -1
	s_cbranch_scc0 .LBB78_718
; %bb.687:
	s_cmp_lt_i32 s24, 24
	s_mov_b32 s25, -1
	s_cbranch_scc1 .LBB78_707
; %bb.688:
	s_cmp_gt_i32 s24, 24
	s_cbranch_scc0 .LBB78_696
; %bb.689:
	s_wait_xcnt 0x0
	v_bfe_i32 v2, v5, 0, 16
	v_mov_b32_e32 v4, 0x80
	s_mov_b32 s25, exec_lo
	s_delay_alu instid0(VALU_DEP_2) | instskip(NEXT) | instid1(VALU_DEP_1)
	v_cvt_f32_i32_e32 v2, v2
	v_and_b32_e32 v3, 0x7fffffff, v2
	s_delay_alu instid0(VALU_DEP_1)
	v_cmpx_gt_u32_e32 0x47800000, v3
	s_cbranch_execz .LBB78_695
; %bb.690:
	v_cmp_lt_u32_e32 vcc_lo, 0x37ffffff, v3
	s_mov_b32 s26, 0
                                        ; implicit-def: $vgpr3
	s_and_saveexec_b32 s27, vcc_lo
	s_delay_alu instid0(SALU_CYCLE_1)
	s_xor_b32 s27, exec_lo, s27
	s_cbranch_execz .LBB78_913
; %bb.691:
	v_bfe_u32 v3, v2, 21, 1
	s_mov_b32 s26, exec_lo
	s_delay_alu instid0(VALU_DEP_1) | instskip(NEXT) | instid1(VALU_DEP_1)
	v_add3_u32 v3, v2, v3, 0x88fffff
	v_lshrrev_b32_e32 v3, 21, v3
	s_and_not1_saveexec_b32 s27, s27
	s_cbranch_execnz .LBB78_914
.LBB78_692:
	s_or_b32 exec_lo, exec_lo, s27
	v_mov_b32_e32 v4, 0
	s_and_saveexec_b32 s27, s26
.LBB78_693:
	v_lshrrev_b32_e32 v2, 24, v2
	s_delay_alu instid0(VALU_DEP_1)
	v_and_or_b32 v4, 0x80, v2, v3
.LBB78_694:
	s_or_b32 exec_lo, exec_lo, s27
.LBB78_695:
	s_delay_alu instid0(SALU_CYCLE_1)
	s_or_b32 exec_lo, exec_lo, s25
	s_mov_b32 s25, 0
	global_store_b8 v[0:1], v4, off
.LBB78_696:
	s_and_b32 vcc_lo, exec_lo, s25
	s_cbranch_vccz .LBB78_706
; %bb.697:
	s_wait_xcnt 0x0
	v_bfe_i32 v2, v5, 0, 16
	s_mov_b32 s25, exec_lo
                                        ; implicit-def: $vgpr3
	s_delay_alu instid0(VALU_DEP_1) | instskip(NEXT) | instid1(VALU_DEP_1)
	v_cvt_f32_i32_e32 v2, v2
	v_and_b32_e32 v4, 0x7fffffff, v2
	s_delay_alu instid0(VALU_DEP_1)
	v_cmpx_gt_u32_e32 0x43f00000, v4
	s_xor_b32 s25, exec_lo, s25
	s_cbranch_execz .LBB78_703
; %bb.698:
	s_mov_b32 s26, exec_lo
                                        ; implicit-def: $vgpr3
	v_cmpx_lt_u32_e32 0x3c7fffff, v4
	s_xor_b32 s26, exec_lo, s26
; %bb.699:
	v_bfe_u32 v3, v2, 20, 1
	s_delay_alu instid0(VALU_DEP_1) | instskip(NEXT) | instid1(VALU_DEP_1)
	v_add3_u32 v3, v2, v3, 0x407ffff
	v_and_b32_e32 v4, 0xff00000, v3
	v_lshrrev_b32_e32 v3, 20, v3
	s_delay_alu instid0(VALU_DEP_2) | instskip(NEXT) | instid1(VALU_DEP_2)
	v_cmp_ne_u32_e32 vcc_lo, 0x7f00000, v4
	v_cndmask_b32_e32 v3, 0x7e, v3, vcc_lo
; %bb.700:
	s_and_not1_saveexec_b32 s26, s26
; %bb.701:
	v_add_f32_e64 v3, 0x46800000, |v2|
; %bb.702:
	s_or_b32 exec_lo, exec_lo, s26
                                        ; implicit-def: $vgpr4
.LBB78_703:
	s_and_not1_saveexec_b32 s25, s25
; %bb.704:
	v_mov_b32_e32 v3, 0x7f
	v_cmp_lt_u32_e32 vcc_lo, 0x7f800000, v4
	s_delay_alu instid0(VALU_DEP_2)
	v_cndmask_b32_e32 v3, 0x7e, v3, vcc_lo
; %bb.705:
	s_or_b32 exec_lo, exec_lo, s25
	v_lshrrev_b32_e32 v2, 24, v2
	s_delay_alu instid0(VALU_DEP_1)
	v_and_or_b32 v2, 0x80, v2, v3
	global_store_b8 v[0:1], v2, off
.LBB78_706:
	s_mov_b32 s25, 0
.LBB78_707:
	s_delay_alu instid0(SALU_CYCLE_1)
	s_and_not1_b32 vcc_lo, exec_lo, s25
	s_cbranch_vccnz .LBB78_717
; %bb.708:
	s_wait_xcnt 0x0
	v_bfe_i32 v2, v5, 0, 16
	s_mov_b32 s25, exec_lo
                                        ; implicit-def: $vgpr3
	s_delay_alu instid0(VALU_DEP_1) | instskip(NEXT) | instid1(VALU_DEP_1)
	v_cvt_f32_i32_e32 v2, v2
	v_and_b32_e32 v4, 0x7fffffff, v2
	s_delay_alu instid0(VALU_DEP_1)
	v_cmpx_gt_u32_e32 0x47800000, v4
	s_xor_b32 s25, exec_lo, s25
	s_cbranch_execz .LBB78_714
; %bb.709:
	s_mov_b32 s26, exec_lo
                                        ; implicit-def: $vgpr3
	v_cmpx_lt_u32_e32 0x387fffff, v4
	s_xor_b32 s26, exec_lo, s26
; %bb.710:
	v_bfe_u32 v3, v2, 21, 1
	s_delay_alu instid0(VALU_DEP_1) | instskip(NEXT) | instid1(VALU_DEP_1)
	v_add3_u32 v3, v2, v3, 0x80fffff
	v_lshrrev_b32_e32 v3, 21, v3
; %bb.711:
	s_and_not1_saveexec_b32 s26, s26
; %bb.712:
	v_add_f32_e64 v3, 0x43000000, |v2|
; %bb.713:
	s_or_b32 exec_lo, exec_lo, s26
                                        ; implicit-def: $vgpr4
.LBB78_714:
	s_and_not1_saveexec_b32 s25, s25
; %bb.715:
	v_mov_b32_e32 v3, 0x7f
	v_cmp_lt_u32_e32 vcc_lo, 0x7f800000, v4
	s_delay_alu instid0(VALU_DEP_2)
	v_cndmask_b32_e32 v3, 0x7c, v3, vcc_lo
; %bb.716:
	s_or_b32 exec_lo, exec_lo, s25
	v_lshrrev_b32_e32 v2, 24, v2
	s_delay_alu instid0(VALU_DEP_1)
	v_and_or_b32 v2, 0x80, v2, v3
	global_store_b8 v[0:1], v2, off
.LBB78_717:
	s_mov_b32 s26, 0
	s_mov_b32 s25, -1
.LBB78_718:
	s_and_not1_b32 vcc_lo, exec_lo, s26
	s_cbranch_vccnz .LBB78_726
; %bb.719:
	s_cmp_gt_i32 s24, 14
	s_mov_b32 s26, -1
	s_cbranch_scc0 .LBB78_723
; %bb.720:
	s_cmp_eq_u32 s24, 15
	s_mov_b32 s0, -1
	s_cbranch_scc0 .LBB78_722
; %bb.721:
	s_wait_xcnt 0x0
	v_bfe_i32 v2, v5, 0, 16
	s_mov_b32 s25, -1
	s_mov_b32 s0, 0
	s_delay_alu instid0(VALU_DEP_1) | instskip(NEXT) | instid1(VALU_DEP_1)
	v_cvt_f32_i32_e32 v2, v2
	v_bfe_u32 v3, v2, 16, 1
	s_delay_alu instid0(VALU_DEP_1)
	v_add3_u32 v2, v2, v3, 0x7fff
	global_store_d16_hi_b16 v[0:1], v2, off
.LBB78_722:
	s_mov_b32 s26, 0
.LBB78_723:
	s_delay_alu instid0(SALU_CYCLE_1)
	s_and_b32 vcc_lo, exec_lo, s26
	s_cbranch_vccz .LBB78_726
; %bb.724:
	s_cmp_eq_u32 s24, 11
	s_mov_b32 s0, -1
	s_cbranch_scc0 .LBB78_726
; %bb.725:
	v_cmp_ne_u16_e32 vcc_lo, 0, v5
	s_mov_b32 s0, 0
	s_mov_b32 s25, -1
	s_wait_xcnt 0x0
	v_cndmask_b32_e64 v2, 0, 1, vcc_lo
	global_store_b8 v[0:1], v2, off
.LBB78_726:
	s_mov_b32 s24, 0
.LBB78_727:
	s_delay_alu instid0(SALU_CYCLE_1)
	s_and_b32 vcc_lo, exec_lo, s24
	s_cbranch_vccz .LBB78_766
; %bb.728:
	s_and_b32 s21, 0xffff, s21
	s_mov_b32 s24, -1
	s_cmp_lt_i32 s21, 5
	s_cbranch_scc1 .LBB78_749
; %bb.729:
	s_cmp_lt_i32 s21, 8
	s_cbranch_scc1 .LBB78_739
; %bb.730:
	;; [unrolled: 3-line block ×3, first 2 shown]
	s_cmp_gt_i32 s21, 9
	s_cbranch_scc0 .LBB78_733
; %bb.732:
	s_wait_xcnt 0x0
	v_bfe_i32 v2, v5, 0, 16
	v_mov_b32_e32 v8, 0
	s_mov_b32 s24, 0
	s_delay_alu instid0(VALU_DEP_2) | instskip(NEXT) | instid1(VALU_DEP_2)
	v_cvt_f64_i32_e32 v[6:7], v2
	v_mov_b32_e32 v9, v8
	global_store_b128 v[0:1], v[6:9], off
.LBB78_733:
	s_and_not1_b32 vcc_lo, exec_lo, s24
	s_cbranch_vccnz .LBB78_735
; %bb.734:
	s_wait_xcnt 0x0
	v_bfe_i32 v2, v5, 0, 16
	v_mov_b32_e32 v3, 0
	s_delay_alu instid0(VALU_DEP_2)
	v_cvt_f32_i32_e32 v2, v2
	global_store_b64 v[0:1], v[2:3], off
.LBB78_735:
	s_mov_b32 s24, 0
.LBB78_736:
	s_delay_alu instid0(SALU_CYCLE_1)
	s_and_not1_b32 vcc_lo, exec_lo, s24
	s_cbranch_vccnz .LBB78_738
; %bb.737:
	s_wait_xcnt 0x0
	v_cvt_f16_i16_e32 v2, v5
	s_delay_alu instid0(VALU_DEP_1)
	v_and_b32_e32 v2, 0xffff, v2
	global_store_b32 v[0:1], v2, off
.LBB78_738:
	s_mov_b32 s24, 0
.LBB78_739:
	s_delay_alu instid0(SALU_CYCLE_1)
	s_and_not1_b32 vcc_lo, exec_lo, s24
	s_cbranch_vccnz .LBB78_748
; %bb.740:
	s_cmp_lt_i32 s21, 6
	s_mov_b32 s24, -1
	s_cbranch_scc1 .LBB78_746
; %bb.741:
	s_cmp_gt_i32 s21, 6
	s_cbranch_scc0 .LBB78_743
; %bb.742:
	s_wait_xcnt 0x0
	v_bfe_i32 v2, v5, 0, 16
	s_mov_b32 s24, 0
	s_delay_alu instid0(VALU_DEP_1)
	v_cvt_f64_i32_e32 v[2:3], v2
	global_store_b64 v[0:1], v[2:3], off
.LBB78_743:
	s_and_not1_b32 vcc_lo, exec_lo, s24
	s_cbranch_vccnz .LBB78_745
; %bb.744:
	s_wait_xcnt 0x0
	v_bfe_i32 v2, v5, 0, 16
	s_delay_alu instid0(VALU_DEP_1)
	v_cvt_f32_i32_e32 v2, v2
	global_store_b32 v[0:1], v2, off
.LBB78_745:
	s_mov_b32 s24, 0
.LBB78_746:
	s_delay_alu instid0(SALU_CYCLE_1)
	s_and_not1_b32 vcc_lo, exec_lo, s24
	s_cbranch_vccnz .LBB78_748
; %bb.747:
	s_wait_xcnt 0x0
	v_cvt_f16_i16_e32 v2, v5
	global_store_b16 v[0:1], v2, off
.LBB78_748:
	s_mov_b32 s24, 0
.LBB78_749:
	s_delay_alu instid0(SALU_CYCLE_1)
	s_and_not1_b32 vcc_lo, exec_lo, s24
	s_cbranch_vccnz .LBB78_765
; %bb.750:
	s_cmp_lt_i32 s21, 2
	s_mov_b32 s24, -1
	s_cbranch_scc1 .LBB78_760
; %bb.751:
	s_cmp_lt_i32 s21, 3
	s_cbranch_scc1 .LBB78_757
; %bb.752:
	s_wait_xcnt 0x0
	v_bfe_i32 v2, v5, 0, 16
	s_cmp_gt_i32 s21, 3
	s_cbranch_scc0 .LBB78_754
; %bb.753:
	s_delay_alu instid0(VALU_DEP_1)
	v_ashrrev_i32_e32 v3, 31, v2
	s_mov_b32 s24, 0
	global_store_b64 v[0:1], v[2:3], off
.LBB78_754:
	s_and_not1_b32 vcc_lo, exec_lo, s24
	s_cbranch_vccnz .LBB78_756
; %bb.755:
	global_store_b32 v[0:1], v2, off
.LBB78_756:
	s_mov_b32 s24, 0
.LBB78_757:
	s_delay_alu instid0(SALU_CYCLE_1)
	s_and_not1_b32 vcc_lo, exec_lo, s24
	s_cbranch_vccnz .LBB78_759
; %bb.758:
	global_store_b16 v[0:1], v5, off
.LBB78_759:
	s_mov_b32 s24, 0
.LBB78_760:
	s_delay_alu instid0(SALU_CYCLE_1)
	s_and_not1_b32 vcc_lo, exec_lo, s24
	s_cbranch_vccnz .LBB78_765
; %bb.761:
	s_cmp_gt_i32 s21, 0
	s_mov_b32 s21, -1
	s_cbranch_scc0 .LBB78_763
; %bb.762:
	s_mov_b32 s21, 0
	global_store_b8 v[0:1], v5, off
.LBB78_763:
	s_and_not1_b32 vcc_lo, exec_lo, s21
	s_cbranch_vccnz .LBB78_765
; %bb.764:
	global_store_b8 v[0:1], v5, off
.LBB78_765:
	s_mov_b32 s25, -1
.LBB78_766:
	s_delay_alu instid0(SALU_CYCLE_1)
	s_and_not1_b32 vcc_lo, exec_lo, s25
	s_cbranch_vccnz .LBB78_768
; %bb.767:
	v_add_nc_u32_e32 v10, 0x80, v10
	s_mov_b32 s24, -1
	s_branch .LBB78_770
.LBB78_768:
	s_mov_b32 s24, 0
.LBB78_769:
                                        ; implicit-def: $vgpr10
.LBB78_770:
	s_and_not1_b32 s21, s15, exec_lo
	s_and_b32 s0, s0, exec_lo
	s_and_b32 s22, s22, exec_lo
	s_or_b32 s21, s21, s0
	s_and_not1_b32 s0, s17, exec_lo
	s_and_not1_b32 s25, s18, exec_lo
	s_and_b32 s20, s20, exec_lo
	s_or_b32 s22, s0, s22
	s_or_b32 s20, s25, s20
	s_or_not1_b32 s25, s24, exec_lo
.LBB78_771:
	s_wait_xcnt 0x0
	s_or_b32 exec_lo, exec_lo, s23
	s_mov_b32 s24, 0
	s_mov_b32 s26, 0
	;; [unrolled: 1-line block ×3, first 2 shown]
                                        ; implicit-def: $sgpr0
                                        ; implicit-def: $vgpr2_vgpr3
                                        ; implicit-def: $vgpr0
	s_and_saveexec_b32 s23, s25
	s_cbranch_execz .LBB78_1240
; %bb.772:
	s_mov_b32 s31, -1
	s_mov_b32 s25, s20
	s_mov_b32 s26, s22
	;; [unrolled: 1-line block ×3, first 2 shown]
	s_mov_b32 s24, exec_lo
	v_cmpx_gt_i32_e64 s16, v10
	s_cbranch_execz .LBB78_1160
; %bb.773:
	s_wait_loadcnt 0x0
	v_mul_lo_u32 v0, v10, s9
	s_and_b32 s0, s13, 0xff
	s_delay_alu instid0(SALU_CYCLE_1) | instskip(NEXT) | instid1(VALU_DEP_1)
	s_cmp_lt_i32 s0, 11
	v_ashrrev_i32_e32 v1, 31, v0
	s_delay_alu instid0(VALU_DEP_1)
	v_add_nc_u64_e32 v[2:3], s[6:7], v[0:1]
	s_cbranch_scc1 .LBB78_780
; %bb.774:
	s_and_b32 s26, 0xffff, s0
	s_delay_alu instid0(SALU_CYCLE_1)
	s_cmp_gt_i32 s26, 25
	s_cbranch_scc0 .LBB78_781
; %bb.775:
	s_cmp_gt_i32 s26, 28
	s_cbranch_scc0 .LBB78_782
; %bb.776:
	;; [unrolled: 3-line block ×4, first 2 shown]
	s_cmp_eq_u32 s26, 46
	s_mov_b32 s28, 0
	s_cbranch_scc0 .LBB78_787
; %bb.779:
	global_load_b32 v0, v[2:3], off
	s_mov_b32 s27, -1
	s_mov_b32 s25, 0
	s_wait_loadcnt 0x0
	v_lshlrev_b32_e32 v0, 16, v0
	s_delay_alu instid0(VALU_DEP_1)
	v_cvt_i32_f32_e32 v0, v0
	s_branch .LBB78_789
.LBB78_780:
	s_mov_b32 s26, -1
	s_mov_b32 s27, 0
	s_mov_b32 s25, s20
                                        ; implicit-def: $vgpr0
	s_branch .LBB78_850
.LBB78_781:
	s_mov_b32 s28, -1
	s_mov_b32 s27, 0
	s_mov_b32 s25, s20
                                        ; implicit-def: $vgpr0
	s_branch .LBB78_816
.LBB78_782:
	s_mov_b32 s28, -1
	s_mov_b32 s27, 0
	s_mov_b32 s25, s20
                                        ; implicit-def: $vgpr0
	s_branch .LBB78_799
.LBB78_783:
	s_mov_b32 s28, -1
	s_mov_b32 s27, 0
	s_mov_b32 s25, s20
                                        ; implicit-def: $vgpr0
	s_branch .LBB78_794
.LBB78_784:
	s_mov_b32 s28, -1
	s_mov_b32 s27, 0
	s_mov_b32 s25, s20
	s_branch .LBB78_788
.LBB78_785:
	s_and_not1_saveexec_b32 s27, s27
	s_cbranch_execz .LBB78_679
.LBB78_786:
	v_add_f32_e64 v3, 0x46000000, |v2|
	s_and_not1_b32 s26, s26, exec_lo
	s_delay_alu instid0(VALU_DEP_1) | instskip(NEXT) | instid1(VALU_DEP_1)
	v_and_b32_e32 v3, 0xff, v3
	v_cmp_ne_u32_e32 vcc_lo, 0, v3
	s_and_b32 s28, vcc_lo, exec_lo
	s_delay_alu instid0(SALU_CYCLE_1)
	s_or_b32 s26, s26, s28
	s_or_b32 exec_lo, exec_lo, s27
	v_mov_b32_e32 v4, 0
	s_and_saveexec_b32 s27, s26
	s_cbranch_execnz .LBB78_680
	s_branch .LBB78_681
.LBB78_787:
	s_mov_b32 s25, -1
	s_mov_b32 s27, 0
.LBB78_788:
                                        ; implicit-def: $vgpr0
.LBB78_789:
	s_and_b32 vcc_lo, exec_lo, s28
	s_cbranch_vccz .LBB78_793
; %bb.790:
	s_cmp_eq_u32 s26, 44
	s_cbranch_scc0 .LBB78_792
; %bb.791:
	global_load_u8 v0, v[2:3], off
	s_mov_b32 s25, 0
	s_mov_b32 s27, -1
	s_wait_loadcnt 0x0
	v_lshlrev_b32_e32 v1, 23, v0
	v_cmp_ne_u32_e32 vcc_lo, 0, v0
	s_delay_alu instid0(VALU_DEP_2) | instskip(NEXT) | instid1(VALU_DEP_1)
	v_cvt_i32_f32_e32 v1, v1
	v_cndmask_b32_e32 v0, 0, v1, vcc_lo
	s_branch .LBB78_793
.LBB78_792:
	s_mov_b32 s25, -1
                                        ; implicit-def: $vgpr0
.LBB78_793:
	s_mov_b32 s28, 0
.LBB78_794:
	s_delay_alu instid0(SALU_CYCLE_1)
	s_and_b32 vcc_lo, exec_lo, s28
	s_cbranch_vccz .LBB78_798
; %bb.795:
	s_cmp_eq_u32 s26, 29
	s_cbranch_scc0 .LBB78_797
; %bb.796:
	global_load_b64 v[0:1], v[2:3], off
	s_mov_b32 s27, -1
	s_mov_b32 s25, 0
	s_branch .LBB78_798
.LBB78_797:
	s_mov_b32 s25, -1
                                        ; implicit-def: $vgpr0
.LBB78_798:
	s_mov_b32 s28, 0
.LBB78_799:
	s_delay_alu instid0(SALU_CYCLE_1)
	s_and_b32 vcc_lo, exec_lo, s28
	s_cbranch_vccz .LBB78_815
; %bb.800:
	s_cmp_lt_i32 s26, 27
	s_cbranch_scc1 .LBB78_803
; %bb.801:
	s_cmp_gt_i32 s26, 27
	s_cbranch_scc0 .LBB78_804
; %bb.802:
	s_wait_loadcnt 0x0
	global_load_b32 v0, v[2:3], off
	s_mov_b32 s27, 0
	s_branch .LBB78_805
.LBB78_803:
	s_mov_b32 s27, -1
                                        ; implicit-def: $vgpr0
	s_branch .LBB78_808
.LBB78_804:
	s_mov_b32 s27, -1
                                        ; implicit-def: $vgpr0
.LBB78_805:
	s_delay_alu instid0(SALU_CYCLE_1)
	s_and_not1_b32 vcc_lo, exec_lo, s27
	s_cbranch_vccnz .LBB78_807
; %bb.806:
	s_wait_loadcnt 0x0
	global_load_u16 v0, v[2:3], off
.LBB78_807:
	s_mov_b32 s27, 0
.LBB78_808:
	s_delay_alu instid0(SALU_CYCLE_1)
	s_and_not1_b32 vcc_lo, exec_lo, s27
	s_cbranch_vccnz .LBB78_814
; %bb.809:
	s_wait_loadcnt 0x0
	global_load_u8 v1, v[2:3], off
	s_mov_b32 s28, 0
	s_mov_b32 s27, exec_lo
	s_wait_loadcnt 0x0
	v_cmpx_lt_i16_e32 0x7f, v1
	s_xor_b32 s27, exec_lo, s27
	s_cbranch_execz .LBB78_826
; %bb.810:
	v_cmp_ne_u16_e32 vcc_lo, 0x80, v1
	s_and_b32 s28, vcc_lo, exec_lo
	s_and_not1_saveexec_b32 s27, s27
	s_cbranch_execnz .LBB78_827
.LBB78_811:
	s_or_b32 exec_lo, exec_lo, s27
	v_mov_b32_e32 v0, 0
	s_and_saveexec_b32 s27, s28
	s_cbranch_execz .LBB78_813
.LBB78_812:
	v_and_b32_e32 v0, 0xffff, v1
	s_delay_alu instid0(VALU_DEP_1) | instskip(SKIP_1) | instid1(VALU_DEP_2)
	v_and_b32_e32 v4, 7, v0
	v_bfe_u32 v7, v0, 3, 4
	v_clz_i32_u32_e32 v5, v4
	s_delay_alu instid0(VALU_DEP_2) | instskip(NEXT) | instid1(VALU_DEP_2)
	v_cmp_eq_u32_e32 vcc_lo, 0, v7
	v_min_u32_e32 v5, 32, v5
	s_delay_alu instid0(VALU_DEP_1) | instskip(NEXT) | instid1(VALU_DEP_1)
	v_subrev_nc_u32_e32 v6, 28, v5
	v_dual_lshlrev_b32 v0, v6, v0 :: v_dual_sub_nc_u32 v5, 29, v5
	s_delay_alu instid0(VALU_DEP_1) | instskip(NEXT) | instid1(VALU_DEP_1)
	v_dual_lshlrev_b32 v1, 24, v1 :: v_dual_bitop2_b32 v0, 7, v0 bitop3:0x40
	v_dual_cndmask_b32 v0, v4, v0 :: v_dual_cndmask_b32 v5, v7, v5
	s_delay_alu instid0(VALU_DEP_2) | instskip(NEXT) | instid1(VALU_DEP_2)
	v_and_b32_e32 v1, 0x80000000, v1
	v_lshlrev_b32_e32 v0, 20, v0
	s_delay_alu instid0(VALU_DEP_3) | instskip(NEXT) | instid1(VALU_DEP_1)
	v_lshl_add_u32 v4, v5, 23, 0x3b800000
	v_or3_b32 v0, v1, v4, v0
	s_delay_alu instid0(VALU_DEP_1)
	v_cvt_i32_f32_e32 v0, v0
.LBB78_813:
	s_or_b32 exec_lo, exec_lo, s27
.LBB78_814:
	s_mov_b32 s27, -1
.LBB78_815:
	s_mov_b32 s28, 0
.LBB78_816:
	s_delay_alu instid0(SALU_CYCLE_1)
	s_and_b32 vcc_lo, exec_lo, s28
	s_cbranch_vccz .LBB78_849
; %bb.817:
	s_cmp_gt_i32 s26, 22
	s_cbranch_scc0 .LBB78_825
; %bb.818:
	s_cmp_lt_i32 s26, 24
	s_cbranch_scc1 .LBB78_828
; %bb.819:
	s_cmp_gt_i32 s26, 24
	s_cbranch_scc0 .LBB78_829
; %bb.820:
	s_wait_loadcnt 0x0
	global_load_u8 v1, v[2:3], off
	s_mov_b32 s28, 0
	s_mov_b32 s27, exec_lo
	s_wait_loadcnt 0x0
	v_cmpx_lt_i16_e32 0x7f, v1
	s_xor_b32 s27, exec_lo, s27
	s_cbranch_execz .LBB78_841
; %bb.821:
	v_cmp_ne_u16_e32 vcc_lo, 0x80, v1
	s_and_b32 s28, vcc_lo, exec_lo
	s_and_not1_saveexec_b32 s27, s27
	s_cbranch_execnz .LBB78_842
.LBB78_822:
	s_or_b32 exec_lo, exec_lo, s27
	v_mov_b32_e32 v0, 0
	s_and_saveexec_b32 s27, s28
	s_cbranch_execz .LBB78_824
.LBB78_823:
	v_and_b32_e32 v0, 0xffff, v1
	s_delay_alu instid0(VALU_DEP_1) | instskip(SKIP_1) | instid1(VALU_DEP_2)
	v_and_b32_e32 v4, 3, v0
	v_bfe_u32 v7, v0, 2, 5
	v_clz_i32_u32_e32 v5, v4
	s_delay_alu instid0(VALU_DEP_2) | instskip(NEXT) | instid1(VALU_DEP_2)
	v_cmp_eq_u32_e32 vcc_lo, 0, v7
	v_min_u32_e32 v5, 32, v5
	s_delay_alu instid0(VALU_DEP_1) | instskip(NEXT) | instid1(VALU_DEP_1)
	v_subrev_nc_u32_e32 v6, 29, v5
	v_dual_lshlrev_b32 v0, v6, v0 :: v_dual_sub_nc_u32 v5, 30, v5
	s_delay_alu instid0(VALU_DEP_1) | instskip(NEXT) | instid1(VALU_DEP_1)
	v_dual_lshlrev_b32 v1, 24, v1 :: v_dual_bitop2_b32 v0, 3, v0 bitop3:0x40
	v_dual_cndmask_b32 v0, v4, v0 :: v_dual_cndmask_b32 v5, v7, v5
	s_delay_alu instid0(VALU_DEP_2) | instskip(NEXT) | instid1(VALU_DEP_2)
	v_and_b32_e32 v1, 0x80000000, v1
	v_lshlrev_b32_e32 v0, 21, v0
	s_delay_alu instid0(VALU_DEP_3) | instskip(NEXT) | instid1(VALU_DEP_1)
	v_lshl_add_u32 v4, v5, 23, 0x37800000
	v_or3_b32 v0, v1, v4, v0
	s_delay_alu instid0(VALU_DEP_1)
	v_cvt_i32_f32_e32 v0, v0
.LBB78_824:
	s_or_b32 exec_lo, exec_lo, s27
	s_mov_b32 s27, 0
	s_branch .LBB78_830
.LBB78_825:
	s_mov_b32 s28, -1
                                        ; implicit-def: $vgpr0
	s_branch .LBB78_836
.LBB78_826:
	s_and_not1_saveexec_b32 s27, s27
	s_cbranch_execz .LBB78_811
.LBB78_827:
	v_cmp_ne_u16_e32 vcc_lo, 0, v1
	s_and_not1_b32 s28, s28, exec_lo
	s_and_b32 s29, vcc_lo, exec_lo
	s_delay_alu instid0(SALU_CYCLE_1)
	s_or_b32 s28, s28, s29
	s_or_b32 exec_lo, exec_lo, s27
	v_mov_b32_e32 v0, 0
	s_and_saveexec_b32 s27, s28
	s_cbranch_execnz .LBB78_812
	s_branch .LBB78_813
.LBB78_828:
	s_mov_b32 s27, -1
                                        ; implicit-def: $vgpr0
	s_branch .LBB78_833
.LBB78_829:
	s_mov_b32 s27, -1
                                        ; implicit-def: $vgpr0
.LBB78_830:
	s_delay_alu instid0(SALU_CYCLE_1)
	s_and_b32 vcc_lo, exec_lo, s27
	s_cbranch_vccz .LBB78_832
; %bb.831:
	s_wait_loadcnt 0x0
	global_load_u8 v0, v[2:3], off
	s_wait_loadcnt 0x0
	v_lshlrev_b32_e32 v0, 24, v0
	s_delay_alu instid0(VALU_DEP_1) | instskip(NEXT) | instid1(VALU_DEP_1)
	v_and_b32_e32 v1, 0x7f000000, v0
	v_clz_i32_u32_e32 v4, v1
	v_cmp_ne_u32_e32 vcc_lo, 0, v1
	v_add_nc_u32_e32 v6, 0x1000000, v1
	s_delay_alu instid0(VALU_DEP_3) | instskip(NEXT) | instid1(VALU_DEP_1)
	v_min_u32_e32 v4, 32, v4
	v_sub_nc_u32_e64 v4, v4, 4 clamp
	s_delay_alu instid0(VALU_DEP_1) | instskip(NEXT) | instid1(VALU_DEP_1)
	v_dual_lshlrev_b32 v5, v4, v1 :: v_dual_lshlrev_b32 v4, 23, v4
	v_lshrrev_b32_e32 v5, 4, v5
	s_delay_alu instid0(VALU_DEP_1) | instskip(NEXT) | instid1(VALU_DEP_1)
	v_dual_sub_nc_u32 v4, v5, v4 :: v_dual_ashrrev_i32 v5, 8, v6
	v_add_nc_u32_e32 v4, 0x3c000000, v4
	s_delay_alu instid0(VALU_DEP_1) | instskip(NEXT) | instid1(VALU_DEP_1)
	v_and_or_b32 v4, 0x7f800000, v5, v4
	v_cndmask_b32_e32 v1, 0, v4, vcc_lo
	s_delay_alu instid0(VALU_DEP_1) | instskip(NEXT) | instid1(VALU_DEP_1)
	v_and_or_b32 v0, 0x80000000, v0, v1
	v_cvt_i32_f32_e32 v0, v0
.LBB78_832:
	s_mov_b32 s27, 0
.LBB78_833:
	s_delay_alu instid0(SALU_CYCLE_1)
	s_and_not1_b32 vcc_lo, exec_lo, s27
	s_cbranch_vccnz .LBB78_835
; %bb.834:
	s_wait_loadcnt 0x0
	global_load_u8 v0, v[2:3], off
	s_wait_loadcnt 0x0
	v_lshlrev_b32_e32 v1, 25, v0
	v_lshlrev_b16 v0, 8, v0
	s_delay_alu instid0(VALU_DEP_1) | instskip(SKIP_1) | instid1(VALU_DEP_2)
	v_and_or_b32 v5, 0x7f00, v0, 0.5
	v_bfe_i32 v0, v0, 0, 16
	v_add_f32_e32 v5, -0.5, v5
	v_lshrrev_b32_e32 v4, 4, v1
	v_cmp_gt_u32_e32 vcc_lo, 0x8000000, v1
	s_delay_alu instid0(VALU_DEP_2) | instskip(NEXT) | instid1(VALU_DEP_1)
	v_or_b32_e32 v4, 0x70000000, v4
	v_mul_f32_e32 v4, 0x7800000, v4
	s_delay_alu instid0(VALU_DEP_1) | instskip(NEXT) | instid1(VALU_DEP_1)
	v_cndmask_b32_e32 v1, v4, v5, vcc_lo
	v_and_or_b32 v0, 0x80000000, v0, v1
	s_delay_alu instid0(VALU_DEP_1)
	v_cvt_i32_f32_e32 v0, v0
.LBB78_835:
	s_mov_b32 s28, 0
	s_mov_b32 s27, -1
.LBB78_836:
	s_and_not1_b32 vcc_lo, exec_lo, s28
	s_cbranch_vccnz .LBB78_849
; %bb.837:
	s_cmp_gt_i32 s26, 14
	s_cbranch_scc0 .LBB78_840
; %bb.838:
	s_cmp_eq_u32 s26, 15
	s_cbranch_scc0 .LBB78_843
; %bb.839:
	s_wait_loadcnt 0x0
	global_load_u16 v0, v[2:3], off
	s_mov_b32 s27, -1
	s_mov_b32 s25, 0
	s_wait_loadcnt 0x0
	v_lshlrev_b32_e32 v0, 16, v0
	s_delay_alu instid0(VALU_DEP_1)
	v_cvt_i32_f32_e32 v0, v0
	s_branch .LBB78_844
.LBB78_840:
	s_mov_b32 s28, -1
                                        ; implicit-def: $vgpr0
	s_branch .LBB78_845
.LBB78_841:
	s_and_not1_saveexec_b32 s27, s27
	s_cbranch_execz .LBB78_822
.LBB78_842:
	v_cmp_ne_u16_e32 vcc_lo, 0, v1
	s_and_not1_b32 s28, s28, exec_lo
	s_and_b32 s29, vcc_lo, exec_lo
	s_delay_alu instid0(SALU_CYCLE_1)
	s_or_b32 s28, s28, s29
	s_or_b32 exec_lo, exec_lo, s27
	v_mov_b32_e32 v0, 0
	s_and_saveexec_b32 s27, s28
	s_cbranch_execnz .LBB78_823
	s_branch .LBB78_824
.LBB78_843:
	s_mov_b32 s25, -1
                                        ; implicit-def: $vgpr0
.LBB78_844:
	s_mov_b32 s28, 0
.LBB78_845:
	s_delay_alu instid0(SALU_CYCLE_1)
	s_and_b32 vcc_lo, exec_lo, s28
	s_cbranch_vccz .LBB78_849
; %bb.846:
	s_cmp_eq_u32 s26, 11
	s_cbranch_scc0 .LBB78_848
; %bb.847:
	s_wait_loadcnt 0x0
	global_load_u8 v0, v[2:3], off
	s_mov_b32 s25, 0
	s_mov_b32 s27, -1
	s_wait_loadcnt 0x0
	v_cmp_ne_u16_e32 vcc_lo, 0, v0
	v_cndmask_b32_e64 v0, 0, 1, vcc_lo
	s_branch .LBB78_849
.LBB78_848:
	s_mov_b32 s25, -1
                                        ; implicit-def: $vgpr0
.LBB78_849:
	s_mov_b32 s26, 0
.LBB78_850:
	s_delay_alu instid0(SALU_CYCLE_1)
	s_and_b32 vcc_lo, exec_lo, s26
	s_cbranch_vccz .LBB78_899
; %bb.851:
	s_and_b32 s0, 0xffff, s0
	s_delay_alu instid0(SALU_CYCLE_1)
	s_cmp_lt_i32 s0, 5
	s_cbranch_scc1 .LBB78_856
; %bb.852:
	s_cmp_lt_i32 s0, 8
	s_cbranch_scc1 .LBB78_857
; %bb.853:
	;; [unrolled: 3-line block ×3, first 2 shown]
	s_cmp_gt_i32 s0, 9
	s_cbranch_scc0 .LBB78_859
; %bb.855:
	s_wait_loadcnt 0x0
	global_load_b64 v[0:1], v[2:3], off
	s_mov_b32 s26, 0
	s_wait_loadcnt 0x0
	v_cvt_i32_f64_e32 v0, v[0:1]
	s_branch .LBB78_860
.LBB78_856:
	s_mov_b32 s26, -1
                                        ; implicit-def: $vgpr0
	s_branch .LBB78_878
.LBB78_857:
	s_mov_b32 s26, -1
                                        ; implicit-def: $vgpr0
	s_branch .LBB78_866
.LBB78_858:
	s_mov_b32 s26, -1
                                        ; implicit-def: $vgpr0
	s_branch .LBB78_863
.LBB78_859:
	s_mov_b32 s26, -1
                                        ; implicit-def: $vgpr0
.LBB78_860:
	s_delay_alu instid0(SALU_CYCLE_1)
	s_and_not1_b32 vcc_lo, exec_lo, s26
	s_cbranch_vccnz .LBB78_862
; %bb.861:
	s_wait_loadcnt 0x0
	global_load_b32 v0, v[2:3], off
	s_wait_loadcnt 0x0
	v_cvt_i32_f32_e32 v0, v0
.LBB78_862:
	s_mov_b32 s26, 0
.LBB78_863:
	s_delay_alu instid0(SALU_CYCLE_1)
	s_and_not1_b32 vcc_lo, exec_lo, s26
	s_cbranch_vccnz .LBB78_865
; %bb.864:
	s_wait_loadcnt 0x0
	global_load_b32 v0, v[2:3], off
	s_wait_loadcnt 0x0
	v_cvt_i16_f16_e32 v0, v0
.LBB78_865:
	s_mov_b32 s26, 0
.LBB78_866:
	s_delay_alu instid0(SALU_CYCLE_1)
	s_and_not1_b32 vcc_lo, exec_lo, s26
	s_cbranch_vccnz .LBB78_877
; %bb.867:
	s_cmp_lt_i32 s0, 6
	s_cbranch_scc1 .LBB78_870
; %bb.868:
	s_cmp_gt_i32 s0, 6
	s_cbranch_scc0 .LBB78_871
; %bb.869:
	s_wait_loadcnt 0x0
	global_load_b64 v[0:1], v[2:3], off
	s_mov_b32 s26, 0
	s_wait_loadcnt 0x0
	v_cvt_i32_f64_e32 v0, v[0:1]
	s_branch .LBB78_872
.LBB78_870:
	s_mov_b32 s26, -1
                                        ; implicit-def: $vgpr0
	s_branch .LBB78_875
.LBB78_871:
	s_mov_b32 s26, -1
                                        ; implicit-def: $vgpr0
.LBB78_872:
	s_delay_alu instid0(SALU_CYCLE_1)
	s_and_not1_b32 vcc_lo, exec_lo, s26
	s_cbranch_vccnz .LBB78_874
; %bb.873:
	s_wait_loadcnt 0x0
	global_load_b32 v0, v[2:3], off
	s_wait_loadcnt 0x0
	v_cvt_i32_f32_e32 v0, v0
.LBB78_874:
	s_mov_b32 s26, 0
.LBB78_875:
	s_delay_alu instid0(SALU_CYCLE_1)
	s_and_not1_b32 vcc_lo, exec_lo, s26
	s_cbranch_vccnz .LBB78_877
; %bb.876:
	s_wait_loadcnt 0x0
	global_load_u16 v0, v[2:3], off
	s_wait_loadcnt 0x0
	v_cvt_i16_f16_e32 v0, v0
.LBB78_877:
	s_mov_b32 s26, 0
.LBB78_878:
	s_delay_alu instid0(SALU_CYCLE_1)
	s_and_not1_b32 vcc_lo, exec_lo, s26
	s_cbranch_vccnz .LBB78_898
; %bb.879:
	s_cmp_lt_i32 s0, 2
	s_cbranch_scc1 .LBB78_883
; %bb.880:
	s_cmp_lt_i32 s0, 3
	s_cbranch_scc1 .LBB78_884
; %bb.881:
	s_cmp_gt_i32 s0, 3
	s_cbranch_scc0 .LBB78_885
; %bb.882:
	s_wait_loadcnt 0x0
	global_load_b64 v[0:1], v[2:3], off
	s_mov_b32 s26, 0
	s_branch .LBB78_886
.LBB78_883:
	s_mov_b32 s26, -1
                                        ; implicit-def: $vgpr0
	s_branch .LBB78_892
.LBB78_884:
	s_mov_b32 s26, -1
                                        ; implicit-def: $vgpr0
	s_branch .LBB78_889
.LBB78_885:
	s_mov_b32 s26, -1
                                        ; implicit-def: $vgpr0
.LBB78_886:
	s_delay_alu instid0(SALU_CYCLE_1)
	s_and_not1_b32 vcc_lo, exec_lo, s26
	s_cbranch_vccnz .LBB78_888
; %bb.887:
	s_wait_loadcnt 0x0
	global_load_b32 v0, v[2:3], off
.LBB78_888:
	s_mov_b32 s26, 0
.LBB78_889:
	s_delay_alu instid0(SALU_CYCLE_1)
	s_and_not1_b32 vcc_lo, exec_lo, s26
	s_cbranch_vccnz .LBB78_891
; %bb.890:
	s_wait_loadcnt 0x0
	global_load_u16 v0, v[2:3], off
.LBB78_891:
	s_mov_b32 s26, 0
.LBB78_892:
	s_delay_alu instid0(SALU_CYCLE_1)
	s_and_not1_b32 vcc_lo, exec_lo, s26
	s_cbranch_vccnz .LBB78_898
; %bb.893:
	s_cmp_gt_i32 s0, 0
	s_mov_b32 s0, 0
	s_cbranch_scc0 .LBB78_895
; %bb.894:
	s_wait_loadcnt 0x0
	global_load_i8 v0, v[2:3], off
	s_branch .LBB78_896
.LBB78_895:
	s_mov_b32 s0, -1
                                        ; implicit-def: $vgpr0
.LBB78_896:
	s_delay_alu instid0(SALU_CYCLE_1)
	s_and_not1_b32 vcc_lo, exec_lo, s0
	s_cbranch_vccnz .LBB78_898
; %bb.897:
	s_wait_loadcnt 0x0
	global_load_u8 v0, v[2:3], off
.LBB78_898:
	s_mov_b32 s27, -1
.LBB78_899:
	s_delay_alu instid0(SALU_CYCLE_1)
	s_and_not1_b32 vcc_lo, exec_lo, s27
	s_cbranch_vccnz .LBB78_907
; %bb.900:
	s_wait_xcnt 0x0
	v_mul_lo_u32 v2, v10, s10
	s_and_b32 s0, s1, 0xff
	s_delay_alu instid0(SALU_CYCLE_1) | instskip(NEXT) | instid1(VALU_DEP_1)
	s_cmp_lt_i32 s0, 11
	v_ashrrev_i32_e32 v3, 31, v2
	s_delay_alu instid0(VALU_DEP_1)
	v_add_nc_u64_e32 v[2:3], s[2:3], v[2:3]
	s_cbranch_scc1 .LBB78_908
; %bb.901:
	s_and_b32 s27, 0xffff, s0
	s_delay_alu instid0(SALU_CYCLE_1)
	s_cmp_gt_i32 s27, 25
	s_cbranch_scc0 .LBB78_909
; %bb.902:
	s_cmp_gt_i32 s27, 28
	s_cbranch_scc0 .LBB78_910
; %bb.903:
	;; [unrolled: 3-line block ×4, first 2 shown]
	s_cmp_eq_u32 s27, 46
	s_mov_b32 s29, 0
	s_cbranch_scc0 .LBB78_915
; %bb.906:
	s_wait_loadcnt 0x0
	global_load_b32 v1, v[2:3], off
	s_mov_b32 s28, -1
	s_mov_b32 s26, 0
	s_wait_loadcnt 0x0
	v_lshlrev_b32_e32 v1, 16, v1
	s_delay_alu instid0(VALU_DEP_1)
	v_cvt_i32_f32_e32 v4, v1
	s_branch .LBB78_917
.LBB78_907:
	s_mov_b32 s28, 0
	s_mov_b32 s0, s21
	;; [unrolled: 1-line block ×3, first 2 shown]
	s_branch .LBB78_1158
.LBB78_908:
	s_mov_b32 s27, -1
	s_mov_b32 s28, 0
	s_mov_b32 s26, s22
                                        ; implicit-def: $vgpr4
	s_branch .LBB78_978
.LBB78_909:
	s_mov_b32 s29, -1
	s_mov_b32 s28, 0
	s_mov_b32 s26, s22
                                        ; implicit-def: $vgpr4
	s_branch .LBB78_944
.LBB78_910:
	s_mov_b32 s29, -1
	s_mov_b32 s28, 0
	s_mov_b32 s26, s22
                                        ; implicit-def: $vgpr4
	s_branch .LBB78_927
.LBB78_911:
	s_mov_b32 s29, -1
	s_mov_b32 s28, 0
	s_mov_b32 s26, s22
                                        ; implicit-def: $vgpr4
	s_branch .LBB78_922
.LBB78_912:
	s_mov_b32 s29, -1
	s_mov_b32 s28, 0
	s_mov_b32 s26, s22
	s_branch .LBB78_916
.LBB78_913:
	s_and_not1_saveexec_b32 s27, s27
	s_cbranch_execz .LBB78_692
.LBB78_914:
	v_add_f32_e64 v3, 0x42800000, |v2|
	s_and_not1_b32 s26, s26, exec_lo
	s_delay_alu instid0(VALU_DEP_1) | instskip(NEXT) | instid1(VALU_DEP_1)
	v_and_b32_e32 v3, 0xff, v3
	v_cmp_ne_u32_e32 vcc_lo, 0, v3
	s_and_b32 s28, vcc_lo, exec_lo
	s_delay_alu instid0(SALU_CYCLE_1)
	s_or_b32 s26, s26, s28
	s_or_b32 exec_lo, exec_lo, s27
	v_mov_b32_e32 v4, 0
	s_and_saveexec_b32 s27, s26
	s_cbranch_execnz .LBB78_693
	s_branch .LBB78_694
.LBB78_915:
	s_mov_b32 s26, -1
	s_mov_b32 s28, 0
.LBB78_916:
                                        ; implicit-def: $vgpr4
.LBB78_917:
	s_and_b32 vcc_lo, exec_lo, s29
	s_cbranch_vccz .LBB78_921
; %bb.918:
	s_cmp_eq_u32 s27, 44
	s_cbranch_scc0 .LBB78_920
; %bb.919:
	s_wait_loadcnt 0x0
	global_load_u8 v1, v[2:3], off
	s_mov_b32 s26, 0
	s_mov_b32 s28, -1
	s_wait_loadcnt 0x0
	v_lshlrev_b32_e32 v4, 23, v1
	v_cmp_ne_u32_e32 vcc_lo, 0, v1
	s_delay_alu instid0(VALU_DEP_2) | instskip(NEXT) | instid1(VALU_DEP_1)
	v_cvt_i32_f32_e32 v4, v4
	v_cndmask_b32_e32 v4, 0, v4, vcc_lo
	s_branch .LBB78_921
.LBB78_920:
	s_mov_b32 s26, -1
                                        ; implicit-def: $vgpr4
.LBB78_921:
	s_mov_b32 s29, 0
.LBB78_922:
	s_delay_alu instid0(SALU_CYCLE_1)
	s_and_b32 vcc_lo, exec_lo, s29
	s_cbranch_vccz .LBB78_926
; %bb.923:
	s_cmp_eq_u32 s27, 29
	s_cbranch_scc0 .LBB78_925
; %bb.924:
	global_load_b64 v[4:5], v[2:3], off
	s_mov_b32 s28, -1
	s_mov_b32 s26, 0
	s_branch .LBB78_926
.LBB78_925:
	s_mov_b32 s26, -1
                                        ; implicit-def: $vgpr4
.LBB78_926:
	s_mov_b32 s29, 0
.LBB78_927:
	s_delay_alu instid0(SALU_CYCLE_1)
	s_and_b32 vcc_lo, exec_lo, s29
	s_cbranch_vccz .LBB78_943
; %bb.928:
	s_cmp_lt_i32 s27, 27
	s_cbranch_scc1 .LBB78_931
; %bb.929:
	s_cmp_gt_i32 s27, 27
	s_cbranch_scc0 .LBB78_932
; %bb.930:
	s_wait_loadcnt 0x0
	global_load_b32 v4, v[2:3], off
	s_mov_b32 s28, 0
	s_branch .LBB78_933
.LBB78_931:
	s_mov_b32 s28, -1
                                        ; implicit-def: $vgpr4
	s_branch .LBB78_936
.LBB78_932:
	s_mov_b32 s28, -1
                                        ; implicit-def: $vgpr4
.LBB78_933:
	s_delay_alu instid0(SALU_CYCLE_1)
	s_and_not1_b32 vcc_lo, exec_lo, s28
	s_cbranch_vccnz .LBB78_935
; %bb.934:
	s_wait_loadcnt 0x0
	global_load_u16 v4, v[2:3], off
.LBB78_935:
	s_mov_b32 s28, 0
.LBB78_936:
	s_delay_alu instid0(SALU_CYCLE_1)
	s_and_not1_b32 vcc_lo, exec_lo, s28
	s_cbranch_vccnz .LBB78_942
; %bb.937:
	s_wait_loadcnt 0x0
	global_load_u8 v1, v[2:3], off
	s_mov_b32 s29, 0
	s_mov_b32 s28, exec_lo
	s_wait_loadcnt 0x0
	v_cmpx_lt_i16_e32 0x7f, v1
	s_xor_b32 s28, exec_lo, s28
	s_cbranch_execz .LBB78_954
; %bb.938:
	v_cmp_ne_u16_e32 vcc_lo, 0x80, v1
	s_and_b32 s29, vcc_lo, exec_lo
	s_and_not1_saveexec_b32 s28, s28
	s_cbranch_execnz .LBB78_955
.LBB78_939:
	s_or_b32 exec_lo, exec_lo, s28
	v_mov_b32_e32 v4, 0
	s_and_saveexec_b32 s28, s29
	s_cbranch_execz .LBB78_941
.LBB78_940:
	v_and_b32_e32 v4, 0xffff, v1
	s_delay_alu instid0(VALU_DEP_1) | instskip(SKIP_1) | instid1(VALU_DEP_2)
	v_and_b32_e32 v5, 7, v4
	v_bfe_u32 v8, v4, 3, 4
	v_clz_i32_u32_e32 v6, v5
	s_delay_alu instid0(VALU_DEP_2) | instskip(NEXT) | instid1(VALU_DEP_2)
	v_cmp_eq_u32_e32 vcc_lo, 0, v8
	v_min_u32_e32 v6, 32, v6
	s_delay_alu instid0(VALU_DEP_1) | instskip(NEXT) | instid1(VALU_DEP_1)
	v_subrev_nc_u32_e32 v7, 28, v6
	v_dual_lshlrev_b32 v4, v7, v4 :: v_dual_sub_nc_u32 v6, 29, v6
	s_delay_alu instid0(VALU_DEP_1) | instskip(NEXT) | instid1(VALU_DEP_1)
	v_dual_lshlrev_b32 v1, 24, v1 :: v_dual_bitop2_b32 v4, 7, v4 bitop3:0x40
	v_dual_cndmask_b32 v6, v8, v6, vcc_lo :: v_dual_cndmask_b32 v4, v5, v4, vcc_lo
	s_delay_alu instid0(VALU_DEP_2) | instskip(NEXT) | instid1(VALU_DEP_2)
	v_and_b32_e32 v1, 0x80000000, v1
	v_lshl_add_u32 v5, v6, 23, 0x3b800000
	s_delay_alu instid0(VALU_DEP_3) | instskip(NEXT) | instid1(VALU_DEP_1)
	v_lshlrev_b32_e32 v4, 20, v4
	v_or3_b32 v1, v1, v5, v4
	s_delay_alu instid0(VALU_DEP_1)
	v_cvt_i32_f32_e32 v4, v1
.LBB78_941:
	s_or_b32 exec_lo, exec_lo, s28
.LBB78_942:
	s_mov_b32 s28, -1
.LBB78_943:
	s_mov_b32 s29, 0
.LBB78_944:
	s_delay_alu instid0(SALU_CYCLE_1)
	s_and_b32 vcc_lo, exec_lo, s29
	s_cbranch_vccz .LBB78_977
; %bb.945:
	s_cmp_gt_i32 s27, 22
	s_cbranch_scc0 .LBB78_953
; %bb.946:
	s_cmp_lt_i32 s27, 24
	s_cbranch_scc1 .LBB78_956
; %bb.947:
	s_cmp_gt_i32 s27, 24
	s_cbranch_scc0 .LBB78_957
; %bb.948:
	s_wait_loadcnt 0x0
	global_load_u8 v1, v[2:3], off
	s_mov_b32 s29, 0
	s_mov_b32 s28, exec_lo
	s_wait_loadcnt 0x0
	v_cmpx_lt_i16_e32 0x7f, v1
	s_xor_b32 s28, exec_lo, s28
	s_cbranch_execz .LBB78_969
; %bb.949:
	v_cmp_ne_u16_e32 vcc_lo, 0x80, v1
	s_and_b32 s29, vcc_lo, exec_lo
	s_and_not1_saveexec_b32 s28, s28
	s_cbranch_execnz .LBB78_970
.LBB78_950:
	s_or_b32 exec_lo, exec_lo, s28
	v_mov_b32_e32 v4, 0
	s_and_saveexec_b32 s28, s29
	s_cbranch_execz .LBB78_952
.LBB78_951:
	v_and_b32_e32 v4, 0xffff, v1
	s_delay_alu instid0(VALU_DEP_1) | instskip(SKIP_1) | instid1(VALU_DEP_2)
	v_and_b32_e32 v5, 3, v4
	v_bfe_u32 v8, v4, 2, 5
	v_clz_i32_u32_e32 v6, v5
	s_delay_alu instid0(VALU_DEP_2) | instskip(NEXT) | instid1(VALU_DEP_2)
	v_cmp_eq_u32_e32 vcc_lo, 0, v8
	v_min_u32_e32 v6, 32, v6
	s_delay_alu instid0(VALU_DEP_1) | instskip(NEXT) | instid1(VALU_DEP_1)
	v_subrev_nc_u32_e32 v7, 29, v6
	v_dual_lshlrev_b32 v4, v7, v4 :: v_dual_sub_nc_u32 v6, 30, v6
	s_delay_alu instid0(VALU_DEP_1) | instskip(NEXT) | instid1(VALU_DEP_1)
	v_dual_lshlrev_b32 v1, 24, v1 :: v_dual_bitop2_b32 v4, 3, v4 bitop3:0x40
	v_dual_cndmask_b32 v6, v8, v6, vcc_lo :: v_dual_cndmask_b32 v4, v5, v4, vcc_lo
	s_delay_alu instid0(VALU_DEP_2) | instskip(NEXT) | instid1(VALU_DEP_2)
	v_and_b32_e32 v1, 0x80000000, v1
	v_lshl_add_u32 v5, v6, 23, 0x37800000
	s_delay_alu instid0(VALU_DEP_3) | instskip(NEXT) | instid1(VALU_DEP_1)
	v_lshlrev_b32_e32 v4, 21, v4
	v_or3_b32 v1, v1, v5, v4
	s_delay_alu instid0(VALU_DEP_1)
	v_cvt_i32_f32_e32 v4, v1
.LBB78_952:
	s_or_b32 exec_lo, exec_lo, s28
	s_mov_b32 s28, 0
	s_branch .LBB78_958
.LBB78_953:
	s_mov_b32 s29, -1
                                        ; implicit-def: $vgpr4
	s_branch .LBB78_964
.LBB78_954:
	s_and_not1_saveexec_b32 s28, s28
	s_cbranch_execz .LBB78_939
.LBB78_955:
	v_cmp_ne_u16_e32 vcc_lo, 0, v1
	s_and_not1_b32 s29, s29, exec_lo
	s_and_b32 s30, vcc_lo, exec_lo
	s_delay_alu instid0(SALU_CYCLE_1)
	s_or_b32 s29, s29, s30
	s_or_b32 exec_lo, exec_lo, s28
	v_mov_b32_e32 v4, 0
	s_and_saveexec_b32 s28, s29
	s_cbranch_execnz .LBB78_940
	s_branch .LBB78_941
.LBB78_956:
	s_mov_b32 s28, -1
                                        ; implicit-def: $vgpr4
	s_branch .LBB78_961
.LBB78_957:
	s_mov_b32 s28, -1
                                        ; implicit-def: $vgpr4
.LBB78_958:
	s_delay_alu instid0(SALU_CYCLE_1)
	s_and_b32 vcc_lo, exec_lo, s28
	s_cbranch_vccz .LBB78_960
; %bb.959:
	s_wait_loadcnt 0x0
	global_load_u8 v1, v[2:3], off
	s_wait_loadcnt 0x0
	v_lshlrev_b32_e32 v1, 24, v1
	s_delay_alu instid0(VALU_DEP_1) | instskip(NEXT) | instid1(VALU_DEP_1)
	v_and_b32_e32 v4, 0x7f000000, v1
	v_clz_i32_u32_e32 v5, v4
	v_cmp_ne_u32_e32 vcc_lo, 0, v4
	v_add_nc_u32_e32 v7, 0x1000000, v4
	s_delay_alu instid0(VALU_DEP_3) | instskip(NEXT) | instid1(VALU_DEP_1)
	v_min_u32_e32 v5, 32, v5
	v_sub_nc_u32_e64 v5, v5, 4 clamp
	s_delay_alu instid0(VALU_DEP_1) | instskip(NEXT) | instid1(VALU_DEP_1)
	v_dual_lshlrev_b32 v6, v5, v4 :: v_dual_lshlrev_b32 v5, 23, v5
	v_lshrrev_b32_e32 v6, 4, v6
	s_delay_alu instid0(VALU_DEP_1) | instskip(NEXT) | instid1(VALU_DEP_1)
	v_dual_sub_nc_u32 v5, v6, v5 :: v_dual_ashrrev_i32 v6, 8, v7
	v_add_nc_u32_e32 v5, 0x3c000000, v5
	s_delay_alu instid0(VALU_DEP_1) | instskip(NEXT) | instid1(VALU_DEP_1)
	v_and_or_b32 v5, 0x7f800000, v6, v5
	v_cndmask_b32_e32 v4, 0, v5, vcc_lo
	s_delay_alu instid0(VALU_DEP_1) | instskip(NEXT) | instid1(VALU_DEP_1)
	v_and_or_b32 v1, 0x80000000, v1, v4
	v_cvt_i32_f32_e32 v4, v1
.LBB78_960:
	s_mov_b32 s28, 0
.LBB78_961:
	s_delay_alu instid0(SALU_CYCLE_1)
	s_and_not1_b32 vcc_lo, exec_lo, s28
	s_cbranch_vccnz .LBB78_963
; %bb.962:
	s_wait_loadcnt 0x0
	global_load_u8 v1, v[2:3], off
	s_wait_loadcnt 0x0
	v_lshlrev_b32_e32 v4, 25, v1
	v_lshlrev_b16 v1, 8, v1
	s_delay_alu instid0(VALU_DEP_1) | instskip(SKIP_1) | instid1(VALU_DEP_2)
	v_and_or_b32 v6, 0x7f00, v1, 0.5
	v_bfe_i32 v1, v1, 0, 16
	v_dual_add_f32 v6, -0.5, v6 :: v_dual_lshrrev_b32 v5, 4, v4
	v_cmp_gt_u32_e32 vcc_lo, 0x8000000, v4
	s_delay_alu instid0(VALU_DEP_2) | instskip(NEXT) | instid1(VALU_DEP_1)
	v_or_b32_e32 v5, 0x70000000, v5
	v_mul_f32_e32 v5, 0x7800000, v5
	s_delay_alu instid0(VALU_DEP_1) | instskip(NEXT) | instid1(VALU_DEP_1)
	v_cndmask_b32_e32 v4, v5, v6, vcc_lo
	v_and_or_b32 v1, 0x80000000, v1, v4
	s_delay_alu instid0(VALU_DEP_1)
	v_cvt_i32_f32_e32 v4, v1
.LBB78_963:
	s_mov_b32 s29, 0
	s_mov_b32 s28, -1
.LBB78_964:
	s_and_not1_b32 vcc_lo, exec_lo, s29
	s_cbranch_vccnz .LBB78_977
; %bb.965:
	s_cmp_gt_i32 s27, 14
	s_cbranch_scc0 .LBB78_968
; %bb.966:
	s_cmp_eq_u32 s27, 15
	s_cbranch_scc0 .LBB78_971
; %bb.967:
	s_wait_loadcnt 0x0
	global_load_u16 v1, v[2:3], off
	s_mov_b32 s28, -1
	s_mov_b32 s26, 0
	s_wait_loadcnt 0x0
	v_lshlrev_b32_e32 v1, 16, v1
	s_delay_alu instid0(VALU_DEP_1)
	v_cvt_i32_f32_e32 v4, v1
	s_branch .LBB78_972
.LBB78_968:
	s_mov_b32 s29, -1
                                        ; implicit-def: $vgpr4
	s_branch .LBB78_973
.LBB78_969:
	s_and_not1_saveexec_b32 s28, s28
	s_cbranch_execz .LBB78_950
.LBB78_970:
	v_cmp_ne_u16_e32 vcc_lo, 0, v1
	s_and_not1_b32 s29, s29, exec_lo
	s_and_b32 s30, vcc_lo, exec_lo
	s_delay_alu instid0(SALU_CYCLE_1)
	s_or_b32 s29, s29, s30
	s_or_b32 exec_lo, exec_lo, s28
	v_mov_b32_e32 v4, 0
	s_and_saveexec_b32 s28, s29
	s_cbranch_execnz .LBB78_951
	s_branch .LBB78_952
.LBB78_971:
	s_mov_b32 s26, -1
                                        ; implicit-def: $vgpr4
.LBB78_972:
	s_mov_b32 s29, 0
.LBB78_973:
	s_delay_alu instid0(SALU_CYCLE_1)
	s_and_b32 vcc_lo, exec_lo, s29
	s_cbranch_vccz .LBB78_977
; %bb.974:
	s_cmp_eq_u32 s27, 11
	s_cbranch_scc0 .LBB78_976
; %bb.975:
	s_wait_loadcnt 0x0
	global_load_u8 v1, v[2:3], off
	s_mov_b32 s26, 0
	s_mov_b32 s28, -1
	s_wait_loadcnt 0x0
	v_cmp_ne_u16_e32 vcc_lo, 0, v1
	v_cndmask_b32_e64 v4, 0, 1, vcc_lo
	s_branch .LBB78_977
.LBB78_976:
	s_mov_b32 s26, -1
                                        ; implicit-def: $vgpr4
.LBB78_977:
	s_mov_b32 s27, 0
.LBB78_978:
	s_delay_alu instid0(SALU_CYCLE_1)
	s_and_b32 vcc_lo, exec_lo, s27
	s_cbranch_vccz .LBB78_1027
; %bb.979:
	s_and_b32 s0, 0xffff, s0
	s_delay_alu instid0(SALU_CYCLE_1)
	s_cmp_lt_i32 s0, 5
	s_cbranch_scc1 .LBB78_984
; %bb.980:
	s_cmp_lt_i32 s0, 8
	s_cbranch_scc1 .LBB78_985
; %bb.981:
	;; [unrolled: 3-line block ×3, first 2 shown]
	s_cmp_gt_i32 s0, 9
	s_cbranch_scc0 .LBB78_987
; %bb.983:
	s_wait_loadcnt 0x0
	global_load_b64 v[4:5], v[2:3], off
	s_mov_b32 s27, 0
	s_wait_loadcnt 0x0
	v_cvt_i32_f64_e32 v4, v[4:5]
	s_branch .LBB78_988
.LBB78_984:
	s_mov_b32 s27, -1
                                        ; implicit-def: $vgpr4
	s_branch .LBB78_1006
.LBB78_985:
	s_mov_b32 s27, -1
                                        ; implicit-def: $vgpr4
	s_branch .LBB78_994
.LBB78_986:
	s_mov_b32 s27, -1
                                        ; implicit-def: $vgpr4
	s_branch .LBB78_991
.LBB78_987:
	s_mov_b32 s27, -1
                                        ; implicit-def: $vgpr4
.LBB78_988:
	s_delay_alu instid0(SALU_CYCLE_1)
	s_and_not1_b32 vcc_lo, exec_lo, s27
	s_cbranch_vccnz .LBB78_990
; %bb.989:
	s_wait_loadcnt 0x0
	global_load_b32 v1, v[2:3], off
	s_wait_loadcnt 0x0
	v_cvt_i32_f32_e32 v4, v1
.LBB78_990:
	s_mov_b32 s27, 0
.LBB78_991:
	s_delay_alu instid0(SALU_CYCLE_1)
	s_and_not1_b32 vcc_lo, exec_lo, s27
	s_cbranch_vccnz .LBB78_993
; %bb.992:
	s_wait_loadcnt 0x0
	global_load_b32 v1, v[2:3], off
	s_wait_loadcnt 0x0
	v_cvt_i16_f16_e32 v4, v1
.LBB78_993:
	s_mov_b32 s27, 0
.LBB78_994:
	s_delay_alu instid0(SALU_CYCLE_1)
	s_and_not1_b32 vcc_lo, exec_lo, s27
	s_cbranch_vccnz .LBB78_1005
; %bb.995:
	s_cmp_lt_i32 s0, 6
	s_cbranch_scc1 .LBB78_998
; %bb.996:
	s_cmp_gt_i32 s0, 6
	s_cbranch_scc0 .LBB78_999
; %bb.997:
	s_wait_loadcnt 0x0
	global_load_b64 v[4:5], v[2:3], off
	s_mov_b32 s27, 0
	s_wait_loadcnt 0x0
	v_cvt_i32_f64_e32 v4, v[4:5]
	s_branch .LBB78_1000
.LBB78_998:
	s_mov_b32 s27, -1
                                        ; implicit-def: $vgpr4
	s_branch .LBB78_1003
.LBB78_999:
	s_mov_b32 s27, -1
                                        ; implicit-def: $vgpr4
.LBB78_1000:
	s_delay_alu instid0(SALU_CYCLE_1)
	s_and_not1_b32 vcc_lo, exec_lo, s27
	s_cbranch_vccnz .LBB78_1002
; %bb.1001:
	s_wait_loadcnt 0x0
	global_load_b32 v1, v[2:3], off
	s_wait_loadcnt 0x0
	v_cvt_i32_f32_e32 v4, v1
.LBB78_1002:
	s_mov_b32 s27, 0
.LBB78_1003:
	s_delay_alu instid0(SALU_CYCLE_1)
	s_and_not1_b32 vcc_lo, exec_lo, s27
	s_cbranch_vccnz .LBB78_1005
; %bb.1004:
	s_wait_loadcnt 0x0
	global_load_u16 v1, v[2:3], off
	s_wait_loadcnt 0x0
	v_cvt_i16_f16_e32 v4, v1
.LBB78_1005:
	s_mov_b32 s27, 0
.LBB78_1006:
	s_delay_alu instid0(SALU_CYCLE_1)
	s_and_not1_b32 vcc_lo, exec_lo, s27
	s_cbranch_vccnz .LBB78_1026
; %bb.1007:
	s_cmp_lt_i32 s0, 2
	s_cbranch_scc1 .LBB78_1011
; %bb.1008:
	s_cmp_lt_i32 s0, 3
	s_cbranch_scc1 .LBB78_1012
; %bb.1009:
	s_cmp_gt_i32 s0, 3
	s_cbranch_scc0 .LBB78_1013
; %bb.1010:
	s_wait_loadcnt 0x0
	global_load_b64 v[4:5], v[2:3], off
	s_mov_b32 s27, 0
	s_branch .LBB78_1014
.LBB78_1011:
	s_mov_b32 s27, -1
                                        ; implicit-def: $vgpr4
	s_branch .LBB78_1020
.LBB78_1012:
	s_mov_b32 s27, -1
                                        ; implicit-def: $vgpr4
	s_branch .LBB78_1017
.LBB78_1013:
	s_mov_b32 s27, -1
                                        ; implicit-def: $vgpr4
.LBB78_1014:
	s_delay_alu instid0(SALU_CYCLE_1)
	s_and_not1_b32 vcc_lo, exec_lo, s27
	s_cbranch_vccnz .LBB78_1016
; %bb.1015:
	s_wait_loadcnt 0x0
	global_load_b32 v4, v[2:3], off
.LBB78_1016:
	s_mov_b32 s27, 0
.LBB78_1017:
	s_delay_alu instid0(SALU_CYCLE_1)
	s_and_not1_b32 vcc_lo, exec_lo, s27
	s_cbranch_vccnz .LBB78_1019
; %bb.1018:
	s_wait_loadcnt 0x0
	global_load_u16 v4, v[2:3], off
.LBB78_1019:
	s_mov_b32 s27, 0
.LBB78_1020:
	s_delay_alu instid0(SALU_CYCLE_1)
	s_and_not1_b32 vcc_lo, exec_lo, s27
	s_cbranch_vccnz .LBB78_1026
; %bb.1021:
	s_cmp_gt_i32 s0, 0
	s_mov_b32 s0, 0
	s_cbranch_scc0 .LBB78_1023
; %bb.1022:
	s_wait_loadcnt 0x0
	global_load_i8 v4, v[2:3], off
	s_branch .LBB78_1024
.LBB78_1023:
	s_mov_b32 s0, -1
                                        ; implicit-def: $vgpr4
.LBB78_1024:
	s_delay_alu instid0(SALU_CYCLE_1)
	s_and_not1_b32 vcc_lo, exec_lo, s0
	s_cbranch_vccnz .LBB78_1026
; %bb.1025:
	s_wait_loadcnt 0x0
	global_load_u8 v4, v[2:3], off
.LBB78_1026:
	s_mov_b32 s28, -1
.LBB78_1027:
	s_delay_alu instid0(SALU_CYCLE_1)
	s_and_not1_b32 vcc_lo, exec_lo, s28
	s_cbranch_vccnz .LBB78_1041
; %bb.1028:
	s_wait_loadcnt 0x0
	s_delay_alu instid0(VALU_DEP_1) | instskip(SKIP_2) | instid1(VALU_DEP_1)
	v_sub_nc_u16 v1, 0, v4
	s_mov_b32 s27, 0
	s_mov_b32 s0, exec_lo
	v_max_i16 v1, v4, v1
	s_wait_xcnt 0x0
	v_cmpx_ne_u16_e32 0, v0
	s_cbranch_execz .LBB78_1032
; %bb.1029:
	v_sub_nc_u16 v2, 0, v0
	s_delay_alu instid0(VALU_DEP_1) | instskip(SKIP_1) | instid1(VALU_DEP_2)
	v_max_i16 v3, v0, v2
	v_and_b32_e32 v2, 0xffff, v1
	v_and_b32_e32 v3, 0xffff, v3
.LBB78_1030:                            ; =>This Inner Loop Header: Depth=1
	s_delay_alu instid0(VALU_DEP_1) | instskip(NEXT) | instid1(VALU_DEP_2)
	v_bfe_i32 v6, v2, 0, 16
	v_mov_b32_e32 v1, v3
	s_delay_alu instid0(VALU_DEP_2) | instskip(NEXT) | instid1(VALU_DEP_2)
	v_cvt_f32_i32_e32 v8, v6
	v_bfe_i32 v3, v1, 0, 16
	s_delay_alu instid0(VALU_DEP_1) | instskip(SKIP_1) | instid1(VALU_DEP_2)
	v_cvt_f32_i32_e32 v5, v3
	v_xor_b32_e32 v3, v6, v3
	v_rcp_iflag_f32_e32 v7, v5
	v_nop
	s_delay_alu instid0(TRANS32_DEP_1) | instskip(NEXT) | instid1(VALU_DEP_1)
	v_mul_f32_e32 v6, v8, v7
	v_trunc_f32_e32 v6, v6
	s_delay_alu instid0(VALU_DEP_1) | instskip(NEXT) | instid1(VALU_DEP_1)
	v_dual_ashrrev_i32 v3, 30, v3 :: v_dual_fma_f32 v7, -v6, v5, v8
	v_or_b32_e32 v3, 1, v3
	v_cvt_i32_f32_e32 v6, v6
	s_delay_alu instid0(VALU_DEP_3) | instskip(NEXT) | instid1(VALU_DEP_3)
	v_cmp_ge_f32_e64 vcc_lo, |v7|, |v5|
	v_cndmask_b32_e32 v3, 0, v3, vcc_lo
	s_delay_alu instid0(VALU_DEP_1) | instskip(NEXT) | instid1(VALU_DEP_1)
	v_add_nc_u32_e32 v3, v6, v3
	v_mul_lo_u32 v3, v3, v1
	s_delay_alu instid0(VALU_DEP_1) | instskip(NEXT) | instid1(VALU_DEP_1)
	v_sub_nc_u32_e32 v3, v2, v3
	v_and_b32_e32 v2, 0xffff, v3
	v_bfe_i32 v3, v3, 0, 16
	s_delay_alu instid0(VALU_DEP_2) | instskip(SKIP_2) | instid1(SALU_CYCLE_1)
	v_cmp_eq_u32_e32 vcc_lo, 0, v2
	v_mov_b32_e32 v2, v1
	s_or_b32 s27, vcc_lo, s27
	s_and_not1_b32 exec_lo, exec_lo, s27
	s_cbranch_execnz .LBB78_1030
; %bb.1031:
	s_or_b32 exec_lo, exec_lo, s27
.LBB78_1032:
	s_delay_alu instid0(SALU_CYCLE_1)
	s_or_b32 exec_lo, exec_lo, s0
	v_mov_b32_e32 v5, 0
	s_mov_b32 s0, exec_lo
	v_cmpx_ne_u16_e32 0, v1
	s_cbranch_execz .LBB78_1034
; %bb.1033:
	v_bfe_i32 v1, v1, 0, 16
	v_bfe_i32 v0, v0, 0, 16
	s_delay_alu instid0(VALU_DEP_2) | instskip(NEXT) | instid1(VALU_DEP_2)
	v_cvt_f32_i32_e32 v2, v1
	v_cvt_f32_i32_e32 v5, v0
	v_xor_b32_e32 v0, v0, v1
	s_delay_alu instid0(VALU_DEP_3) | instskip(SKIP_1) | instid1(TRANS32_DEP_1)
	v_rcp_iflag_f32_e32 v3, v2
	v_nop
	v_mul_f32_e32 v3, v5, v3
	s_delay_alu instid0(VALU_DEP_1) | instskip(NEXT) | instid1(VALU_DEP_1)
	v_trunc_f32_e32 v1, v3
	v_dual_ashrrev_i32 v0, 30, v0 :: v_dual_fma_f32 v3, -v1, v2, v5
	s_delay_alu instid0(VALU_DEP_1) | instskip(SKIP_1) | instid1(VALU_DEP_3)
	v_or_b32_e32 v0, 1, v0
	v_cvt_i32_f32_e32 v1, v1
	v_cmp_ge_f32_e64 vcc_lo, |v3|, |v2|
	s_delay_alu instid0(VALU_DEP_3) | instskip(NEXT) | instid1(VALU_DEP_1)
	v_cndmask_b32_e32 v0, 0, v0, vcc_lo
	v_add_nc_u32_e32 v0, v1, v0
	v_bfe_i32 v1, v4, 0, 16
	s_delay_alu instid0(VALU_DEP_2) | instskip(NEXT) | instid1(VALU_DEP_1)
	v_bfe_i32 v0, v0, 0, 16
	v_mul_i32_i24_e32 v0, v0, v1
	s_delay_alu instid0(VALU_DEP_1) | instskip(NEXT) | instid1(VALU_DEP_1)
	v_sub_nc_u32_e32 v1, 0, v0
	v_max_i32_e32 v5, v0, v1
.LBB78_1034:
	s_or_b32 exec_lo, exec_lo, s0
	v_mul_lo_u32 v0, v10, s8
	s_and_b32 s27, s11, 0xff
	s_delay_alu instid0(SALU_CYCLE_1) | instskip(NEXT) | instid1(VALU_DEP_1)
	s_cmp_lt_i32 s27, 11
	v_ashrrev_i32_e32 v1, 31, v0
	s_delay_alu instid0(VALU_DEP_1)
	v_add_nc_u64_e32 v[0:1], s[4:5], v[0:1]
	s_cbranch_scc1 .LBB78_1042
; %bb.1035:
	s_and_b32 s28, 0xffff, s27
	s_delay_alu instid0(SALU_CYCLE_1)
	s_cmp_gt_i32 s28, 25
	s_cbranch_scc0 .LBB78_1043
; %bb.1036:
	s_cmp_gt_i32 s28, 28
	s_cbranch_scc0 .LBB78_1044
; %bb.1037:
	s_cmp_gt_i32 s28, 43
	s_cbranch_scc0 .LBB78_1045
; %bb.1038:
	s_cmp_gt_i32 s28, 45
	s_cbranch_scc0 .LBB78_1046
; %bb.1039:
	s_mov_b32 s30, 0
	s_mov_b32 s0, -1
	s_cmp_eq_u32 s28, 46
	s_mov_b32 s29, 0
	s_cbranch_scc0 .LBB78_1047
; %bb.1040:
	v_bfe_i32 v2, v5, 0, 16
	s_mov_b32 s29, -1
	s_mov_b32 s0, 0
	s_delay_alu instid0(VALU_DEP_1) | instskip(NEXT) | instid1(VALU_DEP_1)
	v_cvt_f32_i32_e32 v2, v2
	v_bfe_u32 v3, v2, 16, 1
	s_delay_alu instid0(VALU_DEP_1) | instskip(NEXT) | instid1(VALU_DEP_1)
	v_add3_u32 v2, v2, v3, 0x7fff
	v_lshrrev_b32_e32 v2, 16, v2
	global_store_b32 v[0:1], v2, off
	s_branch .LBB78_1047
.LBB78_1041:
	s_mov_b32 s28, 0
	s_mov_b32 s0, s21
	s_branch .LBB78_1158
.LBB78_1042:
	s_mov_b32 s28, -1
	s_mov_b32 s29, 0
	s_mov_b32 s0, s21
	s_branch .LBB78_1116
.LBB78_1043:
	s_mov_b32 s30, -1
	s_mov_b32 s29, 0
	s_mov_b32 s0, s21
	s_branch .LBB78_1074
.LBB78_1044:
	s_mov_b32 s30, -1
	s_mov_b32 s29, 0
	s_mov_b32 s0, s21
	s_branch .LBB78_1057
.LBB78_1045:
	s_mov_b32 s30, -1
	s_mov_b32 s29, 0
	s_mov_b32 s0, s21
	s_branch .LBB78_1053
.LBB78_1046:
	s_mov_b32 s30, -1
	s_mov_b32 s29, 0
	s_mov_b32 s0, s21
.LBB78_1047:
	s_and_b32 vcc_lo, exec_lo, s30
	s_cbranch_vccz .LBB78_1052
; %bb.1048:
	s_cmp_eq_u32 s28, 44
	s_mov_b32 s0, -1
	s_cbranch_scc0 .LBB78_1052
; %bb.1049:
	s_wait_xcnt 0x0
	v_bfe_i32 v2, v5, 0, 16
	v_mov_b32_e32 v3, 0xff
	s_mov_b32 s29, exec_lo
	s_delay_alu instid0(VALU_DEP_2) | instskip(NEXT) | instid1(VALU_DEP_1)
	v_cvt_f32_i32_e32 v2, v2
	v_bfe_u32 v4, v2, 23, 8
	s_delay_alu instid0(VALU_DEP_1)
	v_cmpx_ne_u32_e32 0xff, v4
	s_cbranch_execz .LBB78_1051
; %bb.1050:
	v_and_b32_e32 v3, 0x400000, v2
	v_and_or_b32 v4, 0x3fffff, v2, v4
	v_lshrrev_b32_e32 v2, 23, v2
	s_delay_alu instid0(VALU_DEP_3) | instskip(NEXT) | instid1(VALU_DEP_3)
	v_cmp_ne_u32_e32 vcc_lo, 0, v3
	v_cmp_ne_u32_e64 s0, 0, v4
	s_and_b32 s0, vcc_lo, s0
	s_delay_alu instid0(SALU_CYCLE_1) | instskip(NEXT) | instid1(VALU_DEP_1)
	v_cndmask_b32_e64 v3, 0, 1, s0
	v_add_nc_u32_e32 v3, v2, v3
.LBB78_1051:
	s_or_b32 exec_lo, exec_lo, s29
	s_mov_b32 s29, -1
	s_mov_b32 s0, 0
	global_store_b8 v[0:1], v3, off
.LBB78_1052:
	s_mov_b32 s30, 0
.LBB78_1053:
	s_delay_alu instid0(SALU_CYCLE_1)
	s_and_b32 vcc_lo, exec_lo, s30
	s_cbranch_vccz .LBB78_1056
; %bb.1054:
	s_cmp_eq_u32 s28, 29
	s_mov_b32 s0, -1
	s_cbranch_scc0 .LBB78_1056
; %bb.1055:
	s_wait_xcnt 0x0
	v_bfe_i32 v2, v5, 0, 16
	s_mov_b32 s0, 0
	s_mov_b32 s29, -1
	s_mov_b32 s30, 0
	s_delay_alu instid0(VALU_DEP_1)
	v_ashrrev_i32_e32 v3, 31, v2
	global_store_b64 v[0:1], v[2:3], off
	s_branch .LBB78_1057
.LBB78_1056:
	s_mov_b32 s30, 0
.LBB78_1057:
	s_delay_alu instid0(SALU_CYCLE_1)
	s_and_b32 vcc_lo, exec_lo, s30
	s_cbranch_vccz .LBB78_1073
; %bb.1058:
	s_cmp_lt_i32 s28, 27
	s_mov_b32 s29, -1
	s_cbranch_scc1 .LBB78_1064
; %bb.1059:
	s_cmp_gt_i32 s28, 27
	s_cbranch_scc0 .LBB78_1061
; %bb.1060:
	s_wait_xcnt 0x0
	v_bfe_i32 v2, v5, 0, 16
	s_mov_b32 s29, 0
	global_store_b32 v[0:1], v2, off
.LBB78_1061:
	s_and_not1_b32 vcc_lo, exec_lo, s29
	s_cbranch_vccnz .LBB78_1063
; %bb.1062:
	global_store_b16 v[0:1], v5, off
.LBB78_1063:
	s_mov_b32 s29, 0
.LBB78_1064:
	s_delay_alu instid0(SALU_CYCLE_1)
	s_and_not1_b32 vcc_lo, exec_lo, s29
	s_cbranch_vccnz .LBB78_1072
; %bb.1065:
	s_wait_xcnt 0x0
	v_bfe_i32 v2, v5, 0, 16
	v_mov_b32_e32 v4, 0x80
	s_mov_b32 s29, exec_lo
	s_delay_alu instid0(VALU_DEP_2) | instskip(NEXT) | instid1(VALU_DEP_1)
	v_cvt_f32_i32_e32 v2, v2
	v_and_b32_e32 v3, 0x7fffffff, v2
	s_delay_alu instid0(VALU_DEP_1)
	v_cmpx_gt_u32_e32 0x43800000, v3
	s_cbranch_execz .LBB78_1071
; %bb.1066:
	v_cmp_lt_u32_e32 vcc_lo, 0x3bffffff, v3
	s_mov_b32 s30, 0
                                        ; implicit-def: $vgpr3
	s_and_saveexec_b32 s31, vcc_lo
	s_delay_alu instid0(SALU_CYCLE_1)
	s_xor_b32 s31, exec_lo, s31
	s_cbranch_execz .LBB78_1174
; %bb.1067:
	v_bfe_u32 v3, v2, 20, 1
	s_mov_b32 s30, exec_lo
	s_delay_alu instid0(VALU_DEP_1) | instskip(NEXT) | instid1(VALU_DEP_1)
	v_add3_u32 v3, v2, v3, 0x487ffff
	v_lshrrev_b32_e32 v3, 20, v3
	s_and_not1_saveexec_b32 s31, s31
	s_cbranch_execnz .LBB78_1175
.LBB78_1068:
	s_or_b32 exec_lo, exec_lo, s31
	v_mov_b32_e32 v4, 0
	s_and_saveexec_b32 s31, s30
.LBB78_1069:
	v_lshrrev_b32_e32 v2, 24, v2
	s_delay_alu instid0(VALU_DEP_1)
	v_and_or_b32 v4, 0x80, v2, v3
.LBB78_1070:
	s_or_b32 exec_lo, exec_lo, s31
.LBB78_1071:
	s_delay_alu instid0(SALU_CYCLE_1)
	s_or_b32 exec_lo, exec_lo, s29
	global_store_b8 v[0:1], v4, off
.LBB78_1072:
	s_mov_b32 s29, -1
.LBB78_1073:
	s_mov_b32 s30, 0
.LBB78_1074:
	s_delay_alu instid0(SALU_CYCLE_1)
	s_and_b32 vcc_lo, exec_lo, s30
	s_cbranch_vccz .LBB78_1115
; %bb.1075:
	s_cmp_gt_i32 s28, 22
	s_mov_b32 s30, -1
	s_cbranch_scc0 .LBB78_1107
; %bb.1076:
	s_cmp_lt_i32 s28, 24
	s_mov_b32 s29, -1
	s_cbranch_scc1 .LBB78_1096
; %bb.1077:
	s_cmp_gt_i32 s28, 24
	s_cbranch_scc0 .LBB78_1085
; %bb.1078:
	s_wait_xcnt 0x0
	v_bfe_i32 v2, v5, 0, 16
	v_mov_b32_e32 v4, 0x80
	s_mov_b32 s29, exec_lo
	s_delay_alu instid0(VALU_DEP_2) | instskip(NEXT) | instid1(VALU_DEP_1)
	v_cvt_f32_i32_e32 v2, v2
	v_and_b32_e32 v3, 0x7fffffff, v2
	s_delay_alu instid0(VALU_DEP_1)
	v_cmpx_gt_u32_e32 0x47800000, v3
	s_cbranch_execz .LBB78_1084
; %bb.1079:
	v_cmp_lt_u32_e32 vcc_lo, 0x37ffffff, v3
	s_mov_b32 s30, 0
                                        ; implicit-def: $vgpr3
	s_and_saveexec_b32 s31, vcc_lo
	s_delay_alu instid0(SALU_CYCLE_1)
	s_xor_b32 s31, exec_lo, s31
	s_cbranch_execz .LBB78_2191
; %bb.1080:
	v_bfe_u32 v3, v2, 21, 1
	s_mov_b32 s30, exec_lo
	s_delay_alu instid0(VALU_DEP_1) | instskip(NEXT) | instid1(VALU_DEP_1)
	v_add3_u32 v3, v2, v3, 0x88fffff
	v_lshrrev_b32_e32 v3, 21, v3
	s_and_not1_saveexec_b32 s31, s31
	s_cbranch_execnz .LBB78_2192
.LBB78_1081:
	s_or_b32 exec_lo, exec_lo, s31
	v_mov_b32_e32 v4, 0
	s_and_saveexec_b32 s31, s30
.LBB78_1082:
	v_lshrrev_b32_e32 v2, 24, v2
	s_delay_alu instid0(VALU_DEP_1)
	v_and_or_b32 v4, 0x80, v2, v3
.LBB78_1083:
	s_or_b32 exec_lo, exec_lo, s31
.LBB78_1084:
	s_delay_alu instid0(SALU_CYCLE_1)
	s_or_b32 exec_lo, exec_lo, s29
	s_mov_b32 s29, 0
	global_store_b8 v[0:1], v4, off
.LBB78_1085:
	s_and_b32 vcc_lo, exec_lo, s29
	s_cbranch_vccz .LBB78_1095
; %bb.1086:
	s_wait_xcnt 0x0
	v_bfe_i32 v2, v5, 0, 16
	s_mov_b32 s29, exec_lo
                                        ; implicit-def: $vgpr3
	s_delay_alu instid0(VALU_DEP_1) | instskip(NEXT) | instid1(VALU_DEP_1)
	v_cvt_f32_i32_e32 v2, v2
	v_and_b32_e32 v4, 0x7fffffff, v2
	s_delay_alu instid0(VALU_DEP_1)
	v_cmpx_gt_u32_e32 0x43f00000, v4
	s_xor_b32 s29, exec_lo, s29
	s_cbranch_execz .LBB78_1092
; %bb.1087:
	s_mov_b32 s30, exec_lo
                                        ; implicit-def: $vgpr3
	v_cmpx_lt_u32_e32 0x3c7fffff, v4
	s_xor_b32 s30, exec_lo, s30
; %bb.1088:
	v_bfe_u32 v3, v2, 20, 1
	s_delay_alu instid0(VALU_DEP_1) | instskip(NEXT) | instid1(VALU_DEP_1)
	v_add3_u32 v3, v2, v3, 0x407ffff
	v_and_b32_e32 v4, 0xff00000, v3
	v_lshrrev_b32_e32 v3, 20, v3
	s_delay_alu instid0(VALU_DEP_2) | instskip(NEXT) | instid1(VALU_DEP_2)
	v_cmp_ne_u32_e32 vcc_lo, 0x7f00000, v4
	v_cndmask_b32_e32 v3, 0x7e, v3, vcc_lo
; %bb.1089:
	s_and_not1_saveexec_b32 s30, s30
; %bb.1090:
	v_add_f32_e64 v3, 0x46800000, |v2|
; %bb.1091:
	s_or_b32 exec_lo, exec_lo, s30
                                        ; implicit-def: $vgpr4
.LBB78_1092:
	s_and_not1_saveexec_b32 s29, s29
; %bb.1093:
	v_mov_b32_e32 v3, 0x7f
	v_cmp_lt_u32_e32 vcc_lo, 0x7f800000, v4
	s_delay_alu instid0(VALU_DEP_2)
	v_cndmask_b32_e32 v3, 0x7e, v3, vcc_lo
; %bb.1094:
	s_or_b32 exec_lo, exec_lo, s29
	v_lshrrev_b32_e32 v2, 24, v2
	s_delay_alu instid0(VALU_DEP_1)
	v_and_or_b32 v2, 0x80, v2, v3
	global_store_b8 v[0:1], v2, off
.LBB78_1095:
	s_mov_b32 s29, 0
.LBB78_1096:
	s_delay_alu instid0(SALU_CYCLE_1)
	s_and_not1_b32 vcc_lo, exec_lo, s29
	s_cbranch_vccnz .LBB78_1106
; %bb.1097:
	s_wait_xcnt 0x0
	v_bfe_i32 v2, v5, 0, 16
	s_mov_b32 s29, exec_lo
                                        ; implicit-def: $vgpr3
	s_delay_alu instid0(VALU_DEP_1) | instskip(NEXT) | instid1(VALU_DEP_1)
	v_cvt_f32_i32_e32 v2, v2
	v_and_b32_e32 v4, 0x7fffffff, v2
	s_delay_alu instid0(VALU_DEP_1)
	v_cmpx_gt_u32_e32 0x47800000, v4
	s_xor_b32 s29, exec_lo, s29
	s_cbranch_execz .LBB78_1103
; %bb.1098:
	s_mov_b32 s30, exec_lo
                                        ; implicit-def: $vgpr3
	v_cmpx_lt_u32_e32 0x387fffff, v4
	s_xor_b32 s30, exec_lo, s30
; %bb.1099:
	v_bfe_u32 v3, v2, 21, 1
	s_delay_alu instid0(VALU_DEP_1) | instskip(NEXT) | instid1(VALU_DEP_1)
	v_add3_u32 v3, v2, v3, 0x80fffff
	v_lshrrev_b32_e32 v3, 21, v3
; %bb.1100:
	s_and_not1_saveexec_b32 s30, s30
; %bb.1101:
	v_add_f32_e64 v3, 0x43000000, |v2|
; %bb.1102:
	s_or_b32 exec_lo, exec_lo, s30
                                        ; implicit-def: $vgpr4
.LBB78_1103:
	s_and_not1_saveexec_b32 s29, s29
; %bb.1104:
	v_mov_b32_e32 v3, 0x7f
	v_cmp_lt_u32_e32 vcc_lo, 0x7f800000, v4
	s_delay_alu instid0(VALU_DEP_2)
	v_cndmask_b32_e32 v3, 0x7c, v3, vcc_lo
; %bb.1105:
	s_or_b32 exec_lo, exec_lo, s29
	v_lshrrev_b32_e32 v2, 24, v2
	s_delay_alu instid0(VALU_DEP_1)
	v_and_or_b32 v2, 0x80, v2, v3
	global_store_b8 v[0:1], v2, off
.LBB78_1106:
	s_mov_b32 s30, 0
	s_mov_b32 s29, -1
.LBB78_1107:
	s_and_not1_b32 vcc_lo, exec_lo, s30
	s_cbranch_vccnz .LBB78_1115
; %bb.1108:
	s_cmp_gt_i32 s28, 14
	s_mov_b32 s30, -1
	s_cbranch_scc0 .LBB78_1112
; %bb.1109:
	s_cmp_eq_u32 s28, 15
	s_mov_b32 s0, -1
	s_cbranch_scc0 .LBB78_1111
; %bb.1110:
	s_wait_xcnt 0x0
	v_bfe_i32 v2, v5, 0, 16
	s_mov_b32 s29, -1
	s_mov_b32 s0, 0
	s_delay_alu instid0(VALU_DEP_1) | instskip(NEXT) | instid1(VALU_DEP_1)
	v_cvt_f32_i32_e32 v2, v2
	v_bfe_u32 v3, v2, 16, 1
	s_delay_alu instid0(VALU_DEP_1)
	v_add3_u32 v2, v2, v3, 0x7fff
	global_store_d16_hi_b16 v[0:1], v2, off
.LBB78_1111:
	s_mov_b32 s30, 0
.LBB78_1112:
	s_delay_alu instid0(SALU_CYCLE_1)
	s_and_b32 vcc_lo, exec_lo, s30
	s_cbranch_vccz .LBB78_1115
; %bb.1113:
	s_cmp_eq_u32 s28, 11
	s_mov_b32 s0, -1
	s_cbranch_scc0 .LBB78_1115
; %bb.1114:
	v_cmp_ne_u16_e32 vcc_lo, 0, v5
	s_mov_b32 s0, 0
	s_mov_b32 s29, -1
	s_wait_xcnt 0x0
	v_cndmask_b32_e64 v2, 0, 1, vcc_lo
	global_store_b8 v[0:1], v2, off
.LBB78_1115:
	s_mov_b32 s28, 0
.LBB78_1116:
	s_delay_alu instid0(SALU_CYCLE_1)
	s_and_b32 vcc_lo, exec_lo, s28
	s_cbranch_vccz .LBB78_1155
; %bb.1117:
	s_and_b32 s27, 0xffff, s27
	s_mov_b32 s28, -1
	s_cmp_lt_i32 s27, 5
	s_cbranch_scc1 .LBB78_1138
; %bb.1118:
	s_cmp_lt_i32 s27, 8
	s_cbranch_scc1 .LBB78_1128
; %bb.1119:
	;; [unrolled: 3-line block ×3, first 2 shown]
	s_cmp_gt_i32 s27, 9
	s_cbranch_scc0 .LBB78_1122
; %bb.1121:
	s_wait_xcnt 0x0
	v_bfe_i32 v2, v5, 0, 16
	v_mov_b32_e32 v8, 0
	s_mov_b32 s28, 0
	s_delay_alu instid0(VALU_DEP_2) | instskip(NEXT) | instid1(VALU_DEP_2)
	v_cvt_f64_i32_e32 v[6:7], v2
	v_mov_b32_e32 v9, v8
	global_store_b128 v[0:1], v[6:9], off
.LBB78_1122:
	s_and_not1_b32 vcc_lo, exec_lo, s28
	s_cbranch_vccnz .LBB78_1124
; %bb.1123:
	s_wait_xcnt 0x0
	v_bfe_i32 v2, v5, 0, 16
	v_mov_b32_e32 v3, 0
	s_delay_alu instid0(VALU_DEP_2)
	v_cvt_f32_i32_e32 v2, v2
	global_store_b64 v[0:1], v[2:3], off
.LBB78_1124:
	s_mov_b32 s28, 0
.LBB78_1125:
	s_delay_alu instid0(SALU_CYCLE_1)
	s_and_not1_b32 vcc_lo, exec_lo, s28
	s_cbranch_vccnz .LBB78_1127
; %bb.1126:
	s_wait_xcnt 0x0
	v_cvt_f16_i16_e32 v2, v5
	s_delay_alu instid0(VALU_DEP_1)
	v_and_b32_e32 v2, 0xffff, v2
	global_store_b32 v[0:1], v2, off
.LBB78_1127:
	s_mov_b32 s28, 0
.LBB78_1128:
	s_delay_alu instid0(SALU_CYCLE_1)
	s_and_not1_b32 vcc_lo, exec_lo, s28
	s_cbranch_vccnz .LBB78_1137
; %bb.1129:
	s_cmp_lt_i32 s27, 6
	s_mov_b32 s28, -1
	s_cbranch_scc1 .LBB78_1135
; %bb.1130:
	s_cmp_gt_i32 s27, 6
	s_cbranch_scc0 .LBB78_1132
; %bb.1131:
	s_wait_xcnt 0x0
	v_bfe_i32 v2, v5, 0, 16
	s_mov_b32 s28, 0
	s_delay_alu instid0(VALU_DEP_1)
	v_cvt_f64_i32_e32 v[2:3], v2
	global_store_b64 v[0:1], v[2:3], off
.LBB78_1132:
	s_and_not1_b32 vcc_lo, exec_lo, s28
	s_cbranch_vccnz .LBB78_1134
; %bb.1133:
	s_wait_xcnt 0x0
	v_bfe_i32 v2, v5, 0, 16
	s_delay_alu instid0(VALU_DEP_1)
	v_cvt_f32_i32_e32 v2, v2
	global_store_b32 v[0:1], v2, off
.LBB78_1134:
	s_mov_b32 s28, 0
.LBB78_1135:
	s_delay_alu instid0(SALU_CYCLE_1)
	s_and_not1_b32 vcc_lo, exec_lo, s28
	s_cbranch_vccnz .LBB78_1137
; %bb.1136:
	s_wait_xcnt 0x0
	v_cvt_f16_i16_e32 v2, v5
	global_store_b16 v[0:1], v2, off
.LBB78_1137:
	s_mov_b32 s28, 0
.LBB78_1138:
	s_delay_alu instid0(SALU_CYCLE_1)
	s_and_not1_b32 vcc_lo, exec_lo, s28
	s_cbranch_vccnz .LBB78_1154
; %bb.1139:
	s_cmp_lt_i32 s27, 2
	s_mov_b32 s28, -1
	s_cbranch_scc1 .LBB78_1149
; %bb.1140:
	s_cmp_lt_i32 s27, 3
	s_cbranch_scc1 .LBB78_1146
; %bb.1141:
	s_wait_xcnt 0x0
	v_bfe_i32 v2, v5, 0, 16
	s_cmp_gt_i32 s27, 3
	s_cbranch_scc0 .LBB78_1143
; %bb.1142:
	s_delay_alu instid0(VALU_DEP_1)
	v_ashrrev_i32_e32 v3, 31, v2
	s_mov_b32 s28, 0
	global_store_b64 v[0:1], v[2:3], off
.LBB78_1143:
	s_and_not1_b32 vcc_lo, exec_lo, s28
	s_cbranch_vccnz .LBB78_1145
; %bb.1144:
	global_store_b32 v[0:1], v2, off
.LBB78_1145:
	s_mov_b32 s28, 0
.LBB78_1146:
	s_delay_alu instid0(SALU_CYCLE_1)
	s_and_not1_b32 vcc_lo, exec_lo, s28
	s_cbranch_vccnz .LBB78_1148
; %bb.1147:
	global_store_b16 v[0:1], v5, off
.LBB78_1148:
	s_mov_b32 s28, 0
.LBB78_1149:
	s_delay_alu instid0(SALU_CYCLE_1)
	s_and_not1_b32 vcc_lo, exec_lo, s28
	s_cbranch_vccnz .LBB78_1154
; %bb.1150:
	s_cmp_gt_i32 s27, 0
	s_mov_b32 s27, -1
	s_cbranch_scc0 .LBB78_1152
; %bb.1151:
	s_mov_b32 s27, 0
	global_store_b8 v[0:1], v5, off
.LBB78_1152:
	s_and_not1_b32 vcc_lo, exec_lo, s27
	s_cbranch_vccnz .LBB78_1154
; %bb.1153:
	global_store_b8 v[0:1], v5, off
.LBB78_1154:
	s_mov_b32 s29, -1
.LBB78_1155:
	s_delay_alu instid0(SALU_CYCLE_1)
	s_and_not1_b32 vcc_lo, exec_lo, s29
	s_cbranch_vccnz .LBB78_1157
; %bb.1156:
	v_add_nc_u32_e32 v10, 0x80, v10
	s_mov_b32 s28, -1
	s_branch .LBB78_1159
.LBB78_1157:
	s_mov_b32 s28, 0
.LBB78_1158:
                                        ; implicit-def: $vgpr10
.LBB78_1159:
	s_and_not1_b32 s27, s21, exec_lo
	s_and_b32 s0, s0, exec_lo
	s_and_b32 s26, s26, exec_lo
	s_or_b32 s27, s27, s0
	s_and_not1_b32 s0, s22, exec_lo
	s_and_not1_b32 s29, s20, exec_lo
	s_and_b32 s25, s25, exec_lo
	s_or_b32 s26, s0, s26
	s_or_b32 s25, s29, s25
	s_or_not1_b32 s31, s28, exec_lo
.LBB78_1160:
	s_wait_xcnt 0x0
	s_or_b32 exec_lo, exec_lo, s24
	s_mov_b32 s28, 0
	s_mov_b32 s29, 0
	;; [unrolled: 1-line block ×3, first 2 shown]
                                        ; implicit-def: $sgpr0
                                        ; implicit-def: $vgpr2_vgpr3
                                        ; implicit-def: $vgpr0
	s_and_saveexec_b32 s24, s31
	s_cbranch_execz .LBB78_1239
; %bb.1161:
	v_cmp_gt_i32_e32 vcc_lo, s16, v10
	s_mov_b32 s33, s25
	s_mov_b32 s31, 0
	;; [unrolled: 1-line block ×3, first 2 shown]
                                        ; implicit-def: $sgpr0
                                        ; implicit-def: $vgpr2_vgpr3
                                        ; implicit-def: $vgpr0
	s_and_saveexec_b32 s16, vcc_lo
	s_cbranch_execz .LBB78_1238
; %bb.1162:
	s_wait_loadcnt 0x0
	v_mul_lo_u32 v0, v10, s9
	s_and_b32 s0, s13, 0xff
	s_delay_alu instid0(SALU_CYCLE_1) | instskip(NEXT) | instid1(VALU_DEP_1)
	s_cmp_lt_i32 s0, 11
	v_ashrrev_i32_e32 v1, 31, v0
	s_delay_alu instid0(VALU_DEP_1)
	v_add_nc_u64_e32 v[2:3], s[6:7], v[0:1]
	s_cbranch_scc1 .LBB78_1169
; %bb.1163:
	s_and_b32 s28, 0xffff, s0
	s_delay_alu instid0(SALU_CYCLE_1)
	s_cmp_gt_i32 s28, 25
	s_cbranch_scc0 .LBB78_1170
; %bb.1164:
	s_cmp_gt_i32 s28, 28
	s_cbranch_scc0 .LBB78_1171
; %bb.1165:
	;; [unrolled: 3-line block ×4, first 2 shown]
	s_cmp_eq_u32 s28, 46
	s_mov_b32 s33, 0
	s_cbranch_scc0 .LBB78_1176
; %bb.1168:
	global_load_b32 v0, v[2:3], off
	s_mov_b32 s31, -1
	s_wait_loadcnt 0x0
	v_lshlrev_b32_e32 v0, 16, v0
	s_delay_alu instid0(VALU_DEP_1)
	v_cvt_i32_f32_e32 v0, v0
	s_branch .LBB78_1178
.LBB78_1169:
	s_mov_b32 s28, -1
	s_mov_b32 s29, s25
                                        ; implicit-def: $vgpr0
	s_branch .LBB78_1237
.LBB78_1170:
	s_mov_b32 s33, -1
	s_mov_b32 s29, s25
                                        ; implicit-def: $vgpr0
	s_branch .LBB78_1205
.LBB78_1171:
	s_mov_b32 s33, -1
	s_mov_b32 s29, s25
                                        ; implicit-def: $vgpr0
	s_branch .LBB78_1188
.LBB78_1172:
	s_mov_b32 s33, -1
	s_mov_b32 s29, s25
                                        ; implicit-def: $vgpr0
	s_branch .LBB78_1183
.LBB78_1173:
	s_mov_b32 s33, -1
	s_mov_b32 s29, s25
	s_branch .LBB78_1177
.LBB78_1174:
	s_and_not1_saveexec_b32 s31, s31
	s_cbranch_execz .LBB78_1068
.LBB78_1175:
	v_add_f32_e64 v3, 0x46000000, |v2|
	s_and_not1_b32 s30, s30, exec_lo
	s_delay_alu instid0(VALU_DEP_1) | instskip(NEXT) | instid1(VALU_DEP_1)
	v_and_b32_e32 v3, 0xff, v3
	v_cmp_ne_u32_e32 vcc_lo, 0, v3
	s_and_b32 s33, vcc_lo, exec_lo
	s_delay_alu instid0(SALU_CYCLE_1)
	s_or_b32 s30, s30, s33
	s_or_b32 exec_lo, exec_lo, s31
	v_mov_b32_e32 v4, 0
	s_and_saveexec_b32 s31, s30
	s_cbranch_execnz .LBB78_1069
	s_branch .LBB78_1070
.LBB78_1176:
	s_mov_b32 s29, -1
.LBB78_1177:
                                        ; implicit-def: $vgpr0
.LBB78_1178:
	s_and_b32 vcc_lo, exec_lo, s33
	s_cbranch_vccz .LBB78_1182
; %bb.1179:
	s_cmp_eq_u32 s28, 44
	s_cbranch_scc0 .LBB78_1181
; %bb.1180:
	global_load_u8 v0, v[2:3], off
	s_mov_b32 s29, 0
	s_mov_b32 s31, -1
	s_wait_loadcnt 0x0
	v_lshlrev_b32_e32 v1, 23, v0
	v_cmp_ne_u32_e32 vcc_lo, 0, v0
	s_delay_alu instid0(VALU_DEP_2) | instskip(NEXT) | instid1(VALU_DEP_1)
	v_cvt_i32_f32_e32 v1, v1
	v_cndmask_b32_e32 v0, 0, v1, vcc_lo
	s_branch .LBB78_1182
.LBB78_1181:
	s_mov_b32 s29, -1
                                        ; implicit-def: $vgpr0
.LBB78_1182:
	s_mov_b32 s33, 0
.LBB78_1183:
	s_delay_alu instid0(SALU_CYCLE_1)
	s_and_b32 vcc_lo, exec_lo, s33
	s_cbranch_vccz .LBB78_1187
; %bb.1184:
	s_cmp_eq_u32 s28, 29
	s_cbranch_scc0 .LBB78_1186
; %bb.1185:
	global_load_b64 v[0:1], v[2:3], off
	s_mov_b32 s29, 0
	s_mov_b32 s31, -1
	s_branch .LBB78_1187
.LBB78_1186:
	s_mov_b32 s29, -1
                                        ; implicit-def: $vgpr0
.LBB78_1187:
	s_mov_b32 s33, 0
.LBB78_1188:
	s_delay_alu instid0(SALU_CYCLE_1)
	s_and_b32 vcc_lo, exec_lo, s33
	s_cbranch_vccz .LBB78_1204
; %bb.1189:
	s_cmp_lt_i32 s28, 27
	s_cbranch_scc1 .LBB78_1192
; %bb.1190:
	s_cmp_gt_i32 s28, 27
	s_cbranch_scc0 .LBB78_1193
; %bb.1191:
	s_wait_loadcnt 0x0
	global_load_b32 v0, v[2:3], off
	s_mov_b32 s31, 0
	s_branch .LBB78_1194
.LBB78_1192:
	s_mov_b32 s31, -1
                                        ; implicit-def: $vgpr0
	s_branch .LBB78_1197
.LBB78_1193:
	s_mov_b32 s31, -1
                                        ; implicit-def: $vgpr0
.LBB78_1194:
	s_delay_alu instid0(SALU_CYCLE_1)
	s_and_not1_b32 vcc_lo, exec_lo, s31
	s_cbranch_vccnz .LBB78_1196
; %bb.1195:
	s_wait_loadcnt 0x0
	global_load_u16 v0, v[2:3], off
.LBB78_1196:
	s_mov_b32 s31, 0
.LBB78_1197:
	s_delay_alu instid0(SALU_CYCLE_1)
	s_and_not1_b32 vcc_lo, exec_lo, s31
	s_cbranch_vccnz .LBB78_1203
; %bb.1198:
	s_wait_loadcnt 0x0
	global_load_u8 v1, v[2:3], off
	s_mov_b32 s33, 0
	s_mov_b32 s31, exec_lo
	s_wait_loadcnt 0x0
	v_cmpx_lt_i16_e32 0x7f, v1
	s_xor_b32 s31, exec_lo, s31
	s_cbranch_execz .LBB78_1215
; %bb.1199:
	v_cmp_ne_u16_e32 vcc_lo, 0x80, v1
	s_and_b32 s33, vcc_lo, exec_lo
	s_and_not1_saveexec_b32 s31, s31
	s_cbranch_execnz .LBB78_1216
.LBB78_1200:
	s_or_b32 exec_lo, exec_lo, s31
	v_mov_b32_e32 v0, 0
	s_and_saveexec_b32 s31, s33
	s_cbranch_execz .LBB78_1202
.LBB78_1201:
	v_and_b32_e32 v0, 0xffff, v1
	s_delay_alu instid0(VALU_DEP_1) | instskip(SKIP_1) | instid1(VALU_DEP_2)
	v_and_b32_e32 v4, 7, v0
	v_bfe_u32 v7, v0, 3, 4
	v_clz_i32_u32_e32 v5, v4
	s_delay_alu instid0(VALU_DEP_2) | instskip(NEXT) | instid1(VALU_DEP_2)
	v_cmp_eq_u32_e32 vcc_lo, 0, v7
	v_min_u32_e32 v5, 32, v5
	s_delay_alu instid0(VALU_DEP_1) | instskip(NEXT) | instid1(VALU_DEP_1)
	v_subrev_nc_u32_e32 v6, 28, v5
	v_dual_lshlrev_b32 v0, v6, v0 :: v_dual_sub_nc_u32 v5, 29, v5
	s_delay_alu instid0(VALU_DEP_1) | instskip(NEXT) | instid1(VALU_DEP_1)
	v_dual_lshlrev_b32 v1, 24, v1 :: v_dual_bitop2_b32 v0, 7, v0 bitop3:0x40
	v_dual_cndmask_b32 v0, v4, v0 :: v_dual_cndmask_b32 v5, v7, v5
	s_delay_alu instid0(VALU_DEP_2) | instskip(NEXT) | instid1(VALU_DEP_2)
	v_and_b32_e32 v1, 0x80000000, v1
	v_lshlrev_b32_e32 v0, 20, v0
	s_delay_alu instid0(VALU_DEP_3) | instskip(NEXT) | instid1(VALU_DEP_1)
	v_lshl_add_u32 v4, v5, 23, 0x3b800000
	v_or3_b32 v0, v1, v4, v0
	s_delay_alu instid0(VALU_DEP_1)
	v_cvt_i32_f32_e32 v0, v0
.LBB78_1202:
	s_or_b32 exec_lo, exec_lo, s31
.LBB78_1203:
	s_mov_b32 s31, -1
.LBB78_1204:
	s_mov_b32 s33, 0
.LBB78_1205:
	s_delay_alu instid0(SALU_CYCLE_1)
	s_and_b32 vcc_lo, exec_lo, s33
	s_cbranch_vccz .LBB78_1236
; %bb.1206:
	s_cmp_gt_i32 s28, 22
	s_cbranch_scc0 .LBB78_1214
; %bb.1207:
	s_cmp_lt_i32 s28, 24
	s_cbranch_scc1 .LBB78_1217
; %bb.1208:
	s_cmp_gt_i32 s28, 24
	s_cbranch_scc0 .LBB78_1218
; %bb.1209:
	s_wait_loadcnt 0x0
	global_load_u8 v1, v[2:3], off
	s_mov_b32 s31, 0
	s_mov_b32 s30, exec_lo
	s_wait_loadcnt 0x0
	v_cmpx_lt_i16_e32 0x7f, v1
	s_xor_b32 s30, exec_lo, s30
	s_cbranch_execz .LBB78_1230
; %bb.1210:
	v_cmp_ne_u16_e32 vcc_lo, 0x80, v1
	s_and_b32 s31, vcc_lo, exec_lo
	s_and_not1_saveexec_b32 s30, s30
	s_cbranch_execnz .LBB78_1231
.LBB78_1211:
	s_or_b32 exec_lo, exec_lo, s30
	v_mov_b32_e32 v0, 0
	s_and_saveexec_b32 s30, s31
	s_cbranch_execz .LBB78_1213
.LBB78_1212:
	v_and_b32_e32 v0, 0xffff, v1
	s_delay_alu instid0(VALU_DEP_1) | instskip(SKIP_1) | instid1(VALU_DEP_2)
	v_and_b32_e32 v4, 3, v0
	v_bfe_u32 v7, v0, 2, 5
	v_clz_i32_u32_e32 v5, v4
	s_delay_alu instid0(VALU_DEP_2) | instskip(NEXT) | instid1(VALU_DEP_2)
	v_cmp_eq_u32_e32 vcc_lo, 0, v7
	v_min_u32_e32 v5, 32, v5
	s_delay_alu instid0(VALU_DEP_1) | instskip(NEXT) | instid1(VALU_DEP_1)
	v_subrev_nc_u32_e32 v6, 29, v5
	v_dual_lshlrev_b32 v0, v6, v0 :: v_dual_sub_nc_u32 v5, 30, v5
	s_delay_alu instid0(VALU_DEP_1) | instskip(NEXT) | instid1(VALU_DEP_1)
	v_dual_lshlrev_b32 v1, 24, v1 :: v_dual_bitop2_b32 v0, 3, v0 bitop3:0x40
	v_dual_cndmask_b32 v0, v4, v0 :: v_dual_cndmask_b32 v5, v7, v5
	s_delay_alu instid0(VALU_DEP_2) | instskip(NEXT) | instid1(VALU_DEP_2)
	v_and_b32_e32 v1, 0x80000000, v1
	v_lshlrev_b32_e32 v0, 21, v0
	s_delay_alu instid0(VALU_DEP_3) | instskip(NEXT) | instid1(VALU_DEP_1)
	v_lshl_add_u32 v4, v5, 23, 0x37800000
	v_or3_b32 v0, v1, v4, v0
	s_delay_alu instid0(VALU_DEP_1)
	v_cvt_i32_f32_e32 v0, v0
.LBB78_1213:
	s_or_b32 exec_lo, exec_lo, s30
	s_mov_b32 s30, 0
	s_branch .LBB78_1219
.LBB78_1214:
	s_mov_b32 s30, -1
                                        ; implicit-def: $vgpr0
	s_branch .LBB78_1225
.LBB78_1215:
	s_and_not1_saveexec_b32 s31, s31
	s_cbranch_execz .LBB78_1200
.LBB78_1216:
	v_cmp_ne_u16_e32 vcc_lo, 0, v1
	s_and_not1_b32 s33, s33, exec_lo
	s_and_b32 s34, vcc_lo, exec_lo
	s_delay_alu instid0(SALU_CYCLE_1)
	s_or_b32 s33, s33, s34
	s_or_b32 exec_lo, exec_lo, s31
	v_mov_b32_e32 v0, 0
	s_and_saveexec_b32 s31, s33
	s_cbranch_execnz .LBB78_1201
	s_branch .LBB78_1202
.LBB78_1217:
	s_mov_b32 s30, -1
                                        ; implicit-def: $vgpr0
	s_branch .LBB78_1222
.LBB78_1218:
	s_mov_b32 s30, -1
                                        ; implicit-def: $vgpr0
.LBB78_1219:
	s_delay_alu instid0(SALU_CYCLE_1)
	s_and_b32 vcc_lo, exec_lo, s30
	s_cbranch_vccz .LBB78_1221
; %bb.1220:
	s_wait_loadcnt 0x0
	global_load_u8 v0, v[2:3], off
	s_wait_loadcnt 0x0
	v_lshlrev_b32_e32 v0, 24, v0
	s_delay_alu instid0(VALU_DEP_1) | instskip(NEXT) | instid1(VALU_DEP_1)
	v_and_b32_e32 v1, 0x7f000000, v0
	v_clz_i32_u32_e32 v4, v1
	v_cmp_ne_u32_e32 vcc_lo, 0, v1
	v_add_nc_u32_e32 v6, 0x1000000, v1
	s_delay_alu instid0(VALU_DEP_3) | instskip(NEXT) | instid1(VALU_DEP_1)
	v_min_u32_e32 v4, 32, v4
	v_sub_nc_u32_e64 v4, v4, 4 clamp
	s_delay_alu instid0(VALU_DEP_1) | instskip(NEXT) | instid1(VALU_DEP_1)
	v_dual_lshlrev_b32 v5, v4, v1 :: v_dual_lshlrev_b32 v4, 23, v4
	v_lshrrev_b32_e32 v5, 4, v5
	s_delay_alu instid0(VALU_DEP_1) | instskip(NEXT) | instid1(VALU_DEP_1)
	v_dual_sub_nc_u32 v4, v5, v4 :: v_dual_ashrrev_i32 v5, 8, v6
	v_add_nc_u32_e32 v4, 0x3c000000, v4
	s_delay_alu instid0(VALU_DEP_1) | instskip(NEXT) | instid1(VALU_DEP_1)
	v_and_or_b32 v4, 0x7f800000, v5, v4
	v_cndmask_b32_e32 v1, 0, v4, vcc_lo
	s_delay_alu instid0(VALU_DEP_1) | instskip(NEXT) | instid1(VALU_DEP_1)
	v_and_or_b32 v0, 0x80000000, v0, v1
	v_cvt_i32_f32_e32 v0, v0
.LBB78_1221:
	s_mov_b32 s30, 0
.LBB78_1222:
	s_delay_alu instid0(SALU_CYCLE_1)
	s_and_not1_b32 vcc_lo, exec_lo, s30
	s_cbranch_vccnz .LBB78_1224
; %bb.1223:
	s_wait_loadcnt 0x0
	global_load_u8 v0, v[2:3], off
	s_wait_loadcnt 0x0
	v_lshlrev_b32_e32 v1, 25, v0
	v_lshlrev_b16 v0, 8, v0
	s_delay_alu instid0(VALU_DEP_1) | instskip(SKIP_1) | instid1(VALU_DEP_2)
	v_and_or_b32 v5, 0x7f00, v0, 0.5
	v_bfe_i32 v0, v0, 0, 16
	v_add_f32_e32 v5, -0.5, v5
	v_lshrrev_b32_e32 v4, 4, v1
	v_cmp_gt_u32_e32 vcc_lo, 0x8000000, v1
	s_delay_alu instid0(VALU_DEP_2) | instskip(NEXT) | instid1(VALU_DEP_1)
	v_or_b32_e32 v4, 0x70000000, v4
	v_mul_f32_e32 v4, 0x7800000, v4
	s_delay_alu instid0(VALU_DEP_1) | instskip(NEXT) | instid1(VALU_DEP_1)
	v_cndmask_b32_e32 v1, v4, v5, vcc_lo
	v_and_or_b32 v0, 0x80000000, v0, v1
	s_delay_alu instid0(VALU_DEP_1)
	v_cvt_i32_f32_e32 v0, v0
.LBB78_1224:
	s_mov_b32 s30, 0
	s_mov_b32 s31, -1
.LBB78_1225:
	s_and_not1_b32 vcc_lo, exec_lo, s30
	s_mov_b32 s30, 0
	s_cbranch_vccnz .LBB78_1236
; %bb.1226:
	s_cmp_gt_i32 s28, 14
	s_cbranch_scc0 .LBB78_1229
; %bb.1227:
	s_cmp_eq_u32 s28, 15
	s_cbranch_scc0 .LBB78_1232
; %bb.1228:
	s_wait_loadcnt 0x0
	global_load_u16 v0, v[2:3], off
	s_mov_b32 s29, 0
	s_mov_b32 s31, -1
	s_wait_loadcnt 0x0
	v_lshlrev_b32_e32 v0, 16, v0
	s_delay_alu instid0(VALU_DEP_1)
	v_cvt_i32_f32_e32 v0, v0
	s_branch .LBB78_1234
.LBB78_1229:
	s_mov_b32 s30, -1
	s_branch .LBB78_1233
.LBB78_1230:
	s_and_not1_saveexec_b32 s30, s30
	s_cbranch_execz .LBB78_1211
.LBB78_1231:
	v_cmp_ne_u16_e32 vcc_lo, 0, v1
	s_and_not1_b32 s31, s31, exec_lo
	s_and_b32 s33, vcc_lo, exec_lo
	s_delay_alu instid0(SALU_CYCLE_1)
	s_or_b32 s31, s31, s33
	s_or_b32 exec_lo, exec_lo, s30
	v_mov_b32_e32 v0, 0
	s_and_saveexec_b32 s30, s31
	s_cbranch_execnz .LBB78_1212
	s_branch .LBB78_1213
.LBB78_1232:
	s_mov_b32 s29, -1
.LBB78_1233:
                                        ; implicit-def: $vgpr0
.LBB78_1234:
	s_and_b32 vcc_lo, exec_lo, s30
	s_mov_b32 s30, 0
	s_cbranch_vccz .LBB78_1236
; %bb.1235:
	s_cmp_lg_u32 s28, 11
	s_mov_b32 s30, -1
	s_cselect_b32 s28, -1, 0
	s_and_not1_b32 s29, s29, exec_lo
	s_and_b32 s28, s28, exec_lo
	s_delay_alu instid0(SALU_CYCLE_1)
	s_or_b32 s29, s29, s28
.LBB78_1236:
	s_mov_b32 s28, 0
.LBB78_1237:
	s_and_not1_b32 s33, s25, exec_lo
	s_and_b32 s29, s29, exec_lo
	s_and_b32 s34, s31, exec_lo
	;; [unrolled: 1-line block ×4, first 2 shown]
	s_or_b32 s33, s33, s29
.LBB78_1238:
	s_wait_xcnt 0x0
	s_or_b32 exec_lo, exec_lo, s16
	s_delay_alu instid0(SALU_CYCLE_1)
	s_and_not1_b32 s16, s25, exec_lo
	s_and_b32 s25, s33, exec_lo
	s_and_b32 s30, s34, exec_lo
	;; [unrolled: 1-line block ×4, first 2 shown]
	s_or_b32 s25, s16, s25
.LBB78_1239:
	s_or_b32 exec_lo, exec_lo, s24
	s_delay_alu instid0(SALU_CYCLE_1)
	s_and_not1_b32 s16, s21, exec_lo
	s_and_b32 s21, s27, exec_lo
	s_and_not1_b32 s22, s22, exec_lo
	s_and_b32 s24, s26, exec_lo
	s_or_b32 s21, s16, s21
	s_and_not1_b32 s16, s20, exec_lo
	s_and_b32 s20, s25, exec_lo
	s_or_b32 s22, s22, s24
	s_and_b32 s27, s30, exec_lo
	s_and_b32 s26, s29, exec_lo
	;; [unrolled: 1-line block ×3, first 2 shown]
	s_or_b32 s20, s16, s20
.LBB78_1240:
	s_or_b32 exec_lo, exec_lo, s23
	s_delay_alu instid0(SALU_CYCLE_1)
	s_and_not1_b32 s15, s15, exec_lo
	s_and_b32 s16, s21, exec_lo
	s_and_not1_b32 s17, s17, exec_lo
	s_and_b32 s21, s22, exec_lo
	s_or_b32 s15, s15, s16
	s_and_not1_b32 s16, s18, exec_lo
	s_and_b32 s18, s20, exec_lo
	s_or_b32 s17, s17, s21
	s_and_b32 s21, s27, exec_lo
	s_and_b32 s22, s26, exec_lo
	;; [unrolled: 1-line block ×3, first 2 shown]
	s_or_b32 s18, s16, s18
	s_or_b32 exec_lo, exec_lo, s19
	s_mov_b32 s16, 0
	s_and_saveexec_b32 s19, s18
	s_cbranch_execz .LBB78_390
.LBB78_1241:
	s_mov_b32 s16, exec_lo
	s_and_not1_b32 s20, s20, exec_lo
	s_trap 2
	s_or_b32 exec_lo, exec_lo, s19
	s_and_saveexec_b32 s18, s20
	s_delay_alu instid0(SALU_CYCLE_1)
	s_xor_b32 s18, exec_lo, s18
	s_cbranch_execnz .LBB78_391
.LBB78_1242:
	s_or_b32 exec_lo, exec_lo, s18
	s_and_saveexec_b32 s18, s22
	s_cbranch_execz .LBB78_1288
.LBB78_1243:
	s_sext_i32_i16 s19, s0
	s_delay_alu instid0(SALU_CYCLE_1)
	s_cmp_lt_i32 s19, 5
	s_cbranch_scc1 .LBB78_1248
; %bb.1244:
	s_cmp_lt_i32 s19, 8
	s_cbranch_scc1 .LBB78_1249
; %bb.1245:
	;; [unrolled: 3-line block ×3, first 2 shown]
	s_cmp_gt_i32 s19, 9
	s_cbranch_scc0 .LBB78_1251
; %bb.1247:
	s_wait_loadcnt 0x0
	global_load_b64 v[0:1], v[2:3], off
	s_mov_b32 s19, 0
	s_wait_loadcnt 0x0
	v_cvt_i32_f64_e32 v0, v[0:1]
	s_branch .LBB78_1252
.LBB78_1248:
                                        ; implicit-def: $vgpr0
	s_branch .LBB78_1269
.LBB78_1249:
                                        ; implicit-def: $vgpr0
	s_branch .LBB78_1258
.LBB78_1250:
	s_mov_b32 s19, -1
                                        ; implicit-def: $vgpr0
	s_branch .LBB78_1255
.LBB78_1251:
	s_mov_b32 s19, -1
                                        ; implicit-def: $vgpr0
.LBB78_1252:
	s_delay_alu instid0(SALU_CYCLE_1)
	s_and_not1_b32 vcc_lo, exec_lo, s19
	s_cbranch_vccnz .LBB78_1254
; %bb.1253:
	s_wait_loadcnt 0x0
	global_load_b32 v0, v[2:3], off
	s_wait_loadcnt 0x0
	v_cvt_i32_f32_e32 v0, v0
.LBB78_1254:
	s_mov_b32 s19, 0
.LBB78_1255:
	s_delay_alu instid0(SALU_CYCLE_1)
	s_and_not1_b32 vcc_lo, exec_lo, s19
	s_cbranch_vccnz .LBB78_1257
; %bb.1256:
	s_wait_loadcnt 0x0
	global_load_b32 v0, v[2:3], off
	s_wait_loadcnt 0x0
	v_cvt_i16_f16_e32 v0, v0
.LBB78_1257:
	s_cbranch_execnz .LBB78_1268
.LBB78_1258:
	s_sext_i32_i16 s19, s0
	s_delay_alu instid0(SALU_CYCLE_1)
	s_cmp_lt_i32 s19, 6
	s_cbranch_scc1 .LBB78_1261
; %bb.1259:
	s_cmp_gt_i32 s19, 6
	s_cbranch_scc0 .LBB78_1262
; %bb.1260:
	s_wait_loadcnt 0x0
	global_load_b64 v[0:1], v[2:3], off
	s_mov_b32 s19, 0
	s_wait_loadcnt 0x0
	v_cvt_i32_f64_e32 v0, v[0:1]
	s_branch .LBB78_1263
.LBB78_1261:
	s_mov_b32 s19, -1
                                        ; implicit-def: $vgpr0
	s_branch .LBB78_1266
.LBB78_1262:
	s_mov_b32 s19, -1
                                        ; implicit-def: $vgpr0
.LBB78_1263:
	s_delay_alu instid0(SALU_CYCLE_1)
	s_and_not1_b32 vcc_lo, exec_lo, s19
	s_cbranch_vccnz .LBB78_1265
; %bb.1264:
	s_wait_loadcnt 0x0
	global_load_b32 v0, v[2:3], off
	s_wait_loadcnt 0x0
	v_cvt_i32_f32_e32 v0, v0
.LBB78_1265:
	s_mov_b32 s19, 0
.LBB78_1266:
	s_delay_alu instid0(SALU_CYCLE_1)
	s_and_not1_b32 vcc_lo, exec_lo, s19
	s_cbranch_vccnz .LBB78_1268
; %bb.1267:
	s_wait_loadcnt 0x0
	global_load_u16 v0, v[2:3], off
	s_wait_loadcnt 0x0
	v_cvt_i16_f16_e32 v0, v0
.LBB78_1268:
	s_cbranch_execnz .LBB78_1287
.LBB78_1269:
	s_sext_i32_i16 s19, s0
	s_delay_alu instid0(SALU_CYCLE_1)
	s_cmp_lt_i32 s19, 2
	s_cbranch_scc1 .LBB78_1273
; %bb.1270:
	s_cmp_lt_i32 s19, 3
	s_cbranch_scc1 .LBB78_1274
; %bb.1271:
	s_cmp_gt_i32 s19, 3
	s_cbranch_scc0 .LBB78_1275
; %bb.1272:
	s_wait_loadcnt 0x0
	global_load_b64 v[0:1], v[2:3], off
	s_mov_b32 s19, 0
	s_branch .LBB78_1276
.LBB78_1273:
                                        ; implicit-def: $vgpr0
	s_branch .LBB78_1282
.LBB78_1274:
	s_mov_b32 s19, -1
                                        ; implicit-def: $vgpr0
	s_branch .LBB78_1279
.LBB78_1275:
	s_mov_b32 s19, -1
                                        ; implicit-def: $vgpr0
.LBB78_1276:
	s_delay_alu instid0(SALU_CYCLE_1)
	s_and_not1_b32 vcc_lo, exec_lo, s19
	s_cbranch_vccnz .LBB78_1278
; %bb.1277:
	s_wait_loadcnt 0x0
	global_load_b32 v0, v[2:3], off
.LBB78_1278:
	s_mov_b32 s19, 0
.LBB78_1279:
	s_delay_alu instid0(SALU_CYCLE_1)
	s_and_not1_b32 vcc_lo, exec_lo, s19
	s_cbranch_vccnz .LBB78_1281
; %bb.1280:
	s_wait_loadcnt 0x0
	global_load_u16 v0, v[2:3], off
.LBB78_1281:
	s_cbranch_execnz .LBB78_1287
.LBB78_1282:
	s_sext_i32_i16 s0, s0
	s_delay_alu instid0(SALU_CYCLE_1)
	s_cmp_gt_i32 s0, 0
	s_mov_b32 s0, 0
	s_cbranch_scc0 .LBB78_1284
; %bb.1283:
	s_wait_loadcnt 0x0
	global_load_i8 v0, v[2:3], off
	s_branch .LBB78_1285
.LBB78_1284:
	s_mov_b32 s0, -1
                                        ; implicit-def: $vgpr0
.LBB78_1285:
	s_delay_alu instid0(SALU_CYCLE_1)
	s_and_not1_b32 vcc_lo, exec_lo, s0
	s_cbranch_vccnz .LBB78_1287
; %bb.1286:
	s_wait_loadcnt 0x0
	global_load_u8 v0, v[2:3], off
.LBB78_1287:
	s_or_b32 s21, s21, exec_lo
.LBB78_1288:
	s_wait_xcnt 0x0
	s_or_b32 exec_lo, exec_lo, s18
	s_mov_b32 s20, 0
	s_mov_b32 s22, 0
	;; [unrolled: 1-line block ×3, first 2 shown]
                                        ; implicit-def: $sgpr0
                                        ; implicit-def: $vgpr2_vgpr3
                                        ; implicit-def: $vgpr4
	s_and_saveexec_b32 s18, s21
	s_cbranch_execz .LBB78_1296
; %bb.1289:
	v_mul_lo_u32 v2, v10, s10
	s_and_b32 s0, s1, 0xff
	s_delay_alu instid0(SALU_CYCLE_1) | instskip(NEXT) | instid1(VALU_DEP_1)
	s_cmp_lt_i32 s0, 11
	v_ashrrev_i32_e32 v3, 31, v2
	s_delay_alu instid0(VALU_DEP_1)
	v_add_nc_u64_e32 v[2:3], s[2:3], v[2:3]
	s_cbranch_scc1 .LBB78_1299
; %bb.1290:
	s_and_b32 s19, 0xffff, s0
	s_mov_b32 s21, 0
	s_cmp_gt_i32 s19, 25
	s_cbranch_scc0 .LBB78_1300
; %bb.1291:
	s_cmp_gt_i32 s19, 28
	s_cbranch_scc0 .LBB78_1301
; %bb.1292:
	;; [unrolled: 3-line block ×4, first 2 shown]
	s_cmp_eq_u32 s19, 46
	s_mov_b32 s23, 0
	s_cbranch_scc0 .LBB78_1304
; %bb.1295:
	s_wait_loadcnt 0x0
	global_load_b32 v1, v[2:3], off
	s_mov_b32 s22, -1
	s_wait_loadcnt 0x0
	v_lshlrev_b32_e32 v1, 16, v1
	s_delay_alu instid0(VALU_DEP_1)
	v_cvt_i32_f32_e32 v4, v1
	s_branch .LBB78_1306
.LBB78_1296:
	s_or_b32 exec_lo, exec_lo, s18
	s_and_saveexec_b32 s18, s17
	s_cbranch_execnz .LBB78_1365
.LBB78_1297:
	s_or_b32 exec_lo, exec_lo, s18
	s_and_saveexec_b32 s17, s20
	s_delay_alu instid0(SALU_CYCLE_1)
	s_xor_b32 s17, exec_lo, s17
	s_cbranch_execz .LBB78_1366
.LBB78_1298:
	s_wait_loadcnt 0x0
	global_load_u8 v1, v[2:3], off
	s_or_b32 s19, s19, exec_lo
	s_wait_loadcnt 0x0
	v_cmp_ne_u16_e32 vcc_lo, 0, v1
	v_cndmask_b32_e64 v4, 0, 1, vcc_lo
	s_wait_xcnt 0x0
	s_or_b32 exec_lo, exec_lo, s17
	s_and_saveexec_b32 s17, s22
	s_cbranch_execz .LBB78_1412
	s_branch .LBB78_1367
.LBB78_1299:
	s_mov_b32 s23, -1
	s_mov_b32 s21, 0
	s_mov_b32 s20, s17
                                        ; implicit-def: $vgpr4
	s_branch .LBB78_1364
.LBB78_1300:
	s_mov_b32 s20, s17
                                        ; implicit-def: $vgpr4
	s_cbranch_execnz .LBB78_1333
	s_branch .LBB78_1363
.LBB78_1301:
	s_mov_b32 s23, -1
	s_mov_b32 s20, s17
                                        ; implicit-def: $vgpr4
	s_branch .LBB78_1316
.LBB78_1302:
	s_mov_b32 s23, -1
	s_mov_b32 s20, s17
                                        ; implicit-def: $vgpr4
	s_branch .LBB78_1311
.LBB78_1303:
	s_mov_b32 s23, -1
	s_mov_b32 s20, s17
	s_branch .LBB78_1305
.LBB78_1304:
	s_mov_b32 s20, -1
.LBB78_1305:
                                        ; implicit-def: $vgpr4
.LBB78_1306:
	s_and_b32 vcc_lo, exec_lo, s23
	s_cbranch_vccz .LBB78_1310
; %bb.1307:
	s_cmp_eq_u32 s19, 44
	s_cbranch_scc0 .LBB78_1309
; %bb.1308:
	s_wait_loadcnt 0x0
	global_load_u8 v1, v[2:3], off
	s_mov_b32 s20, 0
	s_mov_b32 s22, -1
	s_wait_loadcnt 0x0
	v_lshlrev_b32_e32 v4, 23, v1
	v_cmp_ne_u32_e32 vcc_lo, 0, v1
	s_delay_alu instid0(VALU_DEP_2) | instskip(NEXT) | instid1(VALU_DEP_1)
	v_cvt_i32_f32_e32 v4, v4
	v_cndmask_b32_e32 v4, 0, v4, vcc_lo
	s_branch .LBB78_1310
.LBB78_1309:
	s_mov_b32 s20, -1
                                        ; implicit-def: $vgpr4
.LBB78_1310:
	s_mov_b32 s23, 0
.LBB78_1311:
	s_delay_alu instid0(SALU_CYCLE_1)
	s_and_b32 vcc_lo, exec_lo, s23
	s_cbranch_vccz .LBB78_1315
; %bb.1312:
	s_cmp_eq_u32 s19, 29
	s_cbranch_scc0 .LBB78_1314
; %bb.1313:
	s_wait_loadcnt 0x0
	global_load_b64 v[4:5], v[2:3], off
	s_mov_b32 s20, 0
	s_mov_b32 s22, -1
	s_branch .LBB78_1315
.LBB78_1314:
	s_mov_b32 s20, -1
                                        ; implicit-def: $vgpr4
.LBB78_1315:
	s_mov_b32 s23, 0
.LBB78_1316:
	s_delay_alu instid0(SALU_CYCLE_1)
	s_and_b32 vcc_lo, exec_lo, s23
	s_cbranch_vccz .LBB78_1332
; %bb.1317:
	s_cmp_lt_i32 s19, 27
	s_cbranch_scc1 .LBB78_1320
; %bb.1318:
	s_cmp_gt_i32 s19, 27
	s_cbranch_scc0 .LBB78_1321
; %bb.1319:
	s_wait_loadcnt 0x0
	global_load_b32 v4, v[2:3], off
	s_mov_b32 s22, 0
	s_branch .LBB78_1322
.LBB78_1320:
	s_mov_b32 s22, -1
                                        ; implicit-def: $vgpr4
	s_branch .LBB78_1325
.LBB78_1321:
	s_mov_b32 s22, -1
                                        ; implicit-def: $vgpr4
.LBB78_1322:
	s_delay_alu instid0(SALU_CYCLE_1)
	s_and_not1_b32 vcc_lo, exec_lo, s22
	s_cbranch_vccnz .LBB78_1324
; %bb.1323:
	s_wait_loadcnt 0x0
	global_load_u16 v4, v[2:3], off
.LBB78_1324:
	s_mov_b32 s22, 0
.LBB78_1325:
	s_delay_alu instid0(SALU_CYCLE_1)
	s_and_not1_b32 vcc_lo, exec_lo, s22
	s_cbranch_vccnz .LBB78_1331
; %bb.1326:
	s_wait_loadcnt 0x0
	global_load_u8 v1, v[2:3], off
	s_mov_b32 s23, 0
	s_mov_b32 s22, exec_lo
	s_wait_loadcnt 0x0
	v_cmpx_lt_i16_e32 0x7f, v1
	s_xor_b32 s22, exec_lo, s22
	s_cbranch_execz .LBB78_1342
; %bb.1327:
	v_cmp_ne_u16_e32 vcc_lo, 0x80, v1
	s_and_b32 s23, vcc_lo, exec_lo
	s_and_not1_saveexec_b32 s22, s22
	s_cbranch_execnz .LBB78_1343
.LBB78_1328:
	s_or_b32 exec_lo, exec_lo, s22
	v_mov_b32_e32 v4, 0
	s_and_saveexec_b32 s22, s23
	s_cbranch_execz .LBB78_1330
.LBB78_1329:
	v_and_b32_e32 v4, 0xffff, v1
	s_delay_alu instid0(VALU_DEP_1) | instskip(SKIP_1) | instid1(VALU_DEP_2)
	v_and_b32_e32 v5, 7, v4
	v_bfe_u32 v8, v4, 3, 4
	v_clz_i32_u32_e32 v6, v5
	s_delay_alu instid0(VALU_DEP_2) | instskip(NEXT) | instid1(VALU_DEP_2)
	v_cmp_eq_u32_e32 vcc_lo, 0, v8
	v_min_u32_e32 v6, 32, v6
	s_delay_alu instid0(VALU_DEP_1) | instskip(NEXT) | instid1(VALU_DEP_1)
	v_subrev_nc_u32_e32 v7, 28, v6
	v_dual_lshlrev_b32 v4, v7, v4 :: v_dual_sub_nc_u32 v6, 29, v6
	s_delay_alu instid0(VALU_DEP_1) | instskip(NEXT) | instid1(VALU_DEP_1)
	v_dual_lshlrev_b32 v1, 24, v1 :: v_dual_bitop2_b32 v4, 7, v4 bitop3:0x40
	v_dual_cndmask_b32 v6, v8, v6, vcc_lo :: v_dual_cndmask_b32 v4, v5, v4, vcc_lo
	s_delay_alu instid0(VALU_DEP_2) | instskip(NEXT) | instid1(VALU_DEP_2)
	v_and_b32_e32 v1, 0x80000000, v1
	v_lshl_add_u32 v5, v6, 23, 0x3b800000
	s_delay_alu instid0(VALU_DEP_3) | instskip(NEXT) | instid1(VALU_DEP_1)
	v_lshlrev_b32_e32 v4, 20, v4
	v_or3_b32 v1, v1, v5, v4
	s_delay_alu instid0(VALU_DEP_1)
	v_cvt_i32_f32_e32 v4, v1
.LBB78_1330:
	s_or_b32 exec_lo, exec_lo, s22
.LBB78_1331:
	s_mov_b32 s22, -1
.LBB78_1332:
	s_branch .LBB78_1363
.LBB78_1333:
	s_cmp_gt_i32 s19, 22
	s_cbranch_scc0 .LBB78_1341
; %bb.1334:
	s_cmp_lt_i32 s19, 24
	s_cbranch_scc1 .LBB78_1344
; %bb.1335:
	s_cmp_gt_i32 s19, 24
	s_cbranch_scc0 .LBB78_1345
; %bb.1336:
	s_wait_loadcnt 0x0
	global_load_u8 v1, v[2:3], off
	s_mov_b32 s22, 0
	s_mov_b32 s21, exec_lo
	s_wait_loadcnt 0x0
	v_cmpx_lt_i16_e32 0x7f, v1
	s_xor_b32 s21, exec_lo, s21
	s_cbranch_execz .LBB78_1357
; %bb.1337:
	v_cmp_ne_u16_e32 vcc_lo, 0x80, v1
	s_and_b32 s22, vcc_lo, exec_lo
	s_and_not1_saveexec_b32 s21, s21
	s_cbranch_execnz .LBB78_1358
.LBB78_1338:
	s_or_b32 exec_lo, exec_lo, s21
	v_mov_b32_e32 v4, 0
	s_and_saveexec_b32 s21, s22
	s_cbranch_execz .LBB78_1340
.LBB78_1339:
	v_and_b32_e32 v4, 0xffff, v1
	s_delay_alu instid0(VALU_DEP_1) | instskip(SKIP_1) | instid1(VALU_DEP_2)
	v_and_b32_e32 v5, 3, v4
	v_bfe_u32 v8, v4, 2, 5
	v_clz_i32_u32_e32 v6, v5
	s_delay_alu instid0(VALU_DEP_2) | instskip(NEXT) | instid1(VALU_DEP_2)
	v_cmp_eq_u32_e32 vcc_lo, 0, v8
	v_min_u32_e32 v6, 32, v6
	s_delay_alu instid0(VALU_DEP_1) | instskip(NEXT) | instid1(VALU_DEP_1)
	v_subrev_nc_u32_e32 v7, 29, v6
	v_dual_lshlrev_b32 v4, v7, v4 :: v_dual_sub_nc_u32 v6, 30, v6
	s_delay_alu instid0(VALU_DEP_1) | instskip(NEXT) | instid1(VALU_DEP_1)
	v_dual_lshlrev_b32 v1, 24, v1 :: v_dual_bitop2_b32 v4, 3, v4 bitop3:0x40
	v_dual_cndmask_b32 v6, v8, v6, vcc_lo :: v_dual_cndmask_b32 v4, v5, v4, vcc_lo
	s_delay_alu instid0(VALU_DEP_2) | instskip(NEXT) | instid1(VALU_DEP_2)
	v_and_b32_e32 v1, 0x80000000, v1
	v_lshl_add_u32 v5, v6, 23, 0x37800000
	s_delay_alu instid0(VALU_DEP_3) | instskip(NEXT) | instid1(VALU_DEP_1)
	v_lshlrev_b32_e32 v4, 21, v4
	v_or3_b32 v1, v1, v5, v4
	s_delay_alu instid0(VALU_DEP_1)
	v_cvt_i32_f32_e32 v4, v1
.LBB78_1340:
	s_or_b32 exec_lo, exec_lo, s21
	s_mov_b32 s21, 0
	s_branch .LBB78_1346
.LBB78_1341:
	s_mov_b32 s21, -1
                                        ; implicit-def: $vgpr4
	s_branch .LBB78_1352
.LBB78_1342:
	s_and_not1_saveexec_b32 s22, s22
	s_cbranch_execz .LBB78_1328
.LBB78_1343:
	v_cmp_ne_u16_e32 vcc_lo, 0, v1
	s_and_not1_b32 s23, s23, exec_lo
	s_and_b32 s24, vcc_lo, exec_lo
	s_delay_alu instid0(SALU_CYCLE_1)
	s_or_b32 s23, s23, s24
	s_or_b32 exec_lo, exec_lo, s22
	v_mov_b32_e32 v4, 0
	s_and_saveexec_b32 s22, s23
	s_cbranch_execnz .LBB78_1329
	s_branch .LBB78_1330
.LBB78_1344:
	s_mov_b32 s21, -1
                                        ; implicit-def: $vgpr4
	s_branch .LBB78_1349
.LBB78_1345:
	s_mov_b32 s21, -1
                                        ; implicit-def: $vgpr4
.LBB78_1346:
	s_delay_alu instid0(SALU_CYCLE_1)
	s_and_b32 vcc_lo, exec_lo, s21
	s_cbranch_vccz .LBB78_1348
; %bb.1347:
	s_wait_loadcnt 0x0
	global_load_u8 v1, v[2:3], off
	s_wait_loadcnt 0x0
	v_lshlrev_b32_e32 v1, 24, v1
	s_delay_alu instid0(VALU_DEP_1) | instskip(NEXT) | instid1(VALU_DEP_1)
	v_and_b32_e32 v4, 0x7f000000, v1
	v_clz_i32_u32_e32 v5, v4
	v_cmp_ne_u32_e32 vcc_lo, 0, v4
	v_add_nc_u32_e32 v7, 0x1000000, v4
	s_delay_alu instid0(VALU_DEP_3) | instskip(NEXT) | instid1(VALU_DEP_1)
	v_min_u32_e32 v5, 32, v5
	v_sub_nc_u32_e64 v5, v5, 4 clamp
	s_delay_alu instid0(VALU_DEP_1) | instskip(NEXT) | instid1(VALU_DEP_1)
	v_dual_lshlrev_b32 v6, v5, v4 :: v_dual_lshlrev_b32 v5, 23, v5
	v_lshrrev_b32_e32 v6, 4, v6
	s_delay_alu instid0(VALU_DEP_1) | instskip(NEXT) | instid1(VALU_DEP_1)
	v_dual_sub_nc_u32 v5, v6, v5 :: v_dual_ashrrev_i32 v6, 8, v7
	v_add_nc_u32_e32 v5, 0x3c000000, v5
	s_delay_alu instid0(VALU_DEP_1) | instskip(NEXT) | instid1(VALU_DEP_1)
	v_and_or_b32 v5, 0x7f800000, v6, v5
	v_cndmask_b32_e32 v4, 0, v5, vcc_lo
	s_delay_alu instid0(VALU_DEP_1) | instskip(NEXT) | instid1(VALU_DEP_1)
	v_and_or_b32 v1, 0x80000000, v1, v4
	v_cvt_i32_f32_e32 v4, v1
.LBB78_1348:
	s_mov_b32 s21, 0
.LBB78_1349:
	s_delay_alu instid0(SALU_CYCLE_1)
	s_and_not1_b32 vcc_lo, exec_lo, s21
	s_cbranch_vccnz .LBB78_1351
; %bb.1350:
	s_wait_loadcnt 0x0
	global_load_u8 v1, v[2:3], off
	s_wait_loadcnt 0x0
	v_lshlrev_b32_e32 v4, 25, v1
	v_lshlrev_b16 v1, 8, v1
	s_delay_alu instid0(VALU_DEP_1) | instskip(SKIP_1) | instid1(VALU_DEP_2)
	v_and_or_b32 v6, 0x7f00, v1, 0.5
	v_bfe_i32 v1, v1, 0, 16
	v_dual_add_f32 v6, -0.5, v6 :: v_dual_lshrrev_b32 v5, 4, v4
	v_cmp_gt_u32_e32 vcc_lo, 0x8000000, v4
	s_delay_alu instid0(VALU_DEP_2) | instskip(NEXT) | instid1(VALU_DEP_1)
	v_or_b32_e32 v5, 0x70000000, v5
	v_mul_f32_e32 v5, 0x7800000, v5
	s_delay_alu instid0(VALU_DEP_1) | instskip(NEXT) | instid1(VALU_DEP_1)
	v_cndmask_b32_e32 v4, v5, v6, vcc_lo
	v_and_or_b32 v1, 0x80000000, v1, v4
	s_delay_alu instid0(VALU_DEP_1)
	v_cvt_i32_f32_e32 v4, v1
.LBB78_1351:
	s_mov_b32 s21, 0
	s_mov_b32 s22, -1
.LBB78_1352:
	s_and_not1_b32 vcc_lo, exec_lo, s21
	s_mov_b32 s21, 0
	s_cbranch_vccnz .LBB78_1363
; %bb.1353:
	s_cmp_gt_i32 s19, 14
	s_cbranch_scc0 .LBB78_1356
; %bb.1354:
	s_cmp_eq_u32 s19, 15
	s_cbranch_scc0 .LBB78_1359
; %bb.1355:
	s_wait_loadcnt 0x0
	global_load_u16 v1, v[2:3], off
	s_mov_b32 s20, 0
	s_mov_b32 s22, -1
	s_wait_loadcnt 0x0
	v_lshlrev_b32_e32 v1, 16, v1
	s_delay_alu instid0(VALU_DEP_1)
	v_cvt_i32_f32_e32 v4, v1
	s_branch .LBB78_1361
.LBB78_1356:
	s_mov_b32 s21, -1
	s_branch .LBB78_1360
.LBB78_1357:
	s_and_not1_saveexec_b32 s21, s21
	s_cbranch_execz .LBB78_1338
.LBB78_1358:
	v_cmp_ne_u16_e32 vcc_lo, 0, v1
	s_and_not1_b32 s22, s22, exec_lo
	s_and_b32 s23, vcc_lo, exec_lo
	s_delay_alu instid0(SALU_CYCLE_1)
	s_or_b32 s22, s22, s23
	s_or_b32 exec_lo, exec_lo, s21
	v_mov_b32_e32 v4, 0
	s_and_saveexec_b32 s21, s22
	s_cbranch_execnz .LBB78_1339
	s_branch .LBB78_1340
.LBB78_1359:
	s_mov_b32 s20, -1
.LBB78_1360:
                                        ; implicit-def: $vgpr4
.LBB78_1361:
	s_and_b32 vcc_lo, exec_lo, s21
	s_mov_b32 s21, 0
	s_cbranch_vccz .LBB78_1363
; %bb.1362:
	s_cmp_lg_u32 s19, 11
	s_mov_b32 s21, -1
	s_cselect_b32 s19, -1, 0
	s_and_not1_b32 s20, s20, exec_lo
	s_and_b32 s19, s19, exec_lo
	s_delay_alu instid0(SALU_CYCLE_1)
	s_or_b32 s20, s20, s19
.LBB78_1363:
	s_mov_b32 s23, 0
.LBB78_1364:
	s_and_b32 s19, s22, exec_lo
	s_and_b32 s22, s23, exec_lo
	s_and_not1_b32 s17, s17, exec_lo
	s_and_b32 s23, s20, exec_lo
	s_and_b32 s20, s21, exec_lo
	s_or_b32 s17, s17, s23
	s_wait_xcnt 0x0
	s_or_b32 exec_lo, exec_lo, s18
	s_and_saveexec_b32 s18, s17
	s_cbranch_execz .LBB78_1297
.LBB78_1365:
	s_or_b32 s16, s16, exec_lo
	s_and_not1_b32 s20, s20, exec_lo
	s_trap 2
	s_or_b32 exec_lo, exec_lo, s18
	s_and_saveexec_b32 s17, s20
	s_delay_alu instid0(SALU_CYCLE_1)
	s_xor_b32 s17, exec_lo, s17
	s_cbranch_execnz .LBB78_1298
.LBB78_1366:
	s_or_b32 exec_lo, exec_lo, s17
	s_and_saveexec_b32 s17, s22
	s_cbranch_execz .LBB78_1412
.LBB78_1367:
	s_sext_i32_i16 s18, s0
	s_delay_alu instid0(SALU_CYCLE_1)
	s_cmp_lt_i32 s18, 5
	s_cbranch_scc1 .LBB78_1372
; %bb.1368:
	s_cmp_lt_i32 s18, 8
	s_cbranch_scc1 .LBB78_1373
; %bb.1369:
	s_cmp_lt_i32 s18, 9
	s_cbranch_scc1 .LBB78_1374
; %bb.1370:
	s_cmp_gt_i32 s18, 9
	s_cbranch_scc0 .LBB78_1375
; %bb.1371:
	s_wait_loadcnt 0x0
	global_load_b64 v[4:5], v[2:3], off
	s_mov_b32 s18, 0
	s_wait_loadcnt 0x0
	v_cvt_i32_f64_e32 v4, v[4:5]
	s_branch .LBB78_1376
.LBB78_1372:
                                        ; implicit-def: $vgpr4
	s_branch .LBB78_1393
.LBB78_1373:
                                        ; implicit-def: $vgpr4
	s_branch .LBB78_1382
.LBB78_1374:
	s_mov_b32 s18, -1
                                        ; implicit-def: $vgpr4
	s_branch .LBB78_1379
.LBB78_1375:
	s_mov_b32 s18, -1
                                        ; implicit-def: $vgpr4
.LBB78_1376:
	s_delay_alu instid0(SALU_CYCLE_1)
	s_and_not1_b32 vcc_lo, exec_lo, s18
	s_cbranch_vccnz .LBB78_1378
; %bb.1377:
	s_wait_loadcnt 0x0
	global_load_b32 v1, v[2:3], off
	s_wait_loadcnt 0x0
	v_cvt_i32_f32_e32 v4, v1
.LBB78_1378:
	s_mov_b32 s18, 0
.LBB78_1379:
	s_delay_alu instid0(SALU_CYCLE_1)
	s_and_not1_b32 vcc_lo, exec_lo, s18
	s_cbranch_vccnz .LBB78_1381
; %bb.1380:
	s_wait_loadcnt 0x0
	global_load_b32 v1, v[2:3], off
	s_wait_loadcnt 0x0
	v_cvt_i16_f16_e32 v4, v1
.LBB78_1381:
	s_cbranch_execnz .LBB78_1392
.LBB78_1382:
	s_sext_i32_i16 s18, s0
	s_delay_alu instid0(SALU_CYCLE_1)
	s_cmp_lt_i32 s18, 6
	s_cbranch_scc1 .LBB78_1385
; %bb.1383:
	s_cmp_gt_i32 s18, 6
	s_cbranch_scc0 .LBB78_1386
; %bb.1384:
	s_wait_loadcnt 0x0
	global_load_b64 v[4:5], v[2:3], off
	s_mov_b32 s18, 0
	s_wait_loadcnt 0x0
	v_cvt_i32_f64_e32 v4, v[4:5]
	s_branch .LBB78_1387
.LBB78_1385:
	s_mov_b32 s18, -1
                                        ; implicit-def: $vgpr4
	s_branch .LBB78_1390
.LBB78_1386:
	s_mov_b32 s18, -1
                                        ; implicit-def: $vgpr4
.LBB78_1387:
	s_delay_alu instid0(SALU_CYCLE_1)
	s_and_not1_b32 vcc_lo, exec_lo, s18
	s_cbranch_vccnz .LBB78_1389
; %bb.1388:
	s_wait_loadcnt 0x0
	global_load_b32 v1, v[2:3], off
	s_wait_loadcnt 0x0
	v_cvt_i32_f32_e32 v4, v1
.LBB78_1389:
	s_mov_b32 s18, 0
.LBB78_1390:
	s_delay_alu instid0(SALU_CYCLE_1)
	s_and_not1_b32 vcc_lo, exec_lo, s18
	s_cbranch_vccnz .LBB78_1392
; %bb.1391:
	s_wait_loadcnt 0x0
	global_load_u16 v1, v[2:3], off
	s_wait_loadcnt 0x0
	v_cvt_i16_f16_e32 v4, v1
.LBB78_1392:
	s_cbranch_execnz .LBB78_1411
.LBB78_1393:
	s_sext_i32_i16 s18, s0
	s_delay_alu instid0(SALU_CYCLE_1)
	s_cmp_lt_i32 s18, 2
	s_cbranch_scc1 .LBB78_1397
; %bb.1394:
	s_cmp_lt_i32 s18, 3
	s_cbranch_scc1 .LBB78_1398
; %bb.1395:
	s_cmp_gt_i32 s18, 3
	s_cbranch_scc0 .LBB78_1399
; %bb.1396:
	s_wait_loadcnt 0x0
	global_load_b64 v[4:5], v[2:3], off
	s_mov_b32 s18, 0
	s_branch .LBB78_1400
.LBB78_1397:
                                        ; implicit-def: $vgpr4
	s_branch .LBB78_1406
.LBB78_1398:
	s_mov_b32 s18, -1
                                        ; implicit-def: $vgpr4
	s_branch .LBB78_1403
.LBB78_1399:
	s_mov_b32 s18, -1
                                        ; implicit-def: $vgpr4
.LBB78_1400:
	s_delay_alu instid0(SALU_CYCLE_1)
	s_and_not1_b32 vcc_lo, exec_lo, s18
	s_cbranch_vccnz .LBB78_1402
; %bb.1401:
	s_wait_loadcnt 0x0
	global_load_b32 v4, v[2:3], off
.LBB78_1402:
	s_mov_b32 s18, 0
.LBB78_1403:
	s_delay_alu instid0(SALU_CYCLE_1)
	s_and_not1_b32 vcc_lo, exec_lo, s18
	s_cbranch_vccnz .LBB78_1405
; %bb.1404:
	s_wait_loadcnt 0x0
	global_load_u16 v4, v[2:3], off
.LBB78_1405:
	s_cbranch_execnz .LBB78_1411
.LBB78_1406:
	s_sext_i32_i16 s0, s0
	s_delay_alu instid0(SALU_CYCLE_1)
	s_cmp_gt_i32 s0, 0
	s_mov_b32 s0, 0
	s_cbranch_scc0 .LBB78_1408
; %bb.1407:
	s_wait_loadcnt 0x0
	global_load_i8 v4, v[2:3], off
	s_branch .LBB78_1409
.LBB78_1408:
	s_mov_b32 s0, -1
                                        ; implicit-def: $vgpr4
.LBB78_1409:
	s_delay_alu instid0(SALU_CYCLE_1)
	s_and_not1_b32 vcc_lo, exec_lo, s0
	s_cbranch_vccnz .LBB78_1411
; %bb.1410:
	s_wait_loadcnt 0x0
	global_load_u8 v4, v[2:3], off
.LBB78_1411:
	s_or_b32 s19, s19, exec_lo
.LBB78_1412:
	s_wait_xcnt 0x0
	s_or_b32 exec_lo, exec_lo, s17
	s_mov_b32 s0, 0
	s_mov_b32 s20, 0
                                        ; implicit-def: $sgpr17
                                        ; implicit-def: $vgpr2_vgpr3
                                        ; implicit-def: $vgpr5
	s_and_saveexec_b32 s18, s19
	s_cbranch_execz .LBB78_1426
; %bb.1413:
	s_wait_loadcnt 0x0
	s_delay_alu instid0(VALU_DEP_1) | instskip(SKIP_2) | instid1(VALU_DEP_1)
	v_sub_nc_u16 v1, 0, v4
	s_mov_b32 s17, 0
	s_mov_b32 s0, exec_lo
	v_max_i16 v1, v4, v1
	v_cmpx_ne_u16_e32 0, v0
	s_cbranch_execz .LBB78_1417
; %bb.1414:
	v_sub_nc_u16 v2, 0, v0
	s_delay_alu instid0(VALU_DEP_1) | instskip(SKIP_1) | instid1(VALU_DEP_2)
	v_max_i16 v3, v0, v2
	v_and_b32_e32 v2, 0xffff, v1
	v_and_b32_e32 v3, 0xffff, v3
.LBB78_1415:                            ; =>This Inner Loop Header: Depth=1
	s_delay_alu instid0(VALU_DEP_1) | instskip(NEXT) | instid1(VALU_DEP_2)
	v_bfe_i32 v6, v2, 0, 16
	v_mov_b32_e32 v1, v3
	s_delay_alu instid0(VALU_DEP_2) | instskip(NEXT) | instid1(VALU_DEP_2)
	v_cvt_f32_i32_e32 v8, v6
	v_bfe_i32 v3, v1, 0, 16
	s_delay_alu instid0(VALU_DEP_1) | instskip(SKIP_1) | instid1(VALU_DEP_2)
	v_cvt_f32_i32_e32 v5, v3
	v_xor_b32_e32 v3, v6, v3
	v_rcp_iflag_f32_e32 v7, v5
	v_nop
	s_delay_alu instid0(TRANS32_DEP_1) | instskip(NEXT) | instid1(VALU_DEP_1)
	v_mul_f32_e32 v6, v8, v7
	v_trunc_f32_e32 v6, v6
	s_delay_alu instid0(VALU_DEP_1) | instskip(NEXT) | instid1(VALU_DEP_1)
	v_dual_ashrrev_i32 v3, 30, v3 :: v_dual_fma_f32 v7, -v6, v5, v8
	v_or_b32_e32 v3, 1, v3
	v_cvt_i32_f32_e32 v6, v6
	s_delay_alu instid0(VALU_DEP_3) | instskip(NEXT) | instid1(VALU_DEP_3)
	v_cmp_ge_f32_e64 vcc_lo, |v7|, |v5|
	v_cndmask_b32_e32 v3, 0, v3, vcc_lo
	s_delay_alu instid0(VALU_DEP_1) | instskip(NEXT) | instid1(VALU_DEP_1)
	v_add_nc_u32_e32 v3, v6, v3
	v_mul_lo_u32 v3, v3, v1
	s_delay_alu instid0(VALU_DEP_1) | instskip(NEXT) | instid1(VALU_DEP_1)
	v_sub_nc_u32_e32 v3, v2, v3
	v_and_b32_e32 v2, 0xffff, v3
	v_bfe_i32 v3, v3, 0, 16
	s_delay_alu instid0(VALU_DEP_2) | instskip(SKIP_2) | instid1(SALU_CYCLE_1)
	v_cmp_eq_u32_e32 vcc_lo, 0, v2
	v_mov_b32_e32 v2, v1
	s_or_b32 s17, vcc_lo, s17
	s_and_not1_b32 exec_lo, exec_lo, s17
	s_cbranch_execnz .LBB78_1415
; %bb.1416:
	s_or_b32 exec_lo, exec_lo, s17
.LBB78_1417:
	s_delay_alu instid0(SALU_CYCLE_1)
	s_or_b32 exec_lo, exec_lo, s0
	v_mov_b32_e32 v5, 0
	s_mov_b32 s0, exec_lo
	v_cmpx_ne_u16_e32 0, v1
	s_cbranch_execz .LBB78_1419
; %bb.1418:
	v_bfe_i32 v1, v1, 0, 16
	v_bfe_i32 v0, v0, 0, 16
	s_delay_alu instid0(VALU_DEP_2) | instskip(NEXT) | instid1(VALU_DEP_2)
	v_cvt_f32_i32_e32 v2, v1
	v_cvt_f32_i32_e32 v5, v0
	v_xor_b32_e32 v0, v0, v1
	s_delay_alu instid0(VALU_DEP_3) | instskip(SKIP_1) | instid1(TRANS32_DEP_1)
	v_rcp_iflag_f32_e32 v3, v2
	v_nop
	v_mul_f32_e32 v3, v5, v3
	s_delay_alu instid0(VALU_DEP_1) | instskip(NEXT) | instid1(VALU_DEP_1)
	v_trunc_f32_e32 v1, v3
	v_dual_ashrrev_i32 v0, 30, v0 :: v_dual_fma_f32 v3, -v1, v2, v5
	s_delay_alu instid0(VALU_DEP_1) | instskip(SKIP_1) | instid1(VALU_DEP_3)
	v_or_b32_e32 v0, 1, v0
	v_cvt_i32_f32_e32 v1, v1
	v_cmp_ge_f32_e64 vcc_lo, |v3|, |v2|
	s_delay_alu instid0(VALU_DEP_3) | instskip(NEXT) | instid1(VALU_DEP_1)
	v_cndmask_b32_e32 v0, 0, v0, vcc_lo
	v_add_nc_u32_e32 v0, v1, v0
	v_bfe_i32 v1, v4, 0, 16
	s_delay_alu instid0(VALU_DEP_2) | instskip(NEXT) | instid1(VALU_DEP_1)
	v_bfe_i32 v0, v0, 0, 16
	v_mul_i32_i24_e32 v0, v0, v1
	s_delay_alu instid0(VALU_DEP_1) | instskip(NEXT) | instid1(VALU_DEP_1)
	v_sub_nc_u32_e32 v1, 0, v0
	v_max_i32_e32 v5, v0, v1
.LBB78_1419:
	s_or_b32 exec_lo, exec_lo, s0
	v_mul_lo_u32 v0, v10, s8
	s_and_b32 s17, s11, 0xff
	s_delay_alu instid0(SALU_CYCLE_1) | instskip(NEXT) | instid1(VALU_DEP_1)
	s_cmp_lt_i32 s17, 11
	v_ashrrev_i32_e32 v1, 31, v0
	s_delay_alu instid0(VALU_DEP_1)
	v_add_nc_u64_e32 v[2:3], s[4:5], v[0:1]
	s_cbranch_scc1 .LBB78_1429
; %bb.1420:
	s_and_b32 s19, 0xffff, s17
	s_mov_b32 s20, -1
	s_cmp_gt_i32 s19, 25
	s_mov_b32 s0, s15
	s_cbranch_scc0 .LBB78_1457
; %bb.1421:
	s_cmp_gt_i32 s19, 28
	s_mov_b32 s0, s15
	s_cbranch_scc0 .LBB78_1441
; %bb.1422:
	s_cmp_gt_i32 s19, 43
	s_mov_b32 s0, s15
	s_cbranch_scc0 .LBB78_1437
; %bb.1423:
	s_cmp_gt_i32 s19, 45
	s_mov_b32 s0, s15
	s_cbranch_scc0 .LBB78_1431
; %bb.1424:
	s_cmp_eq_u32 s19, 46
	s_mov_b32 s0, -1
	s_cbranch_scc0 .LBB78_1430
; %bb.1425:
	v_bfe_i32 v0, v5, 0, 16
	s_mov_b32 s0, 0
	s_mov_b32 s20, 0
	s_delay_alu instid0(VALU_DEP_1) | instskip(NEXT) | instid1(VALU_DEP_1)
	v_cvt_f32_i32_e32 v0, v0
	v_bfe_u32 v1, v0, 16, 1
	s_delay_alu instid0(VALU_DEP_1) | instskip(NEXT) | instid1(VALU_DEP_1)
	v_add3_u32 v0, v0, v1, 0x7fff
	v_lshrrev_b32_e32 v0, 16, v0
	global_store_b32 v[2:3], v0, off
	s_branch .LBB78_1431
.LBB78_1426:
	s_or_b32 exec_lo, exec_lo, s18
	s_and_saveexec_b32 s18, s15
	s_cbranch_execnz .LBB78_1499
.LBB78_1427:
	s_or_b32 exec_lo, exec_lo, s18
	s_and_saveexec_b32 s15, s0
	s_delay_alu instid0(SALU_CYCLE_1)
	s_xor_b32 s0, exec_lo, s15
	s_cbranch_execz .LBB78_1500
.LBB78_1428:
	s_wait_loadcnt 0x0
	v_cmp_ne_u16_e32 vcc_lo, 0, v5
	v_cndmask_b32_e64 v0, 0, 1, vcc_lo
	global_store_b8 v[2:3], v0, off
	s_wait_xcnt 0x0
	s_or_b32 exec_lo, exec_lo, s0
	s_and_saveexec_b32 s0, s20
	s_delay_alu instid0(SALU_CYCLE_1)
	s_xor_b32 s0, exec_lo, s0
	s_cbranch_execz .LBB78_1538
	s_branch .LBB78_1501
.LBB78_1429:
	s_mov_b32 s21, 0
	s_mov_b32 s20, -1
	s_mov_b32 s0, s15
	s_branch .LBB78_1498
.LBB78_1430:
	s_mov_b32 s20, 0
.LBB78_1431:
	s_delay_alu instid0(SALU_CYCLE_1)
	s_and_b32 vcc_lo, exec_lo, s20
	s_cbranch_vccz .LBB78_1436
; %bb.1432:
	s_cmp_eq_u32 s19, 44
	s_mov_b32 s0, -1
	s_cbranch_scc0 .LBB78_1436
; %bb.1433:
	s_wait_xcnt 0x0
	v_bfe_i32 v0, v5, 0, 16
	v_mov_b32_e32 v1, 0xff
	s_mov_b32 s20, exec_lo
	s_delay_alu instid0(VALU_DEP_2) | instskip(NEXT) | instid1(VALU_DEP_1)
	v_cvt_f32_i32_e32 v0, v0
	v_bfe_u32 v4, v0, 23, 8
	s_delay_alu instid0(VALU_DEP_1)
	v_cmpx_ne_u32_e32 0xff, v4
	s_cbranch_execz .LBB78_1435
; %bb.1434:
	v_and_b32_e32 v1, 0x400000, v0
	v_and_or_b32 v4, 0x3fffff, v0, v4
	v_lshrrev_b32_e32 v0, 23, v0
	s_delay_alu instid0(VALU_DEP_3) | instskip(NEXT) | instid1(VALU_DEP_3)
	v_cmp_ne_u32_e32 vcc_lo, 0, v1
	v_cmp_ne_u32_e64 s0, 0, v4
	s_and_b32 s0, vcc_lo, s0
	s_delay_alu instid0(SALU_CYCLE_1) | instskip(NEXT) | instid1(VALU_DEP_1)
	v_cndmask_b32_e64 v1, 0, 1, s0
	v_add_nc_u32_e32 v1, v0, v1
.LBB78_1435:
	s_or_b32 exec_lo, exec_lo, s20
	s_mov_b32 s0, 0
	global_store_b8 v[2:3], v1, off
.LBB78_1436:
	s_mov_b32 s20, 0
.LBB78_1437:
	s_delay_alu instid0(SALU_CYCLE_1)
	s_and_b32 vcc_lo, exec_lo, s20
	s_cbranch_vccz .LBB78_1440
; %bb.1438:
	s_cmp_eq_u32 s19, 29
	s_mov_b32 s0, -1
	s_cbranch_scc0 .LBB78_1440
; %bb.1439:
	s_wait_xcnt 0x0
	v_bfe_i32 v0, v5, 0, 16
	s_mov_b32 s0, 0
	s_mov_b32 s20, 0
	s_delay_alu instid0(VALU_DEP_1)
	v_ashrrev_i32_e32 v1, 31, v0
	global_store_b64 v[2:3], v[0:1], off
	s_branch .LBB78_1441
.LBB78_1440:
	s_mov_b32 s20, 0
.LBB78_1441:
	s_delay_alu instid0(SALU_CYCLE_1)
	s_and_b32 vcc_lo, exec_lo, s20
	s_cbranch_vccz .LBB78_1456
; %bb.1442:
	s_cmp_lt_i32 s19, 27
	s_mov_b32 s20, -1
	s_cbranch_scc1 .LBB78_1448
; %bb.1443:
	s_cmp_gt_i32 s19, 27
	s_cbranch_scc0 .LBB78_1445
; %bb.1444:
	s_wait_xcnt 0x0
	v_bfe_i32 v0, v5, 0, 16
	s_mov_b32 s20, 0
	global_store_b32 v[2:3], v0, off
.LBB78_1445:
	s_and_not1_b32 vcc_lo, exec_lo, s20
	s_cbranch_vccnz .LBB78_1447
; %bb.1446:
	global_store_b16 v[2:3], v5, off
.LBB78_1447:
	s_mov_b32 s20, 0
.LBB78_1448:
	s_delay_alu instid0(SALU_CYCLE_1)
	s_and_not1_b32 vcc_lo, exec_lo, s20
	s_cbranch_vccnz .LBB78_1456
; %bb.1449:
	s_wait_xcnt 0x0
	v_bfe_i32 v0, v5, 0, 16
	v_mov_b32_e32 v4, 0x80
	s_mov_b32 s20, exec_lo
	s_delay_alu instid0(VALU_DEP_2) | instskip(NEXT) | instid1(VALU_DEP_1)
	v_cvt_f32_i32_e32 v0, v0
	v_and_b32_e32 v1, 0x7fffffff, v0
	s_delay_alu instid0(VALU_DEP_1)
	v_cmpx_gt_u32_e32 0x43800000, v1
	s_cbranch_execz .LBB78_1455
; %bb.1450:
	v_cmp_lt_u32_e32 vcc_lo, 0x3bffffff, v1
	s_mov_b32 s21, 0
                                        ; implicit-def: $vgpr1
	s_and_saveexec_b32 s22, vcc_lo
	s_delay_alu instid0(SALU_CYCLE_1)
	s_xor_b32 s22, exec_lo, s22
	s_cbranch_execz .LBB78_1553
; %bb.1451:
	v_bfe_u32 v1, v0, 20, 1
	s_mov_b32 s21, exec_lo
	s_delay_alu instid0(VALU_DEP_1) | instskip(NEXT) | instid1(VALU_DEP_1)
	v_add3_u32 v1, v0, v1, 0x487ffff
	v_lshrrev_b32_e32 v1, 20, v1
	s_and_not1_saveexec_b32 s22, s22
	s_cbranch_execnz .LBB78_1554
.LBB78_1452:
	s_or_b32 exec_lo, exec_lo, s22
	v_mov_b32_e32 v4, 0
	s_and_saveexec_b32 s22, s21
.LBB78_1453:
	v_lshrrev_b32_e32 v0, 24, v0
	s_delay_alu instid0(VALU_DEP_1)
	v_and_or_b32 v4, 0x80, v0, v1
.LBB78_1454:
	s_or_b32 exec_lo, exec_lo, s22
.LBB78_1455:
	s_delay_alu instid0(SALU_CYCLE_1)
	s_or_b32 exec_lo, exec_lo, s20
	global_store_b8 v[2:3], v4, off
.LBB78_1456:
	s_mov_b32 s20, 0
.LBB78_1457:
	s_delay_alu instid0(SALU_CYCLE_1)
	s_and_b32 vcc_lo, exec_lo, s20
	s_mov_b32 s20, 0
	s_cbranch_vccz .LBB78_1497
; %bb.1458:
	s_cmp_gt_i32 s19, 22
	s_mov_b32 s21, -1
	s_cbranch_scc0 .LBB78_1490
; %bb.1459:
	s_cmp_lt_i32 s19, 24
	s_cbranch_scc1 .LBB78_1479
; %bb.1460:
	s_cmp_gt_i32 s19, 24
	s_cbranch_scc0 .LBB78_1468
; %bb.1461:
	s_wait_xcnt 0x0
	v_bfe_i32 v0, v5, 0, 16
	v_mov_b32_e32 v4, 0x80
	s_mov_b32 s21, exec_lo
	s_delay_alu instid0(VALU_DEP_2) | instskip(NEXT) | instid1(VALU_DEP_1)
	v_cvt_f32_i32_e32 v0, v0
	v_and_b32_e32 v1, 0x7fffffff, v0
	s_delay_alu instid0(VALU_DEP_1)
	v_cmpx_gt_u32_e32 0x47800000, v1
	s_cbranch_execz .LBB78_1467
; %bb.1462:
	v_cmp_lt_u32_e32 vcc_lo, 0x37ffffff, v1
	s_mov_b32 s22, 0
                                        ; implicit-def: $vgpr1
	s_and_saveexec_b32 s23, vcc_lo
	s_delay_alu instid0(SALU_CYCLE_1)
	s_xor_b32 s23, exec_lo, s23
	s_cbranch_execz .LBB78_1674
; %bb.1463:
	v_bfe_u32 v1, v0, 21, 1
	s_mov_b32 s22, exec_lo
	s_delay_alu instid0(VALU_DEP_1) | instskip(NEXT) | instid1(VALU_DEP_1)
	v_add3_u32 v1, v0, v1, 0x88fffff
	v_lshrrev_b32_e32 v1, 21, v1
	s_and_not1_saveexec_b32 s23, s23
	s_cbranch_execnz .LBB78_1675
.LBB78_1464:
	s_or_b32 exec_lo, exec_lo, s23
	v_mov_b32_e32 v4, 0
	s_and_saveexec_b32 s23, s22
.LBB78_1465:
	v_lshrrev_b32_e32 v0, 24, v0
	s_delay_alu instid0(VALU_DEP_1)
	v_and_or_b32 v4, 0x80, v0, v1
.LBB78_1466:
	s_or_b32 exec_lo, exec_lo, s23
.LBB78_1467:
	s_delay_alu instid0(SALU_CYCLE_1)
	s_or_b32 exec_lo, exec_lo, s21
	s_mov_b32 s21, 0
	global_store_b8 v[2:3], v4, off
.LBB78_1468:
	s_and_b32 vcc_lo, exec_lo, s21
	s_cbranch_vccz .LBB78_1478
; %bb.1469:
	s_wait_xcnt 0x0
	v_bfe_i32 v0, v5, 0, 16
	s_mov_b32 s21, exec_lo
                                        ; implicit-def: $vgpr1
	s_delay_alu instid0(VALU_DEP_1) | instskip(NEXT) | instid1(VALU_DEP_1)
	v_cvt_f32_i32_e32 v0, v0
	v_and_b32_e32 v4, 0x7fffffff, v0
	s_delay_alu instid0(VALU_DEP_1)
	v_cmpx_gt_u32_e32 0x43f00000, v4
	s_xor_b32 s21, exec_lo, s21
	s_cbranch_execz .LBB78_1475
; %bb.1470:
	s_mov_b32 s22, exec_lo
                                        ; implicit-def: $vgpr1
	v_cmpx_lt_u32_e32 0x3c7fffff, v4
	s_xor_b32 s22, exec_lo, s22
; %bb.1471:
	v_bfe_u32 v1, v0, 20, 1
	s_delay_alu instid0(VALU_DEP_1) | instskip(NEXT) | instid1(VALU_DEP_1)
	v_add3_u32 v1, v0, v1, 0x407ffff
	v_and_b32_e32 v4, 0xff00000, v1
	v_lshrrev_b32_e32 v1, 20, v1
	s_delay_alu instid0(VALU_DEP_2) | instskip(NEXT) | instid1(VALU_DEP_2)
	v_cmp_ne_u32_e32 vcc_lo, 0x7f00000, v4
	v_cndmask_b32_e32 v1, 0x7e, v1, vcc_lo
; %bb.1472:
	s_and_not1_saveexec_b32 s22, s22
; %bb.1473:
	v_add_f32_e64 v1, 0x46800000, |v0|
; %bb.1474:
	s_or_b32 exec_lo, exec_lo, s22
                                        ; implicit-def: $vgpr4
.LBB78_1475:
	s_and_not1_saveexec_b32 s21, s21
; %bb.1476:
	v_mov_b32_e32 v1, 0x7f
	v_cmp_lt_u32_e32 vcc_lo, 0x7f800000, v4
	s_delay_alu instid0(VALU_DEP_2)
	v_cndmask_b32_e32 v1, 0x7e, v1, vcc_lo
; %bb.1477:
	s_or_b32 exec_lo, exec_lo, s21
	v_lshrrev_b32_e32 v0, 24, v0
	s_delay_alu instid0(VALU_DEP_1)
	v_and_or_b32 v0, 0x80, v0, v1
	global_store_b8 v[2:3], v0, off
.LBB78_1478:
	s_mov_b32 s21, 0
.LBB78_1479:
	s_delay_alu instid0(SALU_CYCLE_1)
	s_and_not1_b32 vcc_lo, exec_lo, s21
	s_cbranch_vccnz .LBB78_1489
; %bb.1480:
	s_wait_xcnt 0x0
	v_bfe_i32 v0, v5, 0, 16
	s_mov_b32 s21, exec_lo
                                        ; implicit-def: $vgpr1
	s_delay_alu instid0(VALU_DEP_1) | instskip(NEXT) | instid1(VALU_DEP_1)
	v_cvt_f32_i32_e32 v0, v0
	v_and_b32_e32 v4, 0x7fffffff, v0
	s_delay_alu instid0(VALU_DEP_1)
	v_cmpx_gt_u32_e32 0x47800000, v4
	s_xor_b32 s21, exec_lo, s21
	s_cbranch_execz .LBB78_1486
; %bb.1481:
	s_mov_b32 s22, exec_lo
                                        ; implicit-def: $vgpr1
	v_cmpx_lt_u32_e32 0x387fffff, v4
	s_xor_b32 s22, exec_lo, s22
; %bb.1482:
	v_bfe_u32 v1, v0, 21, 1
	s_delay_alu instid0(VALU_DEP_1) | instskip(NEXT) | instid1(VALU_DEP_1)
	v_add3_u32 v1, v0, v1, 0x80fffff
	v_lshrrev_b32_e32 v1, 21, v1
; %bb.1483:
	s_and_not1_saveexec_b32 s22, s22
; %bb.1484:
	v_add_f32_e64 v1, 0x43000000, |v0|
; %bb.1485:
	s_or_b32 exec_lo, exec_lo, s22
                                        ; implicit-def: $vgpr4
.LBB78_1486:
	s_and_not1_saveexec_b32 s21, s21
; %bb.1487:
	v_mov_b32_e32 v1, 0x7f
	v_cmp_lt_u32_e32 vcc_lo, 0x7f800000, v4
	s_delay_alu instid0(VALU_DEP_2)
	v_cndmask_b32_e32 v1, 0x7c, v1, vcc_lo
; %bb.1488:
	s_or_b32 exec_lo, exec_lo, s21
	v_lshrrev_b32_e32 v0, 24, v0
	s_delay_alu instid0(VALU_DEP_1)
	v_and_or_b32 v0, 0x80, v0, v1
	global_store_b8 v[2:3], v0, off
.LBB78_1489:
	s_mov_b32 s21, 0
.LBB78_1490:
	s_delay_alu instid0(SALU_CYCLE_1)
	s_and_not1_b32 vcc_lo, exec_lo, s21
	s_mov_b32 s21, 0
	s_cbranch_vccnz .LBB78_1498
; %bb.1491:
	s_cmp_gt_i32 s19, 14
	s_mov_b32 s21, -1
	s_cbranch_scc0 .LBB78_1495
; %bb.1492:
	s_cmp_eq_u32 s19, 15
	s_mov_b32 s0, -1
	s_cbranch_scc0 .LBB78_1494
; %bb.1493:
	s_wait_xcnt 0x0
	v_bfe_i32 v0, v5, 0, 16
	s_mov_b32 s0, 0
	s_delay_alu instid0(VALU_DEP_1) | instskip(NEXT) | instid1(VALU_DEP_1)
	v_cvt_f32_i32_e32 v0, v0
	v_bfe_u32 v1, v0, 16, 1
	s_delay_alu instid0(VALU_DEP_1)
	v_add3_u32 v0, v0, v1, 0x7fff
	global_store_d16_hi_b16 v[2:3], v0, off
.LBB78_1494:
	s_mov_b32 s21, 0
.LBB78_1495:
	s_delay_alu instid0(SALU_CYCLE_1)
	s_and_b32 vcc_lo, exec_lo, s21
	s_mov_b32 s21, 0
	s_cbranch_vccz .LBB78_1498
; %bb.1496:
	s_cmp_lg_u32 s19, 11
	s_mov_b32 s21, -1
	s_cselect_b32 s19, -1, 0
	s_and_not1_b32 s0, s0, exec_lo
	s_and_b32 s19, s19, exec_lo
	s_delay_alu instid0(SALU_CYCLE_1)
	s_or_b32 s0, s0, s19
	s_branch .LBB78_1498
.LBB78_1497:
	s_mov_b32 s21, 0
.LBB78_1498:
	s_and_not1_b32 s15, s15, exec_lo
	s_and_b32 s19, s0, exec_lo
	s_and_b32 s20, s20, exec_lo
	;; [unrolled: 1-line block ×3, first 2 shown]
	s_or_b32 s15, s15, s19
	s_wait_xcnt 0x0
	s_or_b32 exec_lo, exec_lo, s18
	s_and_saveexec_b32 s18, s15
	s_cbranch_execz .LBB78_1427
.LBB78_1499:
	s_or_b32 s16, s16, exec_lo
	s_and_not1_b32 s0, s0, exec_lo
	s_trap 2
	s_or_b32 exec_lo, exec_lo, s18
	s_and_saveexec_b32 s15, s0
	s_delay_alu instid0(SALU_CYCLE_1)
	s_xor_b32 s0, exec_lo, s15
	s_cbranch_execnz .LBB78_1428
.LBB78_1500:
	s_or_b32 exec_lo, exec_lo, s0
	s_and_saveexec_b32 s0, s20
	s_delay_alu instid0(SALU_CYCLE_1)
	s_xor_b32 s0, exec_lo, s0
	s_cbranch_execz .LBB78_1538
.LBB78_1501:
	s_sext_i32_i16 s18, s17
	s_mov_b32 s15, -1
	s_cmp_lt_i32 s18, 5
	s_cbranch_scc1 .LBB78_1522
; %bb.1502:
	s_cmp_lt_i32 s18, 8
	s_cbranch_scc1 .LBB78_1512
; %bb.1503:
	;; [unrolled: 3-line block ×3, first 2 shown]
	s_cmp_gt_i32 s18, 9
	s_cbranch_scc0 .LBB78_1506
; %bb.1505:
	s_wait_loadcnt 0x0
	v_bfe_i32 v0, v5, 0, 16
	v_mov_b32_e32 v8, 0
	s_mov_b32 s15, 0
	s_delay_alu instid0(VALU_DEP_2) | instskip(NEXT) | instid1(VALU_DEP_2)
	v_cvt_f64_i32_e32 v[6:7], v0
	v_mov_b32_e32 v9, v8
	global_store_b128 v[2:3], v[6:9], off
.LBB78_1506:
	s_and_not1_b32 vcc_lo, exec_lo, s15
	s_cbranch_vccnz .LBB78_1508
; %bb.1507:
	s_wait_loadcnt 0x0
	v_bfe_i32 v0, v5, 0, 16
	v_mov_b32_e32 v1, 0
	s_delay_alu instid0(VALU_DEP_2)
	v_cvt_f32_i32_e32 v0, v0
	global_store_b64 v[2:3], v[0:1], off
.LBB78_1508:
	s_mov_b32 s15, 0
.LBB78_1509:
	s_delay_alu instid0(SALU_CYCLE_1)
	s_and_not1_b32 vcc_lo, exec_lo, s15
	s_cbranch_vccnz .LBB78_1511
; %bb.1510:
	s_wait_loadcnt 0x0
	v_cvt_f16_i16_e32 v0, v5
	s_delay_alu instid0(VALU_DEP_1)
	v_and_b32_e32 v0, 0xffff, v0
	global_store_b32 v[2:3], v0, off
.LBB78_1511:
	s_mov_b32 s15, 0
.LBB78_1512:
	s_delay_alu instid0(SALU_CYCLE_1)
	s_and_not1_b32 vcc_lo, exec_lo, s15
	s_cbranch_vccnz .LBB78_1521
; %bb.1513:
	s_sext_i32_i16 s18, s17
	s_mov_b32 s15, -1
	s_cmp_lt_i32 s18, 6
	s_cbranch_scc1 .LBB78_1519
; %bb.1514:
	s_cmp_gt_i32 s18, 6
	s_cbranch_scc0 .LBB78_1516
; %bb.1515:
	s_wait_loadcnt 0x0
	v_bfe_i32 v0, v5, 0, 16
	s_mov_b32 s15, 0
	s_delay_alu instid0(VALU_DEP_1)
	v_cvt_f64_i32_e32 v[0:1], v0
	global_store_b64 v[2:3], v[0:1], off
.LBB78_1516:
	s_and_not1_b32 vcc_lo, exec_lo, s15
	s_cbranch_vccnz .LBB78_1518
; %bb.1517:
	s_wait_loadcnt 0x0
	v_bfe_i32 v0, v5, 0, 16
	s_delay_alu instid0(VALU_DEP_1)
	v_cvt_f32_i32_e32 v0, v0
	global_store_b32 v[2:3], v0, off
.LBB78_1518:
	s_mov_b32 s15, 0
.LBB78_1519:
	s_delay_alu instid0(SALU_CYCLE_1)
	s_and_not1_b32 vcc_lo, exec_lo, s15
	s_cbranch_vccnz .LBB78_1521
; %bb.1520:
	s_wait_loadcnt 0x0
	v_cvt_f16_i16_e32 v0, v5
	global_store_b16 v[2:3], v0, off
.LBB78_1521:
	s_mov_b32 s15, 0
.LBB78_1522:
	s_delay_alu instid0(SALU_CYCLE_1)
	s_and_not1_b32 vcc_lo, exec_lo, s15
	s_cbranch_vccnz .LBB78_1538
; %bb.1523:
	s_sext_i32_i16 s18, s17
	s_mov_b32 s15, -1
	s_cmp_lt_i32 s18, 2
	s_cbranch_scc1 .LBB78_1533
; %bb.1524:
	s_cmp_lt_i32 s18, 3
	s_cbranch_scc1 .LBB78_1530
; %bb.1525:
	s_wait_loadcnt 0x0
	v_bfe_i32 v0, v5, 0, 16
	s_cmp_gt_i32 s18, 3
	s_cbranch_scc0 .LBB78_1527
; %bb.1526:
	s_delay_alu instid0(VALU_DEP_1)
	v_ashrrev_i32_e32 v1, 31, v0
	s_mov_b32 s15, 0
	global_store_b64 v[2:3], v[0:1], off
.LBB78_1527:
	s_and_not1_b32 vcc_lo, exec_lo, s15
	s_cbranch_vccnz .LBB78_1529
; %bb.1528:
	global_store_b32 v[2:3], v0, off
.LBB78_1529:
	s_mov_b32 s15, 0
.LBB78_1530:
	s_delay_alu instid0(SALU_CYCLE_1)
	s_and_not1_b32 vcc_lo, exec_lo, s15
	s_cbranch_vccnz .LBB78_1532
; %bb.1531:
	s_wait_loadcnt 0x0
	global_store_b16 v[2:3], v5, off
.LBB78_1532:
	s_mov_b32 s15, 0
.LBB78_1533:
	s_delay_alu instid0(SALU_CYCLE_1)
	s_and_not1_b32 vcc_lo, exec_lo, s15
	s_cbranch_vccnz .LBB78_1538
; %bb.1534:
	s_sext_i32_i16 s15, s17
	s_delay_alu instid0(SALU_CYCLE_1)
	s_cmp_gt_i32 s15, 0
	s_mov_b32 s15, -1
	s_cbranch_scc0 .LBB78_1536
; %bb.1535:
	s_mov_b32 s15, 0
	s_wait_loadcnt 0x0
	global_store_b8 v[2:3], v5, off
.LBB78_1536:
	s_and_not1_b32 vcc_lo, exec_lo, s15
	s_cbranch_vccnz .LBB78_1538
; %bb.1537:
	s_wait_loadcnt 0x0
	global_store_b8 v[2:3], v5, off
.LBB78_1538:
	s_wait_xcnt 0x0
	s_or_b32 exec_lo, exec_lo, s0
	s_delay_alu instid0(SALU_CYCLE_1)
	s_and_b32 s15, s16, exec_lo
                                        ; implicit-def: $vgpr10
.LBB78_1539:
	s_or_saveexec_b32 s14, s14
	s_mov_b32 s0, 0
                                        ; implicit-def: $sgpr16
                                        ; implicit-def: $vgpr0_vgpr1
                                        ; implicit-def: $vgpr7
	s_xor_b32 exec_lo, exec_lo, s14
	s_cbranch_execz .LBB78_2653
; %bb.1540:
	s_wait_loadcnt 0x0
	v_mul_lo_u32 v0, s9, v10
	s_and_b32 s0, s13, 0xff
	s_delay_alu instid0(SALU_CYCLE_1) | instskip(NEXT) | instid1(VALU_DEP_1)
	s_cmp_lt_i32 s0, 11
	v_ashrrev_i32_e32 v1, 31, v0
	s_delay_alu instid0(VALU_DEP_1)
	v_add_nc_u64_e32 v[2:3], s[6:7], v[0:1]
	s_cbranch_scc1 .LBB78_1547
; %bb.1541:
	s_and_b32 s12, 0xffff, s0
	s_mov_b32 s16, 0
	s_cmp_gt_i32 s12, 25
	s_cbranch_scc0 .LBB78_1549
; %bb.1542:
	s_cmp_gt_i32 s12, 28
	s_cbranch_scc0 .LBB78_1550
; %bb.1543:
	;; [unrolled: 3-line block ×4, first 2 shown]
	s_cmp_eq_u32 s12, 46
	s_mov_b32 s18, 0
	s_cbranch_scc0 .LBB78_1555
; %bb.1546:
	global_load_b32 v1, v[2:3], off
	s_mov_b32 s13, 0
	s_mov_b32 s17, -1
	s_wait_loadcnt 0x0
	v_lshlrev_b32_e32 v1, 16, v1
	s_delay_alu instid0(VALU_DEP_1)
	v_cvt_i32_f32_e32 v4, v1
	s_branch .LBB78_1557
.LBB78_1547:
	s_mov_b32 s17, 0
	s_mov_b32 s12, s15
                                        ; implicit-def: $vgpr4
	s_cbranch_execnz .LBB78_1615
.LBB78_1548:
	s_and_not1_b32 vcc_lo, exec_lo, s17
	s_cbranch_vccz .LBB78_1660
	s_branch .LBB78_2651
.LBB78_1549:
	s_mov_b32 s17, 0
	s_mov_b32 s13, 0
                                        ; implicit-def: $vgpr4
	s_cbranch_execnz .LBB78_1582
	s_branch .LBB78_1611
.LBB78_1550:
	s_mov_b32 s17, 0
	s_mov_b32 s13, 0
                                        ; implicit-def: $vgpr4
	s_cbranch_execz .LBB78_1581
	s_branch .LBB78_1566
.LBB78_1551:
	s_mov_b32 s17, 0
	s_mov_b32 s13, 0
                                        ; implicit-def: $vgpr4
	s_cbranch_execnz .LBB78_1562
	s_branch .LBB78_1565
.LBB78_1552:
	s_mov_b32 s18, -1
	s_mov_b32 s17, 0
	s_mov_b32 s13, 0
	s_branch .LBB78_1556
.LBB78_1553:
	s_and_not1_saveexec_b32 s22, s22
	s_cbranch_execz .LBB78_1452
.LBB78_1554:
	v_add_f32_e64 v1, 0x46000000, |v0|
	s_and_not1_b32 s21, s21, exec_lo
	s_delay_alu instid0(VALU_DEP_1) | instskip(NEXT) | instid1(VALU_DEP_1)
	v_and_b32_e32 v1, 0xff, v1
	v_cmp_ne_u32_e32 vcc_lo, 0, v1
	s_and_b32 s23, vcc_lo, exec_lo
	s_delay_alu instid0(SALU_CYCLE_1)
	s_or_b32 s21, s21, s23
	s_or_b32 exec_lo, exec_lo, s22
	v_mov_b32_e32 v4, 0
	s_and_saveexec_b32 s22, s21
	s_cbranch_execnz .LBB78_1453
	s_branch .LBB78_1454
.LBB78_1555:
	s_mov_b32 s13, -1
	s_mov_b32 s17, 0
.LBB78_1556:
                                        ; implicit-def: $vgpr4
.LBB78_1557:
	s_and_b32 vcc_lo, exec_lo, s18
	s_cbranch_vccz .LBB78_1560
; %bb.1558:
	s_cmp_eq_u32 s12, 44
	s_cbranch_scc0 .LBB78_1561
; %bb.1559:
	global_load_u8 v1, v[2:3], off
	s_mov_b32 s13, 0
	s_mov_b32 s17, -1
	s_wait_loadcnt 0x0
	v_lshlrev_b32_e32 v4, 23, v1
	v_cmp_ne_u32_e32 vcc_lo, 0, v1
	s_delay_alu instid0(VALU_DEP_2) | instskip(NEXT) | instid1(VALU_DEP_1)
	v_cvt_i32_f32_e32 v4, v4
	v_cndmask_b32_e32 v4, 0, v4, vcc_lo
.LBB78_1560:
	s_branch .LBB78_1565
.LBB78_1561:
	s_mov_b32 s13, -1
                                        ; implicit-def: $vgpr4
	s_branch .LBB78_1565
.LBB78_1562:
	s_cmp_eq_u32 s12, 29
	s_cbranch_scc0 .LBB78_1564
; %bb.1563:
	global_load_b64 v[4:5], v[2:3], off
	s_mov_b32 s13, 0
	s_mov_b32 s17, -1
	s_branch .LBB78_1565
.LBB78_1564:
	s_mov_b32 s13, -1
                                        ; implicit-def: $vgpr4
.LBB78_1565:
	s_branch .LBB78_1581
.LBB78_1566:
	s_cmp_lt_i32 s12, 27
	s_cbranch_scc1 .LBB78_1569
; %bb.1567:
	s_cmp_gt_i32 s12, 27
	s_cbranch_scc0 .LBB78_1570
; %bb.1568:
	s_wait_loadcnt 0x0
	global_load_b32 v4, v[2:3], off
	s_mov_b32 s17, 0
	s_branch .LBB78_1571
.LBB78_1569:
	s_mov_b32 s17, -1
                                        ; implicit-def: $vgpr4
	s_branch .LBB78_1574
.LBB78_1570:
	s_mov_b32 s17, -1
                                        ; implicit-def: $vgpr4
.LBB78_1571:
	s_delay_alu instid0(SALU_CYCLE_1)
	s_and_not1_b32 vcc_lo, exec_lo, s17
	s_cbranch_vccnz .LBB78_1573
; %bb.1572:
	s_wait_loadcnt 0x0
	global_load_u16 v4, v[2:3], off
.LBB78_1573:
	s_mov_b32 s17, 0
.LBB78_1574:
	s_delay_alu instid0(SALU_CYCLE_1)
	s_and_not1_b32 vcc_lo, exec_lo, s17
	s_cbranch_vccnz .LBB78_1580
; %bb.1575:
	global_load_u8 v1, v[2:3], off
	s_mov_b32 s18, 0
	s_mov_b32 s17, exec_lo
	s_wait_loadcnt 0x0
	v_cmpx_lt_i16_e32 0x7f, v1
	s_xor_b32 s17, exec_lo, s17
	s_cbranch_execz .LBB78_1591
; %bb.1576:
	v_cmp_ne_u16_e32 vcc_lo, 0x80, v1
	s_and_b32 s18, vcc_lo, exec_lo
	s_and_not1_saveexec_b32 s17, s17
	s_cbranch_execnz .LBB78_1592
.LBB78_1577:
	s_or_b32 exec_lo, exec_lo, s17
	v_mov_b32_e32 v4, 0
	s_and_saveexec_b32 s17, s18
	s_cbranch_execz .LBB78_1579
.LBB78_1578:
	v_and_b32_e32 v4, 0xffff, v1
	s_delay_alu instid0(VALU_DEP_1) | instskip(SKIP_1) | instid1(VALU_DEP_2)
	v_and_b32_e32 v5, 7, v4
	v_bfe_u32 v8, v4, 3, 4
	v_clz_i32_u32_e32 v6, v5
	s_delay_alu instid0(VALU_DEP_2) | instskip(NEXT) | instid1(VALU_DEP_2)
	v_cmp_eq_u32_e32 vcc_lo, 0, v8
	v_min_u32_e32 v6, 32, v6
	s_delay_alu instid0(VALU_DEP_1) | instskip(NEXT) | instid1(VALU_DEP_1)
	v_subrev_nc_u32_e32 v7, 28, v6
	v_dual_lshlrev_b32 v4, v7, v4 :: v_dual_sub_nc_u32 v6, 29, v6
	s_delay_alu instid0(VALU_DEP_1) | instskip(NEXT) | instid1(VALU_DEP_1)
	v_dual_lshlrev_b32 v1, 24, v1 :: v_dual_bitop2_b32 v4, 7, v4 bitop3:0x40
	v_dual_cndmask_b32 v6, v8, v6, vcc_lo :: v_dual_cndmask_b32 v4, v5, v4, vcc_lo
	s_delay_alu instid0(VALU_DEP_2) | instskip(NEXT) | instid1(VALU_DEP_2)
	v_and_b32_e32 v1, 0x80000000, v1
	v_lshl_add_u32 v5, v6, 23, 0x3b800000
	s_delay_alu instid0(VALU_DEP_3) | instskip(NEXT) | instid1(VALU_DEP_1)
	v_lshlrev_b32_e32 v4, 20, v4
	v_or3_b32 v1, v1, v5, v4
	s_delay_alu instid0(VALU_DEP_1)
	v_cvt_i32_f32_e32 v4, v1
.LBB78_1579:
	s_or_b32 exec_lo, exec_lo, s17
.LBB78_1580:
	s_mov_b32 s17, -1
.LBB78_1581:
	s_branch .LBB78_1611
.LBB78_1582:
	s_cmp_gt_i32 s12, 22
	s_cbranch_scc0 .LBB78_1590
; %bb.1583:
	s_cmp_lt_i32 s12, 24
	s_cbranch_scc1 .LBB78_1593
; %bb.1584:
	s_cmp_gt_i32 s12, 24
	s_cbranch_scc0 .LBB78_1594
; %bb.1585:
	global_load_u8 v1, v[2:3], off
	s_mov_b32 s17, 0
	s_mov_b32 s16, exec_lo
	s_wait_loadcnt 0x0
	v_cmpx_lt_i16_e32 0x7f, v1
	s_xor_b32 s16, exec_lo, s16
	s_cbranch_execz .LBB78_1605
; %bb.1586:
	v_cmp_ne_u16_e32 vcc_lo, 0x80, v1
	s_and_b32 s17, vcc_lo, exec_lo
	s_and_not1_saveexec_b32 s16, s16
	s_cbranch_execnz .LBB78_1606
.LBB78_1587:
	s_or_b32 exec_lo, exec_lo, s16
	v_mov_b32_e32 v4, 0
	s_and_saveexec_b32 s16, s17
	s_cbranch_execz .LBB78_1589
.LBB78_1588:
	v_and_b32_e32 v4, 0xffff, v1
	s_delay_alu instid0(VALU_DEP_1) | instskip(SKIP_1) | instid1(VALU_DEP_2)
	v_and_b32_e32 v5, 3, v4
	v_bfe_u32 v8, v4, 2, 5
	v_clz_i32_u32_e32 v6, v5
	s_delay_alu instid0(VALU_DEP_2) | instskip(NEXT) | instid1(VALU_DEP_2)
	v_cmp_eq_u32_e32 vcc_lo, 0, v8
	v_min_u32_e32 v6, 32, v6
	s_delay_alu instid0(VALU_DEP_1) | instskip(NEXT) | instid1(VALU_DEP_1)
	v_subrev_nc_u32_e32 v7, 29, v6
	v_dual_lshlrev_b32 v4, v7, v4 :: v_dual_sub_nc_u32 v6, 30, v6
	s_delay_alu instid0(VALU_DEP_1) | instskip(NEXT) | instid1(VALU_DEP_1)
	v_dual_lshlrev_b32 v1, 24, v1 :: v_dual_bitop2_b32 v4, 3, v4 bitop3:0x40
	v_dual_cndmask_b32 v6, v8, v6, vcc_lo :: v_dual_cndmask_b32 v4, v5, v4, vcc_lo
	s_delay_alu instid0(VALU_DEP_2) | instskip(NEXT) | instid1(VALU_DEP_2)
	v_and_b32_e32 v1, 0x80000000, v1
	v_lshl_add_u32 v5, v6, 23, 0x37800000
	s_delay_alu instid0(VALU_DEP_3) | instskip(NEXT) | instid1(VALU_DEP_1)
	v_lshlrev_b32_e32 v4, 21, v4
	v_or3_b32 v1, v1, v5, v4
	s_delay_alu instid0(VALU_DEP_1)
	v_cvt_i32_f32_e32 v4, v1
.LBB78_1589:
	s_or_b32 exec_lo, exec_lo, s16
	s_mov_b32 s16, 0
	s_branch .LBB78_1595
.LBB78_1590:
                                        ; implicit-def: $vgpr4
	s_mov_b32 s16, 0
	s_branch .LBB78_1601
.LBB78_1591:
	s_and_not1_saveexec_b32 s17, s17
	s_cbranch_execz .LBB78_1577
.LBB78_1592:
	v_cmp_ne_u16_e32 vcc_lo, 0, v1
	s_and_not1_b32 s18, s18, exec_lo
	s_and_b32 s19, vcc_lo, exec_lo
	s_delay_alu instid0(SALU_CYCLE_1)
	s_or_b32 s18, s18, s19
	s_or_b32 exec_lo, exec_lo, s17
	v_mov_b32_e32 v4, 0
	s_and_saveexec_b32 s17, s18
	s_cbranch_execnz .LBB78_1578
	s_branch .LBB78_1579
.LBB78_1593:
	s_mov_b32 s16, -1
                                        ; implicit-def: $vgpr4
	s_branch .LBB78_1598
.LBB78_1594:
	s_mov_b32 s16, -1
                                        ; implicit-def: $vgpr4
.LBB78_1595:
	s_delay_alu instid0(SALU_CYCLE_1)
	s_and_b32 vcc_lo, exec_lo, s16
	s_cbranch_vccz .LBB78_1597
; %bb.1596:
	global_load_u8 v1, v[2:3], off
	s_wait_loadcnt 0x0
	v_lshlrev_b32_e32 v1, 24, v1
	s_delay_alu instid0(VALU_DEP_1) | instskip(NEXT) | instid1(VALU_DEP_1)
	v_and_b32_e32 v4, 0x7f000000, v1
	v_clz_i32_u32_e32 v5, v4
	v_cmp_ne_u32_e32 vcc_lo, 0, v4
	v_add_nc_u32_e32 v7, 0x1000000, v4
	s_delay_alu instid0(VALU_DEP_3) | instskip(NEXT) | instid1(VALU_DEP_1)
	v_min_u32_e32 v5, 32, v5
	v_sub_nc_u32_e64 v5, v5, 4 clamp
	s_delay_alu instid0(VALU_DEP_1) | instskip(NEXT) | instid1(VALU_DEP_1)
	v_dual_lshlrev_b32 v6, v5, v4 :: v_dual_lshlrev_b32 v5, 23, v5
	v_lshrrev_b32_e32 v6, 4, v6
	s_delay_alu instid0(VALU_DEP_1) | instskip(NEXT) | instid1(VALU_DEP_1)
	v_dual_sub_nc_u32 v5, v6, v5 :: v_dual_ashrrev_i32 v6, 8, v7
	v_add_nc_u32_e32 v5, 0x3c000000, v5
	s_delay_alu instid0(VALU_DEP_1) | instskip(NEXT) | instid1(VALU_DEP_1)
	v_and_or_b32 v5, 0x7f800000, v6, v5
	v_cndmask_b32_e32 v4, 0, v5, vcc_lo
	s_delay_alu instid0(VALU_DEP_1) | instskip(NEXT) | instid1(VALU_DEP_1)
	v_and_or_b32 v1, 0x80000000, v1, v4
	v_cvt_i32_f32_e32 v4, v1
.LBB78_1597:
	s_mov_b32 s16, 0
.LBB78_1598:
	s_delay_alu instid0(SALU_CYCLE_1)
	s_and_not1_b32 vcc_lo, exec_lo, s16
	s_cbranch_vccnz .LBB78_1600
; %bb.1599:
	global_load_u8 v1, v[2:3], off
	s_wait_loadcnt 0x0
	v_lshlrev_b32_e32 v4, 25, v1
	v_lshlrev_b16 v1, 8, v1
	s_delay_alu instid0(VALU_DEP_1) | instskip(SKIP_1) | instid1(VALU_DEP_2)
	v_and_or_b32 v6, 0x7f00, v1, 0.5
	v_bfe_i32 v1, v1, 0, 16
	v_dual_add_f32 v6, -0.5, v6 :: v_dual_lshrrev_b32 v5, 4, v4
	v_cmp_gt_u32_e32 vcc_lo, 0x8000000, v4
	s_delay_alu instid0(VALU_DEP_2) | instskip(NEXT) | instid1(VALU_DEP_1)
	v_or_b32_e32 v5, 0x70000000, v5
	v_mul_f32_e32 v5, 0x7800000, v5
	s_delay_alu instid0(VALU_DEP_1) | instskip(NEXT) | instid1(VALU_DEP_1)
	v_cndmask_b32_e32 v4, v5, v6, vcc_lo
	v_and_or_b32 v1, 0x80000000, v1, v4
	s_delay_alu instid0(VALU_DEP_1)
	v_cvt_i32_f32_e32 v4, v1
.LBB78_1600:
	s_mov_b32 s17, -1
	s_mov_b32 s16, 0
	s_cbranch_execnz .LBB78_1611
.LBB78_1601:
	s_cmp_gt_i32 s12, 14
	s_cbranch_scc0 .LBB78_1604
; %bb.1602:
	s_cmp_eq_u32 s12, 15
	s_cbranch_scc0 .LBB78_1607
; %bb.1603:
	global_load_u16 v1, v[2:3], off
	s_mov_b32 s13, 0
	s_mov_b32 s17, -1
	s_wait_loadcnt 0x0
	v_lshlrev_b32_e32 v1, 16, v1
	s_delay_alu instid0(VALU_DEP_1)
	v_cvt_i32_f32_e32 v4, v1
	s_branch .LBB78_1609
.LBB78_1604:
	s_mov_b32 s16, -1
	s_branch .LBB78_1608
.LBB78_1605:
	s_and_not1_saveexec_b32 s16, s16
	s_cbranch_execz .LBB78_1587
.LBB78_1606:
	v_cmp_ne_u16_e32 vcc_lo, 0, v1
	s_and_not1_b32 s17, s17, exec_lo
	s_and_b32 s18, vcc_lo, exec_lo
	s_delay_alu instid0(SALU_CYCLE_1)
	s_or_b32 s17, s17, s18
	s_or_b32 exec_lo, exec_lo, s16
	v_mov_b32_e32 v4, 0
	s_and_saveexec_b32 s16, s17
	s_cbranch_execnz .LBB78_1588
	s_branch .LBB78_1589
.LBB78_1607:
	s_mov_b32 s13, -1
.LBB78_1608:
                                        ; implicit-def: $vgpr4
.LBB78_1609:
	s_and_b32 vcc_lo, exec_lo, s16
	s_mov_b32 s16, 0
	s_cbranch_vccz .LBB78_1611
; %bb.1610:
	s_cmp_lg_u32 s12, 11
	s_mov_b32 s16, -1
	s_cselect_b32 s13, -1, 0
.LBB78_1611:
	s_delay_alu instid0(SALU_CYCLE_1)
	s_and_b32 vcc_lo, exec_lo, s13
	s_mov_b32 s12, s15
	s_cbranch_vccnz .LBB78_1672
; %bb.1612:
	s_and_not1_b32 vcc_lo, exec_lo, s16
	s_cbranch_vccnz .LBB78_1614
.LBB78_1613:
	global_load_u8 v1, v[2:3], off
	s_mov_b32 s17, -1
	s_wait_loadcnt 0x0
	v_cmp_ne_u16_e32 vcc_lo, 0, v1
	v_cndmask_b32_e64 v4, 0, 1, vcc_lo
.LBB78_1614:
	s_branch .LBB78_1548
.LBB78_1615:
	s_and_b32 s13, 0xffff, s0
	s_delay_alu instid0(SALU_CYCLE_1)
	s_cmp_lt_i32 s13, 5
	s_cbranch_scc1 .LBB78_1620
; %bb.1616:
	s_cmp_lt_i32 s13, 8
	s_cbranch_scc1 .LBB78_1621
; %bb.1617:
	;; [unrolled: 3-line block ×3, first 2 shown]
	s_cmp_gt_i32 s13, 9
	s_cbranch_scc0 .LBB78_1623
; %bb.1619:
	s_wait_loadcnt 0x0
	global_load_b64 v[4:5], v[2:3], off
	s_mov_b32 s16, 0
	s_wait_loadcnt 0x0
	v_cvt_i32_f64_e32 v4, v[4:5]
	s_branch .LBB78_1624
.LBB78_1620:
                                        ; implicit-def: $vgpr4
	s_branch .LBB78_1641
.LBB78_1621:
                                        ; implicit-def: $vgpr4
	s_branch .LBB78_1630
.LBB78_1622:
	s_mov_b32 s16, -1
                                        ; implicit-def: $vgpr4
	s_branch .LBB78_1627
.LBB78_1623:
	s_mov_b32 s16, -1
                                        ; implicit-def: $vgpr4
.LBB78_1624:
	s_delay_alu instid0(SALU_CYCLE_1)
	s_and_not1_b32 vcc_lo, exec_lo, s16
	s_cbranch_vccnz .LBB78_1626
; %bb.1625:
	global_load_b32 v1, v[2:3], off
	s_wait_loadcnt 0x0
	v_cvt_i32_f32_e32 v4, v1
.LBB78_1626:
	s_mov_b32 s16, 0
.LBB78_1627:
	s_delay_alu instid0(SALU_CYCLE_1)
	s_and_not1_b32 vcc_lo, exec_lo, s16
	s_cbranch_vccnz .LBB78_1629
; %bb.1628:
	global_load_b32 v1, v[2:3], off
	s_wait_loadcnt 0x0
	v_cvt_i16_f16_e32 v4, v1
.LBB78_1629:
	s_cbranch_execnz .LBB78_1640
.LBB78_1630:
	s_cmp_lt_i32 s13, 6
	s_cbranch_scc1 .LBB78_1633
; %bb.1631:
	s_cmp_gt_i32 s13, 6
	s_cbranch_scc0 .LBB78_1634
; %bb.1632:
	s_wait_loadcnt 0x0
	global_load_b64 v[4:5], v[2:3], off
	s_mov_b32 s16, 0
	s_wait_loadcnt 0x0
	v_cvt_i32_f64_e32 v4, v[4:5]
	s_branch .LBB78_1635
.LBB78_1633:
	s_mov_b32 s16, -1
                                        ; implicit-def: $vgpr4
	s_branch .LBB78_1638
.LBB78_1634:
	s_mov_b32 s16, -1
                                        ; implicit-def: $vgpr4
.LBB78_1635:
	s_delay_alu instid0(SALU_CYCLE_1)
	s_and_not1_b32 vcc_lo, exec_lo, s16
	s_cbranch_vccnz .LBB78_1637
; %bb.1636:
	global_load_b32 v1, v[2:3], off
	s_wait_loadcnt 0x0
	v_cvt_i32_f32_e32 v4, v1
.LBB78_1637:
	s_mov_b32 s16, 0
.LBB78_1638:
	s_delay_alu instid0(SALU_CYCLE_1)
	s_and_not1_b32 vcc_lo, exec_lo, s16
	s_cbranch_vccnz .LBB78_1640
; %bb.1639:
	global_load_u16 v1, v[2:3], off
	s_wait_loadcnt 0x0
	v_cvt_i16_f16_e32 v4, v1
.LBB78_1640:
	s_cbranch_execnz .LBB78_1659
.LBB78_1641:
	s_cmp_lt_i32 s13, 2
	s_cbranch_scc1 .LBB78_1645
; %bb.1642:
	s_cmp_lt_i32 s13, 3
	s_cbranch_scc1 .LBB78_1646
; %bb.1643:
	s_cmp_gt_i32 s13, 3
	s_cbranch_scc0 .LBB78_1647
; %bb.1644:
	s_wait_loadcnt 0x0
	global_load_b64 v[4:5], v[2:3], off
	s_mov_b32 s16, 0
	s_branch .LBB78_1648
.LBB78_1645:
                                        ; implicit-def: $vgpr4
	s_branch .LBB78_1654
.LBB78_1646:
	s_mov_b32 s16, -1
                                        ; implicit-def: $vgpr4
	s_branch .LBB78_1651
.LBB78_1647:
	s_mov_b32 s16, -1
                                        ; implicit-def: $vgpr4
.LBB78_1648:
	s_delay_alu instid0(SALU_CYCLE_1)
	s_and_not1_b32 vcc_lo, exec_lo, s16
	s_cbranch_vccnz .LBB78_1650
; %bb.1649:
	s_wait_loadcnt 0x0
	global_load_b32 v4, v[2:3], off
.LBB78_1650:
	s_mov_b32 s16, 0
.LBB78_1651:
	s_delay_alu instid0(SALU_CYCLE_1)
	s_and_not1_b32 vcc_lo, exec_lo, s16
	s_cbranch_vccnz .LBB78_1653
; %bb.1652:
	s_wait_loadcnt 0x0
	global_load_u16 v4, v[2:3], off
.LBB78_1653:
	s_cbranch_execnz .LBB78_1659
.LBB78_1654:
	s_cmp_gt_i32 s13, 0
	s_mov_b32 s13, 0
	s_cbranch_scc0 .LBB78_1656
; %bb.1655:
	s_wait_loadcnt 0x0
	global_load_i8 v4, v[2:3], off
	s_branch .LBB78_1657
.LBB78_1656:
	s_mov_b32 s13, -1
                                        ; implicit-def: $vgpr4
.LBB78_1657:
	s_delay_alu instid0(SALU_CYCLE_1)
	s_and_not1_b32 vcc_lo, exec_lo, s13
	s_cbranch_vccnz .LBB78_1659
; %bb.1658:
	s_wait_loadcnt 0x0
	global_load_u8 v4, v[2:3], off
.LBB78_1659:
.LBB78_1660:
	s_wait_xcnt 0x0
	v_mul_lo_u32 v2, s10, v10
	s_and_b32 s1, s1, 0xff
	s_delay_alu instid0(SALU_CYCLE_1) | instskip(NEXT) | instid1(VALU_DEP_1)
	s_cmp_lt_i32 s1, 11
	v_ashrrev_i32_e32 v3, 31, v2
	s_delay_alu instid0(VALU_DEP_1)
	v_add_nc_u64_e32 v[6:7], s[2:3], v[2:3]
	s_cbranch_scc1 .LBB78_1667
; %bb.1661:
	s_and_b32 s13, 0xffff, s1
	s_mov_b32 s17, 0
	s_cmp_gt_i32 s13, 25
	s_cbranch_scc0 .LBB78_1669
; %bb.1662:
	s_cmp_gt_i32 s13, 28
	s_cbranch_scc0 .LBB78_1670
; %bb.1663:
	s_cmp_gt_i32 s13, 43
	s_cbranch_scc0 .LBB78_1671
; %bb.1664:
	s_cmp_gt_i32 s13, 45
	s_cbranch_scc0 .LBB78_1673
; %bb.1665:
	s_cmp_eq_u32 s13, 46
	s_mov_b32 s19, 0
	s_cbranch_scc0 .LBB78_1676
; %bb.1666:
	global_load_b32 v1, v[6:7], off
	s_mov_b32 s16, 0
	s_mov_b32 s18, -1
	s_wait_loadcnt 0x0
	v_lshlrev_b32_e32 v1, 16, v1
	s_delay_alu instid0(VALU_DEP_1)
	v_cvt_i32_f32_e32 v8, v1
	s_branch .LBB78_1678
.LBB78_1667:
	s_mov_b32 s18, 0
                                        ; implicit-def: $vgpr8
	s_cbranch_execnz .LBB78_1739
.LBB78_1668:
	s_and_not1_b32 vcc_lo, exec_lo, s18
	s_cbranch_vccnz .LBB78_2651
	s_branch .LBB78_1786
.LBB78_1669:
	s_mov_b32 s18, 0
	s_mov_b32 s16, 0
                                        ; implicit-def: $vgpr8
	s_cbranch_execnz .LBB78_1705
	s_branch .LBB78_1735
.LBB78_1670:
	s_mov_b32 s19, -1
	s_mov_b32 s18, 0
	s_mov_b32 s16, 0
                                        ; implicit-def: $vgpr8
	s_branch .LBB78_1688
.LBB78_1671:
	s_mov_b32 s19, -1
	s_mov_b32 s18, 0
	s_mov_b32 s16, 0
                                        ; implicit-def: $vgpr8
	s_branch .LBB78_1683
.LBB78_1672:
	s_or_b32 s12, s15, exec_lo
	s_trap 2
	s_cbranch_execz .LBB78_1613
	s_branch .LBB78_1614
.LBB78_1673:
	s_mov_b32 s19, -1
	s_mov_b32 s18, 0
	s_mov_b32 s16, 0
	s_branch .LBB78_1677
.LBB78_1674:
	s_and_not1_saveexec_b32 s23, s23
	s_cbranch_execz .LBB78_1464
.LBB78_1675:
	v_add_f32_e64 v1, 0x42800000, |v0|
	s_and_not1_b32 s22, s22, exec_lo
	s_delay_alu instid0(VALU_DEP_1) | instskip(NEXT) | instid1(VALU_DEP_1)
	v_and_b32_e32 v1, 0xff, v1
	v_cmp_ne_u32_e32 vcc_lo, 0, v1
	s_and_b32 s24, vcc_lo, exec_lo
	s_delay_alu instid0(SALU_CYCLE_1)
	s_or_b32 s22, s22, s24
	s_or_b32 exec_lo, exec_lo, s23
	v_mov_b32_e32 v4, 0
	s_and_saveexec_b32 s23, s22
	s_cbranch_execnz .LBB78_1465
	s_branch .LBB78_1466
.LBB78_1676:
	s_mov_b32 s16, -1
	s_mov_b32 s18, 0
.LBB78_1677:
                                        ; implicit-def: $vgpr8
.LBB78_1678:
	s_and_b32 vcc_lo, exec_lo, s19
	s_cbranch_vccz .LBB78_1682
; %bb.1679:
	s_cmp_eq_u32 s13, 44
	s_cbranch_scc0 .LBB78_1681
; %bb.1680:
	global_load_u8 v1, v[6:7], off
	s_mov_b32 s16, 0
	s_mov_b32 s18, -1
	s_wait_loadcnt 0x0
	v_lshlrev_b32_e32 v3, 23, v1
	v_cmp_ne_u32_e32 vcc_lo, 0, v1
	s_delay_alu instid0(VALU_DEP_2) | instskip(NEXT) | instid1(VALU_DEP_1)
	v_cvt_i32_f32_e32 v3, v3
	v_cndmask_b32_e32 v8, 0, v3, vcc_lo
	s_branch .LBB78_1682
.LBB78_1681:
	s_mov_b32 s16, -1
                                        ; implicit-def: $vgpr8
.LBB78_1682:
	s_mov_b32 s19, 0
.LBB78_1683:
	s_delay_alu instid0(SALU_CYCLE_1)
	s_and_b32 vcc_lo, exec_lo, s19
	s_cbranch_vccz .LBB78_1687
; %bb.1684:
	s_cmp_eq_u32 s13, 29
	s_cbranch_scc0 .LBB78_1686
; %bb.1685:
	global_load_b64 v[8:9], v[6:7], off
	s_mov_b32 s16, 0
	s_mov_b32 s18, -1
	s_branch .LBB78_1687
.LBB78_1686:
	s_mov_b32 s16, -1
                                        ; implicit-def: $vgpr8
.LBB78_1687:
	s_mov_b32 s19, 0
.LBB78_1688:
	s_delay_alu instid0(SALU_CYCLE_1)
	s_and_b32 vcc_lo, exec_lo, s19
	s_cbranch_vccz .LBB78_1704
; %bb.1689:
	s_cmp_lt_i32 s13, 27
	s_cbranch_scc1 .LBB78_1692
; %bb.1690:
	s_cmp_gt_i32 s13, 27
	s_cbranch_scc0 .LBB78_1693
; %bb.1691:
	s_wait_loadcnt 0x0
	global_load_b32 v8, v[6:7], off
	s_mov_b32 s18, 0
	s_branch .LBB78_1694
.LBB78_1692:
	s_mov_b32 s18, -1
                                        ; implicit-def: $vgpr8
	s_branch .LBB78_1697
.LBB78_1693:
	s_mov_b32 s18, -1
                                        ; implicit-def: $vgpr8
.LBB78_1694:
	s_delay_alu instid0(SALU_CYCLE_1)
	s_and_not1_b32 vcc_lo, exec_lo, s18
	s_cbranch_vccnz .LBB78_1696
; %bb.1695:
	s_wait_loadcnt 0x0
	global_load_u16 v8, v[6:7], off
.LBB78_1696:
	s_mov_b32 s18, 0
.LBB78_1697:
	s_delay_alu instid0(SALU_CYCLE_1)
	s_and_not1_b32 vcc_lo, exec_lo, s18
	s_cbranch_vccnz .LBB78_1703
; %bb.1698:
	global_load_u8 v1, v[6:7], off
	s_mov_b32 s19, 0
	s_mov_b32 s18, exec_lo
	s_wait_loadcnt 0x0
	v_cmpx_lt_i16_e32 0x7f, v1
	s_xor_b32 s18, exec_lo, s18
	s_cbranch_execz .LBB78_1714
; %bb.1699:
	v_cmp_ne_u16_e32 vcc_lo, 0x80, v1
	s_and_b32 s19, vcc_lo, exec_lo
	s_and_not1_saveexec_b32 s18, s18
	s_cbranch_execnz .LBB78_1715
.LBB78_1700:
	s_or_b32 exec_lo, exec_lo, s18
	v_mov_b32_e32 v8, 0
	s_and_saveexec_b32 s18, s19
	s_cbranch_execz .LBB78_1702
.LBB78_1701:
	v_and_b32_e32 v3, 0xffff, v1
	s_delay_alu instid0(VALU_DEP_1) | instskip(SKIP_1) | instid1(VALU_DEP_2)
	v_and_b32_e32 v5, 7, v3
	v_bfe_u32 v11, v3, 3, 4
	v_clz_i32_u32_e32 v8, v5
	s_delay_alu instid0(VALU_DEP_2) | instskip(NEXT) | instid1(VALU_DEP_2)
	v_cmp_eq_u32_e32 vcc_lo, 0, v11
	v_min_u32_e32 v8, 32, v8
	s_delay_alu instid0(VALU_DEP_1) | instskip(NEXT) | instid1(VALU_DEP_1)
	v_subrev_nc_u32_e32 v9, 28, v8
	v_dual_lshlrev_b32 v3, v9, v3 :: v_dual_sub_nc_u32 v8, 29, v8
	s_delay_alu instid0(VALU_DEP_1) | instskip(NEXT) | instid1(VALU_DEP_1)
	v_dual_lshlrev_b32 v1, 24, v1 :: v_dual_bitop2_b32 v3, 7, v3 bitop3:0x40
	v_dual_cndmask_b32 v8, v11, v8 :: v_dual_cndmask_b32 v3, v5, v3
	s_delay_alu instid0(VALU_DEP_2) | instskip(NEXT) | instid1(VALU_DEP_2)
	v_and_b32_e32 v1, 0x80000000, v1
	v_lshl_add_u32 v5, v8, 23, 0x3b800000
	s_delay_alu instid0(VALU_DEP_3) | instskip(NEXT) | instid1(VALU_DEP_1)
	v_lshlrev_b32_e32 v3, 20, v3
	v_or3_b32 v1, v1, v5, v3
	s_delay_alu instid0(VALU_DEP_1)
	v_cvt_i32_f32_e32 v8, v1
.LBB78_1702:
	s_or_b32 exec_lo, exec_lo, s18
.LBB78_1703:
	s_mov_b32 s18, -1
.LBB78_1704:
	s_branch .LBB78_1735
.LBB78_1705:
	s_cmp_gt_i32 s13, 22
	s_cbranch_scc0 .LBB78_1713
; %bb.1706:
	s_cmp_lt_i32 s13, 24
	s_cbranch_scc1 .LBB78_1716
; %bb.1707:
	s_cmp_gt_i32 s13, 24
	s_cbranch_scc0 .LBB78_1717
; %bb.1708:
	global_load_u8 v1, v[6:7], off
	s_mov_b32 s18, 0
	s_mov_b32 s17, exec_lo
	s_wait_loadcnt 0x0
	v_cmpx_lt_i16_e32 0x7f, v1
	s_xor_b32 s17, exec_lo, s17
	s_cbranch_execz .LBB78_1729
; %bb.1709:
	v_cmp_ne_u16_e32 vcc_lo, 0x80, v1
	s_and_b32 s18, vcc_lo, exec_lo
	s_and_not1_saveexec_b32 s17, s17
	s_cbranch_execnz .LBB78_1730
.LBB78_1710:
	s_or_b32 exec_lo, exec_lo, s17
	v_mov_b32_e32 v8, 0
	s_and_saveexec_b32 s17, s18
	s_cbranch_execz .LBB78_1712
.LBB78_1711:
	v_and_b32_e32 v3, 0xffff, v1
	s_delay_alu instid0(VALU_DEP_1) | instskip(SKIP_1) | instid1(VALU_DEP_2)
	v_and_b32_e32 v5, 3, v3
	v_bfe_u32 v11, v3, 2, 5
	v_clz_i32_u32_e32 v8, v5
	s_delay_alu instid0(VALU_DEP_2) | instskip(NEXT) | instid1(VALU_DEP_2)
	v_cmp_eq_u32_e32 vcc_lo, 0, v11
	v_min_u32_e32 v8, 32, v8
	s_delay_alu instid0(VALU_DEP_1) | instskip(NEXT) | instid1(VALU_DEP_1)
	v_subrev_nc_u32_e32 v9, 29, v8
	v_dual_lshlrev_b32 v3, v9, v3 :: v_dual_sub_nc_u32 v8, 30, v8
	s_delay_alu instid0(VALU_DEP_1) | instskip(NEXT) | instid1(VALU_DEP_1)
	v_dual_lshlrev_b32 v1, 24, v1 :: v_dual_bitop2_b32 v3, 3, v3 bitop3:0x40
	v_dual_cndmask_b32 v8, v11, v8 :: v_dual_cndmask_b32 v3, v5, v3
	s_delay_alu instid0(VALU_DEP_2) | instskip(NEXT) | instid1(VALU_DEP_2)
	v_and_b32_e32 v1, 0x80000000, v1
	v_lshl_add_u32 v5, v8, 23, 0x37800000
	s_delay_alu instid0(VALU_DEP_3) | instskip(NEXT) | instid1(VALU_DEP_1)
	v_lshlrev_b32_e32 v3, 21, v3
	v_or3_b32 v1, v1, v5, v3
	s_delay_alu instid0(VALU_DEP_1)
	v_cvt_i32_f32_e32 v8, v1
.LBB78_1712:
	s_or_b32 exec_lo, exec_lo, s17
	s_mov_b32 s17, 0
	s_branch .LBB78_1718
.LBB78_1713:
	s_mov_b32 s17, -1
                                        ; implicit-def: $vgpr8
	s_branch .LBB78_1724
.LBB78_1714:
	s_and_not1_saveexec_b32 s18, s18
	s_cbranch_execz .LBB78_1700
.LBB78_1715:
	v_cmp_ne_u16_e32 vcc_lo, 0, v1
	s_and_not1_b32 s19, s19, exec_lo
	s_and_b32 s20, vcc_lo, exec_lo
	s_delay_alu instid0(SALU_CYCLE_1)
	s_or_b32 s19, s19, s20
	s_or_b32 exec_lo, exec_lo, s18
	v_mov_b32_e32 v8, 0
	s_and_saveexec_b32 s18, s19
	s_cbranch_execnz .LBB78_1701
	s_branch .LBB78_1702
.LBB78_1716:
	s_mov_b32 s17, -1
                                        ; implicit-def: $vgpr8
	s_branch .LBB78_1721
.LBB78_1717:
	s_mov_b32 s17, -1
                                        ; implicit-def: $vgpr8
.LBB78_1718:
	s_delay_alu instid0(SALU_CYCLE_1)
	s_and_b32 vcc_lo, exec_lo, s17
	s_cbranch_vccz .LBB78_1720
; %bb.1719:
	global_load_u8 v1, v[6:7], off
	s_wait_loadcnt 0x0
	v_lshlrev_b32_e32 v1, 24, v1
	s_delay_alu instid0(VALU_DEP_1) | instskip(NEXT) | instid1(VALU_DEP_1)
	v_and_b32_e32 v3, 0x7f000000, v1
	v_clz_i32_u32_e32 v5, v3
	v_add_nc_u32_e32 v9, 0x1000000, v3
	v_cmp_ne_u32_e32 vcc_lo, 0, v3
	s_delay_alu instid0(VALU_DEP_3) | instskip(NEXT) | instid1(VALU_DEP_1)
	v_min_u32_e32 v5, 32, v5
	v_sub_nc_u32_e64 v5, v5, 4 clamp
	s_delay_alu instid0(VALU_DEP_1) | instskip(NEXT) | instid1(VALU_DEP_1)
	v_dual_lshlrev_b32 v8, v5, v3 :: v_dual_lshlrev_b32 v5, 23, v5
	v_lshrrev_b32_e32 v8, 4, v8
	s_delay_alu instid0(VALU_DEP_1) | instskip(SKIP_1) | instid1(VALU_DEP_2)
	v_sub_nc_u32_e32 v5, v8, v5
	v_ashrrev_i32_e32 v8, 8, v9
	v_add_nc_u32_e32 v5, 0x3c000000, v5
	s_delay_alu instid0(VALU_DEP_1) | instskip(NEXT) | instid1(VALU_DEP_1)
	v_and_or_b32 v5, 0x7f800000, v8, v5
	v_cndmask_b32_e32 v3, 0, v5, vcc_lo
	s_delay_alu instid0(VALU_DEP_1) | instskip(NEXT) | instid1(VALU_DEP_1)
	v_and_or_b32 v1, 0x80000000, v1, v3
	v_cvt_i32_f32_e32 v8, v1
.LBB78_1720:
	s_mov_b32 s17, 0
.LBB78_1721:
	s_delay_alu instid0(SALU_CYCLE_1)
	s_and_not1_b32 vcc_lo, exec_lo, s17
	s_cbranch_vccnz .LBB78_1723
; %bb.1722:
	global_load_u8 v1, v[6:7], off
	s_wait_loadcnt 0x0
	v_lshlrev_b32_e32 v3, 25, v1
	v_lshlrev_b16 v1, 8, v1
	s_delay_alu instid0(VALU_DEP_1) | instskip(SKIP_1) | instid1(VALU_DEP_2)
	v_and_or_b32 v8, 0x7f00, v1, 0.5
	v_bfe_i32 v1, v1, 0, 16
	v_dual_add_f32 v8, -0.5, v8 :: v_dual_lshrrev_b32 v5, 4, v3
	v_cmp_gt_u32_e32 vcc_lo, 0x8000000, v3
	s_delay_alu instid0(VALU_DEP_2) | instskip(NEXT) | instid1(VALU_DEP_1)
	v_or_b32_e32 v5, 0x70000000, v5
	v_mul_f32_e32 v5, 0x7800000, v5
	s_delay_alu instid0(VALU_DEP_1) | instskip(NEXT) | instid1(VALU_DEP_1)
	v_cndmask_b32_e32 v3, v5, v8, vcc_lo
	v_and_or_b32 v1, 0x80000000, v1, v3
	s_delay_alu instid0(VALU_DEP_1)
	v_cvt_i32_f32_e32 v8, v1
.LBB78_1723:
	s_mov_b32 s17, 0
	s_mov_b32 s18, -1
.LBB78_1724:
	s_and_not1_b32 vcc_lo, exec_lo, s17
	s_mov_b32 s17, 0
	s_cbranch_vccnz .LBB78_1735
; %bb.1725:
	s_cmp_gt_i32 s13, 14
	s_cbranch_scc0 .LBB78_1728
; %bb.1726:
	s_cmp_eq_u32 s13, 15
	s_cbranch_scc0 .LBB78_1731
; %bb.1727:
	global_load_u16 v1, v[6:7], off
	s_mov_b32 s16, 0
	s_mov_b32 s18, -1
	s_wait_loadcnt 0x0
	v_lshlrev_b32_e32 v1, 16, v1
	s_delay_alu instid0(VALU_DEP_1)
	v_cvt_i32_f32_e32 v8, v1
	s_branch .LBB78_1733
.LBB78_1728:
	s_mov_b32 s17, -1
	s_branch .LBB78_1732
.LBB78_1729:
	s_and_not1_saveexec_b32 s17, s17
	s_cbranch_execz .LBB78_1710
.LBB78_1730:
	v_cmp_ne_u16_e32 vcc_lo, 0, v1
	s_and_not1_b32 s18, s18, exec_lo
	s_and_b32 s19, vcc_lo, exec_lo
	s_delay_alu instid0(SALU_CYCLE_1)
	s_or_b32 s18, s18, s19
	s_or_b32 exec_lo, exec_lo, s17
	v_mov_b32_e32 v8, 0
	s_and_saveexec_b32 s17, s18
	s_cbranch_execnz .LBB78_1711
	s_branch .LBB78_1712
.LBB78_1731:
	s_mov_b32 s16, -1
.LBB78_1732:
                                        ; implicit-def: $vgpr8
.LBB78_1733:
	s_and_b32 vcc_lo, exec_lo, s17
	s_mov_b32 s17, 0
	s_cbranch_vccz .LBB78_1735
; %bb.1734:
	s_cmp_lg_u32 s13, 11
	s_mov_b32 s17, -1
	s_cselect_b32 s16, -1, 0
.LBB78_1735:
	s_delay_alu instid0(SALU_CYCLE_1)
	s_and_b32 vcc_lo, exec_lo, s16
	s_cbranch_vccnz .LBB78_1804
; %bb.1736:
	s_and_not1_b32 vcc_lo, exec_lo, s17
	s_cbranch_vccnz .LBB78_1738
.LBB78_1737:
	global_load_u8 v1, v[6:7], off
	s_mov_b32 s18, -1
	s_wait_loadcnt 0x0
	v_cmp_ne_u16_e32 vcc_lo, 0, v1
	v_cndmask_b32_e64 v8, 0, 1, vcc_lo
.LBB78_1738:
	s_branch .LBB78_1668
.LBB78_1739:
	s_and_b32 s13, 0xffff, s1
	s_delay_alu instid0(SALU_CYCLE_1)
	s_cmp_lt_i32 s13, 5
	s_cbranch_scc1 .LBB78_1744
; %bb.1740:
	s_cmp_lt_i32 s13, 8
	s_cbranch_scc1 .LBB78_1745
; %bb.1741:
	;; [unrolled: 3-line block ×3, first 2 shown]
	s_cmp_gt_i32 s13, 9
	s_cbranch_scc0 .LBB78_1747
; %bb.1743:
	s_wait_loadcnt 0x0
	global_load_b64 v[8:9], v[6:7], off
	s_mov_b32 s16, 0
	s_wait_loadcnt 0x0
	v_cvt_i32_f64_e32 v8, v[8:9]
	s_branch .LBB78_1748
.LBB78_1744:
                                        ; implicit-def: $vgpr8
	s_branch .LBB78_1766
.LBB78_1745:
	s_mov_b32 s16, -1
                                        ; implicit-def: $vgpr8
	s_branch .LBB78_1754
.LBB78_1746:
	s_mov_b32 s16, -1
                                        ; implicit-def: $vgpr8
	s_branch .LBB78_1751
.LBB78_1747:
	s_mov_b32 s16, -1
                                        ; implicit-def: $vgpr8
.LBB78_1748:
	s_delay_alu instid0(SALU_CYCLE_1)
	s_and_not1_b32 vcc_lo, exec_lo, s16
	s_cbranch_vccnz .LBB78_1750
; %bb.1749:
	global_load_b32 v1, v[6:7], off
	s_wait_loadcnt 0x0
	v_cvt_i32_f32_e32 v8, v1
.LBB78_1750:
	s_mov_b32 s16, 0
.LBB78_1751:
	s_delay_alu instid0(SALU_CYCLE_1)
	s_and_not1_b32 vcc_lo, exec_lo, s16
	s_cbranch_vccnz .LBB78_1753
; %bb.1752:
	global_load_b32 v1, v[6:7], off
	s_wait_loadcnt 0x0
	v_cvt_i16_f16_e32 v8, v1
.LBB78_1753:
	s_mov_b32 s16, 0
.LBB78_1754:
	s_delay_alu instid0(SALU_CYCLE_1)
	s_and_not1_b32 vcc_lo, exec_lo, s16
	s_cbranch_vccnz .LBB78_1765
; %bb.1755:
	s_cmp_lt_i32 s13, 6
	s_cbranch_scc1 .LBB78_1758
; %bb.1756:
	s_cmp_gt_i32 s13, 6
	s_cbranch_scc0 .LBB78_1759
; %bb.1757:
	s_wait_loadcnt 0x0
	global_load_b64 v[8:9], v[6:7], off
	s_mov_b32 s16, 0
	s_wait_loadcnt 0x0
	v_cvt_i32_f64_e32 v8, v[8:9]
	s_branch .LBB78_1760
.LBB78_1758:
	s_mov_b32 s16, -1
                                        ; implicit-def: $vgpr8
	s_branch .LBB78_1763
.LBB78_1759:
	s_mov_b32 s16, -1
                                        ; implicit-def: $vgpr8
.LBB78_1760:
	s_delay_alu instid0(SALU_CYCLE_1)
	s_and_not1_b32 vcc_lo, exec_lo, s16
	s_cbranch_vccnz .LBB78_1762
; %bb.1761:
	global_load_b32 v1, v[6:7], off
	s_wait_loadcnt 0x0
	v_cvt_i32_f32_e32 v8, v1
.LBB78_1762:
	s_mov_b32 s16, 0
.LBB78_1763:
	s_delay_alu instid0(SALU_CYCLE_1)
	s_and_not1_b32 vcc_lo, exec_lo, s16
	s_cbranch_vccnz .LBB78_1765
; %bb.1764:
	global_load_u16 v1, v[6:7], off
	s_wait_loadcnt 0x0
	v_cvt_i16_f16_e32 v8, v1
.LBB78_1765:
	s_cbranch_execnz .LBB78_1785
.LBB78_1766:
	s_cmp_lt_i32 s13, 2
	s_cbranch_scc1 .LBB78_1770
; %bb.1767:
	s_cmp_lt_i32 s13, 3
	s_cbranch_scc1 .LBB78_1771
; %bb.1768:
	s_cmp_gt_i32 s13, 3
	s_cbranch_scc0 .LBB78_1772
; %bb.1769:
	s_wait_loadcnt 0x0
	global_load_b64 v[8:9], v[6:7], off
	s_mov_b32 s16, 0
	s_branch .LBB78_1773
.LBB78_1770:
	s_mov_b32 s16, -1
                                        ; implicit-def: $vgpr8
	s_branch .LBB78_1779
.LBB78_1771:
	s_mov_b32 s16, -1
                                        ; implicit-def: $vgpr8
	s_branch .LBB78_1776
.LBB78_1772:
	s_mov_b32 s16, -1
                                        ; implicit-def: $vgpr8
.LBB78_1773:
	s_delay_alu instid0(SALU_CYCLE_1)
	s_and_not1_b32 vcc_lo, exec_lo, s16
	s_cbranch_vccnz .LBB78_1775
; %bb.1774:
	s_wait_loadcnt 0x0
	global_load_b32 v8, v[6:7], off
.LBB78_1775:
	s_mov_b32 s16, 0
.LBB78_1776:
	s_delay_alu instid0(SALU_CYCLE_1)
	s_and_not1_b32 vcc_lo, exec_lo, s16
	s_cbranch_vccnz .LBB78_1778
; %bb.1777:
	s_wait_loadcnt 0x0
	global_load_u16 v8, v[6:7], off
.LBB78_1778:
	s_mov_b32 s16, 0
.LBB78_1779:
	s_delay_alu instid0(SALU_CYCLE_1)
	s_and_not1_b32 vcc_lo, exec_lo, s16
	s_cbranch_vccnz .LBB78_1785
; %bb.1780:
	s_cmp_gt_i32 s13, 0
	s_mov_b32 s13, 0
	s_cbranch_scc0 .LBB78_1782
; %bb.1781:
	s_wait_loadcnt 0x0
	global_load_i8 v8, v[6:7], off
	s_branch .LBB78_1783
.LBB78_1782:
	s_mov_b32 s13, -1
                                        ; implicit-def: $vgpr8
.LBB78_1783:
	s_delay_alu instid0(SALU_CYCLE_1)
	s_and_not1_b32 vcc_lo, exec_lo, s13
	s_cbranch_vccnz .LBB78_1785
; %bb.1784:
	s_wait_loadcnt 0x0
	global_load_u8 v8, v[6:7], off
.LBB78_1785:
.LBB78_1786:
	s_wait_loadcnt 0x0
	s_delay_alu instid0(VALU_DEP_1) | instskip(SKIP_2) | instid1(VALU_DEP_1)
	v_sub_nc_u16 v1, 0, v8
	s_mov_b32 s16, 0
	s_mov_b32 s13, exec_lo
	v_max_i16 v1, v8, v1
	s_wait_xcnt 0x0
	v_cmpx_ne_u16_e32 0, v4
	s_cbranch_execz .LBB78_1790
; %bb.1787:
	v_sub_nc_u16 v3, 0, v4
	s_delay_alu instid0(VALU_DEP_1) | instskip(SKIP_1) | instid1(VALU_DEP_2)
	v_max_i16 v5, v4, v3
	v_and_b32_e32 v3, 0xffff, v1
	v_and_b32_e32 v5, 0xffff, v5
.LBB78_1788:                            ; =>This Inner Loop Header: Depth=1
	s_delay_alu instid0(VALU_DEP_1) | instskip(NEXT) | instid1(VALU_DEP_2)
	v_bfe_i32 v7, v3, 0, 16
	v_mov_b32_e32 v1, v5
	s_delay_alu instid0(VALU_DEP_2) | instskip(NEXT) | instid1(VALU_DEP_2)
	v_cvt_f32_i32_e32 v11, v7
	v_bfe_i32 v5, v1, 0, 16
	s_delay_alu instid0(VALU_DEP_1) | instskip(SKIP_1) | instid1(VALU_DEP_2)
	v_cvt_f32_i32_e32 v6, v5
	v_xor_b32_e32 v5, v7, v5
	v_rcp_iflag_f32_e32 v9, v6
	v_nop
	s_delay_alu instid0(TRANS32_DEP_1) | instskip(NEXT) | instid1(VALU_DEP_1)
	v_mul_f32_e32 v7, v11, v9
	v_trunc_f32_e32 v7, v7
	s_delay_alu instid0(VALU_DEP_1) | instskip(NEXT) | instid1(VALU_DEP_1)
	v_dual_ashrrev_i32 v5, 30, v5 :: v_dual_fma_f32 v9, -v7, v6, v11
	v_or_b32_e32 v5, 1, v5
	v_cvt_i32_f32_e32 v7, v7
	s_delay_alu instid0(VALU_DEP_3) | instskip(NEXT) | instid1(VALU_DEP_3)
	v_cmp_ge_f32_e64 vcc_lo, |v9|, |v6|
	v_cndmask_b32_e32 v5, 0, v5, vcc_lo
	s_delay_alu instid0(VALU_DEP_1) | instskip(NEXT) | instid1(VALU_DEP_1)
	v_add_nc_u32_e32 v5, v7, v5
	v_mul_lo_u32 v5, v5, v1
	s_delay_alu instid0(VALU_DEP_1) | instskip(NEXT) | instid1(VALU_DEP_1)
	v_sub_nc_u32_e32 v5, v3, v5
	v_and_b32_e32 v3, 0xffff, v5
	v_bfe_i32 v5, v5, 0, 16
	s_delay_alu instid0(VALU_DEP_2) | instskip(SKIP_2) | instid1(SALU_CYCLE_1)
	v_cmp_eq_u32_e32 vcc_lo, 0, v3
	v_mov_b32_e32 v3, v1
	s_or_b32 s16, vcc_lo, s16
	s_and_not1_b32 exec_lo, exec_lo, s16
	s_cbranch_execnz .LBB78_1788
; %bb.1789:
	s_or_b32 exec_lo, exec_lo, s16
.LBB78_1790:
	s_delay_alu instid0(SALU_CYCLE_1)
	s_or_b32 exec_lo, exec_lo, s13
	v_mov_b32_e32 v11, 0
	s_mov_b32 s13, exec_lo
	v_cmpx_ne_u16_e32 0, v1
	s_cbranch_execz .LBB78_1792
; %bb.1791:
	v_bfe_i32 v1, v1, 0, 16
	v_bfe_i32 v4, v4, 0, 16
	s_delay_alu instid0(VALU_DEP_2) | instskip(NEXT) | instid1(VALU_DEP_2)
	v_cvt_f32_i32_e32 v3, v1
	v_cvt_f32_i32_e32 v6, v4
	v_xor_b32_e32 v1, v4, v1
	s_delay_alu instid0(VALU_DEP_3) | instskip(SKIP_1) | instid1(TRANS32_DEP_1)
	v_rcp_iflag_f32_e32 v5, v3
	v_nop
	v_mul_f32_e32 v5, v6, v5
	s_delay_alu instid0(VALU_DEP_1) | instskip(NEXT) | instid1(VALU_DEP_1)
	v_trunc_f32_e32 v4, v5
	v_dual_fma_f32 v5, -v4, v3, v6 :: v_dual_ashrrev_i32 v1, 30, v1
	v_cvt_i32_f32_e32 v4, v4
	s_delay_alu instid0(VALU_DEP_2) | instskip(NEXT) | instid1(VALU_DEP_3)
	v_cmp_ge_f32_e64 vcc_lo, |v5|, |v3|
	v_or_b32_e32 v1, 1, v1
	v_bfe_i32 v3, v8, 0, 16
	s_delay_alu instid0(VALU_DEP_2) | instskip(NEXT) | instid1(VALU_DEP_1)
	v_cndmask_b32_e32 v1, 0, v1, vcc_lo
	v_add_nc_u32_e32 v1, v4, v1
	s_delay_alu instid0(VALU_DEP_1) | instskip(NEXT) | instid1(VALU_DEP_1)
	v_bfe_i32 v1, v1, 0, 16
	v_mul_i32_i24_e32 v1, v1, v3
	s_delay_alu instid0(VALU_DEP_1) | instskip(NEXT) | instid1(VALU_DEP_1)
	v_sub_nc_u32_e32 v3, 0, v1
	v_max_i32_e32 v11, v1, v3
.LBB78_1792:
	s_or_b32 exec_lo, exec_lo, s13
	s_lshl_b32 s9, s9, 7
	s_cmp_lt_i32 s0, 11
	v_add_nc_u32_e32 v0, s9, v0
	s_delay_alu instid0(VALU_DEP_1) | instskip(NEXT) | instid1(VALU_DEP_1)
	v_ashrrev_i32_e32 v1, 31, v0
	v_add_nc_u64_e32 v[6:7], s[6:7], v[0:1]
	s_cbranch_scc1 .LBB78_1799
; %bb.1793:
	s_and_b32 s13, 0xffff, s0
	s_mov_b32 s17, 0
	s_cmp_gt_i32 s13, 25
	s_cbranch_scc0 .LBB78_1801
; %bb.1794:
	s_cmp_gt_i32 s13, 28
	s_cbranch_scc0 .LBB78_1802
; %bb.1795:
	;; [unrolled: 3-line block ×4, first 2 shown]
	s_cmp_eq_u32 s13, 46
	s_mov_b32 s19, 0
	s_cbranch_scc0 .LBB78_1806
; %bb.1798:
	global_load_b32 v1, v[6:7], off
	s_mov_b32 s16, 0
	s_mov_b32 s18, -1
	s_wait_loadcnt 0x0
	v_lshlrev_b32_e32 v1, 16, v1
	s_delay_alu instid0(VALU_DEP_1)
	v_cvt_i32_f32_e32 v4, v1
	s_branch .LBB78_1808
.LBB78_1799:
	s_mov_b32 s18, 0
                                        ; implicit-def: $vgpr4
	s_cbranch_execnz .LBB78_1870
.LBB78_1800:
	s_and_not1_b32 vcc_lo, exec_lo, s18
	s_cbranch_vccnz .LBB78_2651
	s_branch .LBB78_1918
.LBB78_1801:
	s_mov_b32 s19, -1
	s_mov_b32 s18, 0
	s_mov_b32 s16, 0
                                        ; implicit-def: $vgpr4
	s_branch .LBB78_1835
.LBB78_1802:
	s_mov_b32 s19, -1
	s_mov_b32 s18, 0
	s_mov_b32 s16, 0
                                        ; implicit-def: $vgpr4
	s_branch .LBB78_1818
.LBB78_1803:
	s_mov_b32 s19, -1
	s_mov_b32 s18, 0
	s_mov_b32 s16, 0
                                        ; implicit-def: $vgpr4
	s_branch .LBB78_1813
.LBB78_1804:
	s_or_b32 s12, s12, exec_lo
	s_trap 2
	s_cbranch_execz .LBB78_1737
	s_branch .LBB78_1738
.LBB78_1805:
	s_mov_b32 s19, -1
	s_mov_b32 s18, 0
	s_mov_b32 s16, 0
	s_branch .LBB78_1807
.LBB78_1806:
	s_mov_b32 s16, -1
	s_mov_b32 s18, 0
.LBB78_1807:
                                        ; implicit-def: $vgpr4
.LBB78_1808:
	s_and_b32 vcc_lo, exec_lo, s19
	s_cbranch_vccz .LBB78_1812
; %bb.1809:
	s_cmp_eq_u32 s13, 44
	s_cbranch_scc0 .LBB78_1811
; %bb.1810:
	global_load_u8 v1, v[6:7], off
	s_mov_b32 s16, 0
	s_mov_b32 s18, -1
	s_wait_loadcnt 0x0
	v_lshlrev_b32_e32 v3, 23, v1
	v_cmp_ne_u32_e32 vcc_lo, 0, v1
	s_delay_alu instid0(VALU_DEP_2) | instskip(NEXT) | instid1(VALU_DEP_1)
	v_cvt_i32_f32_e32 v3, v3
	v_cndmask_b32_e32 v4, 0, v3, vcc_lo
	s_branch .LBB78_1812
.LBB78_1811:
	s_mov_b32 s16, -1
                                        ; implicit-def: $vgpr4
.LBB78_1812:
	s_mov_b32 s19, 0
.LBB78_1813:
	s_delay_alu instid0(SALU_CYCLE_1)
	s_and_b32 vcc_lo, exec_lo, s19
	s_cbranch_vccz .LBB78_1817
; %bb.1814:
	s_cmp_eq_u32 s13, 29
	s_cbranch_scc0 .LBB78_1816
; %bb.1815:
	global_load_b64 v[4:5], v[6:7], off
	s_mov_b32 s16, 0
	s_mov_b32 s18, -1
	s_branch .LBB78_1817
.LBB78_1816:
	s_mov_b32 s16, -1
                                        ; implicit-def: $vgpr4
.LBB78_1817:
	s_mov_b32 s19, 0
.LBB78_1818:
	s_delay_alu instid0(SALU_CYCLE_1)
	s_and_b32 vcc_lo, exec_lo, s19
	s_cbranch_vccz .LBB78_1834
; %bb.1819:
	s_cmp_lt_i32 s13, 27
	s_cbranch_scc1 .LBB78_1822
; %bb.1820:
	s_cmp_gt_i32 s13, 27
	s_cbranch_scc0 .LBB78_1823
; %bb.1821:
	s_wait_loadcnt 0x0
	global_load_b32 v4, v[6:7], off
	s_mov_b32 s18, 0
	s_branch .LBB78_1824
.LBB78_1822:
	s_mov_b32 s18, -1
                                        ; implicit-def: $vgpr4
	s_branch .LBB78_1827
.LBB78_1823:
	s_mov_b32 s18, -1
                                        ; implicit-def: $vgpr4
.LBB78_1824:
	s_delay_alu instid0(SALU_CYCLE_1)
	s_and_not1_b32 vcc_lo, exec_lo, s18
	s_cbranch_vccnz .LBB78_1826
; %bb.1825:
	s_wait_loadcnt 0x0
	global_load_u16 v4, v[6:7], off
.LBB78_1826:
	s_mov_b32 s18, 0
.LBB78_1827:
	s_delay_alu instid0(SALU_CYCLE_1)
	s_and_not1_b32 vcc_lo, exec_lo, s18
	s_cbranch_vccnz .LBB78_1833
; %bb.1828:
	global_load_u8 v1, v[6:7], off
	s_mov_b32 s19, 0
	s_mov_b32 s18, exec_lo
	s_wait_loadcnt 0x0
	v_cmpx_lt_i16_e32 0x7f, v1
	s_xor_b32 s18, exec_lo, s18
	s_cbranch_execz .LBB78_1845
; %bb.1829:
	v_cmp_ne_u16_e32 vcc_lo, 0x80, v1
	s_and_b32 s19, vcc_lo, exec_lo
	s_and_not1_saveexec_b32 s18, s18
	s_cbranch_execnz .LBB78_1846
.LBB78_1830:
	s_or_b32 exec_lo, exec_lo, s18
	v_mov_b32_e32 v4, 0
	s_and_saveexec_b32 s18, s19
	s_cbranch_execz .LBB78_1832
.LBB78_1831:
	v_and_b32_e32 v3, 0xffff, v1
	s_delay_alu instid0(VALU_DEP_1) | instskip(SKIP_1) | instid1(VALU_DEP_2)
	v_and_b32_e32 v4, 7, v3
	v_bfe_u32 v9, v3, 3, 4
	v_clz_i32_u32_e32 v5, v4
	s_delay_alu instid0(VALU_DEP_2) | instskip(NEXT) | instid1(VALU_DEP_2)
	v_cmp_eq_u32_e32 vcc_lo, 0, v9
	v_min_u32_e32 v5, 32, v5
	s_delay_alu instid0(VALU_DEP_1) | instskip(NEXT) | instid1(VALU_DEP_1)
	v_subrev_nc_u32_e32 v8, 28, v5
	v_dual_lshlrev_b32 v3, v8, v3 :: v_dual_sub_nc_u32 v5, 29, v5
	s_delay_alu instid0(VALU_DEP_1) | instskip(NEXT) | instid1(VALU_DEP_1)
	v_dual_lshlrev_b32 v1, 24, v1 :: v_dual_bitop2_b32 v3, 7, v3 bitop3:0x40
	v_dual_cndmask_b32 v3, v4, v3, vcc_lo :: v_dual_cndmask_b32 v5, v9, v5, vcc_lo
	s_delay_alu instid0(VALU_DEP_2) | instskip(NEXT) | instid1(VALU_DEP_2)
	v_and_b32_e32 v1, 0x80000000, v1
	v_lshlrev_b32_e32 v3, 20, v3
	s_delay_alu instid0(VALU_DEP_3) | instskip(NEXT) | instid1(VALU_DEP_1)
	v_lshl_add_u32 v4, v5, 23, 0x3b800000
	v_or3_b32 v1, v1, v4, v3
	s_delay_alu instid0(VALU_DEP_1)
	v_cvt_i32_f32_e32 v4, v1
.LBB78_1832:
	s_or_b32 exec_lo, exec_lo, s18
.LBB78_1833:
	s_mov_b32 s18, -1
.LBB78_1834:
	s_mov_b32 s19, 0
.LBB78_1835:
	s_delay_alu instid0(SALU_CYCLE_1)
	s_and_b32 vcc_lo, exec_lo, s19
	s_cbranch_vccz .LBB78_1866
; %bb.1836:
	s_cmp_gt_i32 s13, 22
	s_cbranch_scc0 .LBB78_1844
; %bb.1837:
	s_cmp_lt_i32 s13, 24
	s_cbranch_scc1 .LBB78_1847
; %bb.1838:
	s_cmp_gt_i32 s13, 24
	s_cbranch_scc0 .LBB78_1848
; %bb.1839:
	global_load_u8 v1, v[6:7], off
	s_mov_b32 s18, 0
	s_mov_b32 s17, exec_lo
	s_wait_loadcnt 0x0
	v_cmpx_lt_i16_e32 0x7f, v1
	s_xor_b32 s17, exec_lo, s17
	s_cbranch_execz .LBB78_1860
; %bb.1840:
	v_cmp_ne_u16_e32 vcc_lo, 0x80, v1
	s_and_b32 s18, vcc_lo, exec_lo
	s_and_not1_saveexec_b32 s17, s17
	s_cbranch_execnz .LBB78_1861
.LBB78_1841:
	s_or_b32 exec_lo, exec_lo, s17
	v_mov_b32_e32 v4, 0
	s_and_saveexec_b32 s17, s18
	s_cbranch_execz .LBB78_1843
.LBB78_1842:
	v_and_b32_e32 v3, 0xffff, v1
	s_delay_alu instid0(VALU_DEP_1) | instskip(SKIP_1) | instid1(VALU_DEP_2)
	v_and_b32_e32 v4, 3, v3
	v_bfe_u32 v9, v3, 2, 5
	v_clz_i32_u32_e32 v5, v4
	s_delay_alu instid0(VALU_DEP_2) | instskip(NEXT) | instid1(VALU_DEP_2)
	v_cmp_eq_u32_e32 vcc_lo, 0, v9
	v_min_u32_e32 v5, 32, v5
	s_delay_alu instid0(VALU_DEP_1) | instskip(NEXT) | instid1(VALU_DEP_1)
	v_subrev_nc_u32_e32 v8, 29, v5
	v_dual_lshlrev_b32 v3, v8, v3 :: v_dual_sub_nc_u32 v5, 30, v5
	s_delay_alu instid0(VALU_DEP_1) | instskip(NEXT) | instid1(VALU_DEP_1)
	v_dual_lshlrev_b32 v1, 24, v1 :: v_dual_bitop2_b32 v3, 3, v3 bitop3:0x40
	v_dual_cndmask_b32 v3, v4, v3, vcc_lo :: v_dual_cndmask_b32 v5, v9, v5, vcc_lo
	s_delay_alu instid0(VALU_DEP_2) | instskip(NEXT) | instid1(VALU_DEP_2)
	v_and_b32_e32 v1, 0x80000000, v1
	v_lshlrev_b32_e32 v3, 21, v3
	s_delay_alu instid0(VALU_DEP_3) | instskip(NEXT) | instid1(VALU_DEP_1)
	v_lshl_add_u32 v4, v5, 23, 0x37800000
	v_or3_b32 v1, v1, v4, v3
	s_delay_alu instid0(VALU_DEP_1)
	v_cvt_i32_f32_e32 v4, v1
.LBB78_1843:
	s_or_b32 exec_lo, exec_lo, s17
	s_mov_b32 s17, 0
	s_branch .LBB78_1849
.LBB78_1844:
	s_mov_b32 s17, -1
                                        ; implicit-def: $vgpr4
	s_branch .LBB78_1855
.LBB78_1845:
	s_and_not1_saveexec_b32 s18, s18
	s_cbranch_execz .LBB78_1830
.LBB78_1846:
	v_cmp_ne_u16_e32 vcc_lo, 0, v1
	s_and_not1_b32 s19, s19, exec_lo
	s_and_b32 s20, vcc_lo, exec_lo
	s_delay_alu instid0(SALU_CYCLE_1)
	s_or_b32 s19, s19, s20
	s_or_b32 exec_lo, exec_lo, s18
	v_mov_b32_e32 v4, 0
	s_and_saveexec_b32 s18, s19
	s_cbranch_execnz .LBB78_1831
	s_branch .LBB78_1832
.LBB78_1847:
	s_mov_b32 s17, -1
                                        ; implicit-def: $vgpr4
	s_branch .LBB78_1852
.LBB78_1848:
	s_mov_b32 s17, -1
                                        ; implicit-def: $vgpr4
.LBB78_1849:
	s_delay_alu instid0(SALU_CYCLE_1)
	s_and_b32 vcc_lo, exec_lo, s17
	s_cbranch_vccz .LBB78_1851
; %bb.1850:
	global_load_u8 v1, v[6:7], off
	s_wait_loadcnt 0x0
	v_lshlrev_b32_e32 v1, 24, v1
	s_delay_alu instid0(VALU_DEP_1) | instskip(NEXT) | instid1(VALU_DEP_1)
	v_and_b32_e32 v3, 0x7f000000, v1
	v_clz_i32_u32_e32 v4, v3
	v_cmp_ne_u32_e32 vcc_lo, 0, v3
	v_add_nc_u32_e32 v8, 0x1000000, v3
	s_delay_alu instid0(VALU_DEP_3) | instskip(NEXT) | instid1(VALU_DEP_1)
	v_min_u32_e32 v4, 32, v4
	v_sub_nc_u32_e64 v4, v4, 4 clamp
	s_delay_alu instid0(VALU_DEP_1) | instskip(NEXT) | instid1(VALU_DEP_1)
	v_dual_lshlrev_b32 v5, v4, v3 :: v_dual_lshlrev_b32 v4, 23, v4
	v_lshrrev_b32_e32 v5, 4, v5
	s_delay_alu instid0(VALU_DEP_1) | instskip(SKIP_1) | instid1(VALU_DEP_2)
	v_sub_nc_u32_e32 v4, v5, v4
	v_ashrrev_i32_e32 v5, 8, v8
	v_add_nc_u32_e32 v4, 0x3c000000, v4
	s_delay_alu instid0(VALU_DEP_1) | instskip(NEXT) | instid1(VALU_DEP_1)
	v_and_or_b32 v4, 0x7f800000, v5, v4
	v_cndmask_b32_e32 v3, 0, v4, vcc_lo
	s_delay_alu instid0(VALU_DEP_1) | instskip(NEXT) | instid1(VALU_DEP_1)
	v_and_or_b32 v1, 0x80000000, v1, v3
	v_cvt_i32_f32_e32 v4, v1
.LBB78_1851:
	s_mov_b32 s17, 0
.LBB78_1852:
	s_delay_alu instid0(SALU_CYCLE_1)
	s_and_not1_b32 vcc_lo, exec_lo, s17
	s_cbranch_vccnz .LBB78_1854
; %bb.1853:
	global_load_u8 v1, v[6:7], off
	s_wait_loadcnt 0x0
	v_lshlrev_b32_e32 v3, 25, v1
	v_lshlrev_b16 v1, 8, v1
	s_delay_alu instid0(VALU_DEP_1) | instskip(NEXT) | instid1(VALU_DEP_3)
	v_and_or_b32 v5, 0x7f00, v1, 0.5
	v_lshrrev_b32_e32 v4, 4, v3
	v_bfe_i32 v1, v1, 0, 16
	s_delay_alu instid0(VALU_DEP_3) | instskip(NEXT) | instid1(VALU_DEP_3)
	v_add_f32_e32 v5, -0.5, v5
	v_or_b32_e32 v4, 0x70000000, v4
	s_delay_alu instid0(VALU_DEP_1) | instskip(SKIP_1) | instid1(VALU_DEP_2)
	v_mul_f32_e32 v4, 0x7800000, v4
	v_cmp_gt_u32_e32 vcc_lo, 0x8000000, v3
	v_cndmask_b32_e32 v3, v4, v5, vcc_lo
	s_delay_alu instid0(VALU_DEP_1) | instskip(NEXT) | instid1(VALU_DEP_1)
	v_and_or_b32 v1, 0x80000000, v1, v3
	v_cvt_i32_f32_e32 v4, v1
.LBB78_1854:
	s_mov_b32 s17, 0
	s_mov_b32 s18, -1
.LBB78_1855:
	s_and_not1_b32 vcc_lo, exec_lo, s17
	s_mov_b32 s17, 0
	s_cbranch_vccnz .LBB78_1866
; %bb.1856:
	s_cmp_gt_i32 s13, 14
	s_cbranch_scc0 .LBB78_1859
; %bb.1857:
	s_cmp_eq_u32 s13, 15
	s_cbranch_scc0 .LBB78_1862
; %bb.1858:
	global_load_u16 v1, v[6:7], off
	s_mov_b32 s16, 0
	s_mov_b32 s18, -1
	s_wait_loadcnt 0x0
	v_lshlrev_b32_e32 v1, 16, v1
	s_delay_alu instid0(VALU_DEP_1)
	v_cvt_i32_f32_e32 v4, v1
	s_branch .LBB78_1864
.LBB78_1859:
	s_mov_b32 s17, -1
	s_branch .LBB78_1863
.LBB78_1860:
	s_and_not1_saveexec_b32 s17, s17
	s_cbranch_execz .LBB78_1841
.LBB78_1861:
	v_cmp_ne_u16_e32 vcc_lo, 0, v1
	s_and_not1_b32 s18, s18, exec_lo
	s_and_b32 s19, vcc_lo, exec_lo
	s_delay_alu instid0(SALU_CYCLE_1)
	s_or_b32 s18, s18, s19
	s_or_b32 exec_lo, exec_lo, s17
	v_mov_b32_e32 v4, 0
	s_and_saveexec_b32 s17, s18
	s_cbranch_execnz .LBB78_1842
	s_branch .LBB78_1843
.LBB78_1862:
	s_mov_b32 s16, -1
.LBB78_1863:
                                        ; implicit-def: $vgpr4
.LBB78_1864:
	s_and_b32 vcc_lo, exec_lo, s17
	s_mov_b32 s17, 0
	s_cbranch_vccz .LBB78_1866
; %bb.1865:
	s_cmp_lg_u32 s13, 11
	s_mov_b32 s17, -1
	s_cselect_b32 s16, -1, 0
.LBB78_1866:
	s_delay_alu instid0(SALU_CYCLE_1)
	s_and_b32 vcc_lo, exec_lo, s16
	s_cbranch_vccnz .LBB78_1929
; %bb.1867:
	s_and_not1_b32 vcc_lo, exec_lo, s17
	s_cbranch_vccnz .LBB78_1869
.LBB78_1868:
	global_load_u8 v1, v[6:7], off
	s_mov_b32 s18, -1
	s_wait_loadcnt 0x0
	v_cmp_ne_u16_e32 vcc_lo, 0, v1
	v_cndmask_b32_e64 v4, 0, 1, vcc_lo
.LBB78_1869:
	s_branch .LBB78_1800
.LBB78_1870:
	s_and_b32 s13, 0xffff, s0
	s_delay_alu instid0(SALU_CYCLE_1)
	s_cmp_lt_i32 s13, 5
	s_cbranch_scc1 .LBB78_1875
; %bb.1871:
	s_cmp_lt_i32 s13, 8
	s_cbranch_scc1 .LBB78_1876
; %bb.1872:
	;; [unrolled: 3-line block ×3, first 2 shown]
	s_cmp_gt_i32 s13, 9
	s_cbranch_scc0 .LBB78_1878
; %bb.1874:
	s_wait_loadcnt 0x0
	global_load_b64 v[4:5], v[6:7], off
	s_mov_b32 s16, 0
	s_wait_loadcnt 0x0
	v_cvt_i32_f64_e32 v4, v[4:5]
	s_branch .LBB78_1879
.LBB78_1875:
	s_mov_b32 s16, -1
                                        ; implicit-def: $vgpr4
	s_branch .LBB78_1897
.LBB78_1876:
	s_mov_b32 s16, -1
                                        ; implicit-def: $vgpr4
	s_branch .LBB78_1885
.LBB78_1877:
	s_mov_b32 s16, -1
                                        ; implicit-def: $vgpr4
	s_branch .LBB78_1882
.LBB78_1878:
	s_mov_b32 s16, -1
                                        ; implicit-def: $vgpr4
.LBB78_1879:
	s_delay_alu instid0(SALU_CYCLE_1)
	s_and_not1_b32 vcc_lo, exec_lo, s16
	s_cbranch_vccnz .LBB78_1881
; %bb.1880:
	global_load_b32 v1, v[6:7], off
	s_wait_loadcnt 0x0
	v_cvt_i32_f32_e32 v4, v1
.LBB78_1881:
	s_mov_b32 s16, 0
.LBB78_1882:
	s_delay_alu instid0(SALU_CYCLE_1)
	s_and_not1_b32 vcc_lo, exec_lo, s16
	s_cbranch_vccnz .LBB78_1884
; %bb.1883:
	global_load_b32 v1, v[6:7], off
	s_wait_loadcnt 0x0
	v_cvt_i16_f16_e32 v4, v1
.LBB78_1884:
	s_mov_b32 s16, 0
.LBB78_1885:
	s_delay_alu instid0(SALU_CYCLE_1)
	s_and_not1_b32 vcc_lo, exec_lo, s16
	s_cbranch_vccnz .LBB78_1896
; %bb.1886:
	s_cmp_lt_i32 s13, 6
	s_cbranch_scc1 .LBB78_1889
; %bb.1887:
	s_cmp_gt_i32 s13, 6
	s_cbranch_scc0 .LBB78_1890
; %bb.1888:
	s_wait_loadcnt 0x0
	global_load_b64 v[4:5], v[6:7], off
	s_mov_b32 s16, 0
	s_wait_loadcnt 0x0
	v_cvt_i32_f64_e32 v4, v[4:5]
	s_branch .LBB78_1891
.LBB78_1889:
	s_mov_b32 s16, -1
                                        ; implicit-def: $vgpr4
	s_branch .LBB78_1894
.LBB78_1890:
	s_mov_b32 s16, -1
                                        ; implicit-def: $vgpr4
.LBB78_1891:
	s_delay_alu instid0(SALU_CYCLE_1)
	s_and_not1_b32 vcc_lo, exec_lo, s16
	s_cbranch_vccnz .LBB78_1893
; %bb.1892:
	global_load_b32 v1, v[6:7], off
	s_wait_loadcnt 0x0
	v_cvt_i32_f32_e32 v4, v1
.LBB78_1893:
	s_mov_b32 s16, 0
.LBB78_1894:
	s_delay_alu instid0(SALU_CYCLE_1)
	s_and_not1_b32 vcc_lo, exec_lo, s16
	s_cbranch_vccnz .LBB78_1896
; %bb.1895:
	global_load_u16 v1, v[6:7], off
	s_wait_loadcnt 0x0
	v_cvt_i16_f16_e32 v4, v1
.LBB78_1896:
	s_mov_b32 s16, 0
.LBB78_1897:
	s_delay_alu instid0(SALU_CYCLE_1)
	s_and_not1_b32 vcc_lo, exec_lo, s16
	s_cbranch_vccnz .LBB78_1917
; %bb.1898:
	s_cmp_lt_i32 s13, 2
	s_cbranch_scc1 .LBB78_1902
; %bb.1899:
	s_cmp_lt_i32 s13, 3
	s_cbranch_scc1 .LBB78_1903
; %bb.1900:
	s_cmp_gt_i32 s13, 3
	s_cbranch_scc0 .LBB78_1904
; %bb.1901:
	s_wait_loadcnt 0x0
	global_load_b64 v[4:5], v[6:7], off
	s_mov_b32 s16, 0
	s_branch .LBB78_1905
.LBB78_1902:
	s_mov_b32 s16, -1
                                        ; implicit-def: $vgpr4
	s_branch .LBB78_1911
.LBB78_1903:
	s_mov_b32 s16, -1
                                        ; implicit-def: $vgpr4
	s_branch .LBB78_1908
.LBB78_1904:
	s_mov_b32 s16, -1
                                        ; implicit-def: $vgpr4
.LBB78_1905:
	s_delay_alu instid0(SALU_CYCLE_1)
	s_and_not1_b32 vcc_lo, exec_lo, s16
	s_cbranch_vccnz .LBB78_1907
; %bb.1906:
	s_wait_loadcnt 0x0
	global_load_b32 v4, v[6:7], off
.LBB78_1907:
	s_mov_b32 s16, 0
.LBB78_1908:
	s_delay_alu instid0(SALU_CYCLE_1)
	s_and_not1_b32 vcc_lo, exec_lo, s16
	s_cbranch_vccnz .LBB78_1910
; %bb.1909:
	s_wait_loadcnt 0x0
	global_load_u16 v4, v[6:7], off
.LBB78_1910:
	s_mov_b32 s16, 0
.LBB78_1911:
	s_delay_alu instid0(SALU_CYCLE_1)
	s_and_not1_b32 vcc_lo, exec_lo, s16
	s_cbranch_vccnz .LBB78_1917
; %bb.1912:
	s_cmp_gt_i32 s13, 0
	s_mov_b32 s13, 0
	s_cbranch_scc0 .LBB78_1914
; %bb.1913:
	s_wait_loadcnt 0x0
	global_load_i8 v4, v[6:7], off
	s_branch .LBB78_1915
.LBB78_1914:
	s_mov_b32 s13, -1
                                        ; implicit-def: $vgpr4
.LBB78_1915:
	s_delay_alu instid0(SALU_CYCLE_1)
	s_and_not1_b32 vcc_lo, exec_lo, s13
	s_cbranch_vccnz .LBB78_1917
; %bb.1916:
	s_wait_loadcnt 0x0
	global_load_u8 v4, v[6:7], off
.LBB78_1917:
.LBB78_1918:
	s_lshl_b32 s10, s10, 7
	s_cmp_lt_i32 s1, 11
	v_add_nc_u32_e32 v2, s10, v2
	s_delay_alu instid0(VALU_DEP_1) | instskip(SKIP_1) | instid1(VALU_DEP_1)
	v_ashrrev_i32_e32 v3, 31, v2
	s_wait_xcnt 0x0
	v_add_nc_u64_e32 v[6:7], s[2:3], v[2:3]
	s_cbranch_scc1 .LBB78_1925
; %bb.1919:
	s_and_b32 s13, 0xffff, s1
	s_mov_b32 s17, 0
	s_cmp_gt_i32 s13, 25
	s_cbranch_scc0 .LBB78_1926
; %bb.1920:
	s_cmp_gt_i32 s13, 28
	s_cbranch_scc0 .LBB78_1927
; %bb.1921:
	;; [unrolled: 3-line block ×4, first 2 shown]
	s_cmp_eq_u32 s13, 46
	s_mov_b32 s19, 0
	s_cbranch_scc0 .LBB78_1931
; %bb.1924:
	global_load_b32 v1, v[6:7], off
	s_mov_b32 s16, 0
	s_mov_b32 s18, -1
	s_wait_loadcnt 0x0
	v_lshlrev_b32_e32 v1, 16, v1
	s_delay_alu instid0(VALU_DEP_1)
	v_cvt_i32_f32_e32 v8, v1
	s_branch .LBB78_1933
.LBB78_1925:
	s_mov_b32 s13, -1
	s_mov_b32 s18, 0
                                        ; implicit-def: $vgpr8
	s_branch .LBB78_1995
.LBB78_1926:
	s_mov_b32 s19, -1
	s_mov_b32 s18, 0
	s_mov_b32 s16, 0
                                        ; implicit-def: $vgpr8
	s_branch .LBB78_1960
.LBB78_1927:
	s_mov_b32 s19, -1
	s_mov_b32 s18, 0
	s_mov_b32 s16, 0
                                        ; implicit-def: $vgpr8
	s_branch .LBB78_1943
.LBB78_1928:
	s_mov_b32 s19, -1
	s_mov_b32 s18, 0
	s_mov_b32 s16, 0
                                        ; implicit-def: $vgpr8
	s_branch .LBB78_1938
.LBB78_1929:
	s_or_b32 s12, s12, exec_lo
	s_trap 2
	s_cbranch_execz .LBB78_1868
	s_branch .LBB78_1869
.LBB78_1930:
	s_mov_b32 s19, -1
	s_mov_b32 s18, 0
	s_mov_b32 s16, 0
	s_branch .LBB78_1932
.LBB78_1931:
	s_mov_b32 s16, -1
	s_mov_b32 s18, 0
.LBB78_1932:
                                        ; implicit-def: $vgpr8
.LBB78_1933:
	s_and_b32 vcc_lo, exec_lo, s19
	s_cbranch_vccz .LBB78_1937
; %bb.1934:
	s_cmp_eq_u32 s13, 44
	s_cbranch_scc0 .LBB78_1936
; %bb.1935:
	global_load_u8 v1, v[6:7], off
	s_mov_b32 s16, 0
	s_mov_b32 s18, -1
	s_wait_loadcnt 0x0
	v_lshlrev_b32_e32 v3, 23, v1
	v_cmp_ne_u32_e32 vcc_lo, 0, v1
	s_delay_alu instid0(VALU_DEP_2) | instskip(NEXT) | instid1(VALU_DEP_1)
	v_cvt_i32_f32_e32 v3, v3
	v_cndmask_b32_e32 v8, 0, v3, vcc_lo
	s_branch .LBB78_1937
.LBB78_1936:
	s_mov_b32 s16, -1
                                        ; implicit-def: $vgpr8
.LBB78_1937:
	s_mov_b32 s19, 0
.LBB78_1938:
	s_delay_alu instid0(SALU_CYCLE_1)
	s_and_b32 vcc_lo, exec_lo, s19
	s_cbranch_vccz .LBB78_1942
; %bb.1939:
	s_cmp_eq_u32 s13, 29
	s_cbranch_scc0 .LBB78_1941
; %bb.1940:
	global_load_b64 v[8:9], v[6:7], off
	s_mov_b32 s16, 0
	s_mov_b32 s18, -1
	s_branch .LBB78_1942
.LBB78_1941:
	s_mov_b32 s16, -1
                                        ; implicit-def: $vgpr8
.LBB78_1942:
	s_mov_b32 s19, 0
.LBB78_1943:
	s_delay_alu instid0(SALU_CYCLE_1)
	s_and_b32 vcc_lo, exec_lo, s19
	s_cbranch_vccz .LBB78_1959
; %bb.1944:
	s_cmp_lt_i32 s13, 27
	s_cbranch_scc1 .LBB78_1947
; %bb.1945:
	s_cmp_gt_i32 s13, 27
	s_cbranch_scc0 .LBB78_1948
; %bb.1946:
	s_wait_loadcnt 0x0
	global_load_b32 v8, v[6:7], off
	s_mov_b32 s18, 0
	s_branch .LBB78_1949
.LBB78_1947:
	s_mov_b32 s18, -1
                                        ; implicit-def: $vgpr8
	s_branch .LBB78_1952
.LBB78_1948:
	s_mov_b32 s18, -1
                                        ; implicit-def: $vgpr8
.LBB78_1949:
	s_delay_alu instid0(SALU_CYCLE_1)
	s_and_not1_b32 vcc_lo, exec_lo, s18
	s_cbranch_vccnz .LBB78_1951
; %bb.1950:
	s_wait_loadcnt 0x0
	global_load_u16 v8, v[6:7], off
.LBB78_1951:
	s_mov_b32 s18, 0
.LBB78_1952:
	s_delay_alu instid0(SALU_CYCLE_1)
	s_and_not1_b32 vcc_lo, exec_lo, s18
	s_cbranch_vccnz .LBB78_1958
; %bb.1953:
	global_load_u8 v1, v[6:7], off
	s_mov_b32 s19, 0
	s_mov_b32 s18, exec_lo
	s_wait_loadcnt 0x0
	v_cmpx_lt_i16_e32 0x7f, v1
	s_xor_b32 s18, exec_lo, s18
	s_cbranch_execz .LBB78_1970
; %bb.1954:
	v_cmp_ne_u16_e32 vcc_lo, 0x80, v1
	s_and_b32 s19, vcc_lo, exec_lo
	s_and_not1_saveexec_b32 s18, s18
	s_cbranch_execnz .LBB78_1971
.LBB78_1955:
	s_or_b32 exec_lo, exec_lo, s18
	v_mov_b32_e32 v8, 0
	s_and_saveexec_b32 s18, s19
	s_cbranch_execz .LBB78_1957
.LBB78_1956:
	v_and_b32_e32 v3, 0xffff, v1
	s_delay_alu instid0(VALU_DEP_1) | instskip(SKIP_1) | instid1(VALU_DEP_2)
	v_and_b32_e32 v5, 7, v3
	v_bfe_u32 v12, v3, 3, 4
	v_clz_i32_u32_e32 v8, v5
	s_delay_alu instid0(VALU_DEP_2) | instskip(NEXT) | instid1(VALU_DEP_2)
	v_cmp_eq_u32_e32 vcc_lo, 0, v12
	v_min_u32_e32 v8, 32, v8
	s_delay_alu instid0(VALU_DEP_1) | instskip(NEXT) | instid1(VALU_DEP_1)
	v_subrev_nc_u32_e32 v9, 28, v8
	v_dual_lshlrev_b32 v3, v9, v3 :: v_dual_sub_nc_u32 v8, 29, v8
	s_delay_alu instid0(VALU_DEP_1) | instskip(NEXT) | instid1(VALU_DEP_1)
	v_dual_lshlrev_b32 v1, 24, v1 :: v_dual_bitop2_b32 v3, 7, v3 bitop3:0x40
	v_dual_cndmask_b32 v8, v12, v8 :: v_dual_cndmask_b32 v3, v5, v3
	s_delay_alu instid0(VALU_DEP_2) | instskip(NEXT) | instid1(VALU_DEP_2)
	v_and_b32_e32 v1, 0x80000000, v1
	v_lshl_add_u32 v5, v8, 23, 0x3b800000
	s_delay_alu instid0(VALU_DEP_3) | instskip(NEXT) | instid1(VALU_DEP_1)
	v_lshlrev_b32_e32 v3, 20, v3
	v_or3_b32 v1, v1, v5, v3
	s_delay_alu instid0(VALU_DEP_1)
	v_cvt_i32_f32_e32 v8, v1
.LBB78_1957:
	s_or_b32 exec_lo, exec_lo, s18
.LBB78_1958:
	s_mov_b32 s18, -1
.LBB78_1959:
	s_mov_b32 s19, 0
.LBB78_1960:
	s_delay_alu instid0(SALU_CYCLE_1)
	s_and_b32 vcc_lo, exec_lo, s19
	s_cbranch_vccz .LBB78_1991
; %bb.1961:
	s_cmp_gt_i32 s13, 22
	s_cbranch_scc0 .LBB78_1969
; %bb.1962:
	s_cmp_lt_i32 s13, 24
	s_cbranch_scc1 .LBB78_1972
; %bb.1963:
	s_cmp_gt_i32 s13, 24
	s_cbranch_scc0 .LBB78_1973
; %bb.1964:
	global_load_u8 v1, v[6:7], off
	s_mov_b32 s18, 0
	s_mov_b32 s17, exec_lo
	s_wait_loadcnt 0x0
	v_cmpx_lt_i16_e32 0x7f, v1
	s_xor_b32 s17, exec_lo, s17
	s_cbranch_execz .LBB78_1985
; %bb.1965:
	v_cmp_ne_u16_e32 vcc_lo, 0x80, v1
	s_and_b32 s18, vcc_lo, exec_lo
	s_and_not1_saveexec_b32 s17, s17
	s_cbranch_execnz .LBB78_1986
.LBB78_1966:
	s_or_b32 exec_lo, exec_lo, s17
	v_mov_b32_e32 v8, 0
	s_and_saveexec_b32 s17, s18
	s_cbranch_execz .LBB78_1968
.LBB78_1967:
	v_and_b32_e32 v3, 0xffff, v1
	s_delay_alu instid0(VALU_DEP_1) | instskip(SKIP_1) | instid1(VALU_DEP_2)
	v_and_b32_e32 v5, 3, v3
	v_bfe_u32 v12, v3, 2, 5
	v_clz_i32_u32_e32 v8, v5
	s_delay_alu instid0(VALU_DEP_2) | instskip(NEXT) | instid1(VALU_DEP_2)
	v_cmp_eq_u32_e32 vcc_lo, 0, v12
	v_min_u32_e32 v8, 32, v8
	s_delay_alu instid0(VALU_DEP_1) | instskip(NEXT) | instid1(VALU_DEP_1)
	v_subrev_nc_u32_e32 v9, 29, v8
	v_dual_lshlrev_b32 v3, v9, v3 :: v_dual_sub_nc_u32 v8, 30, v8
	s_delay_alu instid0(VALU_DEP_1) | instskip(NEXT) | instid1(VALU_DEP_1)
	v_dual_lshlrev_b32 v1, 24, v1 :: v_dual_bitop2_b32 v3, 3, v3 bitop3:0x40
	v_dual_cndmask_b32 v8, v12, v8 :: v_dual_cndmask_b32 v3, v5, v3
	s_delay_alu instid0(VALU_DEP_2) | instskip(NEXT) | instid1(VALU_DEP_2)
	v_and_b32_e32 v1, 0x80000000, v1
	v_lshl_add_u32 v5, v8, 23, 0x37800000
	s_delay_alu instid0(VALU_DEP_3) | instskip(NEXT) | instid1(VALU_DEP_1)
	v_lshlrev_b32_e32 v3, 21, v3
	v_or3_b32 v1, v1, v5, v3
	s_delay_alu instid0(VALU_DEP_1)
	v_cvt_i32_f32_e32 v8, v1
.LBB78_1968:
	s_or_b32 exec_lo, exec_lo, s17
	s_mov_b32 s17, 0
	s_branch .LBB78_1974
.LBB78_1969:
	s_mov_b32 s17, -1
                                        ; implicit-def: $vgpr8
	s_branch .LBB78_1980
.LBB78_1970:
	s_and_not1_saveexec_b32 s18, s18
	s_cbranch_execz .LBB78_1955
.LBB78_1971:
	v_cmp_ne_u16_e32 vcc_lo, 0, v1
	s_and_not1_b32 s19, s19, exec_lo
	s_and_b32 s20, vcc_lo, exec_lo
	s_delay_alu instid0(SALU_CYCLE_1)
	s_or_b32 s19, s19, s20
	s_or_b32 exec_lo, exec_lo, s18
	v_mov_b32_e32 v8, 0
	s_and_saveexec_b32 s18, s19
	s_cbranch_execnz .LBB78_1956
	s_branch .LBB78_1957
.LBB78_1972:
	s_mov_b32 s17, -1
                                        ; implicit-def: $vgpr8
	s_branch .LBB78_1977
.LBB78_1973:
	s_mov_b32 s17, -1
                                        ; implicit-def: $vgpr8
.LBB78_1974:
	s_delay_alu instid0(SALU_CYCLE_1)
	s_and_b32 vcc_lo, exec_lo, s17
	s_cbranch_vccz .LBB78_1976
; %bb.1975:
	global_load_u8 v1, v[6:7], off
	s_wait_loadcnt 0x0
	v_lshlrev_b32_e32 v1, 24, v1
	s_delay_alu instid0(VALU_DEP_1) | instskip(NEXT) | instid1(VALU_DEP_1)
	v_and_b32_e32 v3, 0x7f000000, v1
	v_clz_i32_u32_e32 v5, v3
	v_add_nc_u32_e32 v9, 0x1000000, v3
	v_cmp_ne_u32_e32 vcc_lo, 0, v3
	s_delay_alu instid0(VALU_DEP_3) | instskip(NEXT) | instid1(VALU_DEP_1)
	v_min_u32_e32 v5, 32, v5
	v_sub_nc_u32_e64 v5, v5, 4 clamp
	s_delay_alu instid0(VALU_DEP_1) | instskip(NEXT) | instid1(VALU_DEP_1)
	v_dual_lshlrev_b32 v8, v5, v3 :: v_dual_lshlrev_b32 v5, 23, v5
	v_lshrrev_b32_e32 v8, 4, v8
	s_delay_alu instid0(VALU_DEP_1) | instskip(SKIP_1) | instid1(VALU_DEP_2)
	v_sub_nc_u32_e32 v5, v8, v5
	v_ashrrev_i32_e32 v8, 8, v9
	v_add_nc_u32_e32 v5, 0x3c000000, v5
	s_delay_alu instid0(VALU_DEP_1) | instskip(NEXT) | instid1(VALU_DEP_1)
	v_and_or_b32 v5, 0x7f800000, v8, v5
	v_cndmask_b32_e32 v3, 0, v5, vcc_lo
	s_delay_alu instid0(VALU_DEP_1) | instskip(NEXT) | instid1(VALU_DEP_1)
	v_and_or_b32 v1, 0x80000000, v1, v3
	v_cvt_i32_f32_e32 v8, v1
.LBB78_1976:
	s_mov_b32 s17, 0
.LBB78_1977:
	s_delay_alu instid0(SALU_CYCLE_1)
	s_and_not1_b32 vcc_lo, exec_lo, s17
	s_cbranch_vccnz .LBB78_1979
; %bb.1978:
	global_load_u8 v1, v[6:7], off
	s_wait_loadcnt 0x0
	v_lshlrev_b32_e32 v3, 25, v1
	v_lshlrev_b16 v1, 8, v1
	s_delay_alu instid0(VALU_DEP_1) | instskip(SKIP_1) | instid1(VALU_DEP_2)
	v_and_or_b32 v8, 0x7f00, v1, 0.5
	v_bfe_i32 v1, v1, 0, 16
	v_dual_add_f32 v8, -0.5, v8 :: v_dual_lshrrev_b32 v5, 4, v3
	v_cmp_gt_u32_e32 vcc_lo, 0x8000000, v3
	s_delay_alu instid0(VALU_DEP_2) | instskip(NEXT) | instid1(VALU_DEP_1)
	v_or_b32_e32 v5, 0x70000000, v5
	v_mul_f32_e32 v5, 0x7800000, v5
	s_delay_alu instid0(VALU_DEP_1) | instskip(NEXT) | instid1(VALU_DEP_1)
	v_cndmask_b32_e32 v3, v5, v8, vcc_lo
	v_and_or_b32 v1, 0x80000000, v1, v3
	s_delay_alu instid0(VALU_DEP_1)
	v_cvt_i32_f32_e32 v8, v1
.LBB78_1979:
	s_mov_b32 s17, 0
	s_mov_b32 s18, -1
.LBB78_1980:
	s_and_not1_b32 vcc_lo, exec_lo, s17
	s_mov_b32 s17, 0
	s_cbranch_vccnz .LBB78_1991
; %bb.1981:
	s_cmp_gt_i32 s13, 14
	s_cbranch_scc0 .LBB78_1984
; %bb.1982:
	s_cmp_eq_u32 s13, 15
	s_cbranch_scc0 .LBB78_1987
; %bb.1983:
	global_load_u16 v1, v[6:7], off
	s_mov_b32 s16, 0
	s_mov_b32 s18, -1
	s_wait_loadcnt 0x0
	v_lshlrev_b32_e32 v1, 16, v1
	s_delay_alu instid0(VALU_DEP_1)
	v_cvt_i32_f32_e32 v8, v1
	s_branch .LBB78_1989
.LBB78_1984:
	s_mov_b32 s17, -1
	s_branch .LBB78_1988
.LBB78_1985:
	s_and_not1_saveexec_b32 s17, s17
	s_cbranch_execz .LBB78_1966
.LBB78_1986:
	v_cmp_ne_u16_e32 vcc_lo, 0, v1
	s_and_not1_b32 s18, s18, exec_lo
	s_and_b32 s19, vcc_lo, exec_lo
	s_delay_alu instid0(SALU_CYCLE_1)
	s_or_b32 s18, s18, s19
	s_or_b32 exec_lo, exec_lo, s17
	v_mov_b32_e32 v8, 0
	s_and_saveexec_b32 s17, s18
	s_cbranch_execnz .LBB78_1967
	s_branch .LBB78_1968
.LBB78_1987:
	s_mov_b32 s16, -1
.LBB78_1988:
                                        ; implicit-def: $vgpr8
.LBB78_1989:
	s_and_b32 vcc_lo, exec_lo, s17
	s_mov_b32 s17, 0
	s_cbranch_vccz .LBB78_1991
; %bb.1990:
	s_cmp_lg_u32 s13, 11
	s_mov_b32 s17, -1
	s_cselect_b32 s16, -1, 0
.LBB78_1991:
	s_delay_alu instid0(SALU_CYCLE_1)
	s_and_b32 vcc_lo, exec_lo, s16
	s_cbranch_vccnz .LBB78_2062
; %bb.1992:
	s_and_not1_b32 vcc_lo, exec_lo, s17
	s_cbranch_vccnz .LBB78_1994
.LBB78_1993:
	global_load_u8 v1, v[6:7], off
	s_mov_b32 s18, -1
	s_wait_loadcnt 0x0
	v_cmp_ne_u16_e32 vcc_lo, 0, v1
	v_cndmask_b32_e64 v8, 0, 1, vcc_lo
.LBB78_1994:
	s_mov_b32 s13, 0
.LBB78_1995:
	s_delay_alu instid0(SALU_CYCLE_1)
	s_and_b32 vcc_lo, exec_lo, s13
	s_cbranch_vccz .LBB78_2044
; %bb.1996:
	s_and_b32 s13, 0xffff, s1
	s_delay_alu instid0(SALU_CYCLE_1)
	s_cmp_lt_i32 s13, 5
	s_cbranch_scc1 .LBB78_2001
; %bb.1997:
	s_cmp_lt_i32 s13, 8
	s_cbranch_scc1 .LBB78_2002
; %bb.1998:
	;; [unrolled: 3-line block ×3, first 2 shown]
	s_cmp_gt_i32 s13, 9
	s_cbranch_scc0 .LBB78_2004
; %bb.2000:
	s_wait_loadcnt 0x0
	global_load_b64 v[8:9], v[6:7], off
	s_mov_b32 s16, 0
	s_wait_loadcnt 0x0
	v_cvt_i32_f64_e32 v8, v[8:9]
	s_branch .LBB78_2005
.LBB78_2001:
	s_mov_b32 s16, -1
                                        ; implicit-def: $vgpr8
	s_branch .LBB78_2023
.LBB78_2002:
	s_mov_b32 s16, -1
                                        ; implicit-def: $vgpr8
	s_branch .LBB78_2011
.LBB78_2003:
	s_mov_b32 s16, -1
                                        ; implicit-def: $vgpr8
	s_branch .LBB78_2008
.LBB78_2004:
	s_mov_b32 s16, -1
                                        ; implicit-def: $vgpr8
.LBB78_2005:
	s_delay_alu instid0(SALU_CYCLE_1)
	s_and_not1_b32 vcc_lo, exec_lo, s16
	s_cbranch_vccnz .LBB78_2007
; %bb.2006:
	global_load_b32 v1, v[6:7], off
	s_wait_loadcnt 0x0
	v_cvt_i32_f32_e32 v8, v1
.LBB78_2007:
	s_mov_b32 s16, 0
.LBB78_2008:
	s_delay_alu instid0(SALU_CYCLE_1)
	s_and_not1_b32 vcc_lo, exec_lo, s16
	s_cbranch_vccnz .LBB78_2010
; %bb.2009:
	global_load_b32 v1, v[6:7], off
	s_wait_loadcnt 0x0
	v_cvt_i16_f16_e32 v8, v1
.LBB78_2010:
	s_mov_b32 s16, 0
.LBB78_2011:
	s_delay_alu instid0(SALU_CYCLE_1)
	s_and_not1_b32 vcc_lo, exec_lo, s16
	s_cbranch_vccnz .LBB78_2022
; %bb.2012:
	s_cmp_lt_i32 s13, 6
	s_cbranch_scc1 .LBB78_2015
; %bb.2013:
	s_cmp_gt_i32 s13, 6
	s_cbranch_scc0 .LBB78_2016
; %bb.2014:
	s_wait_loadcnt 0x0
	global_load_b64 v[8:9], v[6:7], off
	s_mov_b32 s16, 0
	s_wait_loadcnt 0x0
	v_cvt_i32_f64_e32 v8, v[8:9]
	s_branch .LBB78_2017
.LBB78_2015:
	s_mov_b32 s16, -1
                                        ; implicit-def: $vgpr8
	s_branch .LBB78_2020
.LBB78_2016:
	s_mov_b32 s16, -1
                                        ; implicit-def: $vgpr8
.LBB78_2017:
	s_delay_alu instid0(SALU_CYCLE_1)
	s_and_not1_b32 vcc_lo, exec_lo, s16
	s_cbranch_vccnz .LBB78_2019
; %bb.2018:
	global_load_b32 v1, v[6:7], off
	s_wait_loadcnt 0x0
	v_cvt_i32_f32_e32 v8, v1
.LBB78_2019:
	s_mov_b32 s16, 0
.LBB78_2020:
	s_delay_alu instid0(SALU_CYCLE_1)
	s_and_not1_b32 vcc_lo, exec_lo, s16
	s_cbranch_vccnz .LBB78_2022
; %bb.2021:
	global_load_u16 v1, v[6:7], off
	s_wait_loadcnt 0x0
	v_cvt_i16_f16_e32 v8, v1
.LBB78_2022:
	s_mov_b32 s16, 0
.LBB78_2023:
	s_delay_alu instid0(SALU_CYCLE_1)
	s_and_not1_b32 vcc_lo, exec_lo, s16
	s_cbranch_vccnz .LBB78_2043
; %bb.2024:
	s_cmp_lt_i32 s13, 2
	s_cbranch_scc1 .LBB78_2028
; %bb.2025:
	s_cmp_lt_i32 s13, 3
	s_cbranch_scc1 .LBB78_2029
; %bb.2026:
	s_cmp_gt_i32 s13, 3
	s_cbranch_scc0 .LBB78_2030
; %bb.2027:
	s_wait_loadcnt 0x0
	global_load_b64 v[8:9], v[6:7], off
	s_mov_b32 s16, 0
	s_branch .LBB78_2031
.LBB78_2028:
	s_mov_b32 s16, -1
                                        ; implicit-def: $vgpr8
	s_branch .LBB78_2037
.LBB78_2029:
	s_mov_b32 s16, -1
                                        ; implicit-def: $vgpr8
	s_branch .LBB78_2034
.LBB78_2030:
	s_mov_b32 s16, -1
                                        ; implicit-def: $vgpr8
.LBB78_2031:
	s_delay_alu instid0(SALU_CYCLE_1)
	s_and_not1_b32 vcc_lo, exec_lo, s16
	s_cbranch_vccnz .LBB78_2033
; %bb.2032:
	s_wait_loadcnt 0x0
	global_load_b32 v8, v[6:7], off
.LBB78_2033:
	s_mov_b32 s16, 0
.LBB78_2034:
	s_delay_alu instid0(SALU_CYCLE_1)
	s_and_not1_b32 vcc_lo, exec_lo, s16
	s_cbranch_vccnz .LBB78_2036
; %bb.2035:
	s_wait_loadcnt 0x0
	global_load_u16 v8, v[6:7], off
.LBB78_2036:
	s_mov_b32 s16, 0
.LBB78_2037:
	s_delay_alu instid0(SALU_CYCLE_1)
	s_and_not1_b32 vcc_lo, exec_lo, s16
	s_cbranch_vccnz .LBB78_2043
; %bb.2038:
	s_cmp_gt_i32 s13, 0
	s_mov_b32 s13, 0
	s_cbranch_scc0 .LBB78_2040
; %bb.2039:
	s_wait_loadcnt 0x0
	global_load_i8 v8, v[6:7], off
	s_branch .LBB78_2041
.LBB78_2040:
	s_mov_b32 s13, -1
                                        ; implicit-def: $vgpr8
.LBB78_2041:
	s_delay_alu instid0(SALU_CYCLE_1)
	s_and_not1_b32 vcc_lo, exec_lo, s13
	s_cbranch_vccnz .LBB78_2043
; %bb.2042:
	s_wait_loadcnt 0x0
	global_load_u8 v8, v[6:7], off
.LBB78_2043:
	s_mov_b32 s18, -1
.LBB78_2044:
	s_delay_alu instid0(SALU_CYCLE_1)
	s_and_not1_b32 vcc_lo, exec_lo, s18
	s_cbranch_vccnz .LBB78_2651
; %bb.2045:
	s_wait_loadcnt 0x0
	s_delay_alu instid0(VALU_DEP_1) | instskip(SKIP_2) | instid1(VALU_DEP_1)
	v_sub_nc_u16 v1, 0, v8
	s_mov_b32 s16, 0
	s_mov_b32 s13, exec_lo
	v_max_i16 v1, v8, v1
	s_wait_xcnt 0x0
	v_cmpx_ne_u16_e32 0, v4
	s_cbranch_execz .LBB78_2049
; %bb.2046:
	v_sub_nc_u16 v3, 0, v4
	s_delay_alu instid0(VALU_DEP_1) | instskip(SKIP_1) | instid1(VALU_DEP_2)
	v_max_i16 v5, v4, v3
	v_and_b32_e32 v3, 0xffff, v1
	v_and_b32_e32 v5, 0xffff, v5
.LBB78_2047:                            ; =>This Inner Loop Header: Depth=1
	s_delay_alu instid0(VALU_DEP_1) | instskip(NEXT) | instid1(VALU_DEP_2)
	v_bfe_i32 v7, v3, 0, 16
	v_mov_b32_e32 v1, v5
	s_delay_alu instid0(VALU_DEP_2) | instskip(NEXT) | instid1(VALU_DEP_2)
	v_cvt_f32_i32_e32 v12, v7
	v_bfe_i32 v5, v1, 0, 16
	s_delay_alu instid0(VALU_DEP_1) | instskip(SKIP_1) | instid1(VALU_DEP_2)
	v_cvt_f32_i32_e32 v6, v5
	v_xor_b32_e32 v5, v7, v5
	v_rcp_iflag_f32_e32 v9, v6
	v_nop
	s_delay_alu instid0(TRANS32_DEP_1) | instskip(NEXT) | instid1(VALU_DEP_1)
	v_mul_f32_e32 v7, v12, v9
	v_trunc_f32_e32 v7, v7
	s_delay_alu instid0(VALU_DEP_1) | instskip(NEXT) | instid1(VALU_DEP_1)
	v_dual_ashrrev_i32 v5, 30, v5 :: v_dual_fma_f32 v9, -v7, v6, v12
	v_or_b32_e32 v5, 1, v5
	v_cvt_i32_f32_e32 v7, v7
	s_delay_alu instid0(VALU_DEP_3) | instskip(NEXT) | instid1(VALU_DEP_3)
	v_cmp_ge_f32_e64 vcc_lo, |v9|, |v6|
	v_cndmask_b32_e32 v5, 0, v5, vcc_lo
	s_delay_alu instid0(VALU_DEP_1) | instskip(NEXT) | instid1(VALU_DEP_1)
	v_add_nc_u32_e32 v5, v7, v5
	v_mul_lo_u32 v5, v5, v1
	s_delay_alu instid0(VALU_DEP_1) | instskip(NEXT) | instid1(VALU_DEP_1)
	v_sub_nc_u32_e32 v5, v3, v5
	v_and_b32_e32 v3, 0xffff, v5
	v_bfe_i32 v5, v5, 0, 16
	s_delay_alu instid0(VALU_DEP_2) | instskip(SKIP_2) | instid1(SALU_CYCLE_1)
	v_cmp_eq_u32_e32 vcc_lo, 0, v3
	v_mov_b32_e32 v3, v1
	s_or_b32 s16, vcc_lo, s16
	s_and_not1_b32 exec_lo, exec_lo, s16
	s_cbranch_execnz .LBB78_2047
; %bb.2048:
	s_or_b32 exec_lo, exec_lo, s16
.LBB78_2049:
	s_delay_alu instid0(SALU_CYCLE_1)
	s_or_b32 exec_lo, exec_lo, s13
	v_mov_b32_e32 v12, 0
	s_mov_b32 s13, exec_lo
	v_cmpx_ne_u16_e32 0, v1
	s_cbranch_execz .LBB78_2051
; %bb.2050:
	v_bfe_i32 v1, v1, 0, 16
	v_bfe_i32 v4, v4, 0, 16
	s_delay_alu instid0(VALU_DEP_2) | instskip(NEXT) | instid1(VALU_DEP_2)
	v_cvt_f32_i32_e32 v3, v1
	v_cvt_f32_i32_e32 v6, v4
	v_xor_b32_e32 v1, v4, v1
	s_delay_alu instid0(VALU_DEP_3) | instskip(SKIP_1) | instid1(TRANS32_DEP_1)
	v_rcp_iflag_f32_e32 v5, v3
	v_nop
	v_mul_f32_e32 v5, v6, v5
	s_delay_alu instid0(VALU_DEP_1) | instskip(NEXT) | instid1(VALU_DEP_1)
	v_trunc_f32_e32 v4, v5
	v_dual_fma_f32 v5, -v4, v3, v6 :: v_dual_ashrrev_i32 v1, 30, v1
	v_cvt_i32_f32_e32 v4, v4
	s_delay_alu instid0(VALU_DEP_2) | instskip(NEXT) | instid1(VALU_DEP_3)
	v_cmp_ge_f32_e64 vcc_lo, |v5|, |v3|
	v_or_b32_e32 v1, 1, v1
	v_bfe_i32 v3, v8, 0, 16
	s_delay_alu instid0(VALU_DEP_2) | instskip(NEXT) | instid1(VALU_DEP_1)
	v_cndmask_b32_e32 v1, 0, v1, vcc_lo
	v_add_nc_u32_e32 v1, v4, v1
	s_delay_alu instid0(VALU_DEP_1) | instskip(NEXT) | instid1(VALU_DEP_1)
	v_bfe_i32 v1, v1, 0, 16
	v_mul_i32_i24_e32 v1, v1, v3
	s_delay_alu instid0(VALU_DEP_1) | instskip(NEXT) | instid1(VALU_DEP_1)
	v_sub_nc_u32_e32 v3, 0, v1
	v_max_i32_e32 v12, v1, v3
.LBB78_2051:
	s_or_b32 exec_lo, exec_lo, s13
	v_add_nc_u32_e32 v0, s9, v0
	s_cmp_lt_i32 s0, 11
	s_delay_alu instid0(VALU_DEP_1) | instskip(NEXT) | instid1(VALU_DEP_1)
	v_ashrrev_i32_e32 v1, 31, v0
	v_add_nc_u64_e32 v[6:7], s[6:7], v[0:1]
	s_cbranch_scc1 .LBB78_2058
; %bb.2052:
	s_and_b32 s13, 0xffff, s0
	s_mov_b32 s17, 0
	s_cmp_gt_i32 s13, 25
	s_cbranch_scc0 .LBB78_2059
; %bb.2053:
	s_cmp_gt_i32 s13, 28
	s_cbranch_scc0 .LBB78_2060
; %bb.2054:
	;; [unrolled: 3-line block ×4, first 2 shown]
	s_cmp_eq_u32 s13, 46
	s_mov_b32 s19, 0
	s_cbranch_scc0 .LBB78_2064
; %bb.2057:
	global_load_b32 v1, v[6:7], off
	s_mov_b32 s16, 0
	s_mov_b32 s18, -1
	s_wait_loadcnt 0x0
	v_lshlrev_b32_e32 v1, 16, v1
	s_delay_alu instid0(VALU_DEP_1)
	v_cvt_i32_f32_e32 v4, v1
	s_branch .LBB78_2066
.LBB78_2058:
	s_mov_b32 s13, -1
	s_mov_b32 s18, 0
                                        ; implicit-def: $vgpr4
	s_branch .LBB78_2128
.LBB78_2059:
	s_mov_b32 s19, -1
	s_mov_b32 s18, 0
	s_mov_b32 s16, 0
                                        ; implicit-def: $vgpr4
	s_branch .LBB78_2093
.LBB78_2060:
	s_mov_b32 s19, -1
	s_mov_b32 s18, 0
	s_mov_b32 s16, 0
                                        ; implicit-def: $vgpr4
	s_branch .LBB78_2076
.LBB78_2061:
	s_mov_b32 s19, -1
	s_mov_b32 s18, 0
	s_mov_b32 s16, 0
                                        ; implicit-def: $vgpr4
	s_branch .LBB78_2071
.LBB78_2062:
	s_or_b32 s12, s12, exec_lo
	s_trap 2
	s_cbranch_execz .LBB78_1993
	s_branch .LBB78_1994
.LBB78_2063:
	s_mov_b32 s19, -1
	s_mov_b32 s18, 0
	s_mov_b32 s16, 0
	s_branch .LBB78_2065
.LBB78_2064:
	s_mov_b32 s16, -1
	s_mov_b32 s18, 0
.LBB78_2065:
                                        ; implicit-def: $vgpr4
.LBB78_2066:
	s_and_b32 vcc_lo, exec_lo, s19
	s_cbranch_vccz .LBB78_2070
; %bb.2067:
	s_cmp_eq_u32 s13, 44
	s_cbranch_scc0 .LBB78_2069
; %bb.2068:
	global_load_u8 v1, v[6:7], off
	s_mov_b32 s16, 0
	s_mov_b32 s18, -1
	s_wait_loadcnt 0x0
	v_lshlrev_b32_e32 v3, 23, v1
	v_cmp_ne_u32_e32 vcc_lo, 0, v1
	s_delay_alu instid0(VALU_DEP_2) | instskip(NEXT) | instid1(VALU_DEP_1)
	v_cvt_i32_f32_e32 v3, v3
	v_cndmask_b32_e32 v4, 0, v3, vcc_lo
	s_branch .LBB78_2070
.LBB78_2069:
	s_mov_b32 s16, -1
                                        ; implicit-def: $vgpr4
.LBB78_2070:
	s_mov_b32 s19, 0
.LBB78_2071:
	s_delay_alu instid0(SALU_CYCLE_1)
	s_and_b32 vcc_lo, exec_lo, s19
	s_cbranch_vccz .LBB78_2075
; %bb.2072:
	s_cmp_eq_u32 s13, 29
	s_cbranch_scc0 .LBB78_2074
; %bb.2073:
	global_load_b64 v[4:5], v[6:7], off
	s_mov_b32 s16, 0
	s_mov_b32 s18, -1
	s_branch .LBB78_2075
.LBB78_2074:
	s_mov_b32 s16, -1
                                        ; implicit-def: $vgpr4
.LBB78_2075:
	s_mov_b32 s19, 0
.LBB78_2076:
	s_delay_alu instid0(SALU_CYCLE_1)
	s_and_b32 vcc_lo, exec_lo, s19
	s_cbranch_vccz .LBB78_2092
; %bb.2077:
	s_cmp_lt_i32 s13, 27
	s_cbranch_scc1 .LBB78_2080
; %bb.2078:
	s_cmp_gt_i32 s13, 27
	s_cbranch_scc0 .LBB78_2081
; %bb.2079:
	s_wait_loadcnt 0x0
	global_load_b32 v4, v[6:7], off
	s_mov_b32 s18, 0
	s_branch .LBB78_2082
.LBB78_2080:
	s_mov_b32 s18, -1
                                        ; implicit-def: $vgpr4
	s_branch .LBB78_2085
.LBB78_2081:
	s_mov_b32 s18, -1
                                        ; implicit-def: $vgpr4
.LBB78_2082:
	s_delay_alu instid0(SALU_CYCLE_1)
	s_and_not1_b32 vcc_lo, exec_lo, s18
	s_cbranch_vccnz .LBB78_2084
; %bb.2083:
	s_wait_loadcnt 0x0
	global_load_u16 v4, v[6:7], off
.LBB78_2084:
	s_mov_b32 s18, 0
.LBB78_2085:
	s_delay_alu instid0(SALU_CYCLE_1)
	s_and_not1_b32 vcc_lo, exec_lo, s18
	s_cbranch_vccnz .LBB78_2091
; %bb.2086:
	global_load_u8 v1, v[6:7], off
	s_mov_b32 s19, 0
	s_mov_b32 s18, exec_lo
	s_wait_loadcnt 0x0
	v_cmpx_lt_i16_e32 0x7f, v1
	s_xor_b32 s18, exec_lo, s18
	s_cbranch_execz .LBB78_2103
; %bb.2087:
	v_cmp_ne_u16_e32 vcc_lo, 0x80, v1
	s_and_b32 s19, vcc_lo, exec_lo
	s_and_not1_saveexec_b32 s18, s18
	s_cbranch_execnz .LBB78_2104
.LBB78_2088:
	s_or_b32 exec_lo, exec_lo, s18
	v_mov_b32_e32 v4, 0
	s_and_saveexec_b32 s18, s19
	s_cbranch_execz .LBB78_2090
.LBB78_2089:
	v_and_b32_e32 v3, 0xffff, v1
	s_delay_alu instid0(VALU_DEP_1) | instskip(SKIP_1) | instid1(VALU_DEP_2)
	v_and_b32_e32 v4, 7, v3
	v_bfe_u32 v9, v3, 3, 4
	v_clz_i32_u32_e32 v5, v4
	s_delay_alu instid0(VALU_DEP_2) | instskip(NEXT) | instid1(VALU_DEP_2)
	v_cmp_eq_u32_e32 vcc_lo, 0, v9
	v_min_u32_e32 v5, 32, v5
	s_delay_alu instid0(VALU_DEP_1) | instskip(NEXT) | instid1(VALU_DEP_1)
	v_subrev_nc_u32_e32 v8, 28, v5
	v_dual_lshlrev_b32 v3, v8, v3 :: v_dual_sub_nc_u32 v5, 29, v5
	s_delay_alu instid0(VALU_DEP_1) | instskip(NEXT) | instid1(VALU_DEP_1)
	v_dual_lshlrev_b32 v1, 24, v1 :: v_dual_bitop2_b32 v3, 7, v3 bitop3:0x40
	v_dual_cndmask_b32 v3, v4, v3, vcc_lo :: v_dual_cndmask_b32 v5, v9, v5, vcc_lo
	s_delay_alu instid0(VALU_DEP_2) | instskip(NEXT) | instid1(VALU_DEP_2)
	v_and_b32_e32 v1, 0x80000000, v1
	v_lshlrev_b32_e32 v3, 20, v3
	s_delay_alu instid0(VALU_DEP_3) | instskip(NEXT) | instid1(VALU_DEP_1)
	v_lshl_add_u32 v4, v5, 23, 0x3b800000
	v_or3_b32 v1, v1, v4, v3
	s_delay_alu instid0(VALU_DEP_1)
	v_cvt_i32_f32_e32 v4, v1
.LBB78_2090:
	s_or_b32 exec_lo, exec_lo, s18
.LBB78_2091:
	s_mov_b32 s18, -1
.LBB78_2092:
	s_mov_b32 s19, 0
.LBB78_2093:
	s_delay_alu instid0(SALU_CYCLE_1)
	s_and_b32 vcc_lo, exec_lo, s19
	s_cbranch_vccz .LBB78_2124
; %bb.2094:
	s_cmp_gt_i32 s13, 22
	s_cbranch_scc0 .LBB78_2102
; %bb.2095:
	s_cmp_lt_i32 s13, 24
	s_cbranch_scc1 .LBB78_2105
; %bb.2096:
	s_cmp_gt_i32 s13, 24
	s_cbranch_scc0 .LBB78_2106
; %bb.2097:
	global_load_u8 v1, v[6:7], off
	s_mov_b32 s18, 0
	s_mov_b32 s17, exec_lo
	s_wait_loadcnt 0x0
	v_cmpx_lt_i16_e32 0x7f, v1
	s_xor_b32 s17, exec_lo, s17
	s_cbranch_execz .LBB78_2118
; %bb.2098:
	v_cmp_ne_u16_e32 vcc_lo, 0x80, v1
	s_and_b32 s18, vcc_lo, exec_lo
	s_and_not1_saveexec_b32 s17, s17
	s_cbranch_execnz .LBB78_2119
.LBB78_2099:
	s_or_b32 exec_lo, exec_lo, s17
	v_mov_b32_e32 v4, 0
	s_and_saveexec_b32 s17, s18
	s_cbranch_execz .LBB78_2101
.LBB78_2100:
	v_and_b32_e32 v3, 0xffff, v1
	s_delay_alu instid0(VALU_DEP_1) | instskip(SKIP_1) | instid1(VALU_DEP_2)
	v_and_b32_e32 v4, 3, v3
	v_bfe_u32 v9, v3, 2, 5
	v_clz_i32_u32_e32 v5, v4
	s_delay_alu instid0(VALU_DEP_2) | instskip(NEXT) | instid1(VALU_DEP_2)
	v_cmp_eq_u32_e32 vcc_lo, 0, v9
	v_min_u32_e32 v5, 32, v5
	s_delay_alu instid0(VALU_DEP_1) | instskip(NEXT) | instid1(VALU_DEP_1)
	v_subrev_nc_u32_e32 v8, 29, v5
	v_dual_lshlrev_b32 v3, v8, v3 :: v_dual_sub_nc_u32 v5, 30, v5
	s_delay_alu instid0(VALU_DEP_1) | instskip(NEXT) | instid1(VALU_DEP_1)
	v_dual_lshlrev_b32 v1, 24, v1 :: v_dual_bitop2_b32 v3, 3, v3 bitop3:0x40
	v_dual_cndmask_b32 v3, v4, v3, vcc_lo :: v_dual_cndmask_b32 v5, v9, v5, vcc_lo
	s_delay_alu instid0(VALU_DEP_2) | instskip(NEXT) | instid1(VALU_DEP_2)
	v_and_b32_e32 v1, 0x80000000, v1
	v_lshlrev_b32_e32 v3, 21, v3
	s_delay_alu instid0(VALU_DEP_3) | instskip(NEXT) | instid1(VALU_DEP_1)
	v_lshl_add_u32 v4, v5, 23, 0x37800000
	v_or3_b32 v1, v1, v4, v3
	s_delay_alu instid0(VALU_DEP_1)
	v_cvt_i32_f32_e32 v4, v1
.LBB78_2101:
	s_or_b32 exec_lo, exec_lo, s17
	s_mov_b32 s17, 0
	s_branch .LBB78_2107
.LBB78_2102:
	s_mov_b32 s17, -1
                                        ; implicit-def: $vgpr4
	s_branch .LBB78_2113
.LBB78_2103:
	s_and_not1_saveexec_b32 s18, s18
	s_cbranch_execz .LBB78_2088
.LBB78_2104:
	v_cmp_ne_u16_e32 vcc_lo, 0, v1
	s_and_not1_b32 s19, s19, exec_lo
	s_and_b32 s20, vcc_lo, exec_lo
	s_delay_alu instid0(SALU_CYCLE_1)
	s_or_b32 s19, s19, s20
	s_or_b32 exec_lo, exec_lo, s18
	v_mov_b32_e32 v4, 0
	s_and_saveexec_b32 s18, s19
	s_cbranch_execnz .LBB78_2089
	s_branch .LBB78_2090
.LBB78_2105:
	s_mov_b32 s17, -1
                                        ; implicit-def: $vgpr4
	s_branch .LBB78_2110
.LBB78_2106:
	s_mov_b32 s17, -1
                                        ; implicit-def: $vgpr4
.LBB78_2107:
	s_delay_alu instid0(SALU_CYCLE_1)
	s_and_b32 vcc_lo, exec_lo, s17
	s_cbranch_vccz .LBB78_2109
; %bb.2108:
	global_load_u8 v1, v[6:7], off
	s_wait_loadcnt 0x0
	v_lshlrev_b32_e32 v1, 24, v1
	s_delay_alu instid0(VALU_DEP_1) | instskip(NEXT) | instid1(VALU_DEP_1)
	v_and_b32_e32 v3, 0x7f000000, v1
	v_clz_i32_u32_e32 v4, v3
	v_cmp_ne_u32_e32 vcc_lo, 0, v3
	v_add_nc_u32_e32 v8, 0x1000000, v3
	s_delay_alu instid0(VALU_DEP_3) | instskip(NEXT) | instid1(VALU_DEP_1)
	v_min_u32_e32 v4, 32, v4
	v_sub_nc_u32_e64 v4, v4, 4 clamp
	s_delay_alu instid0(VALU_DEP_1) | instskip(NEXT) | instid1(VALU_DEP_1)
	v_dual_lshlrev_b32 v5, v4, v3 :: v_dual_lshlrev_b32 v4, 23, v4
	v_lshrrev_b32_e32 v5, 4, v5
	s_delay_alu instid0(VALU_DEP_1) | instskip(SKIP_1) | instid1(VALU_DEP_2)
	v_sub_nc_u32_e32 v4, v5, v4
	v_ashrrev_i32_e32 v5, 8, v8
	v_add_nc_u32_e32 v4, 0x3c000000, v4
	s_delay_alu instid0(VALU_DEP_1) | instskip(NEXT) | instid1(VALU_DEP_1)
	v_and_or_b32 v4, 0x7f800000, v5, v4
	v_cndmask_b32_e32 v3, 0, v4, vcc_lo
	s_delay_alu instid0(VALU_DEP_1) | instskip(NEXT) | instid1(VALU_DEP_1)
	v_and_or_b32 v1, 0x80000000, v1, v3
	v_cvt_i32_f32_e32 v4, v1
.LBB78_2109:
	s_mov_b32 s17, 0
.LBB78_2110:
	s_delay_alu instid0(SALU_CYCLE_1)
	s_and_not1_b32 vcc_lo, exec_lo, s17
	s_cbranch_vccnz .LBB78_2112
; %bb.2111:
	global_load_u8 v1, v[6:7], off
	s_wait_loadcnt 0x0
	v_lshlrev_b32_e32 v3, 25, v1
	v_lshlrev_b16 v1, 8, v1
	s_delay_alu instid0(VALU_DEP_1) | instskip(NEXT) | instid1(VALU_DEP_3)
	v_and_or_b32 v5, 0x7f00, v1, 0.5
	v_lshrrev_b32_e32 v4, 4, v3
	v_bfe_i32 v1, v1, 0, 16
	s_delay_alu instid0(VALU_DEP_3) | instskip(NEXT) | instid1(VALU_DEP_3)
	v_add_f32_e32 v5, -0.5, v5
	v_or_b32_e32 v4, 0x70000000, v4
	s_delay_alu instid0(VALU_DEP_1) | instskip(SKIP_1) | instid1(VALU_DEP_2)
	v_mul_f32_e32 v4, 0x7800000, v4
	v_cmp_gt_u32_e32 vcc_lo, 0x8000000, v3
	v_cndmask_b32_e32 v3, v4, v5, vcc_lo
	s_delay_alu instid0(VALU_DEP_1) | instskip(NEXT) | instid1(VALU_DEP_1)
	v_and_or_b32 v1, 0x80000000, v1, v3
	v_cvt_i32_f32_e32 v4, v1
.LBB78_2112:
	s_mov_b32 s17, 0
	s_mov_b32 s18, -1
.LBB78_2113:
	s_and_not1_b32 vcc_lo, exec_lo, s17
	s_mov_b32 s17, 0
	s_cbranch_vccnz .LBB78_2124
; %bb.2114:
	s_cmp_gt_i32 s13, 14
	s_cbranch_scc0 .LBB78_2117
; %bb.2115:
	s_cmp_eq_u32 s13, 15
	s_cbranch_scc0 .LBB78_2120
; %bb.2116:
	global_load_u16 v1, v[6:7], off
	s_mov_b32 s16, 0
	s_mov_b32 s18, -1
	s_wait_loadcnt 0x0
	v_lshlrev_b32_e32 v1, 16, v1
	s_delay_alu instid0(VALU_DEP_1)
	v_cvt_i32_f32_e32 v4, v1
	s_branch .LBB78_2122
.LBB78_2117:
	s_mov_b32 s17, -1
	s_branch .LBB78_2121
.LBB78_2118:
	s_and_not1_saveexec_b32 s17, s17
	s_cbranch_execz .LBB78_2099
.LBB78_2119:
	v_cmp_ne_u16_e32 vcc_lo, 0, v1
	s_and_not1_b32 s18, s18, exec_lo
	s_and_b32 s19, vcc_lo, exec_lo
	s_delay_alu instid0(SALU_CYCLE_1)
	s_or_b32 s18, s18, s19
	s_or_b32 exec_lo, exec_lo, s17
	v_mov_b32_e32 v4, 0
	s_and_saveexec_b32 s17, s18
	s_cbranch_execnz .LBB78_2100
	s_branch .LBB78_2101
.LBB78_2120:
	s_mov_b32 s16, -1
.LBB78_2121:
                                        ; implicit-def: $vgpr4
.LBB78_2122:
	s_and_b32 vcc_lo, exec_lo, s17
	s_mov_b32 s17, 0
	s_cbranch_vccz .LBB78_2124
; %bb.2123:
	s_cmp_lg_u32 s13, 11
	s_mov_b32 s17, -1
	s_cselect_b32 s16, -1, 0
.LBB78_2124:
	s_delay_alu instid0(SALU_CYCLE_1)
	s_and_b32 vcc_lo, exec_lo, s16
	s_cbranch_vccnz .LBB78_2189
; %bb.2125:
	s_and_not1_b32 vcc_lo, exec_lo, s17
	s_cbranch_vccnz .LBB78_2127
.LBB78_2126:
	global_load_u8 v1, v[6:7], off
	s_mov_b32 s18, -1
	s_wait_loadcnt 0x0
	v_cmp_ne_u16_e32 vcc_lo, 0, v1
	v_cndmask_b32_e64 v4, 0, 1, vcc_lo
.LBB78_2127:
	s_mov_b32 s13, 0
.LBB78_2128:
	s_delay_alu instid0(SALU_CYCLE_1)
	s_and_b32 vcc_lo, exec_lo, s13
	s_cbranch_vccz .LBB78_2177
; %bb.2129:
	s_and_b32 s13, 0xffff, s0
	s_delay_alu instid0(SALU_CYCLE_1)
	s_cmp_lt_i32 s13, 5
	s_cbranch_scc1 .LBB78_2134
; %bb.2130:
	s_cmp_lt_i32 s13, 8
	s_cbranch_scc1 .LBB78_2135
; %bb.2131:
	;; [unrolled: 3-line block ×3, first 2 shown]
	s_cmp_gt_i32 s13, 9
	s_cbranch_scc0 .LBB78_2137
; %bb.2133:
	s_wait_loadcnt 0x0
	global_load_b64 v[4:5], v[6:7], off
	s_mov_b32 s16, 0
	s_wait_loadcnt 0x0
	v_cvt_i32_f64_e32 v4, v[4:5]
	s_branch .LBB78_2138
.LBB78_2134:
	s_mov_b32 s16, -1
                                        ; implicit-def: $vgpr4
	s_branch .LBB78_2156
.LBB78_2135:
	s_mov_b32 s16, -1
                                        ; implicit-def: $vgpr4
	s_branch .LBB78_2144
.LBB78_2136:
	s_mov_b32 s16, -1
                                        ; implicit-def: $vgpr4
	s_branch .LBB78_2141
.LBB78_2137:
	s_mov_b32 s16, -1
                                        ; implicit-def: $vgpr4
.LBB78_2138:
	s_delay_alu instid0(SALU_CYCLE_1)
	s_and_not1_b32 vcc_lo, exec_lo, s16
	s_cbranch_vccnz .LBB78_2140
; %bb.2139:
	global_load_b32 v1, v[6:7], off
	s_wait_loadcnt 0x0
	v_cvt_i32_f32_e32 v4, v1
.LBB78_2140:
	s_mov_b32 s16, 0
.LBB78_2141:
	s_delay_alu instid0(SALU_CYCLE_1)
	s_and_not1_b32 vcc_lo, exec_lo, s16
	s_cbranch_vccnz .LBB78_2143
; %bb.2142:
	global_load_b32 v1, v[6:7], off
	s_wait_loadcnt 0x0
	v_cvt_i16_f16_e32 v4, v1
.LBB78_2143:
	s_mov_b32 s16, 0
.LBB78_2144:
	s_delay_alu instid0(SALU_CYCLE_1)
	s_and_not1_b32 vcc_lo, exec_lo, s16
	s_cbranch_vccnz .LBB78_2155
; %bb.2145:
	s_cmp_lt_i32 s13, 6
	s_cbranch_scc1 .LBB78_2148
; %bb.2146:
	s_cmp_gt_i32 s13, 6
	s_cbranch_scc0 .LBB78_2149
; %bb.2147:
	s_wait_loadcnt 0x0
	global_load_b64 v[4:5], v[6:7], off
	s_mov_b32 s16, 0
	s_wait_loadcnt 0x0
	v_cvt_i32_f64_e32 v4, v[4:5]
	s_branch .LBB78_2150
.LBB78_2148:
	s_mov_b32 s16, -1
                                        ; implicit-def: $vgpr4
	s_branch .LBB78_2153
.LBB78_2149:
	s_mov_b32 s16, -1
                                        ; implicit-def: $vgpr4
.LBB78_2150:
	s_delay_alu instid0(SALU_CYCLE_1)
	s_and_not1_b32 vcc_lo, exec_lo, s16
	s_cbranch_vccnz .LBB78_2152
; %bb.2151:
	global_load_b32 v1, v[6:7], off
	s_wait_loadcnt 0x0
	v_cvt_i32_f32_e32 v4, v1
.LBB78_2152:
	s_mov_b32 s16, 0
.LBB78_2153:
	s_delay_alu instid0(SALU_CYCLE_1)
	s_and_not1_b32 vcc_lo, exec_lo, s16
	s_cbranch_vccnz .LBB78_2155
; %bb.2154:
	global_load_u16 v1, v[6:7], off
	s_wait_loadcnt 0x0
	v_cvt_i16_f16_e32 v4, v1
.LBB78_2155:
	s_mov_b32 s16, 0
.LBB78_2156:
	s_delay_alu instid0(SALU_CYCLE_1)
	s_and_not1_b32 vcc_lo, exec_lo, s16
	s_cbranch_vccnz .LBB78_2176
; %bb.2157:
	s_cmp_lt_i32 s13, 2
	s_cbranch_scc1 .LBB78_2161
; %bb.2158:
	s_cmp_lt_i32 s13, 3
	s_cbranch_scc1 .LBB78_2162
; %bb.2159:
	s_cmp_gt_i32 s13, 3
	s_cbranch_scc0 .LBB78_2163
; %bb.2160:
	s_wait_loadcnt 0x0
	global_load_b64 v[4:5], v[6:7], off
	s_mov_b32 s16, 0
	s_branch .LBB78_2164
.LBB78_2161:
	s_mov_b32 s16, -1
                                        ; implicit-def: $vgpr4
	s_branch .LBB78_2170
.LBB78_2162:
	s_mov_b32 s16, -1
                                        ; implicit-def: $vgpr4
	s_branch .LBB78_2167
.LBB78_2163:
	s_mov_b32 s16, -1
                                        ; implicit-def: $vgpr4
.LBB78_2164:
	s_delay_alu instid0(SALU_CYCLE_1)
	s_and_not1_b32 vcc_lo, exec_lo, s16
	s_cbranch_vccnz .LBB78_2166
; %bb.2165:
	s_wait_loadcnt 0x0
	global_load_b32 v4, v[6:7], off
.LBB78_2166:
	s_mov_b32 s16, 0
.LBB78_2167:
	s_delay_alu instid0(SALU_CYCLE_1)
	s_and_not1_b32 vcc_lo, exec_lo, s16
	s_cbranch_vccnz .LBB78_2169
; %bb.2168:
	s_wait_loadcnt 0x0
	global_load_u16 v4, v[6:7], off
.LBB78_2169:
	s_mov_b32 s16, 0
.LBB78_2170:
	s_delay_alu instid0(SALU_CYCLE_1)
	s_and_not1_b32 vcc_lo, exec_lo, s16
	s_cbranch_vccnz .LBB78_2176
; %bb.2171:
	s_cmp_gt_i32 s13, 0
	s_mov_b32 s13, 0
	s_cbranch_scc0 .LBB78_2173
; %bb.2172:
	s_wait_loadcnt 0x0
	global_load_i8 v4, v[6:7], off
	s_branch .LBB78_2174
.LBB78_2173:
	s_mov_b32 s13, -1
                                        ; implicit-def: $vgpr4
.LBB78_2174:
	s_delay_alu instid0(SALU_CYCLE_1)
	s_and_not1_b32 vcc_lo, exec_lo, s13
	s_cbranch_vccnz .LBB78_2176
; %bb.2175:
	s_wait_loadcnt 0x0
	global_load_u8 v4, v[6:7], off
.LBB78_2176:
	s_mov_b32 s18, -1
.LBB78_2177:
	s_delay_alu instid0(SALU_CYCLE_1)
	s_and_not1_b32 vcc_lo, exec_lo, s18
	s_cbranch_vccnz .LBB78_2651
; %bb.2178:
	v_add_nc_u32_e32 v2, s10, v2
	s_cmp_lt_i32 s1, 11
	s_delay_alu instid0(VALU_DEP_1) | instskip(SKIP_1) | instid1(VALU_DEP_1)
	v_ashrrev_i32_e32 v3, 31, v2
	s_wait_xcnt 0x0
	v_add_nc_u64_e32 v[6:7], s[2:3], v[2:3]
	s_cbranch_scc1 .LBB78_2185
; %bb.2179:
	s_and_b32 s13, 0xffff, s1
	s_mov_b32 s17, 0
	s_cmp_gt_i32 s13, 25
	s_cbranch_scc0 .LBB78_2186
; %bb.2180:
	s_cmp_gt_i32 s13, 28
	s_cbranch_scc0 .LBB78_2187
; %bb.2181:
	;; [unrolled: 3-line block ×4, first 2 shown]
	s_cmp_eq_u32 s13, 46
	s_mov_b32 s19, 0
	s_cbranch_scc0 .LBB78_2193
; %bb.2184:
	global_load_b32 v1, v[6:7], off
	s_mov_b32 s16, 0
	s_mov_b32 s18, -1
	s_wait_loadcnt 0x0
	v_lshlrev_b32_e32 v1, 16, v1
	s_delay_alu instid0(VALU_DEP_1)
	v_cvt_i32_f32_e32 v8, v1
	s_branch .LBB78_2195
.LBB78_2185:
	s_mov_b32 s13, -1
	s_mov_b32 s18, 0
                                        ; implicit-def: $vgpr8
	s_branch .LBB78_2257
.LBB78_2186:
	s_mov_b32 s19, -1
	s_mov_b32 s18, 0
	s_mov_b32 s16, 0
                                        ; implicit-def: $vgpr8
	s_branch .LBB78_2222
.LBB78_2187:
	s_mov_b32 s19, -1
	s_mov_b32 s18, 0
	s_mov_b32 s16, 0
                                        ; implicit-def: $vgpr8
	s_branch .LBB78_2205
.LBB78_2188:
	s_mov_b32 s19, -1
	s_mov_b32 s18, 0
	s_mov_b32 s16, 0
                                        ; implicit-def: $vgpr8
	s_branch .LBB78_2200
.LBB78_2189:
	s_or_b32 s12, s12, exec_lo
	s_trap 2
	s_cbranch_execz .LBB78_2126
	s_branch .LBB78_2127
.LBB78_2190:
	s_mov_b32 s19, -1
	s_mov_b32 s18, 0
	s_mov_b32 s16, 0
	s_branch .LBB78_2194
.LBB78_2191:
	s_and_not1_saveexec_b32 s31, s31
	s_cbranch_execz .LBB78_1081
.LBB78_2192:
	v_add_f32_e64 v3, 0x42800000, |v2|
	s_and_not1_b32 s30, s30, exec_lo
	s_delay_alu instid0(VALU_DEP_1) | instskip(NEXT) | instid1(VALU_DEP_1)
	v_and_b32_e32 v3, 0xff, v3
	v_cmp_ne_u32_e32 vcc_lo, 0, v3
	s_and_b32 s33, vcc_lo, exec_lo
	s_delay_alu instid0(SALU_CYCLE_1)
	s_or_b32 s30, s30, s33
	s_or_b32 exec_lo, exec_lo, s31
	v_mov_b32_e32 v4, 0
	s_and_saveexec_b32 s31, s30
	s_cbranch_execnz .LBB78_1082
	s_branch .LBB78_1083
.LBB78_2193:
	s_mov_b32 s16, -1
	s_mov_b32 s18, 0
.LBB78_2194:
                                        ; implicit-def: $vgpr8
.LBB78_2195:
	s_and_b32 vcc_lo, exec_lo, s19
	s_cbranch_vccz .LBB78_2199
; %bb.2196:
	s_cmp_eq_u32 s13, 44
	s_cbranch_scc0 .LBB78_2198
; %bb.2197:
	global_load_u8 v1, v[6:7], off
	s_mov_b32 s16, 0
	s_mov_b32 s18, -1
	s_wait_loadcnt 0x0
	v_lshlrev_b32_e32 v3, 23, v1
	v_cmp_ne_u32_e32 vcc_lo, 0, v1
	s_delay_alu instid0(VALU_DEP_2) | instskip(NEXT) | instid1(VALU_DEP_1)
	v_cvt_i32_f32_e32 v3, v3
	v_cndmask_b32_e32 v8, 0, v3, vcc_lo
	s_branch .LBB78_2199
.LBB78_2198:
	s_mov_b32 s16, -1
                                        ; implicit-def: $vgpr8
.LBB78_2199:
	s_mov_b32 s19, 0
.LBB78_2200:
	s_delay_alu instid0(SALU_CYCLE_1)
	s_and_b32 vcc_lo, exec_lo, s19
	s_cbranch_vccz .LBB78_2204
; %bb.2201:
	s_cmp_eq_u32 s13, 29
	s_cbranch_scc0 .LBB78_2203
; %bb.2202:
	global_load_b64 v[8:9], v[6:7], off
	s_mov_b32 s16, 0
	s_mov_b32 s18, -1
	s_branch .LBB78_2204
.LBB78_2203:
	s_mov_b32 s16, -1
                                        ; implicit-def: $vgpr8
.LBB78_2204:
	s_mov_b32 s19, 0
.LBB78_2205:
	s_delay_alu instid0(SALU_CYCLE_1)
	s_and_b32 vcc_lo, exec_lo, s19
	s_cbranch_vccz .LBB78_2221
; %bb.2206:
	s_cmp_lt_i32 s13, 27
	s_cbranch_scc1 .LBB78_2209
; %bb.2207:
	s_cmp_gt_i32 s13, 27
	s_cbranch_scc0 .LBB78_2210
; %bb.2208:
	s_wait_loadcnt 0x0
	global_load_b32 v8, v[6:7], off
	s_mov_b32 s18, 0
	s_branch .LBB78_2211
.LBB78_2209:
	s_mov_b32 s18, -1
                                        ; implicit-def: $vgpr8
	s_branch .LBB78_2214
.LBB78_2210:
	s_mov_b32 s18, -1
                                        ; implicit-def: $vgpr8
.LBB78_2211:
	s_delay_alu instid0(SALU_CYCLE_1)
	s_and_not1_b32 vcc_lo, exec_lo, s18
	s_cbranch_vccnz .LBB78_2213
; %bb.2212:
	s_wait_loadcnt 0x0
	global_load_u16 v8, v[6:7], off
.LBB78_2213:
	s_mov_b32 s18, 0
.LBB78_2214:
	s_delay_alu instid0(SALU_CYCLE_1)
	s_and_not1_b32 vcc_lo, exec_lo, s18
	s_cbranch_vccnz .LBB78_2220
; %bb.2215:
	global_load_u8 v1, v[6:7], off
	s_mov_b32 s19, 0
	s_mov_b32 s18, exec_lo
	s_wait_loadcnt 0x0
	v_cmpx_lt_i16_e32 0x7f, v1
	s_xor_b32 s18, exec_lo, s18
	s_cbranch_execz .LBB78_2232
; %bb.2216:
	v_cmp_ne_u16_e32 vcc_lo, 0x80, v1
	s_and_b32 s19, vcc_lo, exec_lo
	s_and_not1_saveexec_b32 s18, s18
	s_cbranch_execnz .LBB78_2233
.LBB78_2217:
	s_or_b32 exec_lo, exec_lo, s18
	v_mov_b32_e32 v8, 0
	s_and_saveexec_b32 s18, s19
	s_cbranch_execz .LBB78_2219
.LBB78_2218:
	v_and_b32_e32 v3, 0xffff, v1
	s_delay_alu instid0(VALU_DEP_1) | instskip(SKIP_1) | instid1(VALU_DEP_2)
	v_and_b32_e32 v5, 7, v3
	v_bfe_u32 v13, v3, 3, 4
	v_clz_i32_u32_e32 v8, v5
	s_delay_alu instid0(VALU_DEP_2) | instskip(NEXT) | instid1(VALU_DEP_2)
	v_cmp_eq_u32_e32 vcc_lo, 0, v13
	v_min_u32_e32 v8, 32, v8
	s_delay_alu instid0(VALU_DEP_1) | instskip(NEXT) | instid1(VALU_DEP_1)
	v_subrev_nc_u32_e32 v9, 28, v8
	v_dual_lshlrev_b32 v3, v9, v3 :: v_dual_sub_nc_u32 v8, 29, v8
	s_delay_alu instid0(VALU_DEP_1) | instskip(NEXT) | instid1(VALU_DEP_2)
	v_dual_lshlrev_b32 v1, 24, v1 :: v_dual_bitop2_b32 v3, 7, v3 bitop3:0x40
	v_cndmask_b32_e32 v8, v13, v8, vcc_lo
	s_delay_alu instid0(VALU_DEP_2) | instskip(NEXT) | instid1(VALU_DEP_3)
	v_cndmask_b32_e32 v3, v5, v3, vcc_lo
	v_and_b32_e32 v1, 0x80000000, v1
	s_delay_alu instid0(VALU_DEP_3) | instskip(NEXT) | instid1(VALU_DEP_3)
	v_lshl_add_u32 v5, v8, 23, 0x3b800000
	v_lshlrev_b32_e32 v3, 20, v3
	s_delay_alu instid0(VALU_DEP_1) | instskip(NEXT) | instid1(VALU_DEP_1)
	v_or3_b32 v1, v1, v5, v3
	v_cvt_i32_f32_e32 v8, v1
.LBB78_2219:
	s_or_b32 exec_lo, exec_lo, s18
.LBB78_2220:
	s_mov_b32 s18, -1
.LBB78_2221:
	s_mov_b32 s19, 0
.LBB78_2222:
	s_delay_alu instid0(SALU_CYCLE_1)
	s_and_b32 vcc_lo, exec_lo, s19
	s_cbranch_vccz .LBB78_2253
; %bb.2223:
	s_cmp_gt_i32 s13, 22
	s_cbranch_scc0 .LBB78_2231
; %bb.2224:
	s_cmp_lt_i32 s13, 24
	s_cbranch_scc1 .LBB78_2234
; %bb.2225:
	s_cmp_gt_i32 s13, 24
	s_cbranch_scc0 .LBB78_2235
; %bb.2226:
	global_load_u8 v1, v[6:7], off
	s_mov_b32 s18, 0
	s_mov_b32 s17, exec_lo
	s_wait_loadcnt 0x0
	v_cmpx_lt_i16_e32 0x7f, v1
	s_xor_b32 s17, exec_lo, s17
	s_cbranch_execz .LBB78_2247
; %bb.2227:
	v_cmp_ne_u16_e32 vcc_lo, 0x80, v1
	s_and_b32 s18, vcc_lo, exec_lo
	s_and_not1_saveexec_b32 s17, s17
	s_cbranch_execnz .LBB78_2248
.LBB78_2228:
	s_or_b32 exec_lo, exec_lo, s17
	v_mov_b32_e32 v8, 0
	s_and_saveexec_b32 s17, s18
	s_cbranch_execz .LBB78_2230
.LBB78_2229:
	v_and_b32_e32 v3, 0xffff, v1
	s_delay_alu instid0(VALU_DEP_1) | instskip(SKIP_1) | instid1(VALU_DEP_2)
	v_and_b32_e32 v5, 3, v3
	v_bfe_u32 v13, v3, 2, 5
	v_clz_i32_u32_e32 v8, v5
	s_delay_alu instid0(VALU_DEP_2) | instskip(NEXT) | instid1(VALU_DEP_2)
	v_cmp_eq_u32_e32 vcc_lo, 0, v13
	v_min_u32_e32 v8, 32, v8
	s_delay_alu instid0(VALU_DEP_1) | instskip(NEXT) | instid1(VALU_DEP_1)
	v_subrev_nc_u32_e32 v9, 29, v8
	v_dual_lshlrev_b32 v3, v9, v3 :: v_dual_sub_nc_u32 v8, 30, v8
	s_delay_alu instid0(VALU_DEP_1) | instskip(NEXT) | instid1(VALU_DEP_2)
	v_dual_lshlrev_b32 v1, 24, v1 :: v_dual_bitop2_b32 v3, 3, v3 bitop3:0x40
	v_cndmask_b32_e32 v8, v13, v8, vcc_lo
	s_delay_alu instid0(VALU_DEP_2) | instskip(NEXT) | instid1(VALU_DEP_3)
	v_cndmask_b32_e32 v3, v5, v3, vcc_lo
	v_and_b32_e32 v1, 0x80000000, v1
	s_delay_alu instid0(VALU_DEP_3) | instskip(NEXT) | instid1(VALU_DEP_3)
	v_lshl_add_u32 v5, v8, 23, 0x37800000
	v_lshlrev_b32_e32 v3, 21, v3
	s_delay_alu instid0(VALU_DEP_1) | instskip(NEXT) | instid1(VALU_DEP_1)
	v_or3_b32 v1, v1, v5, v3
	v_cvt_i32_f32_e32 v8, v1
.LBB78_2230:
	s_or_b32 exec_lo, exec_lo, s17
	s_mov_b32 s17, 0
	s_branch .LBB78_2236
.LBB78_2231:
	s_mov_b32 s17, -1
                                        ; implicit-def: $vgpr8
	s_branch .LBB78_2242
.LBB78_2232:
	s_and_not1_saveexec_b32 s18, s18
	s_cbranch_execz .LBB78_2217
.LBB78_2233:
	v_cmp_ne_u16_e32 vcc_lo, 0, v1
	s_and_not1_b32 s19, s19, exec_lo
	s_and_b32 s20, vcc_lo, exec_lo
	s_delay_alu instid0(SALU_CYCLE_1)
	s_or_b32 s19, s19, s20
	s_or_b32 exec_lo, exec_lo, s18
	v_mov_b32_e32 v8, 0
	s_and_saveexec_b32 s18, s19
	s_cbranch_execnz .LBB78_2218
	s_branch .LBB78_2219
.LBB78_2234:
	s_mov_b32 s17, -1
                                        ; implicit-def: $vgpr8
	s_branch .LBB78_2239
.LBB78_2235:
	s_mov_b32 s17, -1
                                        ; implicit-def: $vgpr8
.LBB78_2236:
	s_delay_alu instid0(SALU_CYCLE_1)
	s_and_b32 vcc_lo, exec_lo, s17
	s_cbranch_vccz .LBB78_2238
; %bb.2237:
	global_load_u8 v1, v[6:7], off
	s_wait_loadcnt 0x0
	v_lshlrev_b32_e32 v1, 24, v1
	s_delay_alu instid0(VALU_DEP_1) | instskip(NEXT) | instid1(VALU_DEP_1)
	v_and_b32_e32 v3, 0x7f000000, v1
	v_clz_i32_u32_e32 v5, v3
	v_add_nc_u32_e32 v9, 0x1000000, v3
	v_cmp_ne_u32_e32 vcc_lo, 0, v3
	s_delay_alu instid0(VALU_DEP_3) | instskip(NEXT) | instid1(VALU_DEP_1)
	v_min_u32_e32 v5, 32, v5
	v_sub_nc_u32_e64 v5, v5, 4 clamp
	s_delay_alu instid0(VALU_DEP_1) | instskip(NEXT) | instid1(VALU_DEP_1)
	v_dual_lshlrev_b32 v8, v5, v3 :: v_dual_lshlrev_b32 v5, 23, v5
	v_lshrrev_b32_e32 v8, 4, v8
	s_delay_alu instid0(VALU_DEP_1) | instskip(SKIP_1) | instid1(VALU_DEP_2)
	v_sub_nc_u32_e32 v5, v8, v5
	v_ashrrev_i32_e32 v8, 8, v9
	v_add_nc_u32_e32 v5, 0x3c000000, v5
	s_delay_alu instid0(VALU_DEP_1) | instskip(NEXT) | instid1(VALU_DEP_1)
	v_and_or_b32 v5, 0x7f800000, v8, v5
	v_cndmask_b32_e32 v3, 0, v5, vcc_lo
	s_delay_alu instid0(VALU_DEP_1) | instskip(NEXT) | instid1(VALU_DEP_1)
	v_and_or_b32 v1, 0x80000000, v1, v3
	v_cvt_i32_f32_e32 v8, v1
.LBB78_2238:
	s_mov_b32 s17, 0
.LBB78_2239:
	s_delay_alu instid0(SALU_CYCLE_1)
	s_and_not1_b32 vcc_lo, exec_lo, s17
	s_cbranch_vccnz .LBB78_2241
; %bb.2240:
	global_load_u8 v1, v[6:7], off
	s_wait_loadcnt 0x0
	v_lshlrev_b32_e32 v3, 25, v1
	v_lshlrev_b16 v1, 8, v1
	s_delay_alu instid0(VALU_DEP_1) | instskip(SKIP_1) | instid1(VALU_DEP_2)
	v_and_or_b32 v8, 0x7f00, v1, 0.5
	v_bfe_i32 v1, v1, 0, 16
	v_dual_add_f32 v8, -0.5, v8 :: v_dual_lshrrev_b32 v5, 4, v3
	v_cmp_gt_u32_e32 vcc_lo, 0x8000000, v3
	s_delay_alu instid0(VALU_DEP_2) | instskip(NEXT) | instid1(VALU_DEP_1)
	v_or_b32_e32 v5, 0x70000000, v5
	v_mul_f32_e32 v5, 0x7800000, v5
	s_delay_alu instid0(VALU_DEP_1) | instskip(NEXT) | instid1(VALU_DEP_1)
	v_cndmask_b32_e32 v3, v5, v8, vcc_lo
	v_and_or_b32 v1, 0x80000000, v1, v3
	s_delay_alu instid0(VALU_DEP_1)
	v_cvt_i32_f32_e32 v8, v1
.LBB78_2241:
	s_mov_b32 s17, 0
	s_mov_b32 s18, -1
.LBB78_2242:
	s_and_not1_b32 vcc_lo, exec_lo, s17
	s_mov_b32 s17, 0
	s_cbranch_vccnz .LBB78_2253
; %bb.2243:
	s_cmp_gt_i32 s13, 14
	s_cbranch_scc0 .LBB78_2246
; %bb.2244:
	s_cmp_eq_u32 s13, 15
	s_cbranch_scc0 .LBB78_2249
; %bb.2245:
	global_load_u16 v1, v[6:7], off
	s_mov_b32 s16, 0
	s_mov_b32 s18, -1
	s_wait_loadcnt 0x0
	v_lshlrev_b32_e32 v1, 16, v1
	s_delay_alu instid0(VALU_DEP_1)
	v_cvt_i32_f32_e32 v8, v1
	s_branch .LBB78_2251
.LBB78_2246:
	s_mov_b32 s17, -1
	s_branch .LBB78_2250
.LBB78_2247:
	s_and_not1_saveexec_b32 s17, s17
	s_cbranch_execz .LBB78_2228
.LBB78_2248:
	v_cmp_ne_u16_e32 vcc_lo, 0, v1
	s_and_not1_b32 s18, s18, exec_lo
	s_and_b32 s19, vcc_lo, exec_lo
	s_delay_alu instid0(SALU_CYCLE_1)
	s_or_b32 s18, s18, s19
	s_or_b32 exec_lo, exec_lo, s17
	v_mov_b32_e32 v8, 0
	s_and_saveexec_b32 s17, s18
	s_cbranch_execnz .LBB78_2229
	s_branch .LBB78_2230
.LBB78_2249:
	s_mov_b32 s16, -1
.LBB78_2250:
                                        ; implicit-def: $vgpr8
.LBB78_2251:
	s_and_b32 vcc_lo, exec_lo, s17
	s_mov_b32 s17, 0
	s_cbranch_vccz .LBB78_2253
; %bb.2252:
	s_cmp_lg_u32 s13, 11
	s_mov_b32 s17, -1
	s_cselect_b32 s16, -1, 0
.LBB78_2253:
	s_delay_alu instid0(SALU_CYCLE_1)
	s_and_b32 vcc_lo, exec_lo, s16
	s_cbranch_vccnz .LBB78_2324
; %bb.2254:
	s_and_not1_b32 vcc_lo, exec_lo, s17
	s_cbranch_vccnz .LBB78_2256
.LBB78_2255:
	global_load_u8 v1, v[6:7], off
	s_mov_b32 s18, -1
	s_wait_loadcnt 0x0
	v_cmp_ne_u16_e32 vcc_lo, 0, v1
	v_cndmask_b32_e64 v8, 0, 1, vcc_lo
.LBB78_2256:
	s_mov_b32 s13, 0
.LBB78_2257:
	s_delay_alu instid0(SALU_CYCLE_1)
	s_and_b32 vcc_lo, exec_lo, s13
	s_cbranch_vccz .LBB78_2306
; %bb.2258:
	s_and_b32 s13, 0xffff, s1
	s_delay_alu instid0(SALU_CYCLE_1)
	s_cmp_lt_i32 s13, 5
	s_cbranch_scc1 .LBB78_2263
; %bb.2259:
	s_cmp_lt_i32 s13, 8
	s_cbranch_scc1 .LBB78_2264
; %bb.2260:
	;; [unrolled: 3-line block ×3, first 2 shown]
	s_cmp_gt_i32 s13, 9
	s_cbranch_scc0 .LBB78_2266
; %bb.2262:
	s_wait_loadcnt 0x0
	global_load_b64 v[8:9], v[6:7], off
	s_mov_b32 s16, 0
	s_wait_loadcnt 0x0
	v_cvt_i32_f64_e32 v8, v[8:9]
	s_branch .LBB78_2267
.LBB78_2263:
	s_mov_b32 s16, -1
                                        ; implicit-def: $vgpr8
	s_branch .LBB78_2285
.LBB78_2264:
	s_mov_b32 s16, -1
                                        ; implicit-def: $vgpr8
	s_branch .LBB78_2273
.LBB78_2265:
	s_mov_b32 s16, -1
                                        ; implicit-def: $vgpr8
	s_branch .LBB78_2270
.LBB78_2266:
	s_mov_b32 s16, -1
                                        ; implicit-def: $vgpr8
.LBB78_2267:
	s_delay_alu instid0(SALU_CYCLE_1)
	s_and_not1_b32 vcc_lo, exec_lo, s16
	s_cbranch_vccnz .LBB78_2269
; %bb.2268:
	global_load_b32 v1, v[6:7], off
	s_wait_loadcnt 0x0
	v_cvt_i32_f32_e32 v8, v1
.LBB78_2269:
	s_mov_b32 s16, 0
.LBB78_2270:
	s_delay_alu instid0(SALU_CYCLE_1)
	s_and_not1_b32 vcc_lo, exec_lo, s16
	s_cbranch_vccnz .LBB78_2272
; %bb.2271:
	global_load_b32 v1, v[6:7], off
	s_wait_loadcnt 0x0
	v_cvt_i16_f16_e32 v8, v1
.LBB78_2272:
	s_mov_b32 s16, 0
.LBB78_2273:
	s_delay_alu instid0(SALU_CYCLE_1)
	s_and_not1_b32 vcc_lo, exec_lo, s16
	s_cbranch_vccnz .LBB78_2284
; %bb.2274:
	s_cmp_lt_i32 s13, 6
	s_cbranch_scc1 .LBB78_2277
; %bb.2275:
	s_cmp_gt_i32 s13, 6
	s_cbranch_scc0 .LBB78_2278
; %bb.2276:
	s_wait_loadcnt 0x0
	global_load_b64 v[8:9], v[6:7], off
	s_mov_b32 s16, 0
	s_wait_loadcnt 0x0
	v_cvt_i32_f64_e32 v8, v[8:9]
	s_branch .LBB78_2279
.LBB78_2277:
	s_mov_b32 s16, -1
                                        ; implicit-def: $vgpr8
	s_branch .LBB78_2282
.LBB78_2278:
	s_mov_b32 s16, -1
                                        ; implicit-def: $vgpr8
.LBB78_2279:
	s_delay_alu instid0(SALU_CYCLE_1)
	s_and_not1_b32 vcc_lo, exec_lo, s16
	s_cbranch_vccnz .LBB78_2281
; %bb.2280:
	global_load_b32 v1, v[6:7], off
	s_wait_loadcnt 0x0
	v_cvt_i32_f32_e32 v8, v1
.LBB78_2281:
	s_mov_b32 s16, 0
.LBB78_2282:
	s_delay_alu instid0(SALU_CYCLE_1)
	s_and_not1_b32 vcc_lo, exec_lo, s16
	s_cbranch_vccnz .LBB78_2284
; %bb.2283:
	global_load_u16 v1, v[6:7], off
	s_wait_loadcnt 0x0
	v_cvt_i16_f16_e32 v8, v1
.LBB78_2284:
	s_mov_b32 s16, 0
.LBB78_2285:
	s_delay_alu instid0(SALU_CYCLE_1)
	s_and_not1_b32 vcc_lo, exec_lo, s16
	s_cbranch_vccnz .LBB78_2305
; %bb.2286:
	s_cmp_lt_i32 s13, 2
	s_cbranch_scc1 .LBB78_2290
; %bb.2287:
	s_cmp_lt_i32 s13, 3
	s_cbranch_scc1 .LBB78_2291
; %bb.2288:
	s_cmp_gt_i32 s13, 3
	s_cbranch_scc0 .LBB78_2292
; %bb.2289:
	s_wait_loadcnt 0x0
	global_load_b64 v[8:9], v[6:7], off
	s_mov_b32 s16, 0
	s_branch .LBB78_2293
.LBB78_2290:
	s_mov_b32 s16, -1
                                        ; implicit-def: $vgpr8
	s_branch .LBB78_2299
.LBB78_2291:
	s_mov_b32 s16, -1
                                        ; implicit-def: $vgpr8
	s_branch .LBB78_2296
.LBB78_2292:
	s_mov_b32 s16, -1
                                        ; implicit-def: $vgpr8
.LBB78_2293:
	s_delay_alu instid0(SALU_CYCLE_1)
	s_and_not1_b32 vcc_lo, exec_lo, s16
	s_cbranch_vccnz .LBB78_2295
; %bb.2294:
	s_wait_loadcnt 0x0
	global_load_b32 v8, v[6:7], off
.LBB78_2295:
	s_mov_b32 s16, 0
.LBB78_2296:
	s_delay_alu instid0(SALU_CYCLE_1)
	s_and_not1_b32 vcc_lo, exec_lo, s16
	s_cbranch_vccnz .LBB78_2298
; %bb.2297:
	s_wait_loadcnt 0x0
	global_load_u16 v8, v[6:7], off
.LBB78_2298:
	s_mov_b32 s16, 0
.LBB78_2299:
	s_delay_alu instid0(SALU_CYCLE_1)
	s_and_not1_b32 vcc_lo, exec_lo, s16
	s_cbranch_vccnz .LBB78_2305
; %bb.2300:
	s_cmp_gt_i32 s13, 0
	s_mov_b32 s13, 0
	s_cbranch_scc0 .LBB78_2302
; %bb.2301:
	s_wait_loadcnt 0x0
	global_load_i8 v8, v[6:7], off
	s_branch .LBB78_2303
.LBB78_2302:
	s_mov_b32 s13, -1
                                        ; implicit-def: $vgpr8
.LBB78_2303:
	s_delay_alu instid0(SALU_CYCLE_1)
	s_and_not1_b32 vcc_lo, exec_lo, s13
	s_cbranch_vccnz .LBB78_2305
; %bb.2304:
	s_wait_loadcnt 0x0
	global_load_u8 v8, v[6:7], off
.LBB78_2305:
	s_mov_b32 s18, -1
.LBB78_2306:
	s_delay_alu instid0(SALU_CYCLE_1)
	s_and_not1_b32 vcc_lo, exec_lo, s18
	s_cbranch_vccnz .LBB78_2651
; %bb.2307:
	s_wait_loadcnt 0x0
	s_delay_alu instid0(VALU_DEP_1) | instskip(SKIP_2) | instid1(VALU_DEP_1)
	v_sub_nc_u16 v1, 0, v8
	s_mov_b32 s16, 0
	s_mov_b32 s13, exec_lo
	v_max_i16 v1, v8, v1
	s_wait_xcnt 0x0
	v_cmpx_ne_u16_e32 0, v4
	s_cbranch_execz .LBB78_2311
; %bb.2308:
	v_sub_nc_u16 v3, 0, v4
	s_delay_alu instid0(VALU_DEP_1) | instskip(SKIP_1) | instid1(VALU_DEP_2)
	v_max_i16 v5, v4, v3
	v_and_b32_e32 v3, 0xffff, v1
	v_and_b32_e32 v5, 0xffff, v5
.LBB78_2309:                            ; =>This Inner Loop Header: Depth=1
	s_delay_alu instid0(VALU_DEP_1) | instskip(NEXT) | instid1(VALU_DEP_2)
	v_bfe_i32 v7, v3, 0, 16
	v_mov_b32_e32 v1, v5
	s_delay_alu instid0(VALU_DEP_2) | instskip(NEXT) | instid1(VALU_DEP_2)
	v_cvt_f32_i32_e32 v13, v7
	v_bfe_i32 v5, v1, 0, 16
	s_delay_alu instid0(VALU_DEP_1) | instskip(SKIP_1) | instid1(VALU_DEP_2)
	v_cvt_f32_i32_e32 v6, v5
	v_xor_b32_e32 v5, v7, v5
	v_rcp_iflag_f32_e32 v9, v6
	v_nop
	s_delay_alu instid0(TRANS32_DEP_1) | instskip(NEXT) | instid1(VALU_DEP_1)
	v_mul_f32_e32 v7, v13, v9
	v_trunc_f32_e32 v7, v7
	s_delay_alu instid0(VALU_DEP_1) | instskip(NEXT) | instid1(VALU_DEP_1)
	v_dual_ashrrev_i32 v5, 30, v5 :: v_dual_fma_f32 v9, -v7, v6, v13
	v_or_b32_e32 v5, 1, v5
	v_cvt_i32_f32_e32 v7, v7
	s_delay_alu instid0(VALU_DEP_3) | instskip(NEXT) | instid1(VALU_DEP_3)
	v_cmp_ge_f32_e64 vcc_lo, |v9|, |v6|
	v_cndmask_b32_e32 v5, 0, v5, vcc_lo
	s_delay_alu instid0(VALU_DEP_1) | instskip(NEXT) | instid1(VALU_DEP_1)
	v_add_nc_u32_e32 v5, v7, v5
	v_mul_lo_u32 v5, v5, v1
	s_delay_alu instid0(VALU_DEP_1) | instskip(NEXT) | instid1(VALU_DEP_1)
	v_sub_nc_u32_e32 v5, v3, v5
	v_and_b32_e32 v3, 0xffff, v5
	v_bfe_i32 v5, v5, 0, 16
	s_delay_alu instid0(VALU_DEP_2) | instskip(SKIP_2) | instid1(SALU_CYCLE_1)
	v_cmp_eq_u32_e32 vcc_lo, 0, v3
	v_mov_b32_e32 v3, v1
	s_or_b32 s16, vcc_lo, s16
	s_and_not1_b32 exec_lo, exec_lo, s16
	s_cbranch_execnz .LBB78_2309
; %bb.2310:
	s_or_b32 exec_lo, exec_lo, s16
.LBB78_2311:
	s_delay_alu instid0(SALU_CYCLE_1)
	s_or_b32 exec_lo, exec_lo, s13
	v_mov_b32_e32 v6, 0
	s_mov_b32 s13, exec_lo
	v_cmpx_ne_u16_e32 0, v1
	s_cbranch_execz .LBB78_2313
; %bb.2312:
	v_bfe_i32 v1, v1, 0, 16
	v_bfe_i32 v4, v4, 0, 16
	s_delay_alu instid0(VALU_DEP_2) | instskip(NEXT) | instid1(VALU_DEP_2)
	v_cvt_f32_i32_e32 v3, v1
	v_cvt_f32_i32_e32 v6, v4
	v_xor_b32_e32 v1, v4, v1
	s_delay_alu instid0(VALU_DEP_3) | instskip(SKIP_1) | instid1(TRANS32_DEP_1)
	v_rcp_iflag_f32_e32 v5, v3
	v_nop
	v_mul_f32_e32 v5, v6, v5
	s_delay_alu instid0(VALU_DEP_1) | instskip(NEXT) | instid1(VALU_DEP_1)
	v_trunc_f32_e32 v4, v5
	v_dual_fma_f32 v5, -v4, v3, v6 :: v_dual_ashrrev_i32 v1, 30, v1
	v_cvt_i32_f32_e32 v4, v4
	s_delay_alu instid0(VALU_DEP_2) | instskip(NEXT) | instid1(VALU_DEP_3)
	v_cmp_ge_f32_e64 vcc_lo, |v5|, |v3|
	v_or_b32_e32 v1, 1, v1
	v_bfe_i32 v3, v8, 0, 16
	s_delay_alu instid0(VALU_DEP_2) | instskip(NEXT) | instid1(VALU_DEP_1)
	v_cndmask_b32_e32 v1, 0, v1, vcc_lo
	v_add_nc_u32_e32 v1, v4, v1
	s_delay_alu instid0(VALU_DEP_1) | instskip(NEXT) | instid1(VALU_DEP_1)
	v_bfe_i32 v1, v1, 0, 16
	v_mul_i32_i24_e32 v1, v1, v3
	s_delay_alu instid0(VALU_DEP_1) | instskip(NEXT) | instid1(VALU_DEP_1)
	v_sub_nc_u32_e32 v3, 0, v1
	v_max_i32_e32 v6, v1, v3
.LBB78_2313:
	s_or_b32 exec_lo, exec_lo, s13
	v_add_nc_u32_e32 v0, s9, v0
	s_cmp_lt_i32 s0, 11
	s_delay_alu instid0(VALU_DEP_1) | instskip(NEXT) | instid1(VALU_DEP_1)
	v_ashrrev_i32_e32 v1, 31, v0
	v_add_nc_u64_e32 v[4:5], s[6:7], v[0:1]
	s_cbranch_scc1 .LBB78_2320
; %bb.2314:
	s_and_b32 s6, 0xffff, s0
	s_mov_b32 s9, 0
	s_cmp_gt_i32 s6, 25
	s_cbranch_scc0 .LBB78_2321
; %bb.2315:
	s_cmp_gt_i32 s6, 28
	s_cbranch_scc0 .LBB78_2322
; %bb.2316:
	;; [unrolled: 3-line block ×4, first 2 shown]
	s_cmp_eq_u32 s6, 46
	s_mov_b32 s16, 0
	s_cbranch_scc0 .LBB78_2326
; %bb.2319:
	global_load_b32 v0, v[4:5], off
	s_mov_b32 s7, 0
	s_mov_b32 s13, -1
	s_wait_loadcnt 0x0
	v_lshlrev_b32_e32 v0, 16, v0
	s_delay_alu instid0(VALU_DEP_1)
	v_cvt_i32_f32_e32 v0, v0
	s_branch .LBB78_2328
.LBB78_2320:
	s_mov_b32 s6, -1
	s_mov_b32 s13, 0
                                        ; implicit-def: $vgpr0
	s_branch .LBB78_2390
.LBB78_2321:
	s_mov_b32 s16, -1
	s_mov_b32 s13, 0
	s_mov_b32 s7, 0
                                        ; implicit-def: $vgpr0
	s_branch .LBB78_2355
.LBB78_2322:
	s_mov_b32 s16, -1
	s_mov_b32 s13, 0
	s_mov_b32 s7, 0
                                        ; implicit-def: $vgpr0
	s_branch .LBB78_2338
.LBB78_2323:
	s_mov_b32 s16, -1
	s_mov_b32 s13, 0
	s_mov_b32 s7, 0
                                        ; implicit-def: $vgpr0
	s_branch .LBB78_2333
.LBB78_2324:
	s_or_b32 s12, s12, exec_lo
	s_trap 2
	s_cbranch_execz .LBB78_2255
	s_branch .LBB78_2256
.LBB78_2325:
	s_mov_b32 s16, -1
	s_mov_b32 s13, 0
	s_mov_b32 s7, 0
	s_branch .LBB78_2327
.LBB78_2326:
	s_mov_b32 s7, -1
	s_mov_b32 s13, 0
.LBB78_2327:
                                        ; implicit-def: $vgpr0
.LBB78_2328:
	s_and_b32 vcc_lo, exec_lo, s16
	s_cbranch_vccz .LBB78_2332
; %bb.2329:
	s_cmp_eq_u32 s6, 44
	s_cbranch_scc0 .LBB78_2331
; %bb.2330:
	global_load_u8 v0, v[4:5], off
	s_mov_b32 s7, 0
	s_mov_b32 s13, -1
	s_wait_loadcnt 0x0
	v_lshlrev_b32_e32 v1, 23, v0
	v_cmp_ne_u32_e32 vcc_lo, 0, v0
	s_delay_alu instid0(VALU_DEP_2) | instskip(NEXT) | instid1(VALU_DEP_1)
	v_cvt_i32_f32_e32 v1, v1
	v_cndmask_b32_e32 v0, 0, v1, vcc_lo
	s_branch .LBB78_2332
.LBB78_2331:
	s_mov_b32 s7, -1
                                        ; implicit-def: $vgpr0
.LBB78_2332:
	s_mov_b32 s16, 0
.LBB78_2333:
	s_delay_alu instid0(SALU_CYCLE_1)
	s_and_b32 vcc_lo, exec_lo, s16
	s_cbranch_vccz .LBB78_2337
; %bb.2334:
	s_cmp_eq_u32 s6, 29
	s_cbranch_scc0 .LBB78_2336
; %bb.2335:
	global_load_b64 v[0:1], v[4:5], off
	s_mov_b32 s7, 0
	s_mov_b32 s13, -1
	s_branch .LBB78_2337
.LBB78_2336:
	s_mov_b32 s7, -1
                                        ; implicit-def: $vgpr0
.LBB78_2337:
	s_mov_b32 s16, 0
.LBB78_2338:
	s_delay_alu instid0(SALU_CYCLE_1)
	s_and_b32 vcc_lo, exec_lo, s16
	s_cbranch_vccz .LBB78_2354
; %bb.2339:
	s_cmp_lt_i32 s6, 27
	s_cbranch_scc1 .LBB78_2342
; %bb.2340:
	s_cmp_gt_i32 s6, 27
	s_cbranch_scc0 .LBB78_2343
; %bb.2341:
	s_wait_loadcnt 0x0
	global_load_b32 v0, v[4:5], off
	s_mov_b32 s13, 0
	s_branch .LBB78_2344
.LBB78_2342:
	s_mov_b32 s13, -1
                                        ; implicit-def: $vgpr0
	s_branch .LBB78_2347
.LBB78_2343:
	s_mov_b32 s13, -1
                                        ; implicit-def: $vgpr0
.LBB78_2344:
	s_delay_alu instid0(SALU_CYCLE_1)
	s_and_not1_b32 vcc_lo, exec_lo, s13
	s_cbranch_vccnz .LBB78_2346
; %bb.2345:
	s_wait_loadcnt 0x0
	global_load_u16 v0, v[4:5], off
.LBB78_2346:
	s_mov_b32 s13, 0
.LBB78_2347:
	s_delay_alu instid0(SALU_CYCLE_1)
	s_and_not1_b32 vcc_lo, exec_lo, s13
	s_cbranch_vccnz .LBB78_2353
; %bb.2348:
	s_wait_loadcnt 0x0
	global_load_u8 v1, v[4:5], off
	s_mov_b32 s16, 0
	s_mov_b32 s13, exec_lo
	s_wait_loadcnt 0x0
	v_cmpx_lt_i16_e32 0x7f, v1
	s_xor_b32 s13, exec_lo, s13
	s_cbranch_execz .LBB78_2365
; %bb.2349:
	v_cmp_ne_u16_e32 vcc_lo, 0x80, v1
	s_and_b32 s16, vcc_lo, exec_lo
	s_and_not1_saveexec_b32 s13, s13
	s_cbranch_execnz .LBB78_2366
.LBB78_2350:
	s_or_b32 exec_lo, exec_lo, s13
	v_mov_b32_e32 v0, 0
	s_and_saveexec_b32 s13, s16
	s_cbranch_execz .LBB78_2352
.LBB78_2351:
	v_and_b32_e32 v0, 0xffff, v1
	s_delay_alu instid0(VALU_DEP_1) | instskip(SKIP_1) | instid1(VALU_DEP_2)
	v_and_b32_e32 v3, 7, v0
	v_bfe_u32 v9, v0, 3, 4
	v_clz_i32_u32_e32 v7, v3
	s_delay_alu instid0(VALU_DEP_2) | instskip(NEXT) | instid1(VALU_DEP_2)
	v_cmp_eq_u32_e32 vcc_lo, 0, v9
	v_min_u32_e32 v7, 32, v7
	s_delay_alu instid0(VALU_DEP_1) | instskip(NEXT) | instid1(VALU_DEP_1)
	v_subrev_nc_u32_e32 v8, 28, v7
	v_dual_lshlrev_b32 v0, v8, v0 :: v_dual_sub_nc_u32 v7, 29, v7
	s_delay_alu instid0(VALU_DEP_1) | instskip(NEXT) | instid1(VALU_DEP_1)
	v_dual_lshlrev_b32 v1, 24, v1 :: v_dual_bitop2_b32 v0, 7, v0 bitop3:0x40
	v_dual_cndmask_b32 v7, v9, v7 :: v_dual_cndmask_b32 v0, v3, v0
	s_delay_alu instid0(VALU_DEP_2) | instskip(NEXT) | instid1(VALU_DEP_2)
	v_and_b32_e32 v1, 0x80000000, v1
	v_lshl_add_u32 v3, v7, 23, 0x3b800000
	s_delay_alu instid0(VALU_DEP_3) | instskip(NEXT) | instid1(VALU_DEP_1)
	v_lshlrev_b32_e32 v0, 20, v0
	v_or3_b32 v0, v1, v3, v0
	s_delay_alu instid0(VALU_DEP_1)
	v_cvt_i32_f32_e32 v0, v0
.LBB78_2352:
	s_or_b32 exec_lo, exec_lo, s13
.LBB78_2353:
	s_mov_b32 s13, -1
.LBB78_2354:
	s_mov_b32 s16, 0
.LBB78_2355:
	s_delay_alu instid0(SALU_CYCLE_1)
	s_and_b32 vcc_lo, exec_lo, s16
	s_cbranch_vccz .LBB78_2386
; %bb.2356:
	s_cmp_gt_i32 s6, 22
	s_cbranch_scc0 .LBB78_2364
; %bb.2357:
	s_cmp_lt_i32 s6, 24
	s_cbranch_scc1 .LBB78_2367
; %bb.2358:
	s_cmp_gt_i32 s6, 24
	s_cbranch_scc0 .LBB78_2368
; %bb.2359:
	s_wait_loadcnt 0x0
	global_load_u8 v1, v[4:5], off
	s_mov_b32 s13, 0
	s_mov_b32 s9, exec_lo
	s_wait_loadcnt 0x0
	v_cmpx_lt_i16_e32 0x7f, v1
	s_xor_b32 s9, exec_lo, s9
	s_cbranch_execz .LBB78_2380
; %bb.2360:
	v_cmp_ne_u16_e32 vcc_lo, 0x80, v1
	s_and_b32 s13, vcc_lo, exec_lo
	s_and_not1_saveexec_b32 s9, s9
	s_cbranch_execnz .LBB78_2381
.LBB78_2361:
	s_or_b32 exec_lo, exec_lo, s9
	v_mov_b32_e32 v0, 0
	s_and_saveexec_b32 s9, s13
	s_cbranch_execz .LBB78_2363
.LBB78_2362:
	v_and_b32_e32 v0, 0xffff, v1
	s_delay_alu instid0(VALU_DEP_1) | instskip(SKIP_1) | instid1(VALU_DEP_2)
	v_and_b32_e32 v3, 3, v0
	v_bfe_u32 v9, v0, 2, 5
	v_clz_i32_u32_e32 v7, v3
	s_delay_alu instid0(VALU_DEP_2) | instskip(NEXT) | instid1(VALU_DEP_2)
	v_cmp_eq_u32_e32 vcc_lo, 0, v9
	v_min_u32_e32 v7, 32, v7
	s_delay_alu instid0(VALU_DEP_1) | instskip(NEXT) | instid1(VALU_DEP_1)
	v_subrev_nc_u32_e32 v8, 29, v7
	v_dual_lshlrev_b32 v0, v8, v0 :: v_dual_sub_nc_u32 v7, 30, v7
	s_delay_alu instid0(VALU_DEP_1) | instskip(NEXT) | instid1(VALU_DEP_1)
	v_dual_lshlrev_b32 v1, 24, v1 :: v_dual_bitop2_b32 v0, 3, v0 bitop3:0x40
	v_dual_cndmask_b32 v7, v9, v7 :: v_dual_cndmask_b32 v0, v3, v0
	s_delay_alu instid0(VALU_DEP_2) | instskip(NEXT) | instid1(VALU_DEP_2)
	v_and_b32_e32 v1, 0x80000000, v1
	v_lshl_add_u32 v3, v7, 23, 0x37800000
	s_delay_alu instid0(VALU_DEP_3) | instskip(NEXT) | instid1(VALU_DEP_1)
	v_lshlrev_b32_e32 v0, 21, v0
	v_or3_b32 v0, v1, v3, v0
	s_delay_alu instid0(VALU_DEP_1)
	v_cvt_i32_f32_e32 v0, v0
.LBB78_2363:
	s_or_b32 exec_lo, exec_lo, s9
	s_mov_b32 s9, 0
	s_branch .LBB78_2369
.LBB78_2364:
	s_mov_b32 s9, -1
                                        ; implicit-def: $vgpr0
	s_branch .LBB78_2375
.LBB78_2365:
	s_and_not1_saveexec_b32 s13, s13
	s_cbranch_execz .LBB78_2350
.LBB78_2366:
	v_cmp_ne_u16_e32 vcc_lo, 0, v1
	s_and_not1_b32 s16, s16, exec_lo
	s_and_b32 s17, vcc_lo, exec_lo
	s_delay_alu instid0(SALU_CYCLE_1)
	s_or_b32 s16, s16, s17
	s_or_b32 exec_lo, exec_lo, s13
	v_mov_b32_e32 v0, 0
	s_and_saveexec_b32 s13, s16
	s_cbranch_execnz .LBB78_2351
	s_branch .LBB78_2352
.LBB78_2367:
	s_mov_b32 s9, -1
                                        ; implicit-def: $vgpr0
	s_branch .LBB78_2372
.LBB78_2368:
	s_mov_b32 s9, -1
                                        ; implicit-def: $vgpr0
.LBB78_2369:
	s_delay_alu instid0(SALU_CYCLE_1)
	s_and_b32 vcc_lo, exec_lo, s9
	s_cbranch_vccz .LBB78_2371
; %bb.2370:
	s_wait_loadcnt 0x0
	global_load_u8 v0, v[4:5], off
	s_wait_loadcnt 0x0
	v_lshlrev_b32_e32 v0, 24, v0
	s_delay_alu instid0(VALU_DEP_1) | instskip(NEXT) | instid1(VALU_DEP_1)
	v_and_b32_e32 v1, 0x7f000000, v0
	v_clz_i32_u32_e32 v3, v1
	v_cmp_ne_u32_e32 vcc_lo, 0, v1
	v_add_nc_u32_e32 v8, 0x1000000, v1
	s_delay_alu instid0(VALU_DEP_3) | instskip(NEXT) | instid1(VALU_DEP_1)
	v_min_u32_e32 v3, 32, v3
	v_sub_nc_u32_e64 v3, v3, 4 clamp
	s_delay_alu instid0(VALU_DEP_1) | instskip(NEXT) | instid1(VALU_DEP_1)
	v_dual_lshlrev_b32 v7, v3, v1 :: v_dual_lshlrev_b32 v3, 23, v3
	v_lshrrev_b32_e32 v7, 4, v7
	s_delay_alu instid0(VALU_DEP_1) | instskip(NEXT) | instid1(VALU_DEP_1)
	v_dual_sub_nc_u32 v3, v7, v3 :: v_dual_ashrrev_i32 v7, 8, v8
	v_add_nc_u32_e32 v3, 0x3c000000, v3
	s_delay_alu instid0(VALU_DEP_1) | instskip(NEXT) | instid1(VALU_DEP_1)
	v_and_or_b32 v3, 0x7f800000, v7, v3
	v_cndmask_b32_e32 v1, 0, v3, vcc_lo
	s_delay_alu instid0(VALU_DEP_1) | instskip(NEXT) | instid1(VALU_DEP_1)
	v_and_or_b32 v0, 0x80000000, v0, v1
	v_cvt_i32_f32_e32 v0, v0
.LBB78_2371:
	s_mov_b32 s9, 0
.LBB78_2372:
	s_delay_alu instid0(SALU_CYCLE_1)
	s_and_not1_b32 vcc_lo, exec_lo, s9
	s_cbranch_vccnz .LBB78_2374
; %bb.2373:
	s_wait_loadcnt 0x0
	global_load_u8 v0, v[4:5], off
	s_wait_loadcnt 0x0
	v_lshlrev_b32_e32 v1, 25, v0
	v_lshlrev_b16 v0, 8, v0
	s_delay_alu instid0(VALU_DEP_1) | instskip(SKIP_1) | instid1(VALU_DEP_2)
	v_and_or_b32 v7, 0x7f00, v0, 0.5
	v_bfe_i32 v0, v0, 0, 16
	v_dual_add_f32 v7, -0.5, v7 :: v_dual_lshrrev_b32 v3, 4, v1
	v_cmp_gt_u32_e32 vcc_lo, 0x8000000, v1
	s_delay_alu instid0(VALU_DEP_2) | instskip(NEXT) | instid1(VALU_DEP_1)
	v_or_b32_e32 v3, 0x70000000, v3
	v_mul_f32_e32 v3, 0x7800000, v3
	s_delay_alu instid0(VALU_DEP_1) | instskip(NEXT) | instid1(VALU_DEP_1)
	v_cndmask_b32_e32 v1, v3, v7, vcc_lo
	v_and_or_b32 v0, 0x80000000, v0, v1
	s_delay_alu instid0(VALU_DEP_1)
	v_cvt_i32_f32_e32 v0, v0
.LBB78_2374:
	s_mov_b32 s9, 0
	s_mov_b32 s13, -1
.LBB78_2375:
	s_and_not1_b32 vcc_lo, exec_lo, s9
	s_mov_b32 s9, 0
	s_cbranch_vccnz .LBB78_2386
; %bb.2376:
	s_cmp_gt_i32 s6, 14
	s_cbranch_scc0 .LBB78_2379
; %bb.2377:
	s_cmp_eq_u32 s6, 15
	s_cbranch_scc0 .LBB78_2382
; %bb.2378:
	s_wait_loadcnt 0x0
	global_load_u16 v0, v[4:5], off
	s_mov_b32 s7, 0
	s_mov_b32 s13, -1
	s_wait_loadcnt 0x0
	v_lshlrev_b32_e32 v0, 16, v0
	s_delay_alu instid0(VALU_DEP_1)
	v_cvt_i32_f32_e32 v0, v0
	s_branch .LBB78_2384
.LBB78_2379:
	s_mov_b32 s9, -1
	s_branch .LBB78_2383
.LBB78_2380:
	s_and_not1_saveexec_b32 s9, s9
	s_cbranch_execz .LBB78_2361
.LBB78_2381:
	v_cmp_ne_u16_e32 vcc_lo, 0, v1
	s_and_not1_b32 s13, s13, exec_lo
	s_and_b32 s16, vcc_lo, exec_lo
	s_delay_alu instid0(SALU_CYCLE_1)
	s_or_b32 s13, s13, s16
	s_or_b32 exec_lo, exec_lo, s9
	v_mov_b32_e32 v0, 0
	s_and_saveexec_b32 s9, s13
	s_cbranch_execnz .LBB78_2362
	s_branch .LBB78_2363
.LBB78_2382:
	s_mov_b32 s7, -1
.LBB78_2383:
                                        ; implicit-def: $vgpr0
.LBB78_2384:
	s_and_b32 vcc_lo, exec_lo, s9
	s_mov_b32 s9, 0
	s_cbranch_vccz .LBB78_2386
; %bb.2385:
	s_cmp_lg_u32 s6, 11
	s_mov_b32 s9, -1
	s_cselect_b32 s7, -1, 0
.LBB78_2386:
	s_delay_alu instid0(SALU_CYCLE_1)
	s_and_b32 vcc_lo, exec_lo, s7
	s_cbranch_vccnz .LBB78_2451
; %bb.2387:
	s_and_not1_b32 vcc_lo, exec_lo, s9
	s_cbranch_vccnz .LBB78_2389
.LBB78_2388:
	s_wait_loadcnt 0x0
	global_load_u8 v0, v[4:5], off
	s_mov_b32 s13, -1
	s_wait_loadcnt 0x0
	v_cmp_ne_u16_e32 vcc_lo, 0, v0
	v_cndmask_b32_e64 v0, 0, 1, vcc_lo
.LBB78_2389:
	s_mov_b32 s6, 0
.LBB78_2390:
	s_delay_alu instid0(SALU_CYCLE_1)
	s_and_b32 vcc_lo, exec_lo, s6
	s_cbranch_vccz .LBB78_2439
; %bb.2391:
	s_and_b32 s0, 0xffff, s0
	s_delay_alu instid0(SALU_CYCLE_1)
	s_cmp_lt_i32 s0, 5
	s_cbranch_scc1 .LBB78_2396
; %bb.2392:
	s_cmp_lt_i32 s0, 8
	s_cbranch_scc1 .LBB78_2397
; %bb.2393:
	;; [unrolled: 3-line block ×3, first 2 shown]
	s_cmp_gt_i32 s0, 9
	s_cbranch_scc0 .LBB78_2399
; %bb.2395:
	s_wait_loadcnt 0x0
	global_load_b64 v[0:1], v[4:5], off
	s_mov_b32 s6, 0
	s_wait_loadcnt 0x0
	v_cvt_i32_f64_e32 v0, v[0:1]
	s_branch .LBB78_2400
.LBB78_2396:
	s_mov_b32 s6, -1
                                        ; implicit-def: $vgpr0
	s_branch .LBB78_2418
.LBB78_2397:
	s_mov_b32 s6, -1
                                        ; implicit-def: $vgpr0
	s_branch .LBB78_2406
.LBB78_2398:
	s_mov_b32 s6, -1
                                        ; implicit-def: $vgpr0
	s_branch .LBB78_2403
.LBB78_2399:
	s_mov_b32 s6, -1
                                        ; implicit-def: $vgpr0
.LBB78_2400:
	s_delay_alu instid0(SALU_CYCLE_1)
	s_and_not1_b32 vcc_lo, exec_lo, s6
	s_cbranch_vccnz .LBB78_2402
; %bb.2401:
	s_wait_loadcnt 0x0
	global_load_b32 v0, v[4:5], off
	s_wait_loadcnt 0x0
	v_cvt_i32_f32_e32 v0, v0
.LBB78_2402:
	s_mov_b32 s6, 0
.LBB78_2403:
	s_delay_alu instid0(SALU_CYCLE_1)
	s_and_not1_b32 vcc_lo, exec_lo, s6
	s_cbranch_vccnz .LBB78_2405
; %bb.2404:
	s_wait_loadcnt 0x0
	global_load_b32 v0, v[4:5], off
	s_wait_loadcnt 0x0
	v_cvt_i16_f16_e32 v0, v0
.LBB78_2405:
	s_mov_b32 s6, 0
.LBB78_2406:
	s_delay_alu instid0(SALU_CYCLE_1)
	s_and_not1_b32 vcc_lo, exec_lo, s6
	s_cbranch_vccnz .LBB78_2417
; %bb.2407:
	s_cmp_lt_i32 s0, 6
	s_cbranch_scc1 .LBB78_2410
; %bb.2408:
	s_cmp_gt_i32 s0, 6
	s_cbranch_scc0 .LBB78_2411
; %bb.2409:
	s_wait_loadcnt 0x0
	global_load_b64 v[0:1], v[4:5], off
	s_mov_b32 s6, 0
	s_wait_loadcnt 0x0
	v_cvt_i32_f64_e32 v0, v[0:1]
	s_branch .LBB78_2412
.LBB78_2410:
	s_mov_b32 s6, -1
                                        ; implicit-def: $vgpr0
	s_branch .LBB78_2415
.LBB78_2411:
	s_mov_b32 s6, -1
                                        ; implicit-def: $vgpr0
.LBB78_2412:
	s_delay_alu instid0(SALU_CYCLE_1)
	s_and_not1_b32 vcc_lo, exec_lo, s6
	s_cbranch_vccnz .LBB78_2414
; %bb.2413:
	s_wait_loadcnt 0x0
	global_load_b32 v0, v[4:5], off
	s_wait_loadcnt 0x0
	v_cvt_i32_f32_e32 v0, v0
.LBB78_2414:
	s_mov_b32 s6, 0
.LBB78_2415:
	s_delay_alu instid0(SALU_CYCLE_1)
	s_and_not1_b32 vcc_lo, exec_lo, s6
	s_cbranch_vccnz .LBB78_2417
; %bb.2416:
	s_wait_loadcnt 0x0
	global_load_u16 v0, v[4:5], off
	s_wait_loadcnt 0x0
	v_cvt_i16_f16_e32 v0, v0
.LBB78_2417:
	s_mov_b32 s6, 0
.LBB78_2418:
	s_delay_alu instid0(SALU_CYCLE_1)
	s_and_not1_b32 vcc_lo, exec_lo, s6
	s_cbranch_vccnz .LBB78_2438
; %bb.2419:
	s_cmp_lt_i32 s0, 2
	s_cbranch_scc1 .LBB78_2423
; %bb.2420:
	s_cmp_lt_i32 s0, 3
	s_cbranch_scc1 .LBB78_2424
; %bb.2421:
	s_cmp_gt_i32 s0, 3
	s_cbranch_scc0 .LBB78_2425
; %bb.2422:
	s_wait_loadcnt 0x0
	global_load_b64 v[0:1], v[4:5], off
	s_mov_b32 s6, 0
	s_branch .LBB78_2426
.LBB78_2423:
	s_mov_b32 s6, -1
                                        ; implicit-def: $vgpr0
	s_branch .LBB78_2432
.LBB78_2424:
	s_mov_b32 s6, -1
                                        ; implicit-def: $vgpr0
	s_branch .LBB78_2429
.LBB78_2425:
	s_mov_b32 s6, -1
                                        ; implicit-def: $vgpr0
.LBB78_2426:
	s_delay_alu instid0(SALU_CYCLE_1)
	s_and_not1_b32 vcc_lo, exec_lo, s6
	s_cbranch_vccnz .LBB78_2428
; %bb.2427:
	s_wait_loadcnt 0x0
	global_load_b32 v0, v[4:5], off
.LBB78_2428:
	s_mov_b32 s6, 0
.LBB78_2429:
	s_delay_alu instid0(SALU_CYCLE_1)
	s_and_not1_b32 vcc_lo, exec_lo, s6
	s_cbranch_vccnz .LBB78_2431
; %bb.2430:
	s_wait_loadcnt 0x0
	global_load_u16 v0, v[4:5], off
.LBB78_2431:
	s_mov_b32 s6, 0
.LBB78_2432:
	s_delay_alu instid0(SALU_CYCLE_1)
	s_and_not1_b32 vcc_lo, exec_lo, s6
	s_cbranch_vccnz .LBB78_2438
; %bb.2433:
	s_cmp_gt_i32 s0, 0
	s_mov_b32 s0, 0
	s_cbranch_scc0 .LBB78_2435
; %bb.2434:
	s_wait_loadcnt 0x0
	global_load_i8 v0, v[4:5], off
	s_branch .LBB78_2436
.LBB78_2435:
	s_mov_b32 s0, -1
                                        ; implicit-def: $vgpr0
.LBB78_2436:
	s_delay_alu instid0(SALU_CYCLE_1)
	s_and_not1_b32 vcc_lo, exec_lo, s0
	s_cbranch_vccnz .LBB78_2438
; %bb.2437:
	s_wait_loadcnt 0x0
	global_load_u8 v0, v[4:5], off
.LBB78_2438:
	s_mov_b32 s13, -1
.LBB78_2439:
	s_delay_alu instid0(SALU_CYCLE_1)
	s_and_not1_b32 vcc_lo, exec_lo, s13
	s_cbranch_vccnz .LBB78_2651
; %bb.2440:
	v_add_nc_u32_e32 v2, s10, v2
	s_cmp_lt_i32 s1, 11
	s_delay_alu instid0(VALU_DEP_1) | instskip(NEXT) | instid1(VALU_DEP_1)
	v_ashrrev_i32_e32 v3, 31, v2
	v_add_nc_u64_e32 v[2:3], s[2:3], v[2:3]
	s_cbranch_scc1 .LBB78_2447
; %bb.2441:
	s_and_b32 s0, 0xffff, s1
	s_mov_b32 s3, 0
	s_cmp_gt_i32 s0, 25
	s_cbranch_scc0 .LBB78_2448
; %bb.2442:
	s_cmp_gt_i32 s0, 28
	s_cbranch_scc0 .LBB78_2449
; %bb.2443:
	;; [unrolled: 3-line block ×4, first 2 shown]
	s_cmp_eq_u32 s0, 46
	s_mov_b32 s7, 0
	s_cbranch_scc0 .LBB78_2453
; %bb.2446:
	s_wait_loadcnt 0x0
	global_load_b32 v1, v[2:3], off
	s_mov_b32 s2, 0
	s_mov_b32 s6, -1
	s_wait_loadcnt 0x0
	v_lshlrev_b32_e32 v1, 16, v1
	s_wait_xcnt 0x1
	s_delay_alu instid0(VALU_DEP_1)
	v_cvt_i32_f32_e32 v4, v1
	s_branch .LBB78_2455
.LBB78_2447:
	s_mov_b32 s0, -1
	s_mov_b32 s6, 0
                                        ; implicit-def: $vgpr4
	s_branch .LBB78_2517
.LBB78_2448:
	s_mov_b32 s7, -1
	s_mov_b32 s6, 0
	s_mov_b32 s2, 0
                                        ; implicit-def: $vgpr4
	s_branch .LBB78_2482
.LBB78_2449:
	s_mov_b32 s7, -1
	s_mov_b32 s6, 0
	s_mov_b32 s2, 0
                                        ; implicit-def: $vgpr4
	s_branch .LBB78_2465
.LBB78_2450:
	s_mov_b32 s7, -1
	s_mov_b32 s6, 0
	s_mov_b32 s2, 0
                                        ; implicit-def: $vgpr4
	s_branch .LBB78_2460
.LBB78_2451:
	s_or_b32 s12, s12, exec_lo
	s_trap 2
	s_cbranch_execz .LBB78_2388
	s_branch .LBB78_2389
.LBB78_2452:
	s_mov_b32 s7, -1
	s_mov_b32 s6, 0
	s_mov_b32 s2, 0
	s_branch .LBB78_2454
.LBB78_2453:
	s_mov_b32 s2, -1
	s_mov_b32 s6, 0
.LBB78_2454:
                                        ; implicit-def: $vgpr4
.LBB78_2455:
	s_and_b32 vcc_lo, exec_lo, s7
	s_cbranch_vccz .LBB78_2459
; %bb.2456:
	s_cmp_eq_u32 s0, 44
	s_cbranch_scc0 .LBB78_2458
; %bb.2457:
	s_wait_loadcnt 0x0
	global_load_u8 v1, v[2:3], off
	s_mov_b32 s2, 0
	s_mov_b32 s6, -1
	s_wait_loadcnt 0x0
	s_wait_xcnt 0x1
	v_lshlrev_b32_e32 v4, 23, v1
	v_cmp_ne_u32_e32 vcc_lo, 0, v1
	s_delay_alu instid0(VALU_DEP_2) | instskip(NEXT) | instid1(VALU_DEP_1)
	v_cvt_i32_f32_e32 v4, v4
	v_cndmask_b32_e32 v4, 0, v4, vcc_lo
	s_branch .LBB78_2459
.LBB78_2458:
	s_mov_b32 s2, -1
                                        ; implicit-def: $vgpr4
.LBB78_2459:
	s_mov_b32 s7, 0
.LBB78_2460:
	s_delay_alu instid0(SALU_CYCLE_1)
	s_and_b32 vcc_lo, exec_lo, s7
	s_cbranch_vccz .LBB78_2464
; %bb.2461:
	s_cmp_eq_u32 s0, 29
	s_cbranch_scc0 .LBB78_2463
; %bb.2462:
	global_load_b64 v[4:5], v[2:3], off
	s_mov_b32 s2, 0
	s_mov_b32 s6, -1
	s_branch .LBB78_2464
.LBB78_2463:
	s_mov_b32 s2, -1
                                        ; implicit-def: $vgpr4
.LBB78_2464:
	s_mov_b32 s7, 0
.LBB78_2465:
	s_delay_alu instid0(SALU_CYCLE_1)
	s_and_b32 vcc_lo, exec_lo, s7
	s_cbranch_vccz .LBB78_2481
; %bb.2466:
	s_cmp_lt_i32 s0, 27
	s_cbranch_scc1 .LBB78_2469
; %bb.2467:
	s_cmp_gt_i32 s0, 27
	s_cbranch_scc0 .LBB78_2470
; %bb.2468:
	s_wait_loadcnt 0x0
	global_load_b32 v4, v[2:3], off
	s_mov_b32 s6, 0
	s_branch .LBB78_2471
.LBB78_2469:
	s_mov_b32 s6, -1
                                        ; implicit-def: $vgpr4
	s_branch .LBB78_2474
.LBB78_2470:
	s_mov_b32 s6, -1
                                        ; implicit-def: $vgpr4
.LBB78_2471:
	s_delay_alu instid0(SALU_CYCLE_1)
	s_and_not1_b32 vcc_lo, exec_lo, s6
	s_cbranch_vccnz .LBB78_2473
; %bb.2472:
	s_wait_loadcnt 0x0
	global_load_u16 v4, v[2:3], off
.LBB78_2473:
	s_mov_b32 s6, 0
.LBB78_2474:
	s_delay_alu instid0(SALU_CYCLE_1)
	s_and_not1_b32 vcc_lo, exec_lo, s6
	s_cbranch_vccnz .LBB78_2480
; %bb.2475:
	s_wait_loadcnt 0x0
	global_load_u8 v1, v[2:3], off
	s_mov_b32 s7, 0
	s_mov_b32 s6, exec_lo
	s_wait_loadcnt 0x0
	v_cmpx_lt_i16_e32 0x7f, v1
	s_xor_b32 s6, exec_lo, s6
	s_cbranch_execz .LBB78_2492
; %bb.2476:
	v_cmp_ne_u16_e32 vcc_lo, 0x80, v1
	s_and_b32 s7, vcc_lo, exec_lo
	s_and_not1_saveexec_b32 s6, s6
	s_cbranch_execnz .LBB78_2493
.LBB78_2477:
	s_or_b32 exec_lo, exec_lo, s6
	v_mov_b32_e32 v4, 0
	s_and_saveexec_b32 s6, s7
	s_cbranch_execz .LBB78_2479
.LBB78_2478:
	v_and_b32_e32 v4, 0xffff, v1
	s_delay_alu instid0(VALU_DEP_1) | instskip(SKIP_1) | instid1(VALU_DEP_2)
	v_and_b32_e32 v5, 7, v4
	v_bfe_u32 v9, v4, 3, 4
	v_clz_i32_u32_e32 v7, v5
	s_delay_alu instid0(VALU_DEP_2) | instskip(NEXT) | instid1(VALU_DEP_2)
	v_cmp_eq_u32_e32 vcc_lo, 0, v9
	v_min_u32_e32 v7, 32, v7
	s_delay_alu instid0(VALU_DEP_1) | instskip(NEXT) | instid1(VALU_DEP_1)
	v_subrev_nc_u32_e32 v8, 28, v7
	v_dual_lshlrev_b32 v4, v8, v4 :: v_dual_sub_nc_u32 v7, 29, v7
	s_delay_alu instid0(VALU_DEP_1) | instskip(NEXT) | instid1(VALU_DEP_2)
	v_dual_lshlrev_b32 v1, 24, v1 :: v_dual_bitop2_b32 v4, 7, v4 bitop3:0x40
	v_cndmask_b32_e32 v7, v9, v7, vcc_lo
	s_delay_alu instid0(VALU_DEP_2) | instskip(NEXT) | instid1(VALU_DEP_3)
	v_cndmask_b32_e32 v4, v5, v4, vcc_lo
	v_and_b32_e32 v1, 0x80000000, v1
	s_delay_alu instid0(VALU_DEP_3) | instskip(NEXT) | instid1(VALU_DEP_3)
	v_lshl_add_u32 v5, v7, 23, 0x3b800000
	v_lshlrev_b32_e32 v4, 20, v4
	s_delay_alu instid0(VALU_DEP_1) | instskip(NEXT) | instid1(VALU_DEP_1)
	v_or3_b32 v1, v1, v5, v4
	v_cvt_i32_f32_e32 v4, v1
.LBB78_2479:
	s_or_b32 exec_lo, exec_lo, s6
.LBB78_2480:
	s_mov_b32 s6, -1
.LBB78_2481:
	s_mov_b32 s7, 0
.LBB78_2482:
	s_delay_alu instid0(SALU_CYCLE_1)
	s_and_b32 vcc_lo, exec_lo, s7
	s_cbranch_vccz .LBB78_2513
; %bb.2483:
	s_cmp_gt_i32 s0, 22
	s_cbranch_scc0 .LBB78_2491
; %bb.2484:
	s_cmp_lt_i32 s0, 24
	s_cbranch_scc1 .LBB78_2494
; %bb.2485:
	s_cmp_gt_i32 s0, 24
	s_cbranch_scc0 .LBB78_2495
; %bb.2486:
	s_wait_loadcnt 0x0
	global_load_u8 v1, v[2:3], off
	s_mov_b32 s6, 0
	s_mov_b32 s3, exec_lo
	s_wait_loadcnt 0x0
	v_cmpx_lt_i16_e32 0x7f, v1
	s_xor_b32 s3, exec_lo, s3
	s_cbranch_execz .LBB78_2507
; %bb.2487:
	v_cmp_ne_u16_e32 vcc_lo, 0x80, v1
	s_and_b32 s6, vcc_lo, exec_lo
	s_and_not1_saveexec_b32 s3, s3
	s_cbranch_execnz .LBB78_2508
.LBB78_2488:
	s_or_b32 exec_lo, exec_lo, s3
	v_mov_b32_e32 v4, 0
	s_and_saveexec_b32 s3, s6
	s_cbranch_execz .LBB78_2490
.LBB78_2489:
	v_and_b32_e32 v4, 0xffff, v1
	s_delay_alu instid0(VALU_DEP_1) | instskip(SKIP_1) | instid1(VALU_DEP_2)
	v_and_b32_e32 v5, 3, v4
	v_bfe_u32 v9, v4, 2, 5
	v_clz_i32_u32_e32 v7, v5
	s_delay_alu instid0(VALU_DEP_2) | instskip(NEXT) | instid1(VALU_DEP_2)
	v_cmp_eq_u32_e32 vcc_lo, 0, v9
	v_min_u32_e32 v7, 32, v7
	s_delay_alu instid0(VALU_DEP_1) | instskip(NEXT) | instid1(VALU_DEP_1)
	v_subrev_nc_u32_e32 v8, 29, v7
	v_dual_lshlrev_b32 v4, v8, v4 :: v_dual_sub_nc_u32 v7, 30, v7
	s_delay_alu instid0(VALU_DEP_1) | instskip(NEXT) | instid1(VALU_DEP_2)
	v_dual_lshlrev_b32 v1, 24, v1 :: v_dual_bitop2_b32 v4, 3, v4 bitop3:0x40
	v_cndmask_b32_e32 v7, v9, v7, vcc_lo
	s_delay_alu instid0(VALU_DEP_2) | instskip(NEXT) | instid1(VALU_DEP_3)
	v_cndmask_b32_e32 v4, v5, v4, vcc_lo
	v_and_b32_e32 v1, 0x80000000, v1
	s_delay_alu instid0(VALU_DEP_3) | instskip(NEXT) | instid1(VALU_DEP_3)
	v_lshl_add_u32 v5, v7, 23, 0x37800000
	v_lshlrev_b32_e32 v4, 21, v4
	s_delay_alu instid0(VALU_DEP_1) | instskip(NEXT) | instid1(VALU_DEP_1)
	v_or3_b32 v1, v1, v5, v4
	v_cvt_i32_f32_e32 v4, v1
.LBB78_2490:
	s_or_b32 exec_lo, exec_lo, s3
	s_mov_b32 s3, 0
	s_branch .LBB78_2496
.LBB78_2491:
	s_mov_b32 s3, -1
                                        ; implicit-def: $vgpr4
	s_branch .LBB78_2502
.LBB78_2492:
	s_and_not1_saveexec_b32 s6, s6
	s_cbranch_execz .LBB78_2477
.LBB78_2493:
	v_cmp_ne_u16_e32 vcc_lo, 0, v1
	s_and_not1_b32 s7, s7, exec_lo
	s_and_b32 s9, vcc_lo, exec_lo
	s_delay_alu instid0(SALU_CYCLE_1)
	s_or_b32 s7, s7, s9
	s_or_b32 exec_lo, exec_lo, s6
	v_mov_b32_e32 v4, 0
	s_and_saveexec_b32 s6, s7
	s_cbranch_execnz .LBB78_2478
	s_branch .LBB78_2479
.LBB78_2494:
	s_mov_b32 s3, -1
                                        ; implicit-def: $vgpr4
	s_branch .LBB78_2499
.LBB78_2495:
	s_mov_b32 s3, -1
                                        ; implicit-def: $vgpr4
.LBB78_2496:
	s_delay_alu instid0(SALU_CYCLE_1)
	s_and_b32 vcc_lo, exec_lo, s3
	s_cbranch_vccz .LBB78_2498
; %bb.2497:
	s_wait_loadcnt 0x0
	global_load_u8 v1, v[2:3], off
	s_wait_loadcnt 0x0
	v_lshlrev_b32_e32 v1, 24, v1
	s_wait_xcnt 0x1
	s_delay_alu instid0(VALU_DEP_1) | instskip(NEXT) | instid1(VALU_DEP_1)
	v_and_b32_e32 v4, 0x7f000000, v1
	v_clz_i32_u32_e32 v5, v4
	v_add_nc_u32_e32 v8, 0x1000000, v4
	v_cmp_ne_u32_e32 vcc_lo, 0, v4
	s_delay_alu instid0(VALU_DEP_3) | instskip(NEXT) | instid1(VALU_DEP_1)
	v_min_u32_e32 v5, 32, v5
	v_sub_nc_u32_e64 v5, v5, 4 clamp
	s_delay_alu instid0(VALU_DEP_1) | instskip(NEXT) | instid1(VALU_DEP_1)
	v_dual_lshlrev_b32 v7, v5, v4 :: v_dual_lshlrev_b32 v5, 23, v5
	v_lshrrev_b32_e32 v7, 4, v7
	s_delay_alu instid0(VALU_DEP_1) | instskip(NEXT) | instid1(VALU_DEP_1)
	v_dual_sub_nc_u32 v5, v7, v5 :: v_dual_ashrrev_i32 v7, 8, v8
	v_add_nc_u32_e32 v5, 0x3c000000, v5
	s_delay_alu instid0(VALU_DEP_1) | instskip(NEXT) | instid1(VALU_DEP_1)
	v_and_or_b32 v5, 0x7f800000, v7, v5
	v_cndmask_b32_e32 v4, 0, v5, vcc_lo
	s_delay_alu instid0(VALU_DEP_1) | instskip(NEXT) | instid1(VALU_DEP_1)
	v_and_or_b32 v1, 0x80000000, v1, v4
	v_cvt_i32_f32_e32 v4, v1
.LBB78_2498:
	s_mov_b32 s3, 0
.LBB78_2499:
	s_delay_alu instid0(SALU_CYCLE_1)
	s_and_not1_b32 vcc_lo, exec_lo, s3
	s_cbranch_vccnz .LBB78_2501
; %bb.2500:
	s_wait_loadcnt 0x0
	global_load_u8 v1, v[2:3], off
	s_wait_loadcnt 0x0
	s_wait_xcnt 0x1
	v_lshlrev_b32_e32 v4, 25, v1
	v_lshlrev_b16 v1, 8, v1
	s_delay_alu instid0(VALU_DEP_1) | instskip(SKIP_1) | instid1(VALU_DEP_2)
	v_and_or_b32 v7, 0x7f00, v1, 0.5
	v_bfe_i32 v1, v1, 0, 16
	v_dual_add_f32 v7, -0.5, v7 :: v_dual_lshrrev_b32 v5, 4, v4
	v_cmp_gt_u32_e32 vcc_lo, 0x8000000, v4
	s_delay_alu instid0(VALU_DEP_2) | instskip(NEXT) | instid1(VALU_DEP_1)
	v_or_b32_e32 v5, 0x70000000, v5
	v_mul_f32_e32 v5, 0x7800000, v5
	s_delay_alu instid0(VALU_DEP_1) | instskip(NEXT) | instid1(VALU_DEP_1)
	v_cndmask_b32_e32 v4, v5, v7, vcc_lo
	v_and_or_b32 v1, 0x80000000, v1, v4
	s_delay_alu instid0(VALU_DEP_1)
	v_cvt_i32_f32_e32 v4, v1
.LBB78_2501:
	s_mov_b32 s3, 0
	s_mov_b32 s6, -1
.LBB78_2502:
	s_and_not1_b32 vcc_lo, exec_lo, s3
	s_mov_b32 s3, 0
	s_cbranch_vccnz .LBB78_2513
; %bb.2503:
	s_cmp_gt_i32 s0, 14
	s_cbranch_scc0 .LBB78_2506
; %bb.2504:
	s_cmp_eq_u32 s0, 15
	s_cbranch_scc0 .LBB78_2509
; %bb.2505:
	s_wait_loadcnt 0x0
	global_load_u16 v1, v[2:3], off
	s_mov_b32 s2, 0
	s_mov_b32 s6, -1
	s_wait_loadcnt 0x0
	v_lshlrev_b32_e32 v1, 16, v1
	s_wait_xcnt 0x1
	s_delay_alu instid0(VALU_DEP_1)
	v_cvt_i32_f32_e32 v4, v1
	s_branch .LBB78_2511
.LBB78_2506:
	s_mov_b32 s3, -1
	s_branch .LBB78_2510
.LBB78_2507:
	s_and_not1_saveexec_b32 s3, s3
	s_cbranch_execz .LBB78_2488
.LBB78_2508:
	v_cmp_ne_u16_e32 vcc_lo, 0, v1
	s_and_not1_b32 s6, s6, exec_lo
	s_and_b32 s7, vcc_lo, exec_lo
	s_delay_alu instid0(SALU_CYCLE_1)
	s_or_b32 s6, s6, s7
	s_or_b32 exec_lo, exec_lo, s3
	v_mov_b32_e32 v4, 0
	s_and_saveexec_b32 s3, s6
	s_cbranch_execnz .LBB78_2489
	s_branch .LBB78_2490
.LBB78_2509:
	s_mov_b32 s2, -1
.LBB78_2510:
                                        ; implicit-def: $vgpr4
.LBB78_2511:
	s_and_b32 vcc_lo, exec_lo, s3
	s_mov_b32 s3, 0
	s_cbranch_vccz .LBB78_2513
; %bb.2512:
	s_cmp_lg_u32 s0, 11
	s_mov_b32 s3, -1
	s_cselect_b32 s2, -1, 0
.LBB78_2513:
	s_delay_alu instid0(SALU_CYCLE_1)
	s_and_b32 vcc_lo, exec_lo, s2
	s_cbranch_vccnz .LBB78_3053
; %bb.2514:
	s_and_not1_b32 vcc_lo, exec_lo, s3
	s_cbranch_vccnz .LBB78_2516
.LBB78_2515:
	s_wait_loadcnt 0x0
	global_load_u8 v1, v[2:3], off
	s_mov_b32 s6, -1
	s_wait_loadcnt 0x0
	v_cmp_ne_u16_e32 vcc_lo, 0, v1
	s_wait_xcnt 0x1
	v_cndmask_b32_e64 v4, 0, 1, vcc_lo
.LBB78_2516:
	s_mov_b32 s0, 0
.LBB78_2517:
	s_delay_alu instid0(SALU_CYCLE_1)
	s_and_b32 vcc_lo, exec_lo, s0
	s_cbranch_vccz .LBB78_2566
; %bb.2518:
	s_and_b32 s0, 0xffff, s1
	s_delay_alu instid0(SALU_CYCLE_1)
	s_cmp_lt_i32 s0, 5
	s_cbranch_scc1 .LBB78_2523
; %bb.2519:
	s_cmp_lt_i32 s0, 8
	s_cbranch_scc1 .LBB78_2524
; %bb.2520:
	;; [unrolled: 3-line block ×3, first 2 shown]
	s_cmp_gt_i32 s0, 9
	s_cbranch_scc0 .LBB78_2526
; %bb.2522:
	s_wait_loadcnt 0x0
	global_load_b64 v[4:5], v[2:3], off
	s_mov_b32 s1, 0
	s_wait_loadcnt 0x0
	v_cvt_i32_f64_e32 v4, v[4:5]
	s_branch .LBB78_2527
.LBB78_2523:
	s_mov_b32 s1, -1
                                        ; implicit-def: $vgpr4
	s_branch .LBB78_2545
.LBB78_2524:
	s_mov_b32 s1, -1
                                        ; implicit-def: $vgpr4
	s_branch .LBB78_2533
.LBB78_2525:
	s_mov_b32 s1, -1
                                        ; implicit-def: $vgpr4
	s_branch .LBB78_2530
.LBB78_2526:
	s_mov_b32 s1, -1
                                        ; implicit-def: $vgpr4
.LBB78_2527:
	s_delay_alu instid0(SALU_CYCLE_1)
	s_and_not1_b32 vcc_lo, exec_lo, s1
	s_cbranch_vccnz .LBB78_2529
; %bb.2528:
	s_wait_loadcnt 0x0
	global_load_b32 v1, v[2:3], off
	s_wait_loadcnt 0x0
	s_wait_xcnt 0x1
	v_cvt_i32_f32_e32 v4, v1
.LBB78_2529:
	s_mov_b32 s1, 0
.LBB78_2530:
	s_delay_alu instid0(SALU_CYCLE_1)
	s_and_not1_b32 vcc_lo, exec_lo, s1
	s_cbranch_vccnz .LBB78_2532
; %bb.2531:
	s_wait_loadcnt 0x0
	global_load_b32 v1, v[2:3], off
	s_wait_loadcnt 0x0
	s_wait_xcnt 0x1
	v_cvt_i16_f16_e32 v4, v1
.LBB78_2532:
	s_mov_b32 s1, 0
.LBB78_2533:
	s_delay_alu instid0(SALU_CYCLE_1)
	s_and_not1_b32 vcc_lo, exec_lo, s1
	s_cbranch_vccnz .LBB78_2544
; %bb.2534:
	s_cmp_lt_i32 s0, 6
	s_cbranch_scc1 .LBB78_2537
; %bb.2535:
	s_cmp_gt_i32 s0, 6
	s_cbranch_scc0 .LBB78_2538
; %bb.2536:
	s_wait_loadcnt 0x0
	global_load_b64 v[4:5], v[2:3], off
	s_mov_b32 s1, 0
	s_wait_loadcnt 0x0
	v_cvt_i32_f64_e32 v4, v[4:5]
	s_branch .LBB78_2539
.LBB78_2537:
	s_mov_b32 s1, -1
                                        ; implicit-def: $vgpr4
	s_branch .LBB78_2542
.LBB78_2538:
	s_mov_b32 s1, -1
                                        ; implicit-def: $vgpr4
.LBB78_2539:
	s_delay_alu instid0(SALU_CYCLE_1)
	s_and_not1_b32 vcc_lo, exec_lo, s1
	s_cbranch_vccnz .LBB78_2541
; %bb.2540:
	s_wait_loadcnt 0x0
	global_load_b32 v1, v[2:3], off
	s_wait_loadcnt 0x0
	s_wait_xcnt 0x1
	v_cvt_i32_f32_e32 v4, v1
.LBB78_2541:
	s_mov_b32 s1, 0
.LBB78_2542:
	s_delay_alu instid0(SALU_CYCLE_1)
	s_and_not1_b32 vcc_lo, exec_lo, s1
	s_cbranch_vccnz .LBB78_2544
; %bb.2543:
	s_wait_loadcnt 0x0
	global_load_u16 v1, v[2:3], off
	s_wait_loadcnt 0x0
	s_wait_xcnt 0x1
	v_cvt_i16_f16_e32 v4, v1
.LBB78_2544:
	s_mov_b32 s1, 0
.LBB78_2545:
	s_delay_alu instid0(SALU_CYCLE_1)
	s_and_not1_b32 vcc_lo, exec_lo, s1
	s_cbranch_vccnz .LBB78_2565
; %bb.2546:
	s_cmp_lt_i32 s0, 2
	s_cbranch_scc1 .LBB78_2550
; %bb.2547:
	s_cmp_lt_i32 s0, 3
	s_cbranch_scc1 .LBB78_2551
; %bb.2548:
	s_cmp_gt_i32 s0, 3
	s_cbranch_scc0 .LBB78_2552
; %bb.2549:
	s_wait_loadcnt 0x0
	global_load_b64 v[4:5], v[2:3], off
	s_mov_b32 s1, 0
	s_branch .LBB78_2553
.LBB78_2550:
	s_mov_b32 s1, -1
                                        ; implicit-def: $vgpr4
	s_branch .LBB78_2559
.LBB78_2551:
	s_mov_b32 s1, -1
                                        ; implicit-def: $vgpr4
	s_branch .LBB78_2556
.LBB78_2552:
	s_mov_b32 s1, -1
                                        ; implicit-def: $vgpr4
.LBB78_2553:
	s_delay_alu instid0(SALU_CYCLE_1)
	s_and_not1_b32 vcc_lo, exec_lo, s1
	s_cbranch_vccnz .LBB78_2555
; %bb.2554:
	s_wait_loadcnt 0x0
	global_load_b32 v4, v[2:3], off
.LBB78_2555:
	s_mov_b32 s1, 0
.LBB78_2556:
	s_delay_alu instid0(SALU_CYCLE_1)
	s_and_not1_b32 vcc_lo, exec_lo, s1
	s_cbranch_vccnz .LBB78_2558
; %bb.2557:
	s_wait_loadcnt 0x0
	global_load_u16 v4, v[2:3], off
.LBB78_2558:
	s_mov_b32 s1, 0
.LBB78_2559:
	s_delay_alu instid0(SALU_CYCLE_1)
	s_and_not1_b32 vcc_lo, exec_lo, s1
	s_cbranch_vccnz .LBB78_2565
; %bb.2560:
	s_cmp_gt_i32 s0, 0
	s_mov_b32 s0, 0
	s_cbranch_scc0 .LBB78_2562
; %bb.2561:
	s_wait_loadcnt 0x0
	global_load_i8 v4, v[2:3], off
	s_branch .LBB78_2563
.LBB78_2562:
	s_mov_b32 s0, -1
                                        ; implicit-def: $vgpr4
.LBB78_2563:
	s_delay_alu instid0(SALU_CYCLE_1)
	s_and_not1_b32 vcc_lo, exec_lo, s0
	s_cbranch_vccnz .LBB78_2565
; %bb.2564:
	s_wait_loadcnt 0x0
	global_load_u8 v4, v[2:3], off
.LBB78_2565:
	s_mov_b32 s6, -1
.LBB78_2566:
	s_delay_alu instid0(SALU_CYCLE_1)
	s_and_not1_b32 vcc_lo, exec_lo, s6
	s_cbranch_vccnz .LBB78_2651
; %bb.2567:
	s_wait_loadcnt 0x0
	s_delay_alu instid0(VALU_DEP_1) | instskip(SKIP_2) | instid1(VALU_DEP_1)
	v_sub_nc_u16 v1, 0, v4
	s_mov_b32 s1, 0
	s_mov_b32 s0, exec_lo
	v_max_i16 v1, v4, v1
	s_wait_xcnt 0x0
	v_cmpx_ne_u16_e32 0, v0
	s_cbranch_execz .LBB78_2571
; %bb.2568:
	v_sub_nc_u16 v2, 0, v0
	s_delay_alu instid0(VALU_DEP_1) | instskip(SKIP_1) | instid1(VALU_DEP_2)
	v_max_i16 v3, v0, v2
	v_and_b32_e32 v2, 0xffff, v1
	v_and_b32_e32 v3, 0xffff, v3
.LBB78_2569:                            ; =>This Inner Loop Header: Depth=1
	s_delay_alu instid0(VALU_DEP_1) | instskip(NEXT) | instid1(VALU_DEP_1)
	v_bfe_i32 v7, v2, 0, 16
	v_cvt_f32_i32_e32 v9, v7
	s_delay_alu instid0(VALU_DEP_3) | instskip(NEXT) | instid1(VALU_DEP_1)
	v_mov_b32_e32 v1, v3
	v_bfe_i32 v3, v1, 0, 16
	s_delay_alu instid0(VALU_DEP_1) | instskip(SKIP_1) | instid1(VALU_DEP_2)
	v_cvt_f32_i32_e32 v5, v3
	v_xor_b32_e32 v3, v7, v3
	v_rcp_iflag_f32_e32 v8, v5
	v_nop
	s_delay_alu instid0(TRANS32_DEP_1) | instskip(NEXT) | instid1(VALU_DEP_1)
	v_mul_f32_e32 v7, v9, v8
	v_trunc_f32_e32 v7, v7
	s_delay_alu instid0(VALU_DEP_1) | instskip(SKIP_1) | instid1(VALU_DEP_2)
	v_dual_fma_f32 v8, -v7, v5, v9 :: v_dual_ashrrev_i32 v3, 30, v3
	v_cvt_i32_f32_e32 v7, v7
	v_cmp_ge_f32_e64 vcc_lo, |v8|, |v5|
	s_delay_alu instid0(VALU_DEP_3) | instskip(NEXT) | instid1(VALU_DEP_1)
	v_or_b32_e32 v3, 1, v3
	v_cndmask_b32_e32 v3, 0, v3, vcc_lo
	s_delay_alu instid0(VALU_DEP_1) | instskip(NEXT) | instid1(VALU_DEP_1)
	v_add_nc_u32_e32 v3, v7, v3
	v_mul_lo_u32 v3, v3, v1
	s_delay_alu instid0(VALU_DEP_1) | instskip(NEXT) | instid1(VALU_DEP_1)
	v_sub_nc_u32_e32 v3, v2, v3
	v_and_b32_e32 v2, 0xffff, v3
	v_bfe_i32 v3, v3, 0, 16
	s_delay_alu instid0(VALU_DEP_2) | instskip(SKIP_2) | instid1(SALU_CYCLE_1)
	v_cmp_eq_u32_e32 vcc_lo, 0, v2
	v_mov_b32_e32 v2, v1
	s_or_b32 s1, vcc_lo, s1
	s_and_not1_b32 exec_lo, exec_lo, s1
	s_cbranch_execnz .LBB78_2569
; %bb.2570:
	s_or_b32 exec_lo, exec_lo, s1
.LBB78_2571:
	s_delay_alu instid0(SALU_CYCLE_1)
	s_or_b32 exec_lo, exec_lo, s0
	v_mov_b32_e32 v7, 0
	s_mov_b32 s0, exec_lo
	v_cmpx_ne_u16_e32 0, v1
	s_cbranch_execz .LBB78_2573
; %bb.2572:
	v_bfe_i32 v1, v1, 0, 16
	v_bfe_i32 v0, v0, 0, 16
	s_delay_alu instid0(VALU_DEP_2) | instskip(NEXT) | instid1(VALU_DEP_2)
	v_cvt_f32_i32_e32 v2, v1
	v_cvt_f32_i32_e32 v5, v0
	v_xor_b32_e32 v0, v0, v1
	s_delay_alu instid0(VALU_DEP_3) | instskip(SKIP_1) | instid1(TRANS32_DEP_1)
	v_rcp_iflag_f32_e32 v3, v2
	v_nop
	v_mul_f32_e32 v3, v5, v3
	s_delay_alu instid0(VALU_DEP_1) | instskip(NEXT) | instid1(VALU_DEP_1)
	v_trunc_f32_e32 v1, v3
	v_dual_ashrrev_i32 v0, 30, v0 :: v_dual_fma_f32 v3, -v1, v2, v5
	s_delay_alu instid0(VALU_DEP_1) | instskip(SKIP_1) | instid1(VALU_DEP_3)
	v_or_b32_e32 v0, 1, v0
	v_cvt_i32_f32_e32 v1, v1
	v_cmp_ge_f32_e64 vcc_lo, |v3|, |v2|
	s_delay_alu instid0(VALU_DEP_3) | instskip(NEXT) | instid1(VALU_DEP_1)
	v_cndmask_b32_e32 v0, 0, v0, vcc_lo
	v_add_nc_u32_e32 v0, v1, v0
	v_bfe_i32 v1, v4, 0, 16
	s_delay_alu instid0(VALU_DEP_2) | instskip(NEXT) | instid1(VALU_DEP_1)
	v_bfe_i32 v0, v0, 0, 16
	v_mul_i32_i24_e32 v0, v0, v1
	s_delay_alu instid0(VALU_DEP_1) | instskip(NEXT) | instid1(VALU_DEP_1)
	v_sub_nc_u32_e32 v1, 0, v0
	v_max_i32_e32 v7, v0, v1
.LBB78_2573:
	s_or_b32 exec_lo, exec_lo, s0
	v_mul_lo_u32 v0, s8, v10
	s_and_b32 s16, s11, 0xff
	s_delay_alu instid0(SALU_CYCLE_1) | instskip(NEXT) | instid1(VALU_DEP_1)
	s_cmp_lt_i32 s16, 11
	v_ashrrev_i32_e32 v1, 31, v0
	s_delay_alu instid0(VALU_DEP_1)
	v_add_nc_u64_e32 v[2:3], s[4:5], v[0:1]
	s_cbranch_scc1 .LBB78_2696
; %bb.2574:
	s_and_b32 s1, 0xffff, s16
	s_mov_b32 s6, -1
	s_mov_b32 s2, 0
	s_cmp_gt_i32 s1, 25
	s_mov_b32 s3, 0
	s_mov_b32 s0, 0
	s_cbranch_scc0 .LBB78_2607
; %bb.2575:
	s_cmp_gt_i32 s1, 28
	s_cbranch_scc0 .LBB78_2590
; %bb.2576:
	s_cmp_gt_i32 s1, 43
	s_cbranch_scc0 .LBB78_2586
; %bb.2577:
	s_cmp_gt_i32 s1, 45
	s_cbranch_scc0 .LBB78_2580
; %bb.2578:
	s_mov_b32 s0, -1
	s_mov_b32 s6, 0
	s_cmp_eq_u32 s1, 46
	s_cbranch_scc0 .LBB78_2580
; %bb.2579:
	v_bfe_i32 v1, v11, 0, 16
	s_mov_b32 s0, 0
	s_mov_b32 s3, -1
	s_delay_alu instid0(VALU_DEP_1) | instskip(NEXT) | instid1(VALU_DEP_1)
	v_cvt_f32_i32_e32 v1, v1
	v_bfe_u32 v4, v1, 16, 1
	s_delay_alu instid0(VALU_DEP_1) | instskip(NEXT) | instid1(VALU_DEP_1)
	v_add3_u32 v1, v1, v4, 0x7fff
	v_lshrrev_b32_e32 v1, 16, v1
	global_store_b32 v[2:3], v1, off
.LBB78_2580:
	s_and_b32 vcc_lo, exec_lo, s6
	s_cbranch_vccz .LBB78_2585
; %bb.2581:
	s_cmp_eq_u32 s1, 44
	s_mov_b32 s0, -1
	s_cbranch_scc0 .LBB78_2585
; %bb.2582:
	s_wait_xcnt 0x0
	v_bfe_i32 v1, v11, 0, 16
	v_mov_b32_e32 v4, 0xff
	s_mov_b32 s3, exec_lo
	s_delay_alu instid0(VALU_DEP_2) | instskip(NEXT) | instid1(VALU_DEP_1)
	v_cvt_f32_i32_e32 v1, v1
	v_bfe_u32 v5, v1, 23, 8
	s_delay_alu instid0(VALU_DEP_1)
	v_cmpx_ne_u32_e32 0xff, v5
	s_cbranch_execz .LBB78_2584
; %bb.2583:
	v_and_b32_e32 v4, 0x400000, v1
	v_and_or_b32 v5, 0x3fffff, v1, v5
	v_lshrrev_b32_e32 v1, 23, v1
	s_delay_alu instid0(VALU_DEP_3) | instskip(NEXT) | instid1(VALU_DEP_3)
	v_cmp_ne_u32_e32 vcc_lo, 0, v4
	v_cmp_ne_u32_e64 s0, 0, v5
	s_and_b32 s0, vcc_lo, s0
	s_delay_alu instid0(SALU_CYCLE_1) | instskip(NEXT) | instid1(VALU_DEP_1)
	v_cndmask_b32_e64 v4, 0, 1, s0
	v_add_nc_u32_e32 v4, v1, v4
.LBB78_2584:
	s_or_b32 exec_lo, exec_lo, s3
	s_mov_b32 s0, 0
	s_mov_b32 s3, -1
	global_store_b8 v[2:3], v4, off
.LBB78_2585:
	s_mov_b32 s6, 0
.LBB78_2586:
	s_delay_alu instid0(SALU_CYCLE_1)
	s_and_b32 vcc_lo, exec_lo, s6
	s_cbranch_vccz .LBB78_2589
; %bb.2587:
	s_cmp_eq_u32 s1, 29
	s_mov_b32 s0, -1
	s_cbranch_scc0 .LBB78_2589
; %bb.2588:
	s_wait_xcnt 0x0
	v_bfe_i32 v4, v11, 0, 16
	s_mov_b32 s0, 0
	s_mov_b32 s3, -1
	s_delay_alu instid0(VALU_DEP_1)
	v_ashrrev_i32_e32 v5, 31, v4
	global_store_b64 v[2:3], v[4:5], off
.LBB78_2589:
	s_mov_b32 s6, 0
.LBB78_2590:
	s_delay_alu instid0(SALU_CYCLE_1)
	s_and_b32 vcc_lo, exec_lo, s6
	s_cbranch_vccz .LBB78_2606
; %bb.2591:
	s_cmp_lt_i32 s1, 27
	s_mov_b32 s3, -1
	s_cbranch_scc1 .LBB78_2597
; %bb.2592:
	s_cmp_gt_i32 s1, 27
	s_cbranch_scc0 .LBB78_2594
; %bb.2593:
	s_wait_xcnt 0x0
	v_bfe_i32 v1, v11, 0, 16
	s_mov_b32 s3, 0
	global_store_b32 v[2:3], v1, off
.LBB78_2594:
	s_and_not1_b32 vcc_lo, exec_lo, s3
	s_cbranch_vccnz .LBB78_2596
; %bb.2595:
	global_store_b16 v[2:3], v11, off
.LBB78_2596:
	s_mov_b32 s3, 0
.LBB78_2597:
	s_delay_alu instid0(SALU_CYCLE_1)
	s_and_not1_b32 vcc_lo, exec_lo, s3
	s_cbranch_vccnz .LBB78_2605
; %bb.2598:
	s_wait_xcnt 0x0
	v_bfe_i32 v1, v11, 0, 16
	v_mov_b32_e32 v5, 0x80
	s_mov_b32 s3, exec_lo
	s_delay_alu instid0(VALU_DEP_2) | instskip(NEXT) | instid1(VALU_DEP_1)
	v_cvt_f32_i32_e32 v1, v1
	v_and_b32_e32 v4, 0x7fffffff, v1
	s_delay_alu instid0(VALU_DEP_1)
	v_cmpx_gt_u32_e32 0x43800000, v4
	s_cbranch_execz .LBB78_2604
; %bb.2599:
	v_cmp_lt_u32_e32 vcc_lo, 0x3bffffff, v4
	s_mov_b32 s6, 0
                                        ; implicit-def: $vgpr4
	s_and_saveexec_b32 s7, vcc_lo
	s_delay_alu instid0(SALU_CYCLE_1)
	s_xor_b32 s7, exec_lo, s7
	s_cbranch_execz .LBB78_3054
; %bb.2600:
	v_bfe_u32 v4, v1, 20, 1
	s_mov_b32 s6, exec_lo
	s_delay_alu instid0(VALU_DEP_1) | instskip(NEXT) | instid1(VALU_DEP_1)
	v_add3_u32 v4, v1, v4, 0x487ffff
	v_lshrrev_b32_e32 v4, 20, v4
	s_and_not1_saveexec_b32 s7, s7
	s_cbranch_execnz .LBB78_3055
.LBB78_2601:
	s_or_b32 exec_lo, exec_lo, s7
	v_mov_b32_e32 v5, 0
	s_and_saveexec_b32 s7, s6
.LBB78_2602:
	v_lshrrev_b32_e32 v1, 24, v1
	s_delay_alu instid0(VALU_DEP_1)
	v_and_or_b32 v5, 0x80, v1, v4
.LBB78_2603:
	s_or_b32 exec_lo, exec_lo, s7
.LBB78_2604:
	s_delay_alu instid0(SALU_CYCLE_1)
	s_or_b32 exec_lo, exec_lo, s3
	global_store_b8 v[2:3], v5, off
.LBB78_2605:
	s_mov_b32 s3, -1
.LBB78_2606:
	s_mov_b32 s6, 0
.LBB78_2607:
	s_delay_alu instid0(SALU_CYCLE_1)
	s_and_b32 vcc_lo, exec_lo, s6
	s_cbranch_vccz .LBB78_2647
; %bb.2608:
	s_cmp_gt_i32 s1, 22
	s_mov_b32 s2, -1
	s_cbranch_scc0 .LBB78_2640
; %bb.2609:
	s_cmp_lt_i32 s1, 24
	s_cbranch_scc1 .LBB78_2629
; %bb.2610:
	s_cmp_gt_i32 s1, 24
	s_cbranch_scc0 .LBB78_2618
; %bb.2611:
	s_wait_xcnt 0x0
	v_bfe_i32 v1, v11, 0, 16
	v_mov_b32_e32 v5, 0x80
	s_mov_b32 s2, exec_lo
	s_delay_alu instid0(VALU_DEP_2) | instskip(NEXT) | instid1(VALU_DEP_1)
	v_cvt_f32_i32_e32 v1, v1
	v_and_b32_e32 v4, 0x7fffffff, v1
	s_delay_alu instid0(VALU_DEP_1)
	v_cmpx_gt_u32_e32 0x47800000, v4
	s_cbranch_execz .LBB78_2617
; %bb.2612:
	v_cmp_lt_u32_e32 vcc_lo, 0x37ffffff, v4
	s_mov_b32 s3, 0
                                        ; implicit-def: $vgpr4
	s_and_saveexec_b32 s6, vcc_lo
	s_delay_alu instid0(SALU_CYCLE_1)
	s_xor_b32 s6, exec_lo, s6
	s_cbranch_execz .LBB78_3057
; %bb.2613:
	v_bfe_u32 v4, v1, 21, 1
	s_mov_b32 s3, exec_lo
	s_delay_alu instid0(VALU_DEP_1) | instskip(NEXT) | instid1(VALU_DEP_1)
	v_add3_u32 v4, v1, v4, 0x88fffff
	v_lshrrev_b32_e32 v4, 21, v4
	s_and_not1_saveexec_b32 s6, s6
	s_cbranch_execnz .LBB78_3058
.LBB78_2614:
	s_or_b32 exec_lo, exec_lo, s6
	v_mov_b32_e32 v5, 0
	s_and_saveexec_b32 s6, s3
.LBB78_2615:
	v_lshrrev_b32_e32 v1, 24, v1
	s_delay_alu instid0(VALU_DEP_1)
	v_and_or_b32 v5, 0x80, v1, v4
.LBB78_2616:
	s_or_b32 exec_lo, exec_lo, s6
.LBB78_2617:
	s_delay_alu instid0(SALU_CYCLE_1)
	s_or_b32 exec_lo, exec_lo, s2
	s_mov_b32 s2, 0
	global_store_b8 v[2:3], v5, off
.LBB78_2618:
	s_and_b32 vcc_lo, exec_lo, s2
	s_cbranch_vccz .LBB78_2628
; %bb.2619:
	s_wait_xcnt 0x0
	v_bfe_i32 v1, v11, 0, 16
	s_mov_b32 s2, exec_lo
                                        ; implicit-def: $vgpr4
	s_delay_alu instid0(VALU_DEP_1) | instskip(NEXT) | instid1(VALU_DEP_1)
	v_cvt_f32_i32_e32 v1, v1
	v_and_b32_e32 v5, 0x7fffffff, v1
	s_delay_alu instid0(VALU_DEP_1)
	v_cmpx_gt_u32_e32 0x43f00000, v5
	s_xor_b32 s2, exec_lo, s2
	s_cbranch_execz .LBB78_2625
; %bb.2620:
	s_mov_b32 s3, exec_lo
                                        ; implicit-def: $vgpr4
	v_cmpx_lt_u32_e32 0x3c7fffff, v5
	s_xor_b32 s3, exec_lo, s3
; %bb.2621:
	v_bfe_u32 v4, v1, 20, 1
	s_delay_alu instid0(VALU_DEP_1) | instskip(NEXT) | instid1(VALU_DEP_1)
	v_add3_u32 v4, v1, v4, 0x407ffff
	v_and_b32_e32 v5, 0xff00000, v4
	v_lshrrev_b32_e32 v4, 20, v4
	s_delay_alu instid0(VALU_DEP_2) | instskip(NEXT) | instid1(VALU_DEP_2)
	v_cmp_ne_u32_e32 vcc_lo, 0x7f00000, v5
	v_cndmask_b32_e32 v4, 0x7e, v4, vcc_lo
; %bb.2622:
	s_and_not1_saveexec_b32 s3, s3
; %bb.2623:
	v_add_f32_e64 v4, 0x46800000, |v1|
; %bb.2624:
	s_or_b32 exec_lo, exec_lo, s3
                                        ; implicit-def: $vgpr5
.LBB78_2625:
	s_and_not1_saveexec_b32 s2, s2
; %bb.2626:
	v_mov_b32_e32 v4, 0x7f
	v_cmp_lt_u32_e32 vcc_lo, 0x7f800000, v5
	s_delay_alu instid0(VALU_DEP_2)
	v_cndmask_b32_e32 v4, 0x7e, v4, vcc_lo
; %bb.2627:
	s_or_b32 exec_lo, exec_lo, s2
	v_lshrrev_b32_e32 v1, 24, v1
	s_delay_alu instid0(VALU_DEP_1)
	v_and_or_b32 v1, 0x80, v1, v4
	global_store_b8 v[2:3], v1, off
.LBB78_2628:
	s_mov_b32 s2, 0
.LBB78_2629:
	s_delay_alu instid0(SALU_CYCLE_1)
	s_and_not1_b32 vcc_lo, exec_lo, s2
	s_cbranch_vccnz .LBB78_2639
; %bb.2630:
	s_wait_xcnt 0x0
	v_bfe_i32 v1, v11, 0, 16
	s_mov_b32 s2, exec_lo
                                        ; implicit-def: $vgpr4
	s_delay_alu instid0(VALU_DEP_1) | instskip(NEXT) | instid1(VALU_DEP_1)
	v_cvt_f32_i32_e32 v1, v1
	v_and_b32_e32 v5, 0x7fffffff, v1
	s_delay_alu instid0(VALU_DEP_1)
	v_cmpx_gt_u32_e32 0x47800000, v5
	s_xor_b32 s2, exec_lo, s2
	s_cbranch_execz .LBB78_2636
; %bb.2631:
	s_mov_b32 s3, exec_lo
                                        ; implicit-def: $vgpr4
	v_cmpx_lt_u32_e32 0x387fffff, v5
	s_xor_b32 s3, exec_lo, s3
; %bb.2632:
	v_bfe_u32 v4, v1, 21, 1
	s_delay_alu instid0(VALU_DEP_1) | instskip(NEXT) | instid1(VALU_DEP_1)
	v_add3_u32 v4, v1, v4, 0x80fffff
	v_lshrrev_b32_e32 v4, 21, v4
; %bb.2633:
	s_and_not1_saveexec_b32 s3, s3
; %bb.2634:
	v_add_f32_e64 v4, 0x43000000, |v1|
; %bb.2635:
	s_or_b32 exec_lo, exec_lo, s3
                                        ; implicit-def: $vgpr5
.LBB78_2636:
	s_and_not1_saveexec_b32 s2, s2
; %bb.2637:
	v_mov_b32_e32 v4, 0x7f
	v_cmp_lt_u32_e32 vcc_lo, 0x7f800000, v5
	s_delay_alu instid0(VALU_DEP_2)
	v_cndmask_b32_e32 v4, 0x7c, v4, vcc_lo
; %bb.2638:
	s_or_b32 exec_lo, exec_lo, s2
	v_lshrrev_b32_e32 v1, 24, v1
	s_delay_alu instid0(VALU_DEP_1)
	v_and_or_b32 v1, 0x80, v1, v4
	global_store_b8 v[2:3], v1, off
.LBB78_2639:
	s_mov_b32 s2, 0
	s_mov_b32 s3, -1
.LBB78_2640:
	s_and_not1_b32 vcc_lo, exec_lo, s2
	s_mov_b32 s2, 0
	s_cbranch_vccnz .LBB78_2647
; %bb.2641:
	s_cmp_gt_i32 s1, 14
	s_mov_b32 s2, -1
	s_cbranch_scc0 .LBB78_2645
; %bb.2642:
	s_cmp_eq_u32 s1, 15
	s_mov_b32 s0, -1
	s_cbranch_scc0 .LBB78_2644
; %bb.2643:
	s_wait_xcnt 0x0
	v_bfe_i32 v1, v11, 0, 16
	s_mov_b32 s0, 0
	s_mov_b32 s3, -1
	s_delay_alu instid0(VALU_DEP_1) | instskip(NEXT) | instid1(VALU_DEP_1)
	v_cvt_f32_i32_e32 v1, v1
	v_bfe_u32 v4, v1, 16, 1
	s_delay_alu instid0(VALU_DEP_1)
	v_add3_u32 v1, v1, v4, 0x7fff
	global_store_d16_hi_b16 v[2:3], v1, off
.LBB78_2644:
	s_mov_b32 s2, 0
.LBB78_2645:
	s_delay_alu instid0(SALU_CYCLE_1)
	s_and_b32 vcc_lo, exec_lo, s2
	s_mov_b32 s2, 0
	s_cbranch_vccz .LBB78_2647
; %bb.2646:
	s_cmp_lg_u32 s1, 11
	s_mov_b32 s2, -1
	s_cselect_b32 s0, -1, 0
.LBB78_2647:
	s_delay_alu instid0(SALU_CYCLE_1)
	s_and_b32 vcc_lo, exec_lo, s0
	s_cbranch_vccnz .LBB78_3056
; %bb.2648:
	s_and_not1_b32 vcc_lo, exec_lo, s2
	s_cbranch_vccnz .LBB78_2650
.LBB78_2649:
	v_cmp_ne_u16_e32 vcc_lo, 0, v11
	s_mov_b32 s3, -1
	s_wait_xcnt 0x0
	v_cndmask_b32_e64 v1, 0, 1, vcc_lo
	global_store_b8 v[2:3], v1, off
.LBB78_2650:
	s_mov_b32 s0, 0
	s_branch .LBB78_2697
.LBB78_2651:
	s_mov_b32 s0, 0
	s_mov_b32 s2, 0
                                        ; implicit-def: $sgpr16
                                        ; implicit-def: $vgpr0_vgpr1
                                        ; implicit-def: $vgpr7
.LBB78_2652:
	s_and_not1_b32 s1, s15, exec_lo
	s_and_b32 s3, s12, exec_lo
	s_and_b32 s0, s0, exec_lo
	s_and_b32 s12, s2, exec_lo
	s_or_b32 s15, s1, s3
.LBB78_2653:
	s_wait_xcnt 0x0
	s_or_b32 exec_lo, exec_lo, s14
	s_and_saveexec_b32 s1, s15
	s_cbranch_execz .LBB78_2656
; %bb.2654:
	; divergent unreachable
	s_or_b32 exec_lo, exec_lo, s1
	s_and_saveexec_b32 s1, s12
	s_delay_alu instid0(SALU_CYCLE_1)
	s_xor_b32 s1, exec_lo, s1
	s_cbranch_execnz .LBB78_2657
.LBB78_2655:
	s_or_b32 exec_lo, exec_lo, s1
	s_and_saveexec_b32 s1, s0
	s_cbranch_execnz .LBB78_2658
	s_branch .LBB78_2695
.LBB78_2656:
	s_or_b32 exec_lo, exec_lo, s1
	s_and_saveexec_b32 s1, s12
	s_delay_alu instid0(SALU_CYCLE_1)
	s_xor_b32 s1, exec_lo, s1
	s_cbranch_execz .LBB78_2655
.LBB78_2657:
	v_cmp_ne_u16_e32 vcc_lo, 0, v7
	v_cndmask_b32_e64 v2, 0, 1, vcc_lo
	s_wait_loadcnt 0x0
	global_store_b8 v[0:1], v2, off
	s_wait_xcnt 0x0
	s_or_b32 exec_lo, exec_lo, s1
	s_and_saveexec_b32 s1, s0
	s_cbranch_execz .LBB78_2695
.LBB78_2658:
	s_sext_i32_i16 s1, s16
	s_mov_b32 s0, -1
	s_cmp_lt_i32 s1, 5
	s_cbranch_scc1 .LBB78_2679
; %bb.2659:
	s_cmp_lt_i32 s1, 8
	s_cbranch_scc1 .LBB78_2669
; %bb.2660:
	;; [unrolled: 3-line block ×3, first 2 shown]
	s_cmp_gt_i32 s1, 9
	s_cbranch_scc0 .LBB78_2663
; %bb.2662:
	v_bfe_i32 v2, v7, 0, 16
	s_wait_loadcnt 0x0
	v_mov_b32_e32 v4, 0
	s_mov_b32 s0, 0
	s_delay_alu instid0(VALU_DEP_2) | instskip(NEXT) | instid1(VALU_DEP_2)
	v_cvt_f64_i32_e32 v[2:3], v2
	v_mov_b32_e32 v5, v4
	global_store_b128 v[0:1], v[2:5], off
.LBB78_2663:
	s_and_not1_b32 vcc_lo, exec_lo, s0
	s_cbranch_vccnz .LBB78_2665
; %bb.2664:
	s_wait_xcnt 0x0
	v_bfe_i32 v2, v7, 0, 16
	v_mov_b32_e32 v3, 0
	s_delay_alu instid0(VALU_DEP_2)
	v_cvt_f32_i32_e32 v2, v2
	s_wait_loadcnt 0x0
	global_store_b64 v[0:1], v[2:3], off
.LBB78_2665:
	s_mov_b32 s0, 0
.LBB78_2666:
	s_delay_alu instid0(SALU_CYCLE_1)
	s_and_not1_b32 vcc_lo, exec_lo, s0
	s_cbranch_vccnz .LBB78_2668
; %bb.2667:
	s_wait_xcnt 0x0
	v_cvt_f16_i16_e32 v2, v7
	s_delay_alu instid0(VALU_DEP_1)
	v_and_b32_e32 v2, 0xffff, v2
	s_wait_loadcnt 0x0
	global_store_b32 v[0:1], v2, off
.LBB78_2668:
	s_mov_b32 s0, 0
.LBB78_2669:
	s_delay_alu instid0(SALU_CYCLE_1)
	s_and_not1_b32 vcc_lo, exec_lo, s0
	s_cbranch_vccnz .LBB78_2678
; %bb.2670:
	s_sext_i32_i16 s1, s16
	s_mov_b32 s0, -1
	s_cmp_lt_i32 s1, 6
	s_cbranch_scc1 .LBB78_2676
; %bb.2671:
	s_cmp_gt_i32 s1, 6
	s_cbranch_scc0 .LBB78_2673
; %bb.2672:
	s_wait_xcnt 0x0
	v_bfe_i32 v2, v7, 0, 16
	s_mov_b32 s0, 0
	s_delay_alu instid0(VALU_DEP_1)
	v_cvt_f64_i32_e32 v[2:3], v2
	s_wait_loadcnt 0x0
	global_store_b64 v[0:1], v[2:3], off
.LBB78_2673:
	s_and_not1_b32 vcc_lo, exec_lo, s0
	s_cbranch_vccnz .LBB78_2675
; %bb.2674:
	s_wait_xcnt 0x0
	v_bfe_i32 v2, v7, 0, 16
	s_delay_alu instid0(VALU_DEP_1)
	v_cvt_f32_i32_e32 v2, v2
	s_wait_loadcnt 0x0
	global_store_b32 v[0:1], v2, off
.LBB78_2675:
	s_mov_b32 s0, 0
.LBB78_2676:
	s_delay_alu instid0(SALU_CYCLE_1)
	s_and_not1_b32 vcc_lo, exec_lo, s0
	s_cbranch_vccnz .LBB78_2678
; %bb.2677:
	s_wait_xcnt 0x0
	v_cvt_f16_i16_e32 v2, v7
	s_wait_loadcnt 0x0
	global_store_b16 v[0:1], v2, off
.LBB78_2678:
	s_mov_b32 s0, 0
.LBB78_2679:
	s_delay_alu instid0(SALU_CYCLE_1)
	s_and_not1_b32 vcc_lo, exec_lo, s0
	s_cbranch_vccnz .LBB78_2695
; %bb.2680:
	s_sext_i32_i16 s1, s16
	s_mov_b32 s0, -1
	s_cmp_lt_i32 s1, 2
	s_cbranch_scc1 .LBB78_2690
; %bb.2681:
	s_cmp_lt_i32 s1, 3
	s_cbranch_scc1 .LBB78_2687
; %bb.2682:
	s_wait_xcnt 0x0
	v_bfe_i32 v2, v7, 0, 16
	s_cmp_gt_i32 s1, 3
	s_cbranch_scc0 .LBB78_2684
; %bb.2683:
	s_delay_alu instid0(VALU_DEP_1)
	v_ashrrev_i32_e32 v3, 31, v2
	s_mov_b32 s0, 0
	s_wait_loadcnt 0x0
	global_store_b64 v[0:1], v[2:3], off
.LBB78_2684:
	s_and_not1_b32 vcc_lo, exec_lo, s0
	s_cbranch_vccnz .LBB78_2686
; %bb.2685:
	s_wait_loadcnt 0x0
	global_store_b32 v[0:1], v2, off
.LBB78_2686:
	s_mov_b32 s0, 0
.LBB78_2687:
	s_delay_alu instid0(SALU_CYCLE_1)
	s_and_not1_b32 vcc_lo, exec_lo, s0
	s_cbranch_vccnz .LBB78_2689
; %bb.2688:
	s_wait_loadcnt 0x0
	global_store_b16 v[0:1], v7, off
.LBB78_2689:
	s_mov_b32 s0, 0
.LBB78_2690:
	s_delay_alu instid0(SALU_CYCLE_1)
	s_and_not1_b32 vcc_lo, exec_lo, s0
	s_cbranch_vccnz .LBB78_2695
; %bb.2691:
	s_sext_i32_i16 s0, s16
	s_delay_alu instid0(SALU_CYCLE_1)
	s_cmp_gt_i32 s0, 0
	s_mov_b32 s0, -1
	s_cbranch_scc0 .LBB78_2693
; %bb.2692:
	s_mov_b32 s0, 0
	s_wait_loadcnt 0x0
	global_store_b8 v[0:1], v7, off
.LBB78_2693:
	s_and_not1_b32 vcc_lo, exec_lo, s0
	s_cbranch_vccnz .LBB78_2695
; %bb.2694:
	s_wait_loadcnt 0x0
	global_store_b8 v[0:1], v7, off
	s_endpgm
.LBB78_2695:
	s_endpgm
.LBB78_2696:
	s_mov_b32 s0, -1
	s_mov_b32 s3, 0
.LBB78_2697:
	s_and_b32 vcc_lo, exec_lo, s0
	s_cbranch_vccz .LBB78_2736
; %bb.2698:
	s_and_b32 s0, 0xffff, s16
	s_mov_b32 s1, -1
	s_cmp_lt_i32 s0, 5
	s_cbranch_scc1 .LBB78_2719
; %bb.2699:
	s_cmp_lt_i32 s0, 8
	s_cbranch_scc1 .LBB78_2709
; %bb.2700:
	;; [unrolled: 3-line block ×3, first 2 shown]
	s_cmp_gt_i32 s0, 9
	s_cbranch_scc0 .LBB78_2703
; %bb.2702:
	s_wait_xcnt 0x0
	v_bfe_i32 v1, v11, 0, 16
	v_mov_b32_e32 v16, 0
	s_mov_b32 s1, 0
	s_delay_alu instid0(VALU_DEP_2) | instskip(NEXT) | instid1(VALU_DEP_2)
	v_cvt_f64_i32_e32 v[14:15], v1
	v_mov_b32_e32 v17, v16
	global_store_b128 v[2:3], v[14:17], off
.LBB78_2703:
	s_and_not1_b32 vcc_lo, exec_lo, s1
	s_cbranch_vccnz .LBB78_2705
; %bb.2704:
	s_wait_xcnt 0x0
	v_bfe_i32 v1, v11, 0, 16
	v_mov_b32_e32 v5, 0
	s_delay_alu instid0(VALU_DEP_2)
	v_cvt_f32_i32_e32 v4, v1
	global_store_b64 v[2:3], v[4:5], off
.LBB78_2705:
	s_mov_b32 s1, 0
.LBB78_2706:
	s_delay_alu instid0(SALU_CYCLE_1)
	s_and_not1_b32 vcc_lo, exec_lo, s1
	s_cbranch_vccnz .LBB78_2708
; %bb.2707:
	s_wait_xcnt 0x0
	v_cvt_f16_i16_e32 v1, v11
	s_delay_alu instid0(VALU_DEP_1)
	v_and_b32_e32 v1, 0xffff, v1
	global_store_b32 v[2:3], v1, off
.LBB78_2708:
	s_mov_b32 s1, 0
.LBB78_2709:
	s_delay_alu instid0(SALU_CYCLE_1)
	s_and_not1_b32 vcc_lo, exec_lo, s1
	s_cbranch_vccnz .LBB78_2718
; %bb.2710:
	s_cmp_lt_i32 s0, 6
	s_mov_b32 s1, -1
	s_cbranch_scc1 .LBB78_2716
; %bb.2711:
	s_cmp_gt_i32 s0, 6
	s_cbranch_scc0 .LBB78_2713
; %bb.2712:
	s_wait_xcnt 0x0
	v_bfe_i32 v1, v11, 0, 16
	s_mov_b32 s1, 0
	s_delay_alu instid0(VALU_DEP_1)
	v_cvt_f64_i32_e32 v[4:5], v1
	global_store_b64 v[2:3], v[4:5], off
.LBB78_2713:
	s_and_not1_b32 vcc_lo, exec_lo, s1
	s_cbranch_vccnz .LBB78_2715
; %bb.2714:
	s_wait_xcnt 0x0
	v_bfe_i32 v1, v11, 0, 16
	s_delay_alu instid0(VALU_DEP_1)
	v_cvt_f32_i32_e32 v1, v1
	global_store_b32 v[2:3], v1, off
.LBB78_2715:
	s_mov_b32 s1, 0
.LBB78_2716:
	s_delay_alu instid0(SALU_CYCLE_1)
	s_and_not1_b32 vcc_lo, exec_lo, s1
	s_cbranch_vccnz .LBB78_2718
; %bb.2717:
	s_wait_xcnt 0x0
	v_cvt_f16_i16_e32 v1, v11
	global_store_b16 v[2:3], v1, off
.LBB78_2718:
	s_mov_b32 s1, 0
.LBB78_2719:
	s_delay_alu instid0(SALU_CYCLE_1)
	s_and_not1_b32 vcc_lo, exec_lo, s1
	s_cbranch_vccnz .LBB78_2735
; %bb.2720:
	s_cmp_lt_i32 s0, 2
	s_mov_b32 s1, -1
	s_cbranch_scc1 .LBB78_2730
; %bb.2721:
	s_cmp_lt_i32 s0, 3
	s_cbranch_scc1 .LBB78_2727
; %bb.2722:
	s_wait_xcnt 0x0
	v_bfe_i32 v4, v11, 0, 16
	s_cmp_gt_i32 s0, 3
	s_cbranch_scc0 .LBB78_2724
; %bb.2723:
	s_delay_alu instid0(VALU_DEP_1)
	v_ashrrev_i32_e32 v5, 31, v4
	s_mov_b32 s1, 0
	global_store_b64 v[2:3], v[4:5], off
.LBB78_2724:
	s_and_not1_b32 vcc_lo, exec_lo, s1
	s_cbranch_vccnz .LBB78_2726
; %bb.2725:
	global_store_b32 v[2:3], v4, off
.LBB78_2726:
	s_mov_b32 s1, 0
.LBB78_2727:
	s_delay_alu instid0(SALU_CYCLE_1)
	s_and_not1_b32 vcc_lo, exec_lo, s1
	s_cbranch_vccnz .LBB78_2729
; %bb.2728:
	global_store_b16 v[2:3], v11, off
.LBB78_2729:
	s_mov_b32 s1, 0
.LBB78_2730:
	s_delay_alu instid0(SALU_CYCLE_1)
	s_and_not1_b32 vcc_lo, exec_lo, s1
	s_cbranch_vccnz .LBB78_2735
; %bb.2731:
	s_cmp_gt_i32 s0, 0
	s_mov_b32 s0, -1
	s_cbranch_scc0 .LBB78_2733
; %bb.2732:
	s_mov_b32 s0, 0
	global_store_b8 v[2:3], v11, off
.LBB78_2733:
	s_and_not1_b32 vcc_lo, exec_lo, s0
	s_cbranch_vccnz .LBB78_2735
; %bb.2734:
	global_store_b8 v[2:3], v11, off
.LBB78_2735:
	s_mov_b32 s3, -1
.LBB78_2736:
	s_delay_alu instid0(SALU_CYCLE_1)
	s_and_not1_b32 vcc_lo, exec_lo, s3
	s_cbranch_vccnz .LBB78_3051
; %bb.2737:
	s_lshl_b32 s1, s8, 7
	s_cmp_lt_i32 s16, 11
	v_add_nc_u32_e32 v0, s1, v0
	s_wait_xcnt 0x0
	s_delay_alu instid0(VALU_DEP_1) | instskip(NEXT) | instid1(VALU_DEP_1)
	v_ashrrev_i32_e32 v1, 31, v0
	v_add_nc_u64_e32 v[2:3], s[4:5], v[0:1]
	s_cbranch_scc1 .LBB78_2815
; %bb.2738:
	s_and_b32 s2, 0xffff, s16
	s_mov_b32 s7, -1
	s_mov_b32 s3, 0
	s_cmp_gt_i32 s2, 25
	s_mov_b32 s6, 0
	s_mov_b32 s0, 0
	s_cbranch_scc0 .LBB78_2771
; %bb.2739:
	s_cmp_gt_i32 s2, 28
	s_cbranch_scc0 .LBB78_2754
; %bb.2740:
	s_cmp_gt_i32 s2, 43
	;; [unrolled: 3-line block ×3, first 2 shown]
	s_cbranch_scc0 .LBB78_2744
; %bb.2742:
	s_mov_b32 s0, -1
	s_mov_b32 s7, 0
	s_cmp_eq_u32 s2, 46
	s_cbranch_scc0 .LBB78_2744
; %bb.2743:
	v_bfe_i32 v1, v12, 0, 16
	s_mov_b32 s0, 0
	s_mov_b32 s6, -1
	s_delay_alu instid0(VALU_DEP_1) | instskip(NEXT) | instid1(VALU_DEP_1)
	v_cvt_f32_i32_e32 v1, v1
	v_bfe_u32 v4, v1, 16, 1
	s_delay_alu instid0(VALU_DEP_1) | instskip(NEXT) | instid1(VALU_DEP_1)
	v_add3_u32 v1, v1, v4, 0x7fff
	v_lshrrev_b32_e32 v1, 16, v1
	global_store_b32 v[2:3], v1, off
.LBB78_2744:
	s_and_b32 vcc_lo, exec_lo, s7
	s_cbranch_vccz .LBB78_2749
; %bb.2745:
	s_cmp_eq_u32 s2, 44
	s_mov_b32 s0, -1
	s_cbranch_scc0 .LBB78_2749
; %bb.2746:
	s_wait_xcnt 0x0
	v_bfe_i32 v1, v12, 0, 16
	v_mov_b32_e32 v4, 0xff
	s_mov_b32 s6, exec_lo
	s_delay_alu instid0(VALU_DEP_2) | instskip(NEXT) | instid1(VALU_DEP_1)
	v_cvt_f32_i32_e32 v1, v1
	v_bfe_u32 v5, v1, 23, 8
	s_delay_alu instid0(VALU_DEP_1)
	v_cmpx_ne_u32_e32 0xff, v5
	s_cbranch_execz .LBB78_2748
; %bb.2747:
	v_and_b32_e32 v4, 0x400000, v1
	v_and_or_b32 v5, 0x3fffff, v1, v5
	v_lshrrev_b32_e32 v1, 23, v1
	s_delay_alu instid0(VALU_DEP_3) | instskip(NEXT) | instid1(VALU_DEP_3)
	v_cmp_ne_u32_e32 vcc_lo, 0, v4
	v_cmp_ne_u32_e64 s0, 0, v5
	s_and_b32 s0, vcc_lo, s0
	s_delay_alu instid0(SALU_CYCLE_1) | instskip(NEXT) | instid1(VALU_DEP_1)
	v_cndmask_b32_e64 v4, 0, 1, s0
	v_add_nc_u32_e32 v4, v1, v4
.LBB78_2748:
	s_or_b32 exec_lo, exec_lo, s6
	s_mov_b32 s0, 0
	s_mov_b32 s6, -1
	global_store_b8 v[2:3], v4, off
.LBB78_2749:
	s_mov_b32 s7, 0
.LBB78_2750:
	s_delay_alu instid0(SALU_CYCLE_1)
	s_and_b32 vcc_lo, exec_lo, s7
	s_cbranch_vccz .LBB78_2753
; %bb.2751:
	s_cmp_eq_u32 s2, 29
	s_mov_b32 s0, -1
	s_cbranch_scc0 .LBB78_2753
; %bb.2752:
	s_wait_xcnt 0x0
	v_bfe_i32 v4, v12, 0, 16
	s_mov_b32 s0, 0
	s_mov_b32 s6, -1
	s_delay_alu instid0(VALU_DEP_1)
	v_ashrrev_i32_e32 v5, 31, v4
	global_store_b64 v[2:3], v[4:5], off
.LBB78_2753:
	s_mov_b32 s7, 0
.LBB78_2754:
	s_delay_alu instid0(SALU_CYCLE_1)
	s_and_b32 vcc_lo, exec_lo, s7
	s_cbranch_vccz .LBB78_2770
; %bb.2755:
	s_cmp_lt_i32 s2, 27
	s_mov_b32 s6, -1
	s_cbranch_scc1 .LBB78_2761
; %bb.2756:
	s_cmp_gt_i32 s2, 27
	s_cbranch_scc0 .LBB78_2758
; %bb.2757:
	s_wait_xcnt 0x0
	v_bfe_i32 v1, v12, 0, 16
	s_mov_b32 s6, 0
	global_store_b32 v[2:3], v1, off
.LBB78_2758:
	s_and_not1_b32 vcc_lo, exec_lo, s6
	s_cbranch_vccnz .LBB78_2760
; %bb.2759:
	global_store_b16 v[2:3], v12, off
.LBB78_2760:
	s_mov_b32 s6, 0
.LBB78_2761:
	s_delay_alu instid0(SALU_CYCLE_1)
	s_and_not1_b32 vcc_lo, exec_lo, s6
	s_cbranch_vccnz .LBB78_2769
; %bb.2762:
	s_wait_xcnt 0x0
	v_bfe_i32 v1, v12, 0, 16
	v_mov_b32_e32 v5, 0x80
	s_mov_b32 s6, exec_lo
	s_delay_alu instid0(VALU_DEP_2) | instskip(NEXT) | instid1(VALU_DEP_1)
	v_cvt_f32_i32_e32 v1, v1
	v_and_b32_e32 v4, 0x7fffffff, v1
	s_delay_alu instid0(VALU_DEP_1)
	v_cmpx_gt_u32_e32 0x43800000, v4
	s_cbranch_execz .LBB78_2768
; %bb.2763:
	v_cmp_lt_u32_e32 vcc_lo, 0x3bffffff, v4
	s_mov_b32 s7, 0
                                        ; implicit-def: $vgpr4
	s_and_saveexec_b32 s8, vcc_lo
	s_delay_alu instid0(SALU_CYCLE_1)
	s_xor_b32 s8, exec_lo, s8
	s_cbranch_execz .LBB78_3059
; %bb.2764:
	v_bfe_u32 v4, v1, 20, 1
	s_mov_b32 s7, exec_lo
	s_delay_alu instid0(VALU_DEP_1) | instskip(NEXT) | instid1(VALU_DEP_1)
	v_add3_u32 v4, v1, v4, 0x487ffff
	v_lshrrev_b32_e32 v4, 20, v4
	s_and_not1_saveexec_b32 s8, s8
	s_cbranch_execnz .LBB78_3060
.LBB78_2765:
	s_or_b32 exec_lo, exec_lo, s8
	v_mov_b32_e32 v5, 0
	s_and_saveexec_b32 s8, s7
.LBB78_2766:
	v_lshrrev_b32_e32 v1, 24, v1
	s_delay_alu instid0(VALU_DEP_1)
	v_and_or_b32 v5, 0x80, v1, v4
.LBB78_2767:
	s_or_b32 exec_lo, exec_lo, s8
.LBB78_2768:
	s_delay_alu instid0(SALU_CYCLE_1)
	s_or_b32 exec_lo, exec_lo, s6
	global_store_b8 v[2:3], v5, off
.LBB78_2769:
	s_mov_b32 s6, -1
.LBB78_2770:
	s_mov_b32 s7, 0
.LBB78_2771:
	s_delay_alu instid0(SALU_CYCLE_1)
	s_and_b32 vcc_lo, exec_lo, s7
	s_cbranch_vccz .LBB78_2811
; %bb.2772:
	s_cmp_gt_i32 s2, 22
	s_mov_b32 s3, -1
	s_cbranch_scc0 .LBB78_2804
; %bb.2773:
	s_cmp_lt_i32 s2, 24
	s_cbranch_scc1 .LBB78_2793
; %bb.2774:
	s_cmp_gt_i32 s2, 24
	s_cbranch_scc0 .LBB78_2782
; %bb.2775:
	s_wait_xcnt 0x0
	v_bfe_i32 v1, v12, 0, 16
	v_mov_b32_e32 v5, 0x80
	s_mov_b32 s3, exec_lo
	s_delay_alu instid0(VALU_DEP_2) | instskip(NEXT) | instid1(VALU_DEP_1)
	v_cvt_f32_i32_e32 v1, v1
	v_and_b32_e32 v4, 0x7fffffff, v1
	s_delay_alu instid0(VALU_DEP_1)
	v_cmpx_gt_u32_e32 0x47800000, v4
	s_cbranch_execz .LBB78_2781
; %bb.2776:
	v_cmp_lt_u32_e32 vcc_lo, 0x37ffffff, v4
	s_mov_b32 s6, 0
                                        ; implicit-def: $vgpr4
	s_and_saveexec_b32 s7, vcc_lo
	s_delay_alu instid0(SALU_CYCLE_1)
	s_xor_b32 s7, exec_lo, s7
	s_cbranch_execz .LBB78_3062
; %bb.2777:
	v_bfe_u32 v4, v1, 21, 1
	s_mov_b32 s6, exec_lo
	s_delay_alu instid0(VALU_DEP_1) | instskip(NEXT) | instid1(VALU_DEP_1)
	v_add3_u32 v4, v1, v4, 0x88fffff
	v_lshrrev_b32_e32 v4, 21, v4
	s_and_not1_saveexec_b32 s7, s7
	s_cbranch_execnz .LBB78_3063
.LBB78_2778:
	s_or_b32 exec_lo, exec_lo, s7
	v_mov_b32_e32 v5, 0
	s_and_saveexec_b32 s7, s6
.LBB78_2779:
	v_lshrrev_b32_e32 v1, 24, v1
	s_delay_alu instid0(VALU_DEP_1)
	v_and_or_b32 v5, 0x80, v1, v4
.LBB78_2780:
	s_or_b32 exec_lo, exec_lo, s7
.LBB78_2781:
	s_delay_alu instid0(SALU_CYCLE_1)
	s_or_b32 exec_lo, exec_lo, s3
	s_mov_b32 s3, 0
	global_store_b8 v[2:3], v5, off
.LBB78_2782:
	s_and_b32 vcc_lo, exec_lo, s3
	s_cbranch_vccz .LBB78_2792
; %bb.2783:
	s_wait_xcnt 0x0
	v_bfe_i32 v1, v12, 0, 16
	s_mov_b32 s3, exec_lo
                                        ; implicit-def: $vgpr4
	s_delay_alu instid0(VALU_DEP_1) | instskip(NEXT) | instid1(VALU_DEP_1)
	v_cvt_f32_i32_e32 v1, v1
	v_and_b32_e32 v5, 0x7fffffff, v1
	s_delay_alu instid0(VALU_DEP_1)
	v_cmpx_gt_u32_e32 0x43f00000, v5
	s_xor_b32 s3, exec_lo, s3
	s_cbranch_execz .LBB78_2789
; %bb.2784:
	s_mov_b32 s6, exec_lo
                                        ; implicit-def: $vgpr4
	v_cmpx_lt_u32_e32 0x3c7fffff, v5
	s_xor_b32 s6, exec_lo, s6
; %bb.2785:
	v_bfe_u32 v4, v1, 20, 1
	s_delay_alu instid0(VALU_DEP_1) | instskip(NEXT) | instid1(VALU_DEP_1)
	v_add3_u32 v4, v1, v4, 0x407ffff
	v_and_b32_e32 v5, 0xff00000, v4
	v_lshrrev_b32_e32 v4, 20, v4
	s_delay_alu instid0(VALU_DEP_2) | instskip(NEXT) | instid1(VALU_DEP_2)
	v_cmp_ne_u32_e32 vcc_lo, 0x7f00000, v5
	v_cndmask_b32_e32 v4, 0x7e, v4, vcc_lo
; %bb.2786:
	s_and_not1_saveexec_b32 s6, s6
; %bb.2787:
	v_add_f32_e64 v4, 0x46800000, |v1|
; %bb.2788:
	s_or_b32 exec_lo, exec_lo, s6
                                        ; implicit-def: $vgpr5
.LBB78_2789:
	s_and_not1_saveexec_b32 s3, s3
; %bb.2790:
	v_mov_b32_e32 v4, 0x7f
	v_cmp_lt_u32_e32 vcc_lo, 0x7f800000, v5
	s_delay_alu instid0(VALU_DEP_2)
	v_cndmask_b32_e32 v4, 0x7e, v4, vcc_lo
; %bb.2791:
	s_or_b32 exec_lo, exec_lo, s3
	v_lshrrev_b32_e32 v1, 24, v1
	s_delay_alu instid0(VALU_DEP_1)
	v_and_or_b32 v1, 0x80, v1, v4
	global_store_b8 v[2:3], v1, off
.LBB78_2792:
	s_mov_b32 s3, 0
.LBB78_2793:
	s_delay_alu instid0(SALU_CYCLE_1)
	s_and_not1_b32 vcc_lo, exec_lo, s3
	s_cbranch_vccnz .LBB78_2803
; %bb.2794:
	s_wait_xcnt 0x0
	v_bfe_i32 v1, v12, 0, 16
	s_mov_b32 s3, exec_lo
                                        ; implicit-def: $vgpr4
	s_delay_alu instid0(VALU_DEP_1) | instskip(NEXT) | instid1(VALU_DEP_1)
	v_cvt_f32_i32_e32 v1, v1
	v_and_b32_e32 v5, 0x7fffffff, v1
	s_delay_alu instid0(VALU_DEP_1)
	v_cmpx_gt_u32_e32 0x47800000, v5
	s_xor_b32 s3, exec_lo, s3
	s_cbranch_execz .LBB78_2800
; %bb.2795:
	s_mov_b32 s6, exec_lo
                                        ; implicit-def: $vgpr4
	v_cmpx_lt_u32_e32 0x387fffff, v5
	s_xor_b32 s6, exec_lo, s6
; %bb.2796:
	v_bfe_u32 v4, v1, 21, 1
	s_delay_alu instid0(VALU_DEP_1) | instskip(NEXT) | instid1(VALU_DEP_1)
	v_add3_u32 v4, v1, v4, 0x80fffff
	v_lshrrev_b32_e32 v4, 21, v4
; %bb.2797:
	s_and_not1_saveexec_b32 s6, s6
; %bb.2798:
	v_add_f32_e64 v4, 0x43000000, |v1|
; %bb.2799:
	s_or_b32 exec_lo, exec_lo, s6
                                        ; implicit-def: $vgpr5
.LBB78_2800:
	s_and_not1_saveexec_b32 s3, s3
; %bb.2801:
	v_mov_b32_e32 v4, 0x7f
	v_cmp_lt_u32_e32 vcc_lo, 0x7f800000, v5
	s_delay_alu instid0(VALU_DEP_2)
	v_cndmask_b32_e32 v4, 0x7c, v4, vcc_lo
; %bb.2802:
	s_or_b32 exec_lo, exec_lo, s3
	v_lshrrev_b32_e32 v1, 24, v1
	s_delay_alu instid0(VALU_DEP_1)
	v_and_or_b32 v1, 0x80, v1, v4
	global_store_b8 v[2:3], v1, off
.LBB78_2803:
	s_mov_b32 s3, 0
	s_mov_b32 s6, -1
.LBB78_2804:
	s_and_not1_b32 vcc_lo, exec_lo, s3
	s_mov_b32 s3, 0
	s_cbranch_vccnz .LBB78_2811
; %bb.2805:
	s_cmp_gt_i32 s2, 14
	s_mov_b32 s3, -1
	s_cbranch_scc0 .LBB78_2809
; %bb.2806:
	s_cmp_eq_u32 s2, 15
	s_mov_b32 s0, -1
	s_cbranch_scc0 .LBB78_2808
; %bb.2807:
	s_wait_xcnt 0x0
	v_bfe_i32 v1, v12, 0, 16
	s_mov_b32 s0, 0
	s_mov_b32 s6, -1
	s_delay_alu instid0(VALU_DEP_1) | instskip(NEXT) | instid1(VALU_DEP_1)
	v_cvt_f32_i32_e32 v1, v1
	v_bfe_u32 v4, v1, 16, 1
	s_delay_alu instid0(VALU_DEP_1)
	v_add3_u32 v1, v1, v4, 0x7fff
	global_store_d16_hi_b16 v[2:3], v1, off
.LBB78_2808:
	s_mov_b32 s3, 0
.LBB78_2809:
	s_delay_alu instid0(SALU_CYCLE_1)
	s_and_b32 vcc_lo, exec_lo, s3
	s_mov_b32 s3, 0
	s_cbranch_vccz .LBB78_2811
; %bb.2810:
	s_cmp_lg_u32 s2, 11
	s_mov_b32 s3, -1
	s_cselect_b32 s0, -1, 0
.LBB78_2811:
	s_delay_alu instid0(SALU_CYCLE_1)
	s_and_b32 vcc_lo, exec_lo, s0
	s_cbranch_vccnz .LBB78_3061
; %bb.2812:
	s_and_not1_b32 vcc_lo, exec_lo, s3
	s_cbranch_vccnz .LBB78_2814
.LBB78_2813:
	v_cmp_ne_u16_e32 vcc_lo, 0, v12
	s_mov_b32 s6, -1
	s_wait_xcnt 0x0
	v_cndmask_b32_e64 v1, 0, 1, vcc_lo
	global_store_b8 v[2:3], v1, off
.LBB78_2814:
	s_mov_b32 s0, 0
	s_branch .LBB78_2816
.LBB78_2815:
	s_mov_b32 s0, -1
	s_mov_b32 s6, 0
.LBB78_2816:
	s_and_b32 vcc_lo, exec_lo, s0
	s_cbranch_vccz .LBB78_2855
; %bb.2817:
	s_and_b32 s0, 0xffff, s16
	s_mov_b32 s2, -1
	s_cmp_lt_i32 s0, 5
	s_cbranch_scc1 .LBB78_2838
; %bb.2818:
	s_cmp_lt_i32 s0, 8
	s_cbranch_scc1 .LBB78_2828
; %bb.2819:
	;; [unrolled: 3-line block ×3, first 2 shown]
	s_cmp_gt_i32 s0, 9
	s_cbranch_scc0 .LBB78_2822
; %bb.2821:
	s_wait_xcnt 0x0
	v_bfe_i32 v1, v12, 0, 16
	v_mov_b32_e32 v10, 0
	s_mov_b32 s2, 0
	s_delay_alu instid0(VALU_DEP_2) | instskip(NEXT) | instid1(VALU_DEP_2)
	v_cvt_f64_i32_e32 v[8:9], v1
	v_mov_b32_e32 v11, v10
	global_store_b128 v[2:3], v[8:11], off
.LBB78_2822:
	s_and_not1_b32 vcc_lo, exec_lo, s2
	s_cbranch_vccnz .LBB78_2824
; %bb.2823:
	s_wait_xcnt 0x0
	v_bfe_i32 v1, v12, 0, 16
	v_mov_b32_e32 v5, 0
	s_delay_alu instid0(VALU_DEP_2)
	v_cvt_f32_i32_e32 v4, v1
	global_store_b64 v[2:3], v[4:5], off
.LBB78_2824:
	s_mov_b32 s2, 0
.LBB78_2825:
	s_delay_alu instid0(SALU_CYCLE_1)
	s_and_not1_b32 vcc_lo, exec_lo, s2
	s_cbranch_vccnz .LBB78_2827
; %bb.2826:
	s_wait_xcnt 0x0
	v_cvt_f16_i16_e32 v1, v12
	s_delay_alu instid0(VALU_DEP_1)
	v_and_b32_e32 v1, 0xffff, v1
	global_store_b32 v[2:3], v1, off
.LBB78_2827:
	s_mov_b32 s2, 0
.LBB78_2828:
	s_delay_alu instid0(SALU_CYCLE_1)
	s_and_not1_b32 vcc_lo, exec_lo, s2
	s_cbranch_vccnz .LBB78_2837
; %bb.2829:
	s_cmp_lt_i32 s0, 6
	s_mov_b32 s2, -1
	s_cbranch_scc1 .LBB78_2835
; %bb.2830:
	s_cmp_gt_i32 s0, 6
	s_cbranch_scc0 .LBB78_2832
; %bb.2831:
	s_wait_xcnt 0x0
	v_bfe_i32 v1, v12, 0, 16
	s_mov_b32 s2, 0
	s_delay_alu instid0(VALU_DEP_1)
	v_cvt_f64_i32_e32 v[4:5], v1
	global_store_b64 v[2:3], v[4:5], off
.LBB78_2832:
	s_and_not1_b32 vcc_lo, exec_lo, s2
	s_cbranch_vccnz .LBB78_2834
; %bb.2833:
	s_wait_xcnt 0x0
	v_bfe_i32 v1, v12, 0, 16
	s_delay_alu instid0(VALU_DEP_1)
	v_cvt_f32_i32_e32 v1, v1
	global_store_b32 v[2:3], v1, off
.LBB78_2834:
	s_mov_b32 s2, 0
.LBB78_2835:
	s_delay_alu instid0(SALU_CYCLE_1)
	s_and_not1_b32 vcc_lo, exec_lo, s2
	s_cbranch_vccnz .LBB78_2837
; %bb.2836:
	s_wait_xcnt 0x0
	v_cvt_f16_i16_e32 v1, v12
	global_store_b16 v[2:3], v1, off
.LBB78_2837:
	s_mov_b32 s2, 0
.LBB78_2838:
	s_delay_alu instid0(SALU_CYCLE_1)
	s_and_not1_b32 vcc_lo, exec_lo, s2
	s_cbranch_vccnz .LBB78_2854
; %bb.2839:
	s_cmp_lt_i32 s0, 2
	s_mov_b32 s2, -1
	s_cbranch_scc1 .LBB78_2849
; %bb.2840:
	s_cmp_lt_i32 s0, 3
	s_cbranch_scc1 .LBB78_2846
; %bb.2841:
	s_wait_xcnt 0x0
	v_bfe_i32 v4, v12, 0, 16
	s_cmp_gt_i32 s0, 3
	s_cbranch_scc0 .LBB78_2843
; %bb.2842:
	s_delay_alu instid0(VALU_DEP_1)
	v_ashrrev_i32_e32 v5, 31, v4
	s_mov_b32 s2, 0
	global_store_b64 v[2:3], v[4:5], off
.LBB78_2843:
	s_and_not1_b32 vcc_lo, exec_lo, s2
	s_cbranch_vccnz .LBB78_2845
; %bb.2844:
	global_store_b32 v[2:3], v4, off
.LBB78_2845:
	s_mov_b32 s2, 0
.LBB78_2846:
	s_delay_alu instid0(SALU_CYCLE_1)
	s_and_not1_b32 vcc_lo, exec_lo, s2
	s_cbranch_vccnz .LBB78_2848
; %bb.2847:
	global_store_b16 v[2:3], v12, off
.LBB78_2848:
	s_mov_b32 s2, 0
.LBB78_2849:
	s_delay_alu instid0(SALU_CYCLE_1)
	s_and_not1_b32 vcc_lo, exec_lo, s2
	s_cbranch_vccnz .LBB78_2854
; %bb.2850:
	s_cmp_gt_i32 s0, 0
	s_mov_b32 s0, -1
	s_cbranch_scc0 .LBB78_2852
; %bb.2851:
	s_mov_b32 s0, 0
	global_store_b8 v[2:3], v12, off
.LBB78_2852:
	s_and_not1_b32 vcc_lo, exec_lo, s0
	s_cbranch_vccnz .LBB78_2854
; %bb.2853:
	global_store_b8 v[2:3], v12, off
.LBB78_2854:
	s_mov_b32 s6, -1
.LBB78_2855:
	s_delay_alu instid0(SALU_CYCLE_1)
	s_and_not1_b32 vcc_lo, exec_lo, s6
	s_cbranch_vccnz .LBB78_3051
; %bb.2856:
	v_add_nc_u32_e32 v0, s1, v0
	s_cmp_lt_i32 s16, 11
	s_wait_xcnt 0x0
	s_delay_alu instid0(VALU_DEP_1) | instskip(NEXT) | instid1(VALU_DEP_1)
	v_ashrrev_i32_e32 v1, 31, v0
	v_add_nc_u64_e32 v[2:3], s[4:5], v[0:1]
	s_cbranch_scc1 .LBB78_2934
; %bb.2857:
	s_and_b32 s2, 0xffff, s16
	s_mov_b32 s7, -1
	s_mov_b32 s3, 0
	s_cmp_gt_i32 s2, 25
	s_mov_b32 s6, 0
	s_mov_b32 s0, 0
	s_cbranch_scc0 .LBB78_2890
; %bb.2858:
	s_cmp_gt_i32 s2, 28
	s_cbranch_scc0 .LBB78_2873
; %bb.2859:
	s_cmp_gt_i32 s2, 43
	;; [unrolled: 3-line block ×3, first 2 shown]
	s_cbranch_scc0 .LBB78_2863
; %bb.2861:
	s_mov_b32 s0, -1
	s_mov_b32 s7, 0
	s_cmp_eq_u32 s2, 46
	s_cbranch_scc0 .LBB78_2863
; %bb.2862:
	v_bfe_i32 v1, v6, 0, 16
	s_mov_b32 s0, 0
	s_mov_b32 s6, -1
	s_delay_alu instid0(VALU_DEP_1) | instskip(NEXT) | instid1(VALU_DEP_1)
	v_cvt_f32_i32_e32 v1, v1
	v_bfe_u32 v4, v1, 16, 1
	s_delay_alu instid0(VALU_DEP_1) | instskip(NEXT) | instid1(VALU_DEP_1)
	v_add3_u32 v1, v1, v4, 0x7fff
	v_lshrrev_b32_e32 v1, 16, v1
	global_store_b32 v[2:3], v1, off
.LBB78_2863:
	s_and_b32 vcc_lo, exec_lo, s7
	s_cbranch_vccz .LBB78_2868
; %bb.2864:
	s_cmp_eq_u32 s2, 44
	s_mov_b32 s0, -1
	s_cbranch_scc0 .LBB78_2868
; %bb.2865:
	s_wait_xcnt 0x0
	v_bfe_i32 v1, v6, 0, 16
	v_mov_b32_e32 v4, 0xff
	s_mov_b32 s6, exec_lo
	s_delay_alu instid0(VALU_DEP_2) | instskip(NEXT) | instid1(VALU_DEP_1)
	v_cvt_f32_i32_e32 v1, v1
	v_bfe_u32 v5, v1, 23, 8
	s_delay_alu instid0(VALU_DEP_1)
	v_cmpx_ne_u32_e32 0xff, v5
	s_cbranch_execz .LBB78_2867
; %bb.2866:
	v_and_b32_e32 v4, 0x400000, v1
	v_and_or_b32 v5, 0x3fffff, v1, v5
	v_lshrrev_b32_e32 v1, 23, v1
	s_delay_alu instid0(VALU_DEP_3) | instskip(NEXT) | instid1(VALU_DEP_3)
	v_cmp_ne_u32_e32 vcc_lo, 0, v4
	v_cmp_ne_u32_e64 s0, 0, v5
	s_and_b32 s0, vcc_lo, s0
	s_delay_alu instid0(SALU_CYCLE_1) | instskip(NEXT) | instid1(VALU_DEP_1)
	v_cndmask_b32_e64 v4, 0, 1, s0
	v_add_nc_u32_e32 v4, v1, v4
.LBB78_2867:
	s_or_b32 exec_lo, exec_lo, s6
	s_mov_b32 s0, 0
	s_mov_b32 s6, -1
	global_store_b8 v[2:3], v4, off
.LBB78_2868:
	s_mov_b32 s7, 0
.LBB78_2869:
	s_delay_alu instid0(SALU_CYCLE_1)
	s_and_b32 vcc_lo, exec_lo, s7
	s_cbranch_vccz .LBB78_2872
; %bb.2870:
	s_cmp_eq_u32 s2, 29
	s_mov_b32 s0, -1
	s_cbranch_scc0 .LBB78_2872
; %bb.2871:
	s_wait_xcnt 0x0
	v_bfe_i32 v4, v6, 0, 16
	s_mov_b32 s0, 0
	s_mov_b32 s6, -1
	s_delay_alu instid0(VALU_DEP_1)
	v_ashrrev_i32_e32 v5, 31, v4
	global_store_b64 v[2:3], v[4:5], off
.LBB78_2872:
	s_mov_b32 s7, 0
.LBB78_2873:
	s_delay_alu instid0(SALU_CYCLE_1)
	s_and_b32 vcc_lo, exec_lo, s7
	s_cbranch_vccz .LBB78_2889
; %bb.2874:
	s_cmp_lt_i32 s2, 27
	s_mov_b32 s6, -1
	s_cbranch_scc1 .LBB78_2880
; %bb.2875:
	s_cmp_gt_i32 s2, 27
	s_cbranch_scc0 .LBB78_2877
; %bb.2876:
	s_wait_xcnt 0x0
	v_bfe_i32 v1, v6, 0, 16
	s_mov_b32 s6, 0
	global_store_b32 v[2:3], v1, off
.LBB78_2877:
	s_and_not1_b32 vcc_lo, exec_lo, s6
	s_cbranch_vccnz .LBB78_2879
; %bb.2878:
	global_store_b16 v[2:3], v6, off
.LBB78_2879:
	s_mov_b32 s6, 0
.LBB78_2880:
	s_delay_alu instid0(SALU_CYCLE_1)
	s_and_not1_b32 vcc_lo, exec_lo, s6
	s_cbranch_vccnz .LBB78_2888
; %bb.2881:
	s_wait_xcnt 0x0
	v_bfe_i32 v1, v6, 0, 16
	v_mov_b32_e32 v5, 0x80
	s_mov_b32 s6, exec_lo
	s_delay_alu instid0(VALU_DEP_2) | instskip(NEXT) | instid1(VALU_DEP_1)
	v_cvt_f32_i32_e32 v1, v1
	v_and_b32_e32 v4, 0x7fffffff, v1
	s_delay_alu instid0(VALU_DEP_1)
	v_cmpx_gt_u32_e32 0x43800000, v4
	s_cbranch_execz .LBB78_2887
; %bb.2882:
	v_cmp_lt_u32_e32 vcc_lo, 0x3bffffff, v4
	s_mov_b32 s7, 0
                                        ; implicit-def: $vgpr4
	s_and_saveexec_b32 s8, vcc_lo
	s_delay_alu instid0(SALU_CYCLE_1)
	s_xor_b32 s8, exec_lo, s8
	s_cbranch_execz .LBB78_3064
; %bb.2883:
	v_bfe_u32 v4, v1, 20, 1
	s_mov_b32 s7, exec_lo
	s_delay_alu instid0(VALU_DEP_1) | instskip(NEXT) | instid1(VALU_DEP_1)
	v_add3_u32 v4, v1, v4, 0x487ffff
	v_lshrrev_b32_e32 v4, 20, v4
	s_and_not1_saveexec_b32 s8, s8
	s_cbranch_execnz .LBB78_3065
.LBB78_2884:
	s_or_b32 exec_lo, exec_lo, s8
	v_mov_b32_e32 v5, 0
	s_and_saveexec_b32 s8, s7
.LBB78_2885:
	v_lshrrev_b32_e32 v1, 24, v1
	s_delay_alu instid0(VALU_DEP_1)
	v_and_or_b32 v5, 0x80, v1, v4
.LBB78_2886:
	s_or_b32 exec_lo, exec_lo, s8
.LBB78_2887:
	s_delay_alu instid0(SALU_CYCLE_1)
	s_or_b32 exec_lo, exec_lo, s6
	global_store_b8 v[2:3], v5, off
.LBB78_2888:
	s_mov_b32 s6, -1
.LBB78_2889:
	s_mov_b32 s7, 0
.LBB78_2890:
	s_delay_alu instid0(SALU_CYCLE_1)
	s_and_b32 vcc_lo, exec_lo, s7
	s_cbranch_vccz .LBB78_2930
; %bb.2891:
	s_cmp_gt_i32 s2, 22
	s_mov_b32 s3, -1
	s_cbranch_scc0 .LBB78_2923
; %bb.2892:
	s_cmp_lt_i32 s2, 24
	s_cbranch_scc1 .LBB78_2912
; %bb.2893:
	s_cmp_gt_i32 s2, 24
	s_cbranch_scc0 .LBB78_2901
; %bb.2894:
	s_wait_xcnt 0x0
	v_bfe_i32 v1, v6, 0, 16
	v_mov_b32_e32 v5, 0x80
	s_mov_b32 s3, exec_lo
	s_delay_alu instid0(VALU_DEP_2) | instskip(NEXT) | instid1(VALU_DEP_1)
	v_cvt_f32_i32_e32 v1, v1
	v_and_b32_e32 v4, 0x7fffffff, v1
	s_delay_alu instid0(VALU_DEP_1)
	v_cmpx_gt_u32_e32 0x47800000, v4
	s_cbranch_execz .LBB78_2900
; %bb.2895:
	v_cmp_lt_u32_e32 vcc_lo, 0x37ffffff, v4
	s_mov_b32 s6, 0
                                        ; implicit-def: $vgpr4
	s_and_saveexec_b32 s7, vcc_lo
	s_delay_alu instid0(SALU_CYCLE_1)
	s_xor_b32 s7, exec_lo, s7
	s_cbranch_execz .LBB78_3067
; %bb.2896:
	v_bfe_u32 v4, v1, 21, 1
	s_mov_b32 s6, exec_lo
	s_delay_alu instid0(VALU_DEP_1) | instskip(NEXT) | instid1(VALU_DEP_1)
	v_add3_u32 v4, v1, v4, 0x88fffff
	v_lshrrev_b32_e32 v4, 21, v4
	s_and_not1_saveexec_b32 s7, s7
	s_cbranch_execnz .LBB78_3068
.LBB78_2897:
	s_or_b32 exec_lo, exec_lo, s7
	v_mov_b32_e32 v5, 0
	s_and_saveexec_b32 s7, s6
.LBB78_2898:
	v_lshrrev_b32_e32 v1, 24, v1
	s_delay_alu instid0(VALU_DEP_1)
	v_and_or_b32 v5, 0x80, v1, v4
.LBB78_2899:
	s_or_b32 exec_lo, exec_lo, s7
.LBB78_2900:
	s_delay_alu instid0(SALU_CYCLE_1)
	s_or_b32 exec_lo, exec_lo, s3
	s_mov_b32 s3, 0
	global_store_b8 v[2:3], v5, off
.LBB78_2901:
	s_and_b32 vcc_lo, exec_lo, s3
	s_cbranch_vccz .LBB78_2911
; %bb.2902:
	s_wait_xcnt 0x0
	v_bfe_i32 v1, v6, 0, 16
	s_mov_b32 s3, exec_lo
                                        ; implicit-def: $vgpr4
	s_delay_alu instid0(VALU_DEP_1) | instskip(NEXT) | instid1(VALU_DEP_1)
	v_cvt_f32_i32_e32 v1, v1
	v_and_b32_e32 v5, 0x7fffffff, v1
	s_delay_alu instid0(VALU_DEP_1)
	v_cmpx_gt_u32_e32 0x43f00000, v5
	s_xor_b32 s3, exec_lo, s3
	s_cbranch_execz .LBB78_2908
; %bb.2903:
	s_mov_b32 s6, exec_lo
                                        ; implicit-def: $vgpr4
	v_cmpx_lt_u32_e32 0x3c7fffff, v5
	s_xor_b32 s6, exec_lo, s6
; %bb.2904:
	v_bfe_u32 v4, v1, 20, 1
	s_delay_alu instid0(VALU_DEP_1) | instskip(NEXT) | instid1(VALU_DEP_1)
	v_add3_u32 v4, v1, v4, 0x407ffff
	v_and_b32_e32 v5, 0xff00000, v4
	v_lshrrev_b32_e32 v4, 20, v4
	s_delay_alu instid0(VALU_DEP_2) | instskip(NEXT) | instid1(VALU_DEP_2)
	v_cmp_ne_u32_e32 vcc_lo, 0x7f00000, v5
	v_cndmask_b32_e32 v4, 0x7e, v4, vcc_lo
; %bb.2905:
	s_and_not1_saveexec_b32 s6, s6
; %bb.2906:
	v_add_f32_e64 v4, 0x46800000, |v1|
; %bb.2907:
	s_or_b32 exec_lo, exec_lo, s6
                                        ; implicit-def: $vgpr5
.LBB78_2908:
	s_and_not1_saveexec_b32 s3, s3
; %bb.2909:
	v_mov_b32_e32 v4, 0x7f
	v_cmp_lt_u32_e32 vcc_lo, 0x7f800000, v5
	s_delay_alu instid0(VALU_DEP_2)
	v_cndmask_b32_e32 v4, 0x7e, v4, vcc_lo
; %bb.2910:
	s_or_b32 exec_lo, exec_lo, s3
	v_lshrrev_b32_e32 v1, 24, v1
	s_delay_alu instid0(VALU_DEP_1)
	v_and_or_b32 v1, 0x80, v1, v4
	global_store_b8 v[2:3], v1, off
.LBB78_2911:
	s_mov_b32 s3, 0
.LBB78_2912:
	s_delay_alu instid0(SALU_CYCLE_1)
	s_and_not1_b32 vcc_lo, exec_lo, s3
	s_cbranch_vccnz .LBB78_2922
; %bb.2913:
	s_wait_xcnt 0x0
	v_bfe_i32 v1, v6, 0, 16
	s_mov_b32 s3, exec_lo
                                        ; implicit-def: $vgpr4
	s_delay_alu instid0(VALU_DEP_1) | instskip(NEXT) | instid1(VALU_DEP_1)
	v_cvt_f32_i32_e32 v1, v1
	v_and_b32_e32 v5, 0x7fffffff, v1
	s_delay_alu instid0(VALU_DEP_1)
	v_cmpx_gt_u32_e32 0x47800000, v5
	s_xor_b32 s3, exec_lo, s3
	s_cbranch_execz .LBB78_2919
; %bb.2914:
	s_mov_b32 s6, exec_lo
                                        ; implicit-def: $vgpr4
	v_cmpx_lt_u32_e32 0x387fffff, v5
	s_xor_b32 s6, exec_lo, s6
; %bb.2915:
	v_bfe_u32 v4, v1, 21, 1
	s_delay_alu instid0(VALU_DEP_1) | instskip(NEXT) | instid1(VALU_DEP_1)
	v_add3_u32 v4, v1, v4, 0x80fffff
	v_lshrrev_b32_e32 v4, 21, v4
; %bb.2916:
	s_and_not1_saveexec_b32 s6, s6
; %bb.2917:
	v_add_f32_e64 v4, 0x43000000, |v1|
; %bb.2918:
	s_or_b32 exec_lo, exec_lo, s6
                                        ; implicit-def: $vgpr5
.LBB78_2919:
	s_and_not1_saveexec_b32 s3, s3
; %bb.2920:
	v_mov_b32_e32 v4, 0x7f
	v_cmp_lt_u32_e32 vcc_lo, 0x7f800000, v5
	s_delay_alu instid0(VALU_DEP_2)
	v_cndmask_b32_e32 v4, 0x7c, v4, vcc_lo
; %bb.2921:
	s_or_b32 exec_lo, exec_lo, s3
	v_lshrrev_b32_e32 v1, 24, v1
	s_delay_alu instid0(VALU_DEP_1)
	v_and_or_b32 v1, 0x80, v1, v4
	global_store_b8 v[2:3], v1, off
.LBB78_2922:
	s_mov_b32 s3, 0
	s_mov_b32 s6, -1
.LBB78_2923:
	s_and_not1_b32 vcc_lo, exec_lo, s3
	s_mov_b32 s3, 0
	s_cbranch_vccnz .LBB78_2930
; %bb.2924:
	s_cmp_gt_i32 s2, 14
	s_mov_b32 s3, -1
	s_cbranch_scc0 .LBB78_2928
; %bb.2925:
	s_cmp_eq_u32 s2, 15
	s_mov_b32 s0, -1
	s_cbranch_scc0 .LBB78_2927
; %bb.2926:
	s_wait_xcnt 0x0
	v_bfe_i32 v1, v6, 0, 16
	s_mov_b32 s0, 0
	s_mov_b32 s6, -1
	s_delay_alu instid0(VALU_DEP_1) | instskip(NEXT) | instid1(VALU_DEP_1)
	v_cvt_f32_i32_e32 v1, v1
	v_bfe_u32 v4, v1, 16, 1
	s_delay_alu instid0(VALU_DEP_1)
	v_add3_u32 v1, v1, v4, 0x7fff
	global_store_d16_hi_b16 v[2:3], v1, off
.LBB78_2927:
	s_mov_b32 s3, 0
.LBB78_2928:
	s_delay_alu instid0(SALU_CYCLE_1)
	s_and_b32 vcc_lo, exec_lo, s3
	s_mov_b32 s3, 0
	s_cbranch_vccz .LBB78_2930
; %bb.2929:
	s_cmp_lg_u32 s2, 11
	s_mov_b32 s3, -1
	s_cselect_b32 s0, -1, 0
.LBB78_2930:
	s_delay_alu instid0(SALU_CYCLE_1)
	s_and_b32 vcc_lo, exec_lo, s0
	s_cbranch_vccnz .LBB78_3066
; %bb.2931:
	s_and_not1_b32 vcc_lo, exec_lo, s3
	s_cbranch_vccnz .LBB78_2933
.LBB78_2932:
	v_cmp_ne_u16_e32 vcc_lo, 0, v6
	s_mov_b32 s6, -1
	s_wait_xcnt 0x0
	v_cndmask_b32_e64 v1, 0, 1, vcc_lo
	global_store_b8 v[2:3], v1, off
.LBB78_2933:
	s_mov_b32 s0, 0
	s_branch .LBB78_2935
.LBB78_2934:
	s_mov_b32 s0, -1
	s_mov_b32 s6, 0
.LBB78_2935:
	s_and_b32 vcc_lo, exec_lo, s0
	s_cbranch_vccz .LBB78_2974
; %bb.2936:
	s_and_b32 s0, 0xffff, s16
	s_mov_b32 s2, -1
	s_cmp_lt_i32 s0, 5
	s_cbranch_scc1 .LBB78_2957
; %bb.2937:
	s_cmp_lt_i32 s0, 8
	s_cbranch_scc1 .LBB78_2947
; %bb.2938:
	;; [unrolled: 3-line block ×3, first 2 shown]
	s_cmp_gt_i32 s0, 9
	s_cbranch_scc0 .LBB78_2941
; %bb.2940:
	s_wait_xcnt 0x0
	v_bfe_i32 v1, v6, 0, 16
	v_mov_b32_e32 v10, 0
	s_mov_b32 s2, 0
	s_delay_alu instid0(VALU_DEP_2) | instskip(NEXT) | instid1(VALU_DEP_2)
	v_cvt_f64_i32_e32 v[8:9], v1
	v_mov_b32_e32 v11, v10
	global_store_b128 v[2:3], v[8:11], off
.LBB78_2941:
	s_and_not1_b32 vcc_lo, exec_lo, s2
	s_cbranch_vccnz .LBB78_2943
; %bb.2942:
	s_wait_xcnt 0x0
	v_bfe_i32 v1, v6, 0, 16
	v_mov_b32_e32 v5, 0
	s_delay_alu instid0(VALU_DEP_2)
	v_cvt_f32_i32_e32 v4, v1
	global_store_b64 v[2:3], v[4:5], off
.LBB78_2943:
	s_mov_b32 s2, 0
.LBB78_2944:
	s_delay_alu instid0(SALU_CYCLE_1)
	s_and_not1_b32 vcc_lo, exec_lo, s2
	s_cbranch_vccnz .LBB78_2946
; %bb.2945:
	s_wait_xcnt 0x0
	v_cvt_f16_i16_e32 v1, v6
	s_delay_alu instid0(VALU_DEP_1)
	v_and_b32_e32 v1, 0xffff, v1
	global_store_b32 v[2:3], v1, off
.LBB78_2946:
	s_mov_b32 s2, 0
.LBB78_2947:
	s_delay_alu instid0(SALU_CYCLE_1)
	s_and_not1_b32 vcc_lo, exec_lo, s2
	s_cbranch_vccnz .LBB78_2956
; %bb.2948:
	s_cmp_lt_i32 s0, 6
	s_mov_b32 s2, -1
	s_cbranch_scc1 .LBB78_2954
; %bb.2949:
	s_cmp_gt_i32 s0, 6
	s_cbranch_scc0 .LBB78_2951
; %bb.2950:
	s_wait_xcnt 0x0
	v_bfe_i32 v1, v6, 0, 16
	s_mov_b32 s2, 0
	s_delay_alu instid0(VALU_DEP_1)
	v_cvt_f64_i32_e32 v[4:5], v1
	global_store_b64 v[2:3], v[4:5], off
.LBB78_2951:
	s_and_not1_b32 vcc_lo, exec_lo, s2
	s_cbranch_vccnz .LBB78_2953
; %bb.2952:
	s_wait_xcnt 0x0
	v_bfe_i32 v1, v6, 0, 16
	s_delay_alu instid0(VALU_DEP_1)
	v_cvt_f32_i32_e32 v1, v1
	global_store_b32 v[2:3], v1, off
.LBB78_2953:
	s_mov_b32 s2, 0
.LBB78_2954:
	s_delay_alu instid0(SALU_CYCLE_1)
	s_and_not1_b32 vcc_lo, exec_lo, s2
	s_cbranch_vccnz .LBB78_2956
; %bb.2955:
	s_wait_xcnt 0x0
	v_cvt_f16_i16_e32 v1, v6
	global_store_b16 v[2:3], v1, off
.LBB78_2956:
	s_mov_b32 s2, 0
.LBB78_2957:
	s_delay_alu instid0(SALU_CYCLE_1)
	s_and_not1_b32 vcc_lo, exec_lo, s2
	s_cbranch_vccnz .LBB78_2973
; %bb.2958:
	s_cmp_lt_i32 s0, 2
	s_mov_b32 s2, -1
	s_cbranch_scc1 .LBB78_2968
; %bb.2959:
	s_cmp_lt_i32 s0, 3
	s_cbranch_scc1 .LBB78_2965
; %bb.2960:
	s_wait_xcnt 0x0
	v_bfe_i32 v4, v6, 0, 16
	s_cmp_gt_i32 s0, 3
	s_cbranch_scc0 .LBB78_2962
; %bb.2961:
	s_delay_alu instid0(VALU_DEP_1)
	v_ashrrev_i32_e32 v5, 31, v4
	s_mov_b32 s2, 0
	global_store_b64 v[2:3], v[4:5], off
.LBB78_2962:
	s_and_not1_b32 vcc_lo, exec_lo, s2
	s_cbranch_vccnz .LBB78_2964
; %bb.2963:
	global_store_b32 v[2:3], v4, off
.LBB78_2964:
	s_mov_b32 s2, 0
.LBB78_2965:
	s_delay_alu instid0(SALU_CYCLE_1)
	s_and_not1_b32 vcc_lo, exec_lo, s2
	s_cbranch_vccnz .LBB78_2967
; %bb.2966:
	global_store_b16 v[2:3], v6, off
.LBB78_2967:
	s_mov_b32 s2, 0
.LBB78_2968:
	s_delay_alu instid0(SALU_CYCLE_1)
	s_and_not1_b32 vcc_lo, exec_lo, s2
	s_cbranch_vccnz .LBB78_2973
; %bb.2969:
	s_cmp_gt_i32 s0, 0
	s_mov_b32 s0, -1
	s_cbranch_scc0 .LBB78_2971
; %bb.2970:
	s_mov_b32 s0, 0
	global_store_b8 v[2:3], v6, off
.LBB78_2971:
	s_and_not1_b32 vcc_lo, exec_lo, s0
	s_cbranch_vccnz .LBB78_2973
; %bb.2972:
	global_store_b8 v[2:3], v6, off
.LBB78_2973:
	s_mov_b32 s6, -1
.LBB78_2974:
	s_delay_alu instid0(SALU_CYCLE_1)
	s_and_not1_b32 vcc_lo, exec_lo, s6
	s_cbranch_vccnz .LBB78_3051
; %bb.2975:
	v_add_nc_u32_e32 v0, s1, v0
	s_cmp_lt_i32 s16, 11
	s_wait_xcnt 0x0
	s_delay_alu instid0(VALU_DEP_1) | instskip(NEXT) | instid1(VALU_DEP_1)
	v_ashrrev_i32_e32 v1, 31, v0
	v_add_nc_u64_e32 v[0:1], s[4:5], v[0:1]
	s_cbranch_scc1 .LBB78_3052
; %bb.2976:
	s_and_b32 s1, 0xffff, s16
	s_mov_b32 s3, -1
	s_mov_b32 s2, 0
	s_cmp_gt_i32 s1, 25
	s_mov_b32 s0, 0
	s_cbranch_scc0 .LBB78_3009
; %bb.2977:
	s_cmp_gt_i32 s1, 28
	s_cbranch_scc0 .LBB78_2993
; %bb.2978:
	s_cmp_gt_i32 s1, 43
	;; [unrolled: 3-line block ×3, first 2 shown]
	s_cbranch_scc0 .LBB78_2983
; %bb.2980:
	s_cmp_eq_u32 s1, 46
	s_mov_b32 s0, -1
	s_cbranch_scc0 .LBB78_2982
; %bb.2981:
	v_bfe_i32 v2, v7, 0, 16
	s_mov_b32 s0, 0
	s_delay_alu instid0(VALU_DEP_1) | instskip(NEXT) | instid1(VALU_DEP_1)
	v_cvt_f32_i32_e32 v2, v2
	v_bfe_u32 v3, v2, 16, 1
	s_delay_alu instid0(VALU_DEP_1) | instskip(NEXT) | instid1(VALU_DEP_1)
	v_add3_u32 v2, v2, v3, 0x7fff
	v_lshrrev_b32_e32 v2, 16, v2
	global_store_b32 v[0:1], v2, off
.LBB78_2982:
	s_mov_b32 s3, 0
.LBB78_2983:
	s_delay_alu instid0(SALU_CYCLE_1)
	s_and_b32 vcc_lo, exec_lo, s3
	s_cbranch_vccz .LBB78_2988
; %bb.2984:
	s_cmp_eq_u32 s1, 44
	s_mov_b32 s0, -1
	s_cbranch_scc0 .LBB78_2988
; %bb.2985:
	s_wait_xcnt 0x0
	v_bfe_i32 v2, v7, 0, 16
	v_mov_b32_e32 v3, 0xff
	s_mov_b32 s3, exec_lo
	s_delay_alu instid0(VALU_DEP_2) | instskip(NEXT) | instid1(VALU_DEP_1)
	v_cvt_f32_i32_e32 v2, v2
	v_bfe_u32 v4, v2, 23, 8
	s_delay_alu instid0(VALU_DEP_1)
	v_cmpx_ne_u32_e32 0xff, v4
	s_cbranch_execz .LBB78_2987
; %bb.2986:
	v_and_b32_e32 v3, 0x400000, v2
	v_and_or_b32 v4, 0x3fffff, v2, v4
	v_lshrrev_b32_e32 v2, 23, v2
	s_delay_alu instid0(VALU_DEP_3) | instskip(NEXT) | instid1(VALU_DEP_3)
	v_cmp_ne_u32_e32 vcc_lo, 0, v3
	v_cmp_ne_u32_e64 s0, 0, v4
	s_and_b32 s0, vcc_lo, s0
	s_delay_alu instid0(SALU_CYCLE_1) | instskip(NEXT) | instid1(VALU_DEP_1)
	v_cndmask_b32_e64 v3, 0, 1, s0
	v_add_nc_u32_e32 v3, v2, v3
.LBB78_2987:
	s_or_b32 exec_lo, exec_lo, s3
	s_mov_b32 s0, 0
	global_store_b8 v[0:1], v3, off
.LBB78_2988:
	s_mov_b32 s3, 0
.LBB78_2989:
	s_delay_alu instid0(SALU_CYCLE_1)
	s_and_b32 vcc_lo, exec_lo, s3
	s_cbranch_vccz .LBB78_2992
; %bb.2990:
	s_cmp_eq_u32 s1, 29
	s_mov_b32 s0, -1
	s_cbranch_scc0 .LBB78_2992
; %bb.2991:
	s_wait_xcnt 0x0
	v_bfe_i32 v2, v7, 0, 16
	s_mov_b32 s0, 0
	s_delay_alu instid0(VALU_DEP_1)
	v_ashrrev_i32_e32 v3, 31, v2
	global_store_b64 v[0:1], v[2:3], off
.LBB78_2992:
	s_mov_b32 s3, 0
.LBB78_2993:
	s_delay_alu instid0(SALU_CYCLE_1)
	s_and_b32 vcc_lo, exec_lo, s3
	s_cbranch_vccz .LBB78_3008
; %bb.2994:
	s_cmp_lt_i32 s1, 27
	s_mov_b32 s3, -1
	s_cbranch_scc1 .LBB78_3000
; %bb.2995:
	s_cmp_gt_i32 s1, 27
	s_cbranch_scc0 .LBB78_2997
; %bb.2996:
	s_wait_xcnt 0x0
	v_bfe_i32 v2, v7, 0, 16
	s_mov_b32 s3, 0
	global_store_b32 v[0:1], v2, off
.LBB78_2997:
	s_and_not1_b32 vcc_lo, exec_lo, s3
	s_cbranch_vccnz .LBB78_2999
; %bb.2998:
	global_store_b16 v[0:1], v7, off
.LBB78_2999:
	s_mov_b32 s3, 0
.LBB78_3000:
	s_delay_alu instid0(SALU_CYCLE_1)
	s_and_not1_b32 vcc_lo, exec_lo, s3
	s_cbranch_vccnz .LBB78_3008
; %bb.3001:
	s_wait_xcnt 0x0
	v_bfe_i32 v2, v7, 0, 16
	v_mov_b32_e32 v4, 0x80
	s_mov_b32 s3, exec_lo
	s_delay_alu instid0(VALU_DEP_2) | instskip(NEXT) | instid1(VALU_DEP_1)
	v_cvt_f32_i32_e32 v2, v2
	v_and_b32_e32 v3, 0x7fffffff, v2
	s_delay_alu instid0(VALU_DEP_1)
	v_cmpx_gt_u32_e32 0x43800000, v3
	s_cbranch_execz .LBB78_3007
; %bb.3002:
	v_cmp_lt_u32_e32 vcc_lo, 0x3bffffff, v3
	s_mov_b32 s4, 0
                                        ; implicit-def: $vgpr3
	s_and_saveexec_b32 s5, vcc_lo
	s_delay_alu instid0(SALU_CYCLE_1)
	s_xor_b32 s5, exec_lo, s5
	s_cbranch_execz .LBB78_3069
; %bb.3003:
	v_bfe_u32 v3, v2, 20, 1
	s_mov_b32 s4, exec_lo
	s_delay_alu instid0(VALU_DEP_1) | instskip(NEXT) | instid1(VALU_DEP_1)
	v_add3_u32 v3, v2, v3, 0x487ffff
	v_lshrrev_b32_e32 v3, 20, v3
	s_and_not1_saveexec_b32 s5, s5
	s_cbranch_execnz .LBB78_3070
.LBB78_3004:
	s_or_b32 exec_lo, exec_lo, s5
	v_mov_b32_e32 v4, 0
	s_and_saveexec_b32 s5, s4
.LBB78_3005:
	v_lshrrev_b32_e32 v2, 24, v2
	s_delay_alu instid0(VALU_DEP_1)
	v_and_or_b32 v4, 0x80, v2, v3
.LBB78_3006:
	s_or_b32 exec_lo, exec_lo, s5
.LBB78_3007:
	s_delay_alu instid0(SALU_CYCLE_1)
	s_or_b32 exec_lo, exec_lo, s3
	global_store_b8 v[0:1], v4, off
.LBB78_3008:
	s_mov_b32 s3, 0
.LBB78_3009:
	s_delay_alu instid0(SALU_CYCLE_1)
	s_and_b32 vcc_lo, exec_lo, s3
	s_cbranch_vccz .LBB78_3049
; %bb.3010:
	s_cmp_gt_i32 s1, 22
	s_mov_b32 s2, -1
	s_cbranch_scc0 .LBB78_3042
; %bb.3011:
	s_cmp_lt_i32 s1, 24
	s_cbranch_scc1 .LBB78_3031
; %bb.3012:
	s_cmp_gt_i32 s1, 24
	s_cbranch_scc0 .LBB78_3020
; %bb.3013:
	s_wait_xcnt 0x0
	v_bfe_i32 v2, v7, 0, 16
	v_mov_b32_e32 v4, 0x80
	s_mov_b32 s2, exec_lo
	s_delay_alu instid0(VALU_DEP_2) | instskip(NEXT) | instid1(VALU_DEP_1)
	v_cvt_f32_i32_e32 v2, v2
	v_and_b32_e32 v3, 0x7fffffff, v2
	s_delay_alu instid0(VALU_DEP_1)
	v_cmpx_gt_u32_e32 0x47800000, v3
	s_cbranch_execz .LBB78_3019
; %bb.3014:
	v_cmp_lt_u32_e32 vcc_lo, 0x37ffffff, v3
	s_mov_b32 s3, 0
                                        ; implicit-def: $vgpr3
	s_and_saveexec_b32 s4, vcc_lo
	s_delay_alu instid0(SALU_CYCLE_1)
	s_xor_b32 s4, exec_lo, s4
	s_cbranch_execz .LBB78_3072
; %bb.3015:
	v_bfe_u32 v3, v2, 21, 1
	s_mov_b32 s3, exec_lo
	s_delay_alu instid0(VALU_DEP_1) | instskip(NEXT) | instid1(VALU_DEP_1)
	v_add3_u32 v3, v2, v3, 0x88fffff
	v_lshrrev_b32_e32 v3, 21, v3
	s_and_not1_saveexec_b32 s4, s4
	s_cbranch_execnz .LBB78_3073
.LBB78_3016:
	s_or_b32 exec_lo, exec_lo, s4
	v_mov_b32_e32 v4, 0
	s_and_saveexec_b32 s4, s3
.LBB78_3017:
	v_lshrrev_b32_e32 v2, 24, v2
	s_delay_alu instid0(VALU_DEP_1)
	v_and_or_b32 v4, 0x80, v2, v3
.LBB78_3018:
	s_or_b32 exec_lo, exec_lo, s4
.LBB78_3019:
	s_delay_alu instid0(SALU_CYCLE_1)
	s_or_b32 exec_lo, exec_lo, s2
	s_mov_b32 s2, 0
	global_store_b8 v[0:1], v4, off
.LBB78_3020:
	s_and_b32 vcc_lo, exec_lo, s2
	s_cbranch_vccz .LBB78_3030
; %bb.3021:
	s_wait_xcnt 0x0
	v_bfe_i32 v2, v7, 0, 16
	s_mov_b32 s2, exec_lo
                                        ; implicit-def: $vgpr3
	s_delay_alu instid0(VALU_DEP_1) | instskip(NEXT) | instid1(VALU_DEP_1)
	v_cvt_f32_i32_e32 v2, v2
	v_and_b32_e32 v4, 0x7fffffff, v2
	s_delay_alu instid0(VALU_DEP_1)
	v_cmpx_gt_u32_e32 0x43f00000, v4
	s_xor_b32 s2, exec_lo, s2
	s_cbranch_execz .LBB78_3027
; %bb.3022:
	s_mov_b32 s3, exec_lo
                                        ; implicit-def: $vgpr3
	v_cmpx_lt_u32_e32 0x3c7fffff, v4
	s_xor_b32 s3, exec_lo, s3
; %bb.3023:
	v_bfe_u32 v3, v2, 20, 1
	s_delay_alu instid0(VALU_DEP_1) | instskip(NEXT) | instid1(VALU_DEP_1)
	v_add3_u32 v3, v2, v3, 0x407ffff
	v_and_b32_e32 v4, 0xff00000, v3
	v_lshrrev_b32_e32 v3, 20, v3
	s_delay_alu instid0(VALU_DEP_2) | instskip(NEXT) | instid1(VALU_DEP_2)
	v_cmp_ne_u32_e32 vcc_lo, 0x7f00000, v4
	v_cndmask_b32_e32 v3, 0x7e, v3, vcc_lo
; %bb.3024:
	s_and_not1_saveexec_b32 s3, s3
; %bb.3025:
	v_add_f32_e64 v3, 0x46800000, |v2|
; %bb.3026:
	s_or_b32 exec_lo, exec_lo, s3
                                        ; implicit-def: $vgpr4
.LBB78_3027:
	s_and_not1_saveexec_b32 s2, s2
; %bb.3028:
	v_mov_b32_e32 v3, 0x7f
	v_cmp_lt_u32_e32 vcc_lo, 0x7f800000, v4
	s_delay_alu instid0(VALU_DEP_2)
	v_cndmask_b32_e32 v3, 0x7e, v3, vcc_lo
; %bb.3029:
	s_or_b32 exec_lo, exec_lo, s2
	v_lshrrev_b32_e32 v2, 24, v2
	s_delay_alu instid0(VALU_DEP_1)
	v_and_or_b32 v2, 0x80, v2, v3
	global_store_b8 v[0:1], v2, off
.LBB78_3030:
	s_mov_b32 s2, 0
.LBB78_3031:
	s_delay_alu instid0(SALU_CYCLE_1)
	s_and_not1_b32 vcc_lo, exec_lo, s2
	s_cbranch_vccnz .LBB78_3041
; %bb.3032:
	s_wait_xcnt 0x0
	v_bfe_i32 v2, v7, 0, 16
	s_mov_b32 s2, exec_lo
                                        ; implicit-def: $vgpr3
	s_delay_alu instid0(VALU_DEP_1) | instskip(NEXT) | instid1(VALU_DEP_1)
	v_cvt_f32_i32_e32 v2, v2
	v_and_b32_e32 v4, 0x7fffffff, v2
	s_delay_alu instid0(VALU_DEP_1)
	v_cmpx_gt_u32_e32 0x47800000, v4
	s_xor_b32 s2, exec_lo, s2
	s_cbranch_execz .LBB78_3038
; %bb.3033:
	s_mov_b32 s3, exec_lo
                                        ; implicit-def: $vgpr3
	v_cmpx_lt_u32_e32 0x387fffff, v4
	s_xor_b32 s3, exec_lo, s3
; %bb.3034:
	v_bfe_u32 v3, v2, 21, 1
	s_delay_alu instid0(VALU_DEP_1) | instskip(NEXT) | instid1(VALU_DEP_1)
	v_add3_u32 v3, v2, v3, 0x80fffff
	v_lshrrev_b32_e32 v3, 21, v3
; %bb.3035:
	s_and_not1_saveexec_b32 s3, s3
; %bb.3036:
	v_add_f32_e64 v3, 0x43000000, |v2|
; %bb.3037:
	s_or_b32 exec_lo, exec_lo, s3
                                        ; implicit-def: $vgpr4
.LBB78_3038:
	s_and_not1_saveexec_b32 s2, s2
; %bb.3039:
	v_mov_b32_e32 v3, 0x7f
	v_cmp_lt_u32_e32 vcc_lo, 0x7f800000, v4
	s_delay_alu instid0(VALU_DEP_2)
	v_cndmask_b32_e32 v3, 0x7c, v3, vcc_lo
; %bb.3040:
	s_or_b32 exec_lo, exec_lo, s2
	v_lshrrev_b32_e32 v2, 24, v2
	s_delay_alu instid0(VALU_DEP_1)
	v_and_or_b32 v2, 0x80, v2, v3
	global_store_b8 v[0:1], v2, off
.LBB78_3041:
	s_mov_b32 s2, 0
.LBB78_3042:
	s_delay_alu instid0(SALU_CYCLE_1)
	s_and_not1_b32 vcc_lo, exec_lo, s2
	s_mov_b32 s2, 0
	s_cbranch_vccnz .LBB78_3049
; %bb.3043:
	s_cmp_gt_i32 s1, 14
	s_mov_b32 s2, -1
	s_cbranch_scc0 .LBB78_3047
; %bb.3044:
	s_cmp_eq_u32 s1, 15
	s_mov_b32 s0, -1
	s_cbranch_scc0 .LBB78_3046
; %bb.3045:
	s_wait_xcnt 0x0
	v_bfe_i32 v2, v7, 0, 16
	s_mov_b32 s0, 0
	s_delay_alu instid0(VALU_DEP_1) | instskip(NEXT) | instid1(VALU_DEP_1)
	v_cvt_f32_i32_e32 v2, v2
	v_bfe_u32 v3, v2, 16, 1
	s_delay_alu instid0(VALU_DEP_1)
	v_add3_u32 v2, v2, v3, 0x7fff
	global_store_d16_hi_b16 v[0:1], v2, off
.LBB78_3046:
	s_mov_b32 s2, 0
.LBB78_3047:
	s_delay_alu instid0(SALU_CYCLE_1)
	s_and_b32 vcc_lo, exec_lo, s2
	s_mov_b32 s2, 0
	s_cbranch_vccz .LBB78_3049
; %bb.3048:
	s_cmp_lg_u32 s1, 11
	s_mov_b32 s2, -1
	s_cselect_b32 s0, -1, 0
.LBB78_3049:
	s_delay_alu instid0(SALU_CYCLE_1)
	s_and_b32 vcc_lo, exec_lo, s0
	s_cbranch_vccnz .LBB78_3071
.LBB78_3050:
	s_mov_b32 s0, 0
	s_branch .LBB78_2652
.LBB78_3051:
	s_mov_b32 s0, 0
	s_mov_b32 s2, 0
                                        ; implicit-def: $sgpr16
                                        ; implicit-def: $vgpr0_vgpr1
	s_branch .LBB78_2652
.LBB78_3052:
	s_mov_b32 s2, 0
	s_mov_b32 s0, -1
	s_branch .LBB78_2652
.LBB78_3053:
	s_or_b32 s12, s12, exec_lo
	s_trap 2
	s_cbranch_execz .LBB78_2515
	s_branch .LBB78_2516
.LBB78_3054:
	s_and_not1_saveexec_b32 s7, s7
	s_cbranch_execz .LBB78_2601
.LBB78_3055:
	v_add_f32_e64 v4, 0x46000000, |v1|
	s_and_not1_b32 s6, s6, exec_lo
	s_delay_alu instid0(VALU_DEP_1) | instskip(NEXT) | instid1(VALU_DEP_1)
	v_and_b32_e32 v4, 0xff, v4
	v_cmp_ne_u32_e32 vcc_lo, 0, v4
	s_and_b32 s9, vcc_lo, exec_lo
	s_delay_alu instid0(SALU_CYCLE_1)
	s_or_b32 s6, s6, s9
	s_or_b32 exec_lo, exec_lo, s7
	v_mov_b32_e32 v5, 0
	s_and_saveexec_b32 s7, s6
	s_cbranch_execnz .LBB78_2602
	s_branch .LBB78_2603
.LBB78_3056:
	s_or_b32 s12, s12, exec_lo
	s_trap 2
	s_cbranch_execz .LBB78_2649
	s_branch .LBB78_2650
.LBB78_3057:
	s_and_not1_saveexec_b32 s6, s6
	s_cbranch_execz .LBB78_2614
.LBB78_3058:
	v_add_f32_e64 v4, 0x42800000, |v1|
	s_and_not1_b32 s3, s3, exec_lo
	s_delay_alu instid0(VALU_DEP_1) | instskip(NEXT) | instid1(VALU_DEP_1)
	v_and_b32_e32 v4, 0xff, v4
	v_cmp_ne_u32_e32 vcc_lo, 0, v4
	s_and_b32 s7, vcc_lo, exec_lo
	s_delay_alu instid0(SALU_CYCLE_1)
	s_or_b32 s3, s3, s7
	s_or_b32 exec_lo, exec_lo, s6
	v_mov_b32_e32 v5, 0
	s_and_saveexec_b32 s6, s3
	s_cbranch_execnz .LBB78_2615
	s_branch .LBB78_2616
.LBB78_3059:
	s_and_not1_saveexec_b32 s8, s8
	s_cbranch_execz .LBB78_2765
.LBB78_3060:
	v_add_f32_e64 v4, 0x46000000, |v1|
	s_and_not1_b32 s7, s7, exec_lo
	s_delay_alu instid0(VALU_DEP_1) | instskip(NEXT) | instid1(VALU_DEP_1)
	v_and_b32_e32 v4, 0xff, v4
	v_cmp_ne_u32_e32 vcc_lo, 0, v4
	s_and_b32 s9, vcc_lo, exec_lo
	s_delay_alu instid0(SALU_CYCLE_1)
	s_or_b32 s7, s7, s9
	s_or_b32 exec_lo, exec_lo, s8
	v_mov_b32_e32 v5, 0
	s_and_saveexec_b32 s8, s7
	s_cbranch_execnz .LBB78_2766
	s_branch .LBB78_2767
.LBB78_3061:
	s_or_b32 s12, s12, exec_lo
	s_trap 2
	s_cbranch_execz .LBB78_2813
	s_branch .LBB78_2814
.LBB78_3062:
	s_and_not1_saveexec_b32 s7, s7
	s_cbranch_execz .LBB78_2778
.LBB78_3063:
	v_add_f32_e64 v4, 0x42800000, |v1|
	s_and_not1_b32 s6, s6, exec_lo
	s_delay_alu instid0(VALU_DEP_1) | instskip(NEXT) | instid1(VALU_DEP_1)
	v_and_b32_e32 v4, 0xff, v4
	v_cmp_ne_u32_e32 vcc_lo, 0, v4
	s_and_b32 s8, vcc_lo, exec_lo
	s_delay_alu instid0(SALU_CYCLE_1)
	s_or_b32 s6, s6, s8
	s_or_b32 exec_lo, exec_lo, s7
	v_mov_b32_e32 v5, 0
	s_and_saveexec_b32 s7, s6
	s_cbranch_execnz .LBB78_2779
	s_branch .LBB78_2780
.LBB78_3064:
	s_and_not1_saveexec_b32 s8, s8
	s_cbranch_execz .LBB78_2884
.LBB78_3065:
	v_add_f32_e64 v4, 0x46000000, |v1|
	s_and_not1_b32 s7, s7, exec_lo
	s_delay_alu instid0(VALU_DEP_1) | instskip(NEXT) | instid1(VALU_DEP_1)
	v_and_b32_e32 v4, 0xff, v4
	v_cmp_ne_u32_e32 vcc_lo, 0, v4
	s_and_b32 s9, vcc_lo, exec_lo
	s_delay_alu instid0(SALU_CYCLE_1)
	s_or_b32 s7, s7, s9
	s_or_b32 exec_lo, exec_lo, s8
	v_mov_b32_e32 v5, 0
	s_and_saveexec_b32 s8, s7
	s_cbranch_execnz .LBB78_2885
	s_branch .LBB78_2886
.LBB78_3066:
	s_or_b32 s12, s12, exec_lo
	s_trap 2
	s_cbranch_execz .LBB78_2932
	s_branch .LBB78_2933
.LBB78_3067:
	s_and_not1_saveexec_b32 s7, s7
	s_cbranch_execz .LBB78_2897
.LBB78_3068:
	v_add_f32_e64 v4, 0x42800000, |v1|
	s_and_not1_b32 s6, s6, exec_lo
	s_delay_alu instid0(VALU_DEP_1) | instskip(NEXT) | instid1(VALU_DEP_1)
	v_and_b32_e32 v4, 0xff, v4
	v_cmp_ne_u32_e32 vcc_lo, 0, v4
	s_and_b32 s8, vcc_lo, exec_lo
	s_delay_alu instid0(SALU_CYCLE_1)
	s_or_b32 s6, s6, s8
	s_or_b32 exec_lo, exec_lo, s7
	v_mov_b32_e32 v5, 0
	s_and_saveexec_b32 s7, s6
	s_cbranch_execnz .LBB78_2898
	s_branch .LBB78_2899
.LBB78_3069:
	s_and_not1_saveexec_b32 s5, s5
	s_cbranch_execz .LBB78_3004
.LBB78_3070:
	v_add_f32_e64 v3, 0x46000000, |v2|
	s_and_not1_b32 s4, s4, exec_lo
	s_delay_alu instid0(VALU_DEP_1) | instskip(NEXT) | instid1(VALU_DEP_1)
	v_and_b32_e32 v3, 0xff, v3
	v_cmp_ne_u32_e32 vcc_lo, 0, v3
	s_and_b32 s6, vcc_lo, exec_lo
	s_delay_alu instid0(SALU_CYCLE_1)
	s_or_b32 s4, s4, s6
	s_or_b32 exec_lo, exec_lo, s5
	v_mov_b32_e32 v4, 0
	s_and_saveexec_b32 s5, s4
	s_cbranch_execnz .LBB78_3005
	s_branch .LBB78_3006
.LBB78_3071:
	s_mov_b32 s2, 0
	s_or_b32 s12, s12, exec_lo
	s_trap 2
	s_branch .LBB78_3050
.LBB78_3072:
	s_and_not1_saveexec_b32 s4, s4
	s_cbranch_execz .LBB78_3016
.LBB78_3073:
	v_add_f32_e64 v3, 0x42800000, |v2|
	s_and_not1_b32 s3, s3, exec_lo
	s_delay_alu instid0(VALU_DEP_1) | instskip(NEXT) | instid1(VALU_DEP_1)
	v_and_b32_e32 v3, 0xff, v3
	v_cmp_ne_u32_e32 vcc_lo, 0, v3
	s_and_b32 s5, vcc_lo, exec_lo
	s_delay_alu instid0(SALU_CYCLE_1)
	s_or_b32 s3, s3, s5
	s_or_b32 exec_lo, exec_lo, s4
	v_mov_b32_e32 v4, 0
	s_and_saveexec_b32 s4, s3
	s_cbranch_execnz .LBB78_3017
	s_branch .LBB78_3018
	.section	.rodata,"a",@progbits
	.p2align	6, 0x0
	.amdhsa_kernel _ZN2at6native32elementwise_kernel_manual_unrollILi128ELi4EZNS0_15gpu_kernel_implIZZZNS0_15lcm_kernel_cudaERNS_18TensorIteratorBaseEENKUlvE_clEvENKUlvE3_clEvEUlssE_EEvS4_RKT_EUlibE_EEviT1_
		.amdhsa_group_segment_fixed_size 0
		.amdhsa_private_segment_fixed_size 0
		.amdhsa_kernarg_size 48
		.amdhsa_user_sgpr_count 2
		.amdhsa_user_sgpr_dispatch_ptr 0
		.amdhsa_user_sgpr_queue_ptr 0
		.amdhsa_user_sgpr_kernarg_segment_ptr 1
		.amdhsa_user_sgpr_dispatch_id 0
		.amdhsa_user_sgpr_kernarg_preload_length 0
		.amdhsa_user_sgpr_kernarg_preload_offset 0
		.amdhsa_user_sgpr_private_segment_size 0
		.amdhsa_wavefront_size32 1
		.amdhsa_uses_dynamic_stack 0
		.amdhsa_enable_private_segment 0
		.amdhsa_system_sgpr_workgroup_id_x 1
		.amdhsa_system_sgpr_workgroup_id_y 0
		.amdhsa_system_sgpr_workgroup_id_z 0
		.amdhsa_system_sgpr_workgroup_info 0
		.amdhsa_system_vgpr_workitem_id 0
		.amdhsa_next_free_vgpr 18
		.amdhsa_next_free_sgpr 35
		.amdhsa_named_barrier_count 0
		.amdhsa_reserve_vcc 1
		.amdhsa_float_round_mode_32 0
		.amdhsa_float_round_mode_16_64 0
		.amdhsa_float_denorm_mode_32 3
		.amdhsa_float_denorm_mode_16_64 3
		.amdhsa_fp16_overflow 0
		.amdhsa_memory_ordered 1
		.amdhsa_forward_progress 1
		.amdhsa_inst_pref_size 255
		.amdhsa_round_robin_scheduling 0
		.amdhsa_exception_fp_ieee_invalid_op 0
		.amdhsa_exception_fp_denorm_src 0
		.amdhsa_exception_fp_ieee_div_zero 0
		.amdhsa_exception_fp_ieee_overflow 0
		.amdhsa_exception_fp_ieee_underflow 0
		.amdhsa_exception_fp_ieee_inexact 0
		.amdhsa_exception_int_div_zero 0
	.end_amdhsa_kernel
	.section	.text._ZN2at6native32elementwise_kernel_manual_unrollILi128ELi4EZNS0_15gpu_kernel_implIZZZNS0_15lcm_kernel_cudaERNS_18TensorIteratorBaseEENKUlvE_clEvENKUlvE3_clEvEUlssE_EEvS4_RKT_EUlibE_EEviT1_,"axG",@progbits,_ZN2at6native32elementwise_kernel_manual_unrollILi128ELi4EZNS0_15gpu_kernel_implIZZZNS0_15lcm_kernel_cudaERNS_18TensorIteratorBaseEENKUlvE_clEvENKUlvE3_clEvEUlssE_EEvS4_RKT_EUlibE_EEviT1_,comdat
.Lfunc_end78:
	.size	_ZN2at6native32elementwise_kernel_manual_unrollILi128ELi4EZNS0_15gpu_kernel_implIZZZNS0_15lcm_kernel_cudaERNS_18TensorIteratorBaseEENKUlvE_clEvENKUlvE3_clEvEUlssE_EEvS4_RKT_EUlibE_EEviT1_, .Lfunc_end78-_ZN2at6native32elementwise_kernel_manual_unrollILi128ELi4EZNS0_15gpu_kernel_implIZZZNS0_15lcm_kernel_cudaERNS_18TensorIteratorBaseEENKUlvE_clEvENKUlvE3_clEvEUlssE_EEvS4_RKT_EUlibE_EEviT1_
                                        ; -- End function
	.set _ZN2at6native32elementwise_kernel_manual_unrollILi128ELi4EZNS0_15gpu_kernel_implIZZZNS0_15lcm_kernel_cudaERNS_18TensorIteratorBaseEENKUlvE_clEvENKUlvE3_clEvEUlssE_EEvS4_RKT_EUlibE_EEviT1_.num_vgpr, 18
	.set _ZN2at6native32elementwise_kernel_manual_unrollILi128ELi4EZNS0_15gpu_kernel_implIZZZNS0_15lcm_kernel_cudaERNS_18TensorIteratorBaseEENKUlvE_clEvENKUlvE3_clEvEUlssE_EEvS4_RKT_EUlibE_EEviT1_.num_agpr, 0
	.set _ZN2at6native32elementwise_kernel_manual_unrollILi128ELi4EZNS0_15gpu_kernel_implIZZZNS0_15lcm_kernel_cudaERNS_18TensorIteratorBaseEENKUlvE_clEvENKUlvE3_clEvEUlssE_EEvS4_RKT_EUlibE_EEviT1_.numbered_sgpr, 35
	.set _ZN2at6native32elementwise_kernel_manual_unrollILi128ELi4EZNS0_15gpu_kernel_implIZZZNS0_15lcm_kernel_cudaERNS_18TensorIteratorBaseEENKUlvE_clEvENKUlvE3_clEvEUlssE_EEvS4_RKT_EUlibE_EEviT1_.num_named_barrier, 0
	.set _ZN2at6native32elementwise_kernel_manual_unrollILi128ELi4EZNS0_15gpu_kernel_implIZZZNS0_15lcm_kernel_cudaERNS_18TensorIteratorBaseEENKUlvE_clEvENKUlvE3_clEvEUlssE_EEvS4_RKT_EUlibE_EEviT1_.private_seg_size, 0
	.set _ZN2at6native32elementwise_kernel_manual_unrollILi128ELi4EZNS0_15gpu_kernel_implIZZZNS0_15lcm_kernel_cudaERNS_18TensorIteratorBaseEENKUlvE_clEvENKUlvE3_clEvEUlssE_EEvS4_RKT_EUlibE_EEviT1_.uses_vcc, 1
	.set _ZN2at6native32elementwise_kernel_manual_unrollILi128ELi4EZNS0_15gpu_kernel_implIZZZNS0_15lcm_kernel_cudaERNS_18TensorIteratorBaseEENKUlvE_clEvENKUlvE3_clEvEUlssE_EEvS4_RKT_EUlibE_EEviT1_.uses_flat_scratch, 0
	.set _ZN2at6native32elementwise_kernel_manual_unrollILi128ELi4EZNS0_15gpu_kernel_implIZZZNS0_15lcm_kernel_cudaERNS_18TensorIteratorBaseEENKUlvE_clEvENKUlvE3_clEvEUlssE_EEvS4_RKT_EUlibE_EEviT1_.has_dyn_sized_stack, 0
	.set _ZN2at6native32elementwise_kernel_manual_unrollILi128ELi4EZNS0_15gpu_kernel_implIZZZNS0_15lcm_kernel_cudaERNS_18TensorIteratorBaseEENKUlvE_clEvENKUlvE3_clEvEUlssE_EEvS4_RKT_EUlibE_EEviT1_.has_recursion, 0
	.set _ZN2at6native32elementwise_kernel_manual_unrollILi128ELi4EZNS0_15gpu_kernel_implIZZZNS0_15lcm_kernel_cudaERNS_18TensorIteratorBaseEENKUlvE_clEvENKUlvE3_clEvEUlssE_EEvS4_RKT_EUlibE_EEviT1_.has_indirect_call, 0
	.section	.AMDGPU.csdata,"",@progbits
; Kernel info:
; codeLenInByte = 56004
; TotalNumSgprs: 37
; NumVgprs: 18
; ScratchSize: 0
; MemoryBound: 1
; FloatMode: 240
; IeeeMode: 1
; LDSByteSize: 0 bytes/workgroup (compile time only)
; SGPRBlocks: 0
; VGPRBlocks: 1
; NumSGPRsForWavesPerEU: 37
; NumVGPRsForWavesPerEU: 18
; NamedBarCnt: 0
; Occupancy: 16
; WaveLimiterHint : 0
; COMPUTE_PGM_RSRC2:SCRATCH_EN: 0
; COMPUTE_PGM_RSRC2:USER_SGPR: 2
; COMPUTE_PGM_RSRC2:TRAP_HANDLER: 0
; COMPUTE_PGM_RSRC2:TGID_X_EN: 1
; COMPUTE_PGM_RSRC2:TGID_Y_EN: 0
; COMPUTE_PGM_RSRC2:TGID_Z_EN: 0
; COMPUTE_PGM_RSRC2:TIDIG_COMP_CNT: 0
	.section	.text._ZN2at6native32elementwise_kernel_manual_unrollILi128ELi4EZNS0_15gpu_kernel_implIZZZNS0_15lcm_kernel_cudaERNS_18TensorIteratorBaseEENKUlvE_clEvENKUlvE3_clEvEUlssE_EEvS4_RKT_EUlibE0_EEviT1_,"axG",@progbits,_ZN2at6native32elementwise_kernel_manual_unrollILi128ELi4EZNS0_15gpu_kernel_implIZZZNS0_15lcm_kernel_cudaERNS_18TensorIteratorBaseEENKUlvE_clEvENKUlvE3_clEvEUlssE_EEvS4_RKT_EUlibE0_EEviT1_,comdat
	.globl	_ZN2at6native32elementwise_kernel_manual_unrollILi128ELi4EZNS0_15gpu_kernel_implIZZZNS0_15lcm_kernel_cudaERNS_18TensorIteratorBaseEENKUlvE_clEvENKUlvE3_clEvEUlssE_EEvS4_RKT_EUlibE0_EEviT1_ ; -- Begin function _ZN2at6native32elementwise_kernel_manual_unrollILi128ELi4EZNS0_15gpu_kernel_implIZZZNS0_15lcm_kernel_cudaERNS_18TensorIteratorBaseEENKUlvE_clEvENKUlvE3_clEvEUlssE_EEvS4_RKT_EUlibE0_EEviT1_
	.p2align	8
	.type	_ZN2at6native32elementwise_kernel_manual_unrollILi128ELi4EZNS0_15gpu_kernel_implIZZZNS0_15lcm_kernel_cudaERNS_18TensorIteratorBaseEENKUlvE_clEvENKUlvE3_clEvEUlssE_EEvS4_RKT_EUlibE0_EEviT1_,@function
_ZN2at6native32elementwise_kernel_manual_unrollILi128ELi4EZNS0_15gpu_kernel_implIZZZNS0_15lcm_kernel_cudaERNS_18TensorIteratorBaseEENKUlvE_clEvENKUlvE3_clEvEUlssE_EEvS4_RKT_EUlibE0_EEviT1_: ; @_ZN2at6native32elementwise_kernel_manual_unrollILi128ELi4EZNS0_15gpu_kernel_implIZZZNS0_15lcm_kernel_cudaERNS_18TensorIteratorBaseEENKUlvE_clEvENKUlvE3_clEvEUlssE_EEvS4_RKT_EUlibE0_EEviT1_
; %bb.0:
	s_clause 0x1
	s_load_b32 s26, s[0:1], 0x8
	s_load_b32 s36, s[0:1], 0x0
	s_bfe_u32 s2, ttmp6, 0x4000c
	s_and_b32 s3, ttmp6, 15
	s_add_co_i32 s2, s2, 1
	s_getreg_b32 s4, hwreg(HW_REG_IB_STS2, 6, 4)
	s_mul_i32 s2, ttmp9, s2
	s_mov_b32 s28, 0
	s_add_co_i32 s3, s3, s2
	s_cmp_eq_u32 s4, 0
	s_mov_b32 s25, -1
	s_cselect_b32 s2, ttmp9, s3
	s_mov_b32 s8, 0
	v_lshl_or_b32 v0, s2, 9, v0
	s_add_nc_u64 s[2:3], s[0:1], 8
	s_wait_xcnt 0x0
	s_mov_b32 s0, exec_lo
	s_delay_alu instid0(VALU_DEP_1) | instskip(SKIP_2) | instid1(SALU_CYCLE_1)
	v_or_b32_e32 v1, 0x180, v0
	s_wait_kmcnt 0x0
	s_add_co_i32 s27, s26, -1
	s_cmp_gt_u32 s27, 1
	s_cselect_b32 s29, -1, 0
	v_cmpx_le_i32_e64 s36, v1
	s_xor_b32 s30, exec_lo, s0
	s_cbranch_execz .LBB79_1585
; %bb.1:
	v_mov_b32_e32 v1, 0
	s_cmp_lg_u32 s26, 0
	s_mov_b32 s19, 0
	s_cselect_b32 s37, -1, 0
	s_min_u32 s35, s27, 15
	s_clause 0x1
	global_load_u16 v2, v1, s[2:3] offset:417
	global_load_i8 v3, v1, s[2:3] offset:419
	s_clause 0x5
	s_load_b128 s[8:11], s[2:3], 0x4
	s_load_b64 s[0:1], s[2:3], 0x14
	s_load_b128 s[12:15], s[2:3], 0xc4
	s_load_b64 s[20:21], s[2:3], 0xd4
	s_load_b64 s[16:17], s[2:3], 0x198
	s_load_b128 s[4:7], s[2:3], 0x188
	s_cmp_gt_u32 s26, 1
	s_mov_b32 s23, s19
	s_mov_b32 s40, s19
	;; [unrolled: 1-line block ×3, first 2 shown]
	s_cselect_b32 s34, -1, 0
	s_mov_b32 s38, s19
	s_mov_b32 s41, exec_lo
	s_wait_kmcnt 0x0
	s_mov_b32 s18, s9
	s_mov_b32 s22, s0
	s_wait_loadcnt 0x1
	v_readfirstlane_b32 s31, v2
	s_wait_loadcnt 0x0
	v_readfirstlane_b32 s9, v3
	s_lshr_b32 s33, s31, 8
	v_cmpx_gt_i32_e64 s36, v0
	s_cbranch_execz .LBB79_391
; %bb.2:
	s_and_not1_b32 vcc_lo, exec_lo, s29
	s_cbranch_vccnz .LBB79_8
; %bb.3:
	s_and_not1_b32 vcc_lo, exec_lo, s37
	s_cbranch_vccnz .LBB79_9
; %bb.4:
	v_dual_mov_b32 v2, 0 :: v_dual_mov_b32 v1, v0
	v_dual_mov_b32 v4, 0 :: v_dual_mov_b32 v6, 0
	s_add_co_i32 s0, s35, 1
	s_mov_b64 s[24:25], 0xffffffffffffffe8
	s_and_b32 s0, s0, 30
	s_add_nc_u64 s[24:25], s[2:3], s[24:25]
.LBB79_5:                               ; =>This Inner Loop Header: Depth=1
	s_clause 0x3
	s_load_b128 s[44:47], s[24:25], 0x1c
	s_load_b64 s[38:39], s[24:25], 0x2c
	s_load_b128 s[48:51], s[24:25], 0xdc
	s_load_b64 s[42:43], s[24:25], 0xec
	s_add_co_i32 s0, s0, -2
	s_wait_xcnt 0x0
	s_add_nc_u64 s[24:25], s[24:25], 24
	s_cmp_lg_u32 s0, 0
	s_wait_kmcnt 0x0
	v_mul_hi_u32 v3, s45, v1
	s_delay_alu instid0(VALU_DEP_1) | instskip(NEXT) | instid1(VALU_DEP_1)
	v_add_nc_u32_e32 v3, v1, v3
	v_lshrrev_b32_e32 v3, s46, v3
	s_delay_alu instid0(VALU_DEP_1) | instskip(SKIP_1) | instid1(VALU_DEP_1)
	v_mul_hi_u32 v5, s38, v3
	v_mul_lo_u32 v7, v3, s44
	v_dual_add_nc_u32 v5, v3, v5 :: v_dual_sub_nc_u32 v7, v1, v7
	s_delay_alu instid0(VALU_DEP_1) | instskip(NEXT) | instid1(VALU_DEP_2)
	v_lshrrev_b32_e32 v1, s39, v5
	v_mad_u32 v2, v7, s48, v2
	v_mad_u32 v6, v7, s50, v6
	;; [unrolled: 1-line block ×3, first 2 shown]
	s_delay_alu instid0(VALU_DEP_4) | instskip(NEXT) | instid1(VALU_DEP_1)
	v_mul_lo_u32 v5, v1, s47
	v_sub_nc_u32_e32 v3, v3, v5
	s_delay_alu instid0(VALU_DEP_1)
	v_mad_u32 v2, v3, s51, v2
	v_mad_u32 v6, v3, s43, v6
	;; [unrolled: 1-line block ×3, first 2 shown]
	s_cbranch_scc1 .LBB79_5
; %bb.6:
	s_bitcmp1_b32 s35, 0
	s_cselect_b32 s0, -1, 0
	s_delay_alu instid0(SALU_CYCLE_1)
	s_and_b32 vcc_lo, exec_lo, s0
	s_cbranch_vccnz .LBB79_10
; %bb.7:
	s_clause 0x1
	s_load_b96 s[44:46], s[24:25], 0x1c
	s_load_b96 s[48:50], s[24:25], 0xdc
	s_wait_kmcnt 0x0
	v_mul_hi_u32 v3, s45, v1
	s_delay_alu instid0(VALU_DEP_1) | instskip(NEXT) | instid1(VALU_DEP_1)
	v_add_nc_u32_e32 v3, v1, v3
	v_lshrrev_b32_e32 v3, s46, v3
	s_delay_alu instid0(VALU_DEP_1) | instskip(NEXT) | instid1(VALU_DEP_1)
	v_mul_lo_u32 v3, v3, s44
	v_sub_nc_u32_e32 v1, v1, v3
	s_delay_alu instid0(VALU_DEP_1)
	v_mad_u32 v2, v1, s48, v2
	v_mad_u32 v4, v1, s49, v4
	;; [unrolled: 1-line block ×3, first 2 shown]
	s_cbranch_execz .LBB79_11
	s_branch .LBB79_13
.LBB79_8:
                                        ; implicit-def: $vgpr6
                                        ; implicit-def: $vgpr4
                                        ; implicit-def: $vgpr2
	s_branch .LBB79_11
.LBB79_9:
	v_dual_mov_b32 v6, 0 :: v_dual_mov_b32 v4, 0
	v_mov_b32_e32 v2, 0
.LBB79_10:
	s_cbranch_execnz .LBB79_13
.LBB79_11:
	v_mov_b32_e32 v1, 0
	s_and_not1_b32 vcc_lo, exec_lo, s34
	s_delay_alu instid0(VALU_DEP_1) | instskip(NEXT) | instid1(VALU_DEP_1)
	v_mul_u64_e32 v[2:3], s[18:19], v[0:1]
	v_add_nc_u32_e32 v2, v0, v3
	s_delay_alu instid0(VALU_DEP_1) | instskip(NEXT) | instid1(VALU_DEP_1)
	v_lshrrev_b32_e32 v8, s10, v2
	v_mul_lo_u32 v2, v8, s8
	s_delay_alu instid0(VALU_DEP_1) | instskip(NEXT) | instid1(VALU_DEP_1)
	v_sub_nc_u32_e32 v3, v0, v2
	v_mul_lo_u32 v2, v3, s12
	v_mul_lo_u32 v6, v3, s14
	;; [unrolled: 1-line block ×3, first 2 shown]
	s_cbranch_vccnz .LBB79_13
; %bb.12:
	v_mov_b32_e32 v9, v1
	s_delay_alu instid0(VALU_DEP_1) | instskip(NEXT) | instid1(VALU_DEP_1)
	v_mul_u64_e32 v[10:11], s[22:23], v[8:9]
	v_add_nc_u32_e32 v1, v8, v11
	s_delay_alu instid0(VALU_DEP_1) | instskip(NEXT) | instid1(VALU_DEP_1)
	v_lshrrev_b32_e32 v1, s1, v1
	v_mul_lo_u32 v1, v1, s11
	s_delay_alu instid0(VALU_DEP_1) | instskip(NEXT) | instid1(VALU_DEP_1)
	v_sub_nc_u32_e32 v1, v8, v1
	v_mad_u32 v2, v1, s15, v2
	v_mad_u32 v4, v1, s20, v4
	;; [unrolled: 1-line block ×3, first 2 shown]
.LBB79_13:
	v_mov_b32_e32 v5, 0
	s_and_b32 s0, s33, 0xff
	s_delay_alu instid0(SALU_CYCLE_1) | instskip(NEXT) | instid1(VALU_DEP_1)
	s_cmp_lt_i32 s0, 11
	v_add_nc_u64_e32 v[8:9], s[6:7], v[4:5]
	s_cbranch_scc1 .LBB79_20
; %bb.14:
	s_and_b32 s25, 0xffff, s0
	s_delay_alu instid0(SALU_CYCLE_1)
	s_cmp_gt_i32 s25, 25
	s_cbranch_scc0 .LBB79_29
; %bb.15:
	s_cmp_gt_i32 s25, 28
	s_cbranch_scc0 .LBB79_45
; %bb.16:
	;; [unrolled: 3-line block ×4, first 2 shown]
	s_cmp_eq_u32 s25, 46
	s_mov_b32 s39, 0
	s_cbranch_scc0 .LBB79_54
; %bb.19:
	global_load_b32 v1, v[8:9], off
	s_mov_b32 s38, -1
	s_mov_b32 s24, 0
	s_wait_loadcnt 0x0
	v_lshlrev_b32_e32 v1, 16, v1
	s_delay_alu instid0(VALU_DEP_1)
	v_cvt_i32_f32_e32 v4, v1
	s_branch .LBB79_56
.LBB79_20:
	s_mov_b32 s24, 0
	s_mov_b32 s38, 0
                                        ; implicit-def: $vgpr4
	s_cbranch_execnz .LBB79_118
.LBB79_21:
	s_and_not1_b32 vcc_lo, exec_lo, s38
	s_cbranch_vccnz .LBB79_165
.LBB79_22:
	v_mov_b32_e32 v7, 0
	s_and_b32 s0, s9, 0xff
	s_delay_alu instid0(SALU_CYCLE_1) | instskip(NEXT) | instid1(VALU_DEP_1)
	s_cmp_lt_i32 s0, 11
	v_add_nc_u64_e32 v[6:7], s[16:17], v[6:7]
	s_cbranch_scc1 .LBB79_30
; %bb.23:
	s_and_b32 s38, 0xffff, s0
	s_delay_alu instid0(SALU_CYCLE_1)
	s_cmp_gt_i32 s38, 25
	s_cbranch_scc0 .LBB79_46
; %bb.24:
	s_cmp_gt_i32 s38, 28
	s_cbranch_scc0 .LBB79_49
; %bb.25:
	;; [unrolled: 3-line block ×4, first 2 shown]
	s_cmp_eq_u32 s38, 46
	s_mov_b32 s40, 0
	s_cbranch_scc0 .LBB79_166
; %bb.28:
	global_load_b32 v1, v[6:7], off
	s_mov_b32 s39, -1
	s_mov_b32 s25, 0
	s_wait_loadcnt 0x0
	v_lshlrev_b32_e32 v1, 16, v1
	s_delay_alu instid0(VALU_DEP_1)
	v_cvt_i32_f32_e32 v8, v1
	s_branch .LBB79_168
.LBB79_29:
	s_mov_b32 s24, 0
	s_mov_b32 s38, 0
                                        ; implicit-def: $vgpr4
	s_cbranch_execnz .LBB79_85
	s_branch .LBB79_117
.LBB79_30:
	s_mov_b32 s25, 0
	s_mov_b32 s39, 0
                                        ; implicit-def: $vgpr8
	s_cbranch_execnz .LBB79_340
.LBB79_31:
	s_and_not1_b32 vcc_lo, exec_lo, s39
	s_cbranch_vccnz .LBB79_388
.LBB79_32:
	s_wait_loadcnt 0x0
	s_delay_alu instid0(VALU_DEP_1) | instskip(SKIP_2) | instid1(VALU_DEP_1)
	v_sub_nc_u16 v1, 0, v8
	s_mov_b32 s38, 0
	s_mov_b32 s0, exec_lo
	v_max_i16 v3, v8, v1
	v_cmpx_ne_u16_e32 0, v4
	s_cbranch_execz .LBB79_36
; %bb.33:
	v_sub_nc_u16 v1, 0, v4
	s_delay_alu instid0(VALU_DEP_1) | instskip(SKIP_1) | instid1(VALU_DEP_2)
	v_max_i16 v5, v4, v1
	v_and_b32_e32 v1, 0xffff, v3
	v_and_b32_e32 v5, 0xffff, v5
.LBB79_34:                              ; =>This Inner Loop Header: Depth=1
	s_delay_alu instid0(VALU_DEP_1) | instskip(NEXT) | instid1(VALU_DEP_2)
	v_bfe_i32 v7, v1, 0, 16
	v_mov_b32_e32 v3, v5
	s_delay_alu instid0(VALU_DEP_2) | instskip(NEXT) | instid1(VALU_DEP_2)
	v_cvt_f32_i32_e32 v10, v7
	v_bfe_i32 v5, v3, 0, 16
	s_delay_alu instid0(VALU_DEP_1) | instskip(SKIP_1) | instid1(VALU_DEP_2)
	v_cvt_f32_i32_e32 v6, v5
	v_xor_b32_e32 v5, v7, v5
	v_rcp_iflag_f32_e32 v9, v6
	v_nop
	s_delay_alu instid0(TRANS32_DEP_1) | instskip(NEXT) | instid1(VALU_DEP_1)
	v_mul_f32_e32 v7, v10, v9
	v_trunc_f32_e32 v7, v7
	s_delay_alu instid0(VALU_DEP_1) | instskip(NEXT) | instid1(VALU_DEP_1)
	v_dual_ashrrev_i32 v5, 30, v5 :: v_dual_fma_f32 v9, -v7, v6, v10
	v_or_b32_e32 v5, 1, v5
	v_cvt_i32_f32_e32 v7, v7
	s_delay_alu instid0(VALU_DEP_3) | instskip(NEXT) | instid1(VALU_DEP_3)
	v_cmp_ge_f32_e64 vcc_lo, |v9|, |v6|
	v_cndmask_b32_e32 v5, 0, v5, vcc_lo
	s_delay_alu instid0(VALU_DEP_1) | instskip(NEXT) | instid1(VALU_DEP_1)
	v_add_nc_u32_e32 v5, v7, v5
	v_mul_lo_u32 v5, v5, v3
	s_delay_alu instid0(VALU_DEP_1) | instskip(NEXT) | instid1(VALU_DEP_1)
	v_sub_nc_u32_e32 v5, v1, v5
	v_and_b32_e32 v1, 0xffff, v5
	v_bfe_i32 v5, v5, 0, 16
	s_delay_alu instid0(VALU_DEP_2) | instskip(SKIP_2) | instid1(SALU_CYCLE_1)
	v_cmp_eq_u32_e32 vcc_lo, 0, v1
	v_mov_b32_e32 v1, v3
	s_or_b32 s38, vcc_lo, s38
	s_and_not1_b32 exec_lo, exec_lo, s38
	s_cbranch_execnz .LBB79_34
; %bb.35:
	s_or_b32 exec_lo, exec_lo, s38
.LBB79_36:
	s_delay_alu instid0(SALU_CYCLE_1)
	s_or_b32 exec_lo, exec_lo, s0
	v_mov_b32_e32 v1, 0
	s_mov_b32 s0, exec_lo
	v_cmpx_ne_u16_e32 0, v3
	s_cbranch_execz .LBB79_38
; %bb.37:
	v_bfe_i32 v1, v3, 0, 16
	v_bfe_i32 v4, v4, 0, 16
	s_delay_alu instid0(VALU_DEP_2) | instskip(NEXT) | instid1(VALU_DEP_2)
	v_cvt_f32_i32_e32 v3, v1
	v_cvt_f32_i32_e32 v6, v4
	v_xor_b32_e32 v1, v4, v1
	s_delay_alu instid0(VALU_DEP_3) | instskip(SKIP_1) | instid1(TRANS32_DEP_1)
	v_rcp_iflag_f32_e32 v5, v3
	v_nop
	v_mul_f32_e32 v5, v6, v5
	s_delay_alu instid0(VALU_DEP_1) | instskip(NEXT) | instid1(VALU_DEP_1)
	v_trunc_f32_e32 v4, v5
	v_dual_fma_f32 v5, -v4, v3, v6 :: v_dual_ashrrev_i32 v1, 30, v1
	v_cvt_i32_f32_e32 v4, v4
	s_delay_alu instid0(VALU_DEP_2) | instskip(NEXT) | instid1(VALU_DEP_3)
	v_cmp_ge_f32_e64 vcc_lo, |v5|, |v3|
	v_or_b32_e32 v1, 1, v1
	v_bfe_i32 v3, v8, 0, 16
	s_delay_alu instid0(VALU_DEP_2) | instskip(NEXT) | instid1(VALU_DEP_1)
	v_cndmask_b32_e32 v1, 0, v1, vcc_lo
	v_add_nc_u32_e32 v1, v4, v1
	s_delay_alu instid0(VALU_DEP_1) | instskip(NEXT) | instid1(VALU_DEP_1)
	v_bfe_i32 v1, v1, 0, 16
	v_mul_i32_i24_e32 v1, v1, v3
	s_delay_alu instid0(VALU_DEP_1) | instskip(NEXT) | instid1(VALU_DEP_1)
	v_sub_nc_u32_e32 v3, 0, v1
	v_max_i32_e32 v1, v1, v3
.LBB79_38:
	s_or_b32 exec_lo, exec_lo, s0
	v_mov_b32_e32 v3, 0
	s_and_b32 s38, s31, 0xff
	s_delay_alu instid0(SALU_CYCLE_1) | instskip(NEXT) | instid1(VALU_DEP_1)
	s_cmp_lt_i32 s38, 11
	v_add_nc_u64_e32 v[2:3], s[4:5], v[2:3]
	s_cbranch_scc1 .LBB79_47
; %bb.39:
	s_and_b32 s39, 0xffff, s38
	s_delay_alu instid0(SALU_CYCLE_1)
	s_cmp_gt_i32 s39, 25
	s_cbranch_scc0 .LBB79_50
; %bb.40:
	s_cmp_gt_i32 s39, 28
	s_cbranch_scc0 .LBB79_53
; %bb.41:
	;; [unrolled: 3-line block ×4, first 2 shown]
	s_mov_b32 s42, 0
	s_mov_b32 s0, -1
	s_cmp_eq_u32 s39, 46
	s_mov_b32 s40, 0
	s_cbranch_scc0 .LBB79_172
; %bb.44:
	v_bfe_i32 v4, v1, 0, 16
	s_mov_b32 s40, -1
	s_mov_b32 s0, 0
	s_delay_alu instid0(VALU_DEP_1) | instskip(NEXT) | instid1(VALU_DEP_1)
	v_cvt_f32_i32_e32 v4, v4
	v_bfe_u32 v5, v4, 16, 1
	s_delay_alu instid0(VALU_DEP_1) | instskip(NEXT) | instid1(VALU_DEP_1)
	v_add3_u32 v4, v4, v5, 0x7fff
	v_lshrrev_b32_e32 v4, 16, v4
	global_store_b32 v[2:3], v4, off
	s_branch .LBB79_172
.LBB79_45:
	s_mov_b32 s39, -1
	s_mov_b32 s24, 0
	s_mov_b32 s38, 0
                                        ; implicit-def: $vgpr4
	s_branch .LBB79_68
.LBB79_46:
	s_mov_b32 s40, -1
	s_mov_b32 s25, 0
	s_mov_b32 s39, 0
                                        ; implicit-def: $vgpr8
	s_branch .LBB79_306
.LBB79_47:
	s_mov_b32 s39, -1
	s_mov_b32 s0, 0
	s_mov_b32 s40, 0
	s_branch .LBB79_241
.LBB79_48:
	s_mov_b32 s39, -1
	s_mov_b32 s24, 0
	s_mov_b32 s38, 0
                                        ; implicit-def: $vgpr4
	s_branch .LBB79_63
.LBB79_49:
	s_mov_b32 s40, -1
	s_mov_b32 s25, 0
	s_mov_b32 s39, 0
                                        ; implicit-def: $vgpr8
	s_branch .LBB79_289
.LBB79_50:
	s_mov_b32 s42, -1
	s_mov_b32 s0, 0
	s_mov_b32 s40, 0
	s_branch .LBB79_199
.LBB79_51:
	s_mov_b32 s39, -1
	s_mov_b32 s24, 0
	s_branch .LBB79_55
.LBB79_52:
	s_mov_b32 s40, -1
	s_mov_b32 s25, 0
	s_mov_b32 s39, 0
                                        ; implicit-def: $vgpr8
	s_branch .LBB79_284
.LBB79_53:
	s_mov_b32 s42, -1
	s_mov_b32 s0, 0
	s_mov_b32 s40, 0
	s_branch .LBB79_182
.LBB79_54:
	s_mov_b32 s24, -1
.LBB79_55:
	s_mov_b32 s38, 0
                                        ; implicit-def: $vgpr4
.LBB79_56:
	s_and_b32 vcc_lo, exec_lo, s39
	s_cbranch_vccz .LBB79_62
; %bb.57:
	s_cmp_eq_u32 s25, 44
	s_cbranch_scc0 .LBB79_61
; %bb.58:
	global_load_u8 v1, v[8:9], off
	s_mov_b32 s24, 0
	s_mov_b32 s38, -1
	s_wait_loadcnt 0x0
	v_lshlrev_b32_e32 v3, 23, v1
	v_cmp_ne_u32_e32 vcc_lo, 0, v1
	s_delay_alu instid0(VALU_DEP_2) | instskip(NEXT) | instid1(VALU_DEP_1)
	v_cvt_i32_f32_e32 v3, v3
	v_cndmask_b32_e32 v4, 0, v3, vcc_lo
	s_branch .LBB79_62
.LBB79_59:
	s_mov_b32 s40, -1
	s_mov_b32 s25, 0
	s_branch .LBB79_167
.LBB79_60:
	s_mov_b32 s42, -1
	s_mov_b32 s0, 0
	s_mov_b32 s40, 0
	s_branch .LBB79_178
.LBB79_61:
	s_mov_b32 s24, -1
                                        ; implicit-def: $vgpr4
.LBB79_62:
	s_mov_b32 s39, 0
.LBB79_63:
	s_delay_alu instid0(SALU_CYCLE_1)
	s_and_b32 vcc_lo, exec_lo, s39
	s_cbranch_vccz .LBB79_67
; %bb.64:
	s_cmp_eq_u32 s25, 29
	s_cbranch_scc0 .LBB79_66
; %bb.65:
	global_load_b64 v[4:5], v[8:9], off
	s_mov_b32 s38, -1
	s_mov_b32 s24, 0
	s_branch .LBB79_67
.LBB79_66:
	s_mov_b32 s24, -1
                                        ; implicit-def: $vgpr4
.LBB79_67:
	s_mov_b32 s39, 0
.LBB79_68:
	s_delay_alu instid0(SALU_CYCLE_1)
	s_and_b32 vcc_lo, exec_lo, s39
	s_cbranch_vccz .LBB79_84
; %bb.69:
	s_cmp_lt_i32 s25, 27
	s_cbranch_scc1 .LBB79_72
; %bb.70:
	s_cmp_gt_i32 s25, 27
	s_cbranch_scc0 .LBB79_73
; %bb.71:
	s_wait_loadcnt 0x0
	global_load_b32 v4, v[8:9], off
	s_mov_b32 s38, 0
	s_branch .LBB79_74
.LBB79_72:
	s_mov_b32 s38, -1
                                        ; implicit-def: $vgpr4
	s_branch .LBB79_77
.LBB79_73:
	s_mov_b32 s38, -1
                                        ; implicit-def: $vgpr4
.LBB79_74:
	s_delay_alu instid0(SALU_CYCLE_1)
	s_and_not1_b32 vcc_lo, exec_lo, s38
	s_cbranch_vccnz .LBB79_76
; %bb.75:
	s_wait_loadcnt 0x0
	global_load_u16 v4, v[8:9], off
.LBB79_76:
	s_mov_b32 s38, 0
.LBB79_77:
	s_delay_alu instid0(SALU_CYCLE_1)
	s_and_not1_b32 vcc_lo, exec_lo, s38
	s_cbranch_vccnz .LBB79_83
; %bb.78:
	global_load_u8 v1, v[8:9], off
	s_mov_b32 s39, 0
	s_mov_b32 s38, exec_lo
	s_wait_loadcnt 0x0
	v_cmpx_lt_i16_e32 0x7f, v1
	s_xor_b32 s38, exec_lo, s38
	s_cbranch_execz .LBB79_94
; %bb.79:
	v_cmp_ne_u16_e32 vcc_lo, 0x80, v1
	s_and_b32 s39, vcc_lo, exec_lo
	s_and_not1_saveexec_b32 s38, s38
	s_cbranch_execnz .LBB79_95
.LBB79_80:
	s_or_b32 exec_lo, exec_lo, s38
	v_mov_b32_e32 v4, 0
	s_and_saveexec_b32 s38, s39
	s_cbranch_execz .LBB79_82
.LBB79_81:
	v_and_b32_e32 v3, 0xffff, v1
	s_delay_alu instid0(VALU_DEP_1) | instskip(SKIP_1) | instid1(VALU_DEP_2)
	v_and_b32_e32 v4, 7, v3
	v_bfe_u32 v10, v3, 3, 4
	v_clz_i32_u32_e32 v5, v4
	s_delay_alu instid0(VALU_DEP_2) | instskip(NEXT) | instid1(VALU_DEP_2)
	v_cmp_eq_u32_e32 vcc_lo, 0, v10
	v_min_u32_e32 v5, 32, v5
	s_delay_alu instid0(VALU_DEP_1) | instskip(NEXT) | instid1(VALU_DEP_1)
	v_subrev_nc_u32_e32 v7, 28, v5
	v_dual_lshlrev_b32 v3, v7, v3 :: v_dual_sub_nc_u32 v5, 29, v5
	s_delay_alu instid0(VALU_DEP_1) | instskip(NEXT) | instid1(VALU_DEP_1)
	v_dual_lshlrev_b32 v1, 24, v1 :: v_dual_bitop2_b32 v3, 7, v3 bitop3:0x40
	v_dual_cndmask_b32 v3, v4, v3, vcc_lo :: v_dual_cndmask_b32 v5, v10, v5, vcc_lo
	s_delay_alu instid0(VALU_DEP_2) | instskip(NEXT) | instid1(VALU_DEP_2)
	v_and_b32_e32 v1, 0x80000000, v1
	v_lshlrev_b32_e32 v3, 20, v3
	s_delay_alu instid0(VALU_DEP_3) | instskip(NEXT) | instid1(VALU_DEP_1)
	v_lshl_add_u32 v4, v5, 23, 0x3b800000
	v_or3_b32 v1, v1, v4, v3
	s_delay_alu instid0(VALU_DEP_1)
	v_cvt_i32_f32_e32 v4, v1
.LBB79_82:
	s_or_b32 exec_lo, exec_lo, s38
.LBB79_83:
	s_mov_b32 s38, -1
.LBB79_84:
	s_branch .LBB79_117
.LBB79_85:
	s_cmp_gt_i32 s25, 22
	s_cbranch_scc0 .LBB79_93
; %bb.86:
	s_cmp_lt_i32 s25, 24
	s_cbranch_scc1 .LBB79_96
; %bb.87:
	s_cmp_gt_i32 s25, 24
	s_cbranch_scc0 .LBB79_97
; %bb.88:
	global_load_u8 v1, v[8:9], off
	s_mov_b32 s39, 0
	s_mov_b32 s38, exec_lo
	s_wait_loadcnt 0x0
	v_cmpx_lt_i16_e32 0x7f, v1
	s_xor_b32 s38, exec_lo, s38
	s_cbranch_execz .LBB79_109
; %bb.89:
	v_cmp_ne_u16_e32 vcc_lo, 0x80, v1
	s_and_b32 s39, vcc_lo, exec_lo
	s_and_not1_saveexec_b32 s38, s38
	s_cbranch_execnz .LBB79_110
.LBB79_90:
	s_or_b32 exec_lo, exec_lo, s38
	v_mov_b32_e32 v4, 0
	s_and_saveexec_b32 s38, s39
	s_cbranch_execz .LBB79_92
.LBB79_91:
	v_and_b32_e32 v3, 0xffff, v1
	s_delay_alu instid0(VALU_DEP_1) | instskip(SKIP_1) | instid1(VALU_DEP_2)
	v_and_b32_e32 v4, 3, v3
	v_bfe_u32 v10, v3, 2, 5
	v_clz_i32_u32_e32 v5, v4
	s_delay_alu instid0(VALU_DEP_2) | instskip(NEXT) | instid1(VALU_DEP_2)
	v_cmp_eq_u32_e32 vcc_lo, 0, v10
	v_min_u32_e32 v5, 32, v5
	s_delay_alu instid0(VALU_DEP_1) | instskip(NEXT) | instid1(VALU_DEP_1)
	v_subrev_nc_u32_e32 v7, 29, v5
	v_dual_lshlrev_b32 v3, v7, v3 :: v_dual_sub_nc_u32 v5, 30, v5
	s_delay_alu instid0(VALU_DEP_1) | instskip(NEXT) | instid1(VALU_DEP_1)
	v_dual_lshlrev_b32 v1, 24, v1 :: v_dual_bitop2_b32 v3, 3, v3 bitop3:0x40
	v_dual_cndmask_b32 v3, v4, v3, vcc_lo :: v_dual_cndmask_b32 v5, v10, v5, vcc_lo
	s_delay_alu instid0(VALU_DEP_2) | instskip(NEXT) | instid1(VALU_DEP_2)
	v_and_b32_e32 v1, 0x80000000, v1
	v_lshlrev_b32_e32 v3, 21, v3
	s_delay_alu instid0(VALU_DEP_3) | instskip(NEXT) | instid1(VALU_DEP_1)
	v_lshl_add_u32 v4, v5, 23, 0x37800000
	v_or3_b32 v1, v1, v4, v3
	s_delay_alu instid0(VALU_DEP_1)
	v_cvt_i32_f32_e32 v4, v1
.LBB79_92:
	s_or_b32 exec_lo, exec_lo, s38
	s_mov_b32 s38, 0
	s_branch .LBB79_98
.LBB79_93:
	s_mov_b32 s39, -1
                                        ; implicit-def: $vgpr4
	s_branch .LBB79_104
.LBB79_94:
	s_and_not1_saveexec_b32 s38, s38
	s_cbranch_execz .LBB79_80
.LBB79_95:
	v_cmp_ne_u16_e32 vcc_lo, 0, v1
	s_and_not1_b32 s39, s39, exec_lo
	s_and_b32 s40, vcc_lo, exec_lo
	s_delay_alu instid0(SALU_CYCLE_1)
	s_or_b32 s39, s39, s40
	s_or_b32 exec_lo, exec_lo, s38
	v_mov_b32_e32 v4, 0
	s_and_saveexec_b32 s38, s39
	s_cbranch_execnz .LBB79_81
	s_branch .LBB79_82
.LBB79_96:
	s_mov_b32 s38, -1
                                        ; implicit-def: $vgpr4
	s_branch .LBB79_101
.LBB79_97:
	s_mov_b32 s38, -1
                                        ; implicit-def: $vgpr4
.LBB79_98:
	s_delay_alu instid0(SALU_CYCLE_1)
	s_and_b32 vcc_lo, exec_lo, s38
	s_cbranch_vccz .LBB79_100
; %bb.99:
	global_load_u8 v1, v[8:9], off
	s_wait_loadcnt 0x0
	v_lshlrev_b32_e32 v1, 24, v1
	s_delay_alu instid0(VALU_DEP_1) | instskip(NEXT) | instid1(VALU_DEP_1)
	v_and_b32_e32 v3, 0x7f000000, v1
	v_clz_i32_u32_e32 v4, v3
	v_add_nc_u32_e32 v7, 0x1000000, v3
	v_cmp_ne_u32_e32 vcc_lo, 0, v3
	s_delay_alu instid0(VALU_DEP_3) | instskip(NEXT) | instid1(VALU_DEP_1)
	v_min_u32_e32 v4, 32, v4
	v_sub_nc_u32_e64 v4, v4, 4 clamp
	s_delay_alu instid0(VALU_DEP_1) | instskip(NEXT) | instid1(VALU_DEP_1)
	v_dual_lshlrev_b32 v5, v4, v3 :: v_dual_lshlrev_b32 v4, 23, v4
	v_lshrrev_b32_e32 v5, 4, v5
	s_delay_alu instid0(VALU_DEP_1) | instskip(NEXT) | instid1(VALU_DEP_1)
	v_dual_sub_nc_u32 v4, v5, v4 :: v_dual_ashrrev_i32 v5, 8, v7
	v_add_nc_u32_e32 v4, 0x3c000000, v4
	s_delay_alu instid0(VALU_DEP_1) | instskip(NEXT) | instid1(VALU_DEP_1)
	v_and_or_b32 v4, 0x7f800000, v5, v4
	v_cndmask_b32_e32 v3, 0, v4, vcc_lo
	s_delay_alu instid0(VALU_DEP_1) | instskip(NEXT) | instid1(VALU_DEP_1)
	v_and_or_b32 v1, 0x80000000, v1, v3
	v_cvt_i32_f32_e32 v4, v1
.LBB79_100:
	s_mov_b32 s38, 0
.LBB79_101:
	s_delay_alu instid0(SALU_CYCLE_1)
	s_and_not1_b32 vcc_lo, exec_lo, s38
	s_cbranch_vccnz .LBB79_103
; %bb.102:
	global_load_u8 v1, v[8:9], off
	s_wait_loadcnt 0x0
	v_lshlrev_b32_e32 v3, 25, v1
	v_lshlrev_b16 v1, 8, v1
	s_delay_alu instid0(VALU_DEP_1) | instskip(NEXT) | instid1(VALU_DEP_3)
	v_and_or_b32 v5, 0x7f00, v1, 0.5
	v_lshrrev_b32_e32 v4, 4, v3
	v_bfe_i32 v1, v1, 0, 16
	s_delay_alu instid0(VALU_DEP_3) | instskip(NEXT) | instid1(VALU_DEP_3)
	v_add_f32_e32 v5, -0.5, v5
	v_or_b32_e32 v4, 0x70000000, v4
	s_delay_alu instid0(VALU_DEP_1) | instskip(SKIP_1) | instid1(VALU_DEP_2)
	v_mul_f32_e32 v4, 0x7800000, v4
	v_cmp_gt_u32_e32 vcc_lo, 0x8000000, v3
	v_cndmask_b32_e32 v3, v4, v5, vcc_lo
	s_delay_alu instid0(VALU_DEP_1) | instskip(NEXT) | instid1(VALU_DEP_1)
	v_and_or_b32 v1, 0x80000000, v1, v3
	v_cvt_i32_f32_e32 v4, v1
.LBB79_103:
	s_mov_b32 s39, 0
	s_mov_b32 s38, -1
.LBB79_104:
	s_and_not1_b32 vcc_lo, exec_lo, s39
	s_cbranch_vccnz .LBB79_117
; %bb.105:
	s_cmp_gt_i32 s25, 14
	s_cbranch_scc0 .LBB79_108
; %bb.106:
	s_cmp_eq_u32 s25, 15
	s_cbranch_scc0 .LBB79_111
; %bb.107:
	global_load_u16 v1, v[8:9], off
	s_mov_b32 s38, -1
	s_mov_b32 s24, 0
	s_wait_loadcnt 0x0
	v_lshlrev_b32_e32 v1, 16, v1
	s_delay_alu instid0(VALU_DEP_1)
	v_cvt_i32_f32_e32 v4, v1
	s_branch .LBB79_112
.LBB79_108:
	s_mov_b32 s39, -1
                                        ; implicit-def: $vgpr4
	s_branch .LBB79_113
.LBB79_109:
	s_and_not1_saveexec_b32 s38, s38
	s_cbranch_execz .LBB79_90
.LBB79_110:
	v_cmp_ne_u16_e32 vcc_lo, 0, v1
	s_and_not1_b32 s39, s39, exec_lo
	s_and_b32 s40, vcc_lo, exec_lo
	s_delay_alu instid0(SALU_CYCLE_1)
	s_or_b32 s39, s39, s40
	s_or_b32 exec_lo, exec_lo, s38
	v_mov_b32_e32 v4, 0
	s_and_saveexec_b32 s38, s39
	s_cbranch_execnz .LBB79_91
	s_branch .LBB79_92
.LBB79_111:
	s_mov_b32 s24, -1
                                        ; implicit-def: $vgpr4
.LBB79_112:
	s_mov_b32 s39, 0
.LBB79_113:
	s_delay_alu instid0(SALU_CYCLE_1)
	s_and_b32 vcc_lo, exec_lo, s39
	s_cbranch_vccz .LBB79_117
; %bb.114:
	s_cmp_eq_u32 s25, 11
	s_cbranch_scc0 .LBB79_116
; %bb.115:
	global_load_u8 v1, v[8:9], off
	s_mov_b32 s24, 0
	s_mov_b32 s38, -1
	s_wait_loadcnt 0x0
	v_cmp_ne_u16_e32 vcc_lo, 0, v1
	v_cndmask_b32_e64 v4, 0, 1, vcc_lo
	s_branch .LBB79_117
.LBB79_116:
	s_mov_b32 s24, -1
                                        ; implicit-def: $vgpr4
.LBB79_117:
	s_branch .LBB79_21
.LBB79_118:
	s_and_b32 s0, 0xffff, s0
	s_delay_alu instid0(SALU_CYCLE_1)
	s_cmp_lt_i32 s0, 5
	s_cbranch_scc1 .LBB79_123
; %bb.119:
	s_cmp_lt_i32 s0, 8
	s_cbranch_scc1 .LBB79_124
; %bb.120:
	;; [unrolled: 3-line block ×3, first 2 shown]
	s_cmp_gt_i32 s0, 9
	s_cbranch_scc0 .LBB79_126
; %bb.122:
	s_wait_loadcnt 0x0
	global_load_b64 v[4:5], v[8:9], off
	s_mov_b32 s25, 0
	s_wait_loadcnt 0x0
	v_cvt_i32_f64_e32 v4, v[4:5]
	s_branch .LBB79_127
.LBB79_123:
                                        ; implicit-def: $vgpr4
	s_branch .LBB79_145
.LBB79_124:
	s_mov_b32 s25, -1
                                        ; implicit-def: $vgpr4
	s_branch .LBB79_133
.LBB79_125:
	s_mov_b32 s25, -1
                                        ; implicit-def: $vgpr4
	s_branch .LBB79_130
.LBB79_126:
	s_mov_b32 s25, -1
                                        ; implicit-def: $vgpr4
.LBB79_127:
	s_delay_alu instid0(SALU_CYCLE_1)
	s_and_not1_b32 vcc_lo, exec_lo, s25
	s_cbranch_vccnz .LBB79_129
; %bb.128:
	global_load_b32 v1, v[8:9], off
	s_wait_loadcnt 0x0
	v_cvt_i32_f32_e32 v4, v1
.LBB79_129:
	s_mov_b32 s25, 0
.LBB79_130:
	s_delay_alu instid0(SALU_CYCLE_1)
	s_and_not1_b32 vcc_lo, exec_lo, s25
	s_cbranch_vccnz .LBB79_132
; %bb.131:
	global_load_b32 v1, v[8:9], off
	s_wait_loadcnt 0x0
	v_cvt_i16_f16_e32 v4, v1
.LBB79_132:
	s_mov_b32 s25, 0
.LBB79_133:
	s_delay_alu instid0(SALU_CYCLE_1)
	s_and_not1_b32 vcc_lo, exec_lo, s25
	s_cbranch_vccnz .LBB79_144
; %bb.134:
	s_cmp_lt_i32 s0, 6
	s_cbranch_scc1 .LBB79_137
; %bb.135:
	s_cmp_gt_i32 s0, 6
	s_cbranch_scc0 .LBB79_138
; %bb.136:
	s_wait_loadcnt 0x0
	global_load_b64 v[4:5], v[8:9], off
	s_mov_b32 s25, 0
	s_wait_loadcnt 0x0
	v_cvt_i32_f64_e32 v4, v[4:5]
	s_branch .LBB79_139
.LBB79_137:
	s_mov_b32 s25, -1
                                        ; implicit-def: $vgpr4
	s_branch .LBB79_142
.LBB79_138:
	s_mov_b32 s25, -1
                                        ; implicit-def: $vgpr4
.LBB79_139:
	s_delay_alu instid0(SALU_CYCLE_1)
	s_and_not1_b32 vcc_lo, exec_lo, s25
	s_cbranch_vccnz .LBB79_141
; %bb.140:
	global_load_b32 v1, v[8:9], off
	s_wait_loadcnt 0x0
	v_cvt_i32_f32_e32 v4, v1
.LBB79_141:
	s_mov_b32 s25, 0
.LBB79_142:
	s_delay_alu instid0(SALU_CYCLE_1)
	s_and_not1_b32 vcc_lo, exec_lo, s25
	s_cbranch_vccnz .LBB79_144
; %bb.143:
	global_load_u16 v1, v[8:9], off
	s_wait_loadcnt 0x0
	v_cvt_i16_f16_e32 v4, v1
.LBB79_144:
	s_cbranch_execnz .LBB79_164
.LBB79_145:
	s_cmp_lt_i32 s0, 2
	s_cbranch_scc1 .LBB79_149
; %bb.146:
	s_cmp_lt_i32 s0, 3
	s_cbranch_scc1 .LBB79_150
; %bb.147:
	s_cmp_gt_i32 s0, 3
	s_cbranch_scc0 .LBB79_151
; %bb.148:
	s_wait_loadcnt 0x0
	global_load_b64 v[4:5], v[8:9], off
	s_mov_b32 s25, 0
	s_branch .LBB79_152
.LBB79_149:
	s_mov_b32 s25, -1
                                        ; implicit-def: $vgpr4
	s_branch .LBB79_158
.LBB79_150:
	s_mov_b32 s25, -1
                                        ; implicit-def: $vgpr4
	s_branch .LBB79_155
.LBB79_151:
	s_mov_b32 s25, -1
                                        ; implicit-def: $vgpr4
.LBB79_152:
	s_delay_alu instid0(SALU_CYCLE_1)
	s_and_not1_b32 vcc_lo, exec_lo, s25
	s_cbranch_vccnz .LBB79_154
; %bb.153:
	s_wait_loadcnt 0x0
	global_load_b32 v4, v[8:9], off
.LBB79_154:
	s_mov_b32 s25, 0
.LBB79_155:
	s_delay_alu instid0(SALU_CYCLE_1)
	s_and_not1_b32 vcc_lo, exec_lo, s25
	s_cbranch_vccnz .LBB79_157
; %bb.156:
	s_wait_loadcnt 0x0
	global_load_u16 v4, v[8:9], off
.LBB79_157:
	s_mov_b32 s25, 0
.LBB79_158:
	s_delay_alu instid0(SALU_CYCLE_1)
	s_and_not1_b32 vcc_lo, exec_lo, s25
	s_cbranch_vccnz .LBB79_164
; %bb.159:
	s_cmp_gt_i32 s0, 0
	s_mov_b32 s0, 0
	s_cbranch_scc0 .LBB79_161
; %bb.160:
	s_wait_loadcnt 0x0
	global_load_i8 v4, v[8:9], off
	s_branch .LBB79_162
.LBB79_161:
	s_mov_b32 s0, -1
                                        ; implicit-def: $vgpr4
.LBB79_162:
	s_delay_alu instid0(SALU_CYCLE_1)
	s_and_not1_b32 vcc_lo, exec_lo, s0
	s_cbranch_vccnz .LBB79_164
; %bb.163:
	s_wait_loadcnt 0x0
	global_load_u8 v4, v[8:9], off
.LBB79_164:
	s_branch .LBB79_22
.LBB79_165:
	s_mov_b32 s0, 0
	s_mov_b32 s25, 0
	s_branch .LBB79_389
.LBB79_166:
	s_mov_b32 s25, -1
.LBB79_167:
	s_mov_b32 s39, 0
                                        ; implicit-def: $vgpr8
.LBB79_168:
	s_and_b32 vcc_lo, exec_lo, s40
	s_cbranch_vccz .LBB79_283
; %bb.169:
	s_cmp_eq_u32 s38, 44
	s_cbranch_scc0 .LBB79_282
; %bb.170:
	global_load_u8 v1, v[6:7], off
	s_mov_b32 s25, 0
	s_mov_b32 s39, -1
	s_wait_loadcnt 0x0
	v_lshlrev_b32_e32 v3, 23, v1
	v_cmp_ne_u32_e32 vcc_lo, 0, v1
	s_delay_alu instid0(VALU_DEP_2) | instskip(NEXT) | instid1(VALU_DEP_1)
	v_cvt_i32_f32_e32 v3, v3
	v_cndmask_b32_e32 v8, 0, v3, vcc_lo
	s_branch .LBB79_283
.LBB79_171:
	s_mov_b32 s42, -1
	s_mov_b32 s0, 0
	s_mov_b32 s40, 0
.LBB79_172:
	s_and_b32 vcc_lo, exec_lo, s42
	s_cbranch_vccz .LBB79_177
; %bb.173:
	s_cmp_eq_u32 s39, 44
	s_mov_b32 s0, -1
	s_cbranch_scc0 .LBB79_177
; %bb.174:
	s_wait_xcnt 0x0
	v_bfe_i32 v4, v1, 0, 16
	v_mov_b32_e32 v5, 0xff
	s_mov_b32 s40, exec_lo
	s_delay_alu instid0(VALU_DEP_2) | instskip(NEXT) | instid1(VALU_DEP_1)
	v_cvt_f32_i32_e32 v4, v4
	v_bfe_u32 v6, v4, 23, 8
	s_delay_alu instid0(VALU_DEP_1)
	v_cmpx_ne_u32_e32 0xff, v6
	s_cbranch_execz .LBB79_176
; %bb.175:
	v_and_b32_e32 v5, 0x400000, v4
	v_and_or_b32 v6, 0x3fffff, v4, v6
	v_lshrrev_b32_e32 v4, 23, v4
	s_delay_alu instid0(VALU_DEP_3) | instskip(NEXT) | instid1(VALU_DEP_3)
	v_cmp_ne_u32_e32 vcc_lo, 0, v5
	v_cmp_ne_u32_e64 s0, 0, v6
	s_and_b32 s0, vcc_lo, s0
	s_delay_alu instid0(SALU_CYCLE_1) | instskip(NEXT) | instid1(VALU_DEP_1)
	v_cndmask_b32_e64 v5, 0, 1, s0
	v_add_nc_u32_e32 v5, v4, v5
.LBB79_176:
	s_or_b32 exec_lo, exec_lo, s40
	s_mov_b32 s40, -1
	s_mov_b32 s0, 0
	global_store_b8 v[2:3], v5, off
.LBB79_177:
	s_mov_b32 s42, 0
.LBB79_178:
	s_delay_alu instid0(SALU_CYCLE_1)
	s_and_b32 vcc_lo, exec_lo, s42
	s_cbranch_vccz .LBB79_181
; %bb.179:
	s_cmp_eq_u32 s39, 29
	s_mov_b32 s0, -1
	s_cbranch_scc0 .LBB79_181
; %bb.180:
	s_wait_xcnt 0x0
	v_bfe_i32 v4, v1, 0, 16
	s_mov_b32 s0, 0
	s_mov_b32 s40, -1
	s_mov_b32 s42, 0
	s_delay_alu instid0(VALU_DEP_1)
	v_ashrrev_i32_e32 v5, 31, v4
	global_store_b64 v[2:3], v[4:5], off
	s_branch .LBB79_182
.LBB79_181:
	s_mov_b32 s42, 0
.LBB79_182:
	s_delay_alu instid0(SALU_CYCLE_1)
	s_and_b32 vcc_lo, exec_lo, s42
	s_cbranch_vccz .LBB79_198
; %bb.183:
	s_cmp_lt_i32 s39, 27
	s_mov_b32 s40, -1
	s_cbranch_scc1 .LBB79_189
; %bb.184:
	s_cmp_gt_i32 s39, 27
	s_cbranch_scc0 .LBB79_186
; %bb.185:
	s_wait_xcnt 0x0
	v_bfe_i32 v4, v1, 0, 16
	s_mov_b32 s40, 0
	global_store_b32 v[2:3], v4, off
.LBB79_186:
	s_and_not1_b32 vcc_lo, exec_lo, s40
	s_cbranch_vccnz .LBB79_188
; %bb.187:
	global_store_b16 v[2:3], v1, off
.LBB79_188:
	s_mov_b32 s40, 0
.LBB79_189:
	s_delay_alu instid0(SALU_CYCLE_1)
	s_and_not1_b32 vcc_lo, exec_lo, s40
	s_cbranch_vccnz .LBB79_197
; %bb.190:
	s_wait_xcnt 0x0
	v_bfe_i32 v4, v1, 0, 16
	v_mov_b32_e32 v6, 0x80
	s_mov_b32 s40, exec_lo
	s_delay_alu instid0(VALU_DEP_2) | instskip(NEXT) | instid1(VALU_DEP_1)
	v_cvt_f32_i32_e32 v4, v4
	v_and_b32_e32 v5, 0x7fffffff, v4
	s_delay_alu instid0(VALU_DEP_1)
	v_cmpx_gt_u32_e32 0x43800000, v5
	s_cbranch_execz .LBB79_196
; %bb.191:
	v_cmp_lt_u32_e32 vcc_lo, 0x3bffffff, v5
	s_mov_b32 s42, 0
                                        ; implicit-def: $vgpr5
	s_and_saveexec_b32 s43, vcc_lo
	s_delay_alu instid0(SALU_CYCLE_1)
	s_xor_b32 s43, exec_lo, s43
	s_cbranch_execz .LBB79_431
; %bb.192:
	v_bfe_u32 v5, v4, 20, 1
	s_mov_b32 s42, exec_lo
	s_delay_alu instid0(VALU_DEP_1) | instskip(NEXT) | instid1(VALU_DEP_1)
	v_add3_u32 v5, v4, v5, 0x487ffff
	v_lshrrev_b32_e32 v5, 20, v5
	s_and_not1_saveexec_b32 s43, s43
	s_cbranch_execnz .LBB79_432
.LBB79_193:
	s_or_b32 exec_lo, exec_lo, s43
	v_mov_b32_e32 v6, 0
	s_and_saveexec_b32 s43, s42
.LBB79_194:
	v_lshrrev_b32_e32 v4, 24, v4
	s_delay_alu instid0(VALU_DEP_1)
	v_and_or_b32 v6, 0x80, v4, v5
.LBB79_195:
	s_or_b32 exec_lo, exec_lo, s43
.LBB79_196:
	s_delay_alu instid0(SALU_CYCLE_1)
	s_or_b32 exec_lo, exec_lo, s40
	global_store_b8 v[2:3], v6, off
.LBB79_197:
	s_mov_b32 s40, -1
.LBB79_198:
	s_mov_b32 s42, 0
.LBB79_199:
	s_delay_alu instid0(SALU_CYCLE_1)
	s_and_b32 vcc_lo, exec_lo, s42
	s_cbranch_vccz .LBB79_240
; %bb.200:
	s_cmp_gt_i32 s39, 22
	s_mov_b32 s42, -1
	s_cbranch_scc0 .LBB79_232
; %bb.201:
	s_cmp_lt_i32 s39, 24
	s_mov_b32 s40, -1
	s_cbranch_scc1 .LBB79_221
; %bb.202:
	s_cmp_gt_i32 s39, 24
	s_cbranch_scc0 .LBB79_210
; %bb.203:
	s_wait_xcnt 0x0
	v_bfe_i32 v4, v1, 0, 16
	v_mov_b32_e32 v6, 0x80
	s_mov_b32 s40, exec_lo
	s_delay_alu instid0(VALU_DEP_2) | instskip(NEXT) | instid1(VALU_DEP_1)
	v_cvt_f32_i32_e32 v4, v4
	v_and_b32_e32 v5, 0x7fffffff, v4
	s_delay_alu instid0(VALU_DEP_1)
	v_cmpx_gt_u32_e32 0x47800000, v5
	s_cbranch_execz .LBB79_209
; %bb.204:
	v_cmp_lt_u32_e32 vcc_lo, 0x37ffffff, v5
	s_mov_b32 s42, 0
                                        ; implicit-def: $vgpr5
	s_and_saveexec_b32 s43, vcc_lo
	s_delay_alu instid0(SALU_CYCLE_1)
	s_xor_b32 s43, exec_lo, s43
	s_cbranch_execz .LBB79_546
; %bb.205:
	v_bfe_u32 v5, v4, 21, 1
	s_mov_b32 s42, exec_lo
	s_delay_alu instid0(VALU_DEP_1) | instskip(NEXT) | instid1(VALU_DEP_1)
	v_add3_u32 v5, v4, v5, 0x88fffff
	v_lshrrev_b32_e32 v5, 21, v5
	s_and_not1_saveexec_b32 s43, s43
	s_cbranch_execnz .LBB79_547
.LBB79_206:
	s_or_b32 exec_lo, exec_lo, s43
	v_mov_b32_e32 v6, 0
	s_and_saveexec_b32 s43, s42
.LBB79_207:
	v_lshrrev_b32_e32 v4, 24, v4
	s_delay_alu instid0(VALU_DEP_1)
	v_and_or_b32 v6, 0x80, v4, v5
.LBB79_208:
	s_or_b32 exec_lo, exec_lo, s43
.LBB79_209:
	s_delay_alu instid0(SALU_CYCLE_1)
	s_or_b32 exec_lo, exec_lo, s40
	s_mov_b32 s40, 0
	global_store_b8 v[2:3], v6, off
.LBB79_210:
	s_and_b32 vcc_lo, exec_lo, s40
	s_cbranch_vccz .LBB79_220
; %bb.211:
	s_wait_xcnt 0x0
	v_bfe_i32 v4, v1, 0, 16
	s_mov_b32 s40, exec_lo
                                        ; implicit-def: $vgpr5
	s_delay_alu instid0(VALU_DEP_1) | instskip(NEXT) | instid1(VALU_DEP_1)
	v_cvt_f32_i32_e32 v4, v4
	v_and_b32_e32 v6, 0x7fffffff, v4
	s_delay_alu instid0(VALU_DEP_1)
	v_cmpx_gt_u32_e32 0x43f00000, v6
	s_xor_b32 s40, exec_lo, s40
	s_cbranch_execz .LBB79_217
; %bb.212:
	s_mov_b32 s42, exec_lo
                                        ; implicit-def: $vgpr5
	v_cmpx_lt_u32_e32 0x3c7fffff, v6
	s_xor_b32 s42, exec_lo, s42
; %bb.213:
	v_bfe_u32 v5, v4, 20, 1
	s_delay_alu instid0(VALU_DEP_1) | instskip(NEXT) | instid1(VALU_DEP_1)
	v_add3_u32 v5, v4, v5, 0x407ffff
	v_and_b32_e32 v6, 0xff00000, v5
	v_lshrrev_b32_e32 v5, 20, v5
	s_delay_alu instid0(VALU_DEP_2) | instskip(NEXT) | instid1(VALU_DEP_2)
	v_cmp_ne_u32_e32 vcc_lo, 0x7f00000, v6
	v_cndmask_b32_e32 v5, 0x7e, v5, vcc_lo
; %bb.214:
	s_and_not1_saveexec_b32 s42, s42
; %bb.215:
	v_add_f32_e64 v5, 0x46800000, |v4|
; %bb.216:
	s_or_b32 exec_lo, exec_lo, s42
                                        ; implicit-def: $vgpr6
.LBB79_217:
	s_and_not1_saveexec_b32 s40, s40
; %bb.218:
	v_mov_b32_e32 v5, 0x7f
	v_cmp_lt_u32_e32 vcc_lo, 0x7f800000, v6
	s_delay_alu instid0(VALU_DEP_2)
	v_cndmask_b32_e32 v5, 0x7e, v5, vcc_lo
; %bb.219:
	s_or_b32 exec_lo, exec_lo, s40
	v_lshrrev_b32_e32 v4, 24, v4
	s_delay_alu instid0(VALU_DEP_1)
	v_and_or_b32 v4, 0x80, v4, v5
	global_store_b8 v[2:3], v4, off
.LBB79_220:
	s_mov_b32 s40, 0
.LBB79_221:
	s_delay_alu instid0(SALU_CYCLE_1)
	s_and_not1_b32 vcc_lo, exec_lo, s40
	s_cbranch_vccnz .LBB79_231
; %bb.222:
	s_wait_xcnt 0x0
	v_bfe_i32 v4, v1, 0, 16
	s_mov_b32 s40, exec_lo
                                        ; implicit-def: $vgpr5
	s_delay_alu instid0(VALU_DEP_1) | instskip(NEXT) | instid1(VALU_DEP_1)
	v_cvt_f32_i32_e32 v4, v4
	v_and_b32_e32 v6, 0x7fffffff, v4
	s_delay_alu instid0(VALU_DEP_1)
	v_cmpx_gt_u32_e32 0x47800000, v6
	s_xor_b32 s40, exec_lo, s40
	s_cbranch_execz .LBB79_228
; %bb.223:
	s_mov_b32 s42, exec_lo
                                        ; implicit-def: $vgpr5
	v_cmpx_lt_u32_e32 0x387fffff, v6
	s_xor_b32 s42, exec_lo, s42
; %bb.224:
	v_bfe_u32 v5, v4, 21, 1
	s_delay_alu instid0(VALU_DEP_1) | instskip(NEXT) | instid1(VALU_DEP_1)
	v_add3_u32 v5, v4, v5, 0x80fffff
	v_lshrrev_b32_e32 v5, 21, v5
; %bb.225:
	s_and_not1_saveexec_b32 s42, s42
; %bb.226:
	v_add_f32_e64 v5, 0x43000000, |v4|
; %bb.227:
	s_or_b32 exec_lo, exec_lo, s42
                                        ; implicit-def: $vgpr6
.LBB79_228:
	s_and_not1_saveexec_b32 s40, s40
; %bb.229:
	v_mov_b32_e32 v5, 0x7f
	v_cmp_lt_u32_e32 vcc_lo, 0x7f800000, v6
	s_delay_alu instid0(VALU_DEP_2)
	v_cndmask_b32_e32 v5, 0x7c, v5, vcc_lo
; %bb.230:
	s_or_b32 exec_lo, exec_lo, s40
	v_lshrrev_b32_e32 v4, 24, v4
	s_delay_alu instid0(VALU_DEP_1)
	v_and_or_b32 v4, 0x80, v4, v5
	global_store_b8 v[2:3], v4, off
.LBB79_231:
	s_mov_b32 s42, 0
	s_mov_b32 s40, -1
.LBB79_232:
	s_and_not1_b32 vcc_lo, exec_lo, s42
	s_cbranch_vccnz .LBB79_240
; %bb.233:
	s_cmp_gt_i32 s39, 14
	s_mov_b32 s42, -1
	s_cbranch_scc0 .LBB79_237
; %bb.234:
	s_cmp_eq_u32 s39, 15
	s_mov_b32 s0, -1
	s_cbranch_scc0 .LBB79_236
; %bb.235:
	s_wait_xcnt 0x0
	v_bfe_i32 v4, v1, 0, 16
	s_mov_b32 s40, -1
	s_mov_b32 s0, 0
	s_delay_alu instid0(VALU_DEP_1) | instskip(NEXT) | instid1(VALU_DEP_1)
	v_cvt_f32_i32_e32 v4, v4
	v_bfe_u32 v5, v4, 16, 1
	s_delay_alu instid0(VALU_DEP_1)
	v_add3_u32 v4, v4, v5, 0x7fff
	global_store_d16_hi_b16 v[2:3], v4, off
.LBB79_236:
	s_mov_b32 s42, 0
.LBB79_237:
	s_delay_alu instid0(SALU_CYCLE_1)
	s_and_b32 vcc_lo, exec_lo, s42
	s_cbranch_vccz .LBB79_240
; %bb.238:
	s_cmp_eq_u32 s39, 11
	s_mov_b32 s0, -1
	s_cbranch_scc0 .LBB79_240
; %bb.239:
	v_cmp_ne_u16_e32 vcc_lo, 0, v1
	s_mov_b32 s0, 0
	s_mov_b32 s40, -1
	s_wait_xcnt 0x0
	v_cndmask_b32_e64 v4, 0, 1, vcc_lo
	global_store_b8 v[2:3], v4, off
.LBB79_240:
	s_mov_b32 s39, 0
.LBB79_241:
	s_delay_alu instid0(SALU_CYCLE_1)
	s_and_b32 vcc_lo, exec_lo, s39
	s_cbranch_vccz .LBB79_280
; %bb.242:
	s_and_b32 s38, 0xffff, s38
	s_mov_b32 s39, -1
	s_cmp_lt_i32 s38, 5
	s_cbranch_scc1 .LBB79_263
; %bb.243:
	s_cmp_lt_i32 s38, 8
	s_cbranch_scc1 .LBB79_253
; %bb.244:
	;; [unrolled: 3-line block ×3, first 2 shown]
	s_cmp_gt_i32 s38, 9
	s_cbranch_scc0 .LBB79_247
; %bb.246:
	s_wait_xcnt 0x0
	v_bfe_i32 v4, v1, 0, 16
	v_mov_b32_e32 v6, 0
	s_mov_b32 s39, 0
	s_delay_alu instid0(VALU_DEP_2) | instskip(NEXT) | instid1(VALU_DEP_2)
	v_cvt_f64_i32_e32 v[4:5], v4
	v_mov_b32_e32 v7, v6
	global_store_b128 v[2:3], v[4:7], off
.LBB79_247:
	s_and_not1_b32 vcc_lo, exec_lo, s39
	s_cbranch_vccnz .LBB79_249
; %bb.248:
	s_wait_xcnt 0x0
	v_bfe_i32 v4, v1, 0, 16
	v_mov_b32_e32 v5, 0
	s_delay_alu instid0(VALU_DEP_2)
	v_cvt_f32_i32_e32 v4, v4
	global_store_b64 v[2:3], v[4:5], off
.LBB79_249:
	s_mov_b32 s39, 0
.LBB79_250:
	s_delay_alu instid0(SALU_CYCLE_1)
	s_and_not1_b32 vcc_lo, exec_lo, s39
	s_cbranch_vccnz .LBB79_252
; %bb.251:
	s_wait_xcnt 0x0
	v_cvt_f16_i16_e32 v4, v1
	s_delay_alu instid0(VALU_DEP_1)
	v_and_b32_e32 v4, 0xffff, v4
	global_store_b32 v[2:3], v4, off
.LBB79_252:
	s_mov_b32 s39, 0
.LBB79_253:
	s_delay_alu instid0(SALU_CYCLE_1)
	s_and_not1_b32 vcc_lo, exec_lo, s39
	s_cbranch_vccnz .LBB79_262
; %bb.254:
	s_cmp_lt_i32 s38, 6
	s_mov_b32 s39, -1
	s_cbranch_scc1 .LBB79_260
; %bb.255:
	s_cmp_gt_i32 s38, 6
	s_cbranch_scc0 .LBB79_257
; %bb.256:
	s_wait_xcnt 0x0
	v_bfe_i32 v4, v1, 0, 16
	s_mov_b32 s39, 0
	s_delay_alu instid0(VALU_DEP_1)
	v_cvt_f64_i32_e32 v[4:5], v4
	global_store_b64 v[2:3], v[4:5], off
.LBB79_257:
	s_and_not1_b32 vcc_lo, exec_lo, s39
	s_cbranch_vccnz .LBB79_259
; %bb.258:
	s_wait_xcnt 0x0
	v_bfe_i32 v4, v1, 0, 16
	s_delay_alu instid0(VALU_DEP_1)
	v_cvt_f32_i32_e32 v4, v4
	global_store_b32 v[2:3], v4, off
.LBB79_259:
	s_mov_b32 s39, 0
.LBB79_260:
	s_delay_alu instid0(SALU_CYCLE_1)
	s_and_not1_b32 vcc_lo, exec_lo, s39
	s_cbranch_vccnz .LBB79_262
; %bb.261:
	s_wait_xcnt 0x0
	v_cvt_f16_i16_e32 v4, v1
	global_store_b16 v[2:3], v4, off
.LBB79_262:
	s_mov_b32 s39, 0
.LBB79_263:
	s_delay_alu instid0(SALU_CYCLE_1)
	s_and_not1_b32 vcc_lo, exec_lo, s39
	s_cbranch_vccnz .LBB79_279
; %bb.264:
	s_cmp_lt_i32 s38, 2
	s_mov_b32 s39, -1
	s_cbranch_scc1 .LBB79_274
; %bb.265:
	s_cmp_lt_i32 s38, 3
	s_cbranch_scc1 .LBB79_271
; %bb.266:
	s_wait_xcnt 0x0
	v_bfe_i32 v4, v1, 0, 16
	s_cmp_gt_i32 s38, 3
	s_cbranch_scc0 .LBB79_268
; %bb.267:
	s_delay_alu instid0(VALU_DEP_1)
	v_ashrrev_i32_e32 v5, 31, v4
	s_mov_b32 s39, 0
	global_store_b64 v[2:3], v[4:5], off
.LBB79_268:
	s_and_not1_b32 vcc_lo, exec_lo, s39
	s_cbranch_vccnz .LBB79_270
; %bb.269:
	global_store_b32 v[2:3], v4, off
.LBB79_270:
	s_mov_b32 s39, 0
.LBB79_271:
	s_delay_alu instid0(SALU_CYCLE_1)
	s_and_not1_b32 vcc_lo, exec_lo, s39
	s_cbranch_vccnz .LBB79_273
; %bb.272:
	global_store_b16 v[2:3], v1, off
.LBB79_273:
	s_mov_b32 s39, 0
.LBB79_274:
	s_delay_alu instid0(SALU_CYCLE_1)
	s_and_not1_b32 vcc_lo, exec_lo, s39
	s_cbranch_vccnz .LBB79_279
; %bb.275:
	s_cmp_gt_i32 s38, 0
	s_mov_b32 s38, -1
	s_cbranch_scc0 .LBB79_277
; %bb.276:
	s_mov_b32 s38, 0
	global_store_b8 v[2:3], v1, off
.LBB79_277:
	s_and_not1_b32 vcc_lo, exec_lo, s38
	s_cbranch_vccnz .LBB79_279
; %bb.278:
	global_store_b8 v[2:3], v1, off
.LBB79_279:
	s_mov_b32 s40, -1
.LBB79_280:
	s_delay_alu instid0(SALU_CYCLE_1)
	s_and_not1_b32 vcc_lo, exec_lo, s40
	s_cbranch_vccnz .LBB79_389
; %bb.281:
	v_add_nc_u32_e32 v0, 0x80, v0
	s_mov_b32 s42, -1
	s_branch .LBB79_390
.LBB79_282:
	s_mov_b32 s25, -1
                                        ; implicit-def: $vgpr8
.LBB79_283:
	s_mov_b32 s40, 0
.LBB79_284:
	s_delay_alu instid0(SALU_CYCLE_1)
	s_and_b32 vcc_lo, exec_lo, s40
	s_cbranch_vccz .LBB79_288
; %bb.285:
	s_cmp_eq_u32 s38, 29
	s_cbranch_scc0 .LBB79_287
; %bb.286:
	global_load_b64 v[8:9], v[6:7], off
	s_mov_b32 s39, -1
	s_mov_b32 s25, 0
	s_branch .LBB79_288
.LBB79_287:
	s_mov_b32 s25, -1
                                        ; implicit-def: $vgpr8
.LBB79_288:
	s_mov_b32 s40, 0
.LBB79_289:
	s_delay_alu instid0(SALU_CYCLE_1)
	s_and_b32 vcc_lo, exec_lo, s40
	s_cbranch_vccz .LBB79_305
; %bb.290:
	s_cmp_lt_i32 s38, 27
	s_cbranch_scc1 .LBB79_293
; %bb.291:
	s_cmp_gt_i32 s38, 27
	s_cbranch_scc0 .LBB79_294
; %bb.292:
	s_wait_loadcnt 0x0
	global_load_b32 v8, v[6:7], off
	s_mov_b32 s39, 0
	s_branch .LBB79_295
.LBB79_293:
	s_mov_b32 s39, -1
                                        ; implicit-def: $vgpr8
	s_branch .LBB79_298
.LBB79_294:
	s_mov_b32 s39, -1
                                        ; implicit-def: $vgpr8
.LBB79_295:
	s_delay_alu instid0(SALU_CYCLE_1)
	s_and_not1_b32 vcc_lo, exec_lo, s39
	s_cbranch_vccnz .LBB79_297
; %bb.296:
	s_wait_loadcnt 0x0
	global_load_u16 v8, v[6:7], off
.LBB79_297:
	s_mov_b32 s39, 0
.LBB79_298:
	s_delay_alu instid0(SALU_CYCLE_1)
	s_and_not1_b32 vcc_lo, exec_lo, s39
	s_cbranch_vccnz .LBB79_304
; %bb.299:
	global_load_u8 v1, v[6:7], off
	s_mov_b32 s40, 0
	s_mov_b32 s39, exec_lo
	s_wait_loadcnt 0x0
	v_cmpx_lt_i16_e32 0x7f, v1
	s_xor_b32 s39, exec_lo, s39
	s_cbranch_execz .LBB79_316
; %bb.300:
	v_cmp_ne_u16_e32 vcc_lo, 0x80, v1
	s_and_b32 s40, vcc_lo, exec_lo
	s_and_not1_saveexec_b32 s39, s39
	s_cbranch_execnz .LBB79_317
.LBB79_301:
	s_or_b32 exec_lo, exec_lo, s39
	v_mov_b32_e32 v8, 0
	s_and_saveexec_b32 s39, s40
	s_cbranch_execz .LBB79_303
.LBB79_302:
	v_and_b32_e32 v3, 0xffff, v1
	s_delay_alu instid0(VALU_DEP_1) | instskip(SKIP_1) | instid1(VALU_DEP_2)
	v_and_b32_e32 v5, 7, v3
	v_bfe_u32 v10, v3, 3, 4
	v_clz_i32_u32_e32 v8, v5
	s_delay_alu instid0(VALU_DEP_2) | instskip(NEXT) | instid1(VALU_DEP_2)
	v_cmp_eq_u32_e32 vcc_lo, 0, v10
	v_min_u32_e32 v8, 32, v8
	s_delay_alu instid0(VALU_DEP_1) | instskip(NEXT) | instid1(VALU_DEP_1)
	v_subrev_nc_u32_e32 v9, 28, v8
	v_dual_lshlrev_b32 v3, v9, v3 :: v_dual_sub_nc_u32 v8, 29, v8
	s_delay_alu instid0(VALU_DEP_1) | instskip(NEXT) | instid1(VALU_DEP_1)
	v_dual_lshlrev_b32 v1, 24, v1 :: v_dual_bitop2_b32 v3, 7, v3 bitop3:0x40
	v_dual_cndmask_b32 v8, v10, v8 :: v_dual_cndmask_b32 v3, v5, v3
	s_delay_alu instid0(VALU_DEP_2) | instskip(NEXT) | instid1(VALU_DEP_2)
	v_and_b32_e32 v1, 0x80000000, v1
	v_lshl_add_u32 v5, v8, 23, 0x3b800000
	s_delay_alu instid0(VALU_DEP_3) | instskip(NEXT) | instid1(VALU_DEP_1)
	v_lshlrev_b32_e32 v3, 20, v3
	v_or3_b32 v1, v1, v5, v3
	s_delay_alu instid0(VALU_DEP_1)
	v_cvt_i32_f32_e32 v8, v1
.LBB79_303:
	s_or_b32 exec_lo, exec_lo, s39
.LBB79_304:
	s_mov_b32 s39, -1
.LBB79_305:
	s_mov_b32 s40, 0
.LBB79_306:
	s_delay_alu instid0(SALU_CYCLE_1)
	s_and_b32 vcc_lo, exec_lo, s40
	s_cbranch_vccz .LBB79_339
; %bb.307:
	s_cmp_gt_i32 s38, 22
	s_cbranch_scc0 .LBB79_315
; %bb.308:
	s_cmp_lt_i32 s38, 24
	s_cbranch_scc1 .LBB79_318
; %bb.309:
	s_cmp_gt_i32 s38, 24
	s_cbranch_scc0 .LBB79_319
; %bb.310:
	global_load_u8 v1, v[6:7], off
	s_mov_b32 s40, 0
	s_mov_b32 s39, exec_lo
	s_wait_loadcnt 0x0
	v_cmpx_lt_i16_e32 0x7f, v1
	s_xor_b32 s39, exec_lo, s39
	s_cbranch_execz .LBB79_331
; %bb.311:
	v_cmp_ne_u16_e32 vcc_lo, 0x80, v1
	s_and_b32 s40, vcc_lo, exec_lo
	s_and_not1_saveexec_b32 s39, s39
	s_cbranch_execnz .LBB79_332
.LBB79_312:
	s_or_b32 exec_lo, exec_lo, s39
	v_mov_b32_e32 v8, 0
	s_and_saveexec_b32 s39, s40
	s_cbranch_execz .LBB79_314
.LBB79_313:
	v_and_b32_e32 v3, 0xffff, v1
	s_delay_alu instid0(VALU_DEP_1) | instskip(SKIP_1) | instid1(VALU_DEP_2)
	v_and_b32_e32 v5, 3, v3
	v_bfe_u32 v10, v3, 2, 5
	v_clz_i32_u32_e32 v8, v5
	s_delay_alu instid0(VALU_DEP_2) | instskip(NEXT) | instid1(VALU_DEP_2)
	v_cmp_eq_u32_e32 vcc_lo, 0, v10
	v_min_u32_e32 v8, 32, v8
	s_delay_alu instid0(VALU_DEP_1) | instskip(NEXT) | instid1(VALU_DEP_1)
	v_subrev_nc_u32_e32 v9, 29, v8
	v_dual_lshlrev_b32 v3, v9, v3 :: v_dual_sub_nc_u32 v8, 30, v8
	s_delay_alu instid0(VALU_DEP_1) | instskip(NEXT) | instid1(VALU_DEP_1)
	v_dual_lshlrev_b32 v1, 24, v1 :: v_dual_bitop2_b32 v3, 3, v3 bitop3:0x40
	v_dual_cndmask_b32 v8, v10, v8 :: v_dual_cndmask_b32 v3, v5, v3
	s_delay_alu instid0(VALU_DEP_2) | instskip(NEXT) | instid1(VALU_DEP_2)
	v_and_b32_e32 v1, 0x80000000, v1
	v_lshl_add_u32 v5, v8, 23, 0x37800000
	s_delay_alu instid0(VALU_DEP_3) | instskip(NEXT) | instid1(VALU_DEP_1)
	v_lshlrev_b32_e32 v3, 21, v3
	v_or3_b32 v1, v1, v5, v3
	s_delay_alu instid0(VALU_DEP_1)
	v_cvt_i32_f32_e32 v8, v1
.LBB79_314:
	s_or_b32 exec_lo, exec_lo, s39
	s_mov_b32 s39, 0
	s_branch .LBB79_320
.LBB79_315:
	s_mov_b32 s40, -1
                                        ; implicit-def: $vgpr8
	s_branch .LBB79_326
.LBB79_316:
	s_and_not1_saveexec_b32 s39, s39
	s_cbranch_execz .LBB79_301
.LBB79_317:
	v_cmp_ne_u16_e32 vcc_lo, 0, v1
	s_and_not1_b32 s40, s40, exec_lo
	s_and_b32 s42, vcc_lo, exec_lo
	s_delay_alu instid0(SALU_CYCLE_1)
	s_or_b32 s40, s40, s42
	s_or_b32 exec_lo, exec_lo, s39
	v_mov_b32_e32 v8, 0
	s_and_saveexec_b32 s39, s40
	s_cbranch_execnz .LBB79_302
	s_branch .LBB79_303
.LBB79_318:
	s_mov_b32 s39, -1
                                        ; implicit-def: $vgpr8
	s_branch .LBB79_323
.LBB79_319:
	s_mov_b32 s39, -1
                                        ; implicit-def: $vgpr8
.LBB79_320:
	s_delay_alu instid0(SALU_CYCLE_1)
	s_and_b32 vcc_lo, exec_lo, s39
	s_cbranch_vccz .LBB79_322
; %bb.321:
	global_load_u8 v1, v[6:7], off
	s_wait_loadcnt 0x0
	v_lshlrev_b32_e32 v1, 24, v1
	s_delay_alu instid0(VALU_DEP_1) | instskip(NEXT) | instid1(VALU_DEP_1)
	v_and_b32_e32 v3, 0x7f000000, v1
	v_clz_i32_u32_e32 v5, v3
	v_add_nc_u32_e32 v9, 0x1000000, v3
	v_cmp_ne_u32_e32 vcc_lo, 0, v3
	s_delay_alu instid0(VALU_DEP_3) | instskip(NEXT) | instid1(VALU_DEP_1)
	v_min_u32_e32 v5, 32, v5
	v_sub_nc_u32_e64 v5, v5, 4 clamp
	s_delay_alu instid0(VALU_DEP_1) | instskip(NEXT) | instid1(VALU_DEP_1)
	v_dual_lshlrev_b32 v8, v5, v3 :: v_dual_lshlrev_b32 v5, 23, v5
	v_lshrrev_b32_e32 v8, 4, v8
	s_delay_alu instid0(VALU_DEP_1) | instskip(SKIP_1) | instid1(VALU_DEP_2)
	v_sub_nc_u32_e32 v5, v8, v5
	v_ashrrev_i32_e32 v8, 8, v9
	v_add_nc_u32_e32 v5, 0x3c000000, v5
	s_delay_alu instid0(VALU_DEP_1) | instskip(NEXT) | instid1(VALU_DEP_1)
	v_and_or_b32 v5, 0x7f800000, v8, v5
	v_cndmask_b32_e32 v3, 0, v5, vcc_lo
	s_delay_alu instid0(VALU_DEP_1) | instskip(NEXT) | instid1(VALU_DEP_1)
	v_and_or_b32 v1, 0x80000000, v1, v3
	v_cvt_i32_f32_e32 v8, v1
.LBB79_322:
	s_mov_b32 s39, 0
.LBB79_323:
	s_delay_alu instid0(SALU_CYCLE_1)
	s_and_not1_b32 vcc_lo, exec_lo, s39
	s_cbranch_vccnz .LBB79_325
; %bb.324:
	global_load_u8 v1, v[6:7], off
	s_wait_loadcnt 0x0
	v_lshlrev_b32_e32 v3, 25, v1
	v_lshlrev_b16 v1, 8, v1
	s_delay_alu instid0(VALU_DEP_1) | instskip(SKIP_1) | instid1(VALU_DEP_2)
	v_and_or_b32 v8, 0x7f00, v1, 0.5
	v_bfe_i32 v1, v1, 0, 16
	v_dual_add_f32 v8, -0.5, v8 :: v_dual_lshrrev_b32 v5, 4, v3
	v_cmp_gt_u32_e32 vcc_lo, 0x8000000, v3
	s_delay_alu instid0(VALU_DEP_2) | instskip(NEXT) | instid1(VALU_DEP_1)
	v_or_b32_e32 v5, 0x70000000, v5
	v_mul_f32_e32 v5, 0x7800000, v5
	s_delay_alu instid0(VALU_DEP_1) | instskip(NEXT) | instid1(VALU_DEP_1)
	v_cndmask_b32_e32 v3, v5, v8, vcc_lo
	v_and_or_b32 v1, 0x80000000, v1, v3
	s_delay_alu instid0(VALU_DEP_1)
	v_cvt_i32_f32_e32 v8, v1
.LBB79_325:
	s_mov_b32 s40, 0
	s_mov_b32 s39, -1
.LBB79_326:
	s_and_not1_b32 vcc_lo, exec_lo, s40
	s_cbranch_vccnz .LBB79_339
; %bb.327:
	s_cmp_gt_i32 s38, 14
	s_cbranch_scc0 .LBB79_330
; %bb.328:
	s_cmp_eq_u32 s38, 15
	s_cbranch_scc0 .LBB79_333
; %bb.329:
	global_load_u16 v1, v[6:7], off
	s_mov_b32 s39, -1
	s_mov_b32 s25, 0
	s_wait_loadcnt 0x0
	v_lshlrev_b32_e32 v1, 16, v1
	s_delay_alu instid0(VALU_DEP_1)
	v_cvt_i32_f32_e32 v8, v1
	s_branch .LBB79_334
.LBB79_330:
	s_mov_b32 s40, -1
                                        ; implicit-def: $vgpr8
	s_branch .LBB79_335
.LBB79_331:
	s_and_not1_saveexec_b32 s39, s39
	s_cbranch_execz .LBB79_312
.LBB79_332:
	v_cmp_ne_u16_e32 vcc_lo, 0, v1
	s_and_not1_b32 s40, s40, exec_lo
	s_and_b32 s42, vcc_lo, exec_lo
	s_delay_alu instid0(SALU_CYCLE_1)
	s_or_b32 s40, s40, s42
	s_or_b32 exec_lo, exec_lo, s39
	v_mov_b32_e32 v8, 0
	s_and_saveexec_b32 s39, s40
	s_cbranch_execnz .LBB79_313
	s_branch .LBB79_314
.LBB79_333:
	s_mov_b32 s25, -1
                                        ; implicit-def: $vgpr8
.LBB79_334:
	s_mov_b32 s40, 0
.LBB79_335:
	s_delay_alu instid0(SALU_CYCLE_1)
	s_and_b32 vcc_lo, exec_lo, s40
	s_cbranch_vccz .LBB79_339
; %bb.336:
	s_cmp_eq_u32 s38, 11
	s_cbranch_scc0 .LBB79_338
; %bb.337:
	global_load_u8 v1, v[6:7], off
	s_mov_b32 s25, 0
	s_mov_b32 s39, -1
	s_wait_loadcnt 0x0
	v_cmp_ne_u16_e32 vcc_lo, 0, v1
	v_cndmask_b32_e64 v8, 0, 1, vcc_lo
	s_branch .LBB79_339
.LBB79_338:
	s_mov_b32 s25, -1
                                        ; implicit-def: $vgpr8
.LBB79_339:
	s_branch .LBB79_31
.LBB79_340:
	s_and_b32 s0, 0xffff, s0
	s_delay_alu instid0(SALU_CYCLE_1)
	s_cmp_lt_i32 s0, 5
	s_cbranch_scc1 .LBB79_345
; %bb.341:
	s_cmp_lt_i32 s0, 8
	s_cbranch_scc1 .LBB79_346
; %bb.342:
	;; [unrolled: 3-line block ×3, first 2 shown]
	s_cmp_gt_i32 s0, 9
	s_cbranch_scc0 .LBB79_348
; %bb.344:
	s_wait_loadcnt 0x0
	global_load_b64 v[8:9], v[6:7], off
	s_mov_b32 s38, 0
	s_wait_loadcnt 0x0
	v_cvt_i32_f64_e32 v8, v[8:9]
	s_branch .LBB79_349
.LBB79_345:
	s_mov_b32 s38, -1
                                        ; implicit-def: $vgpr8
	s_branch .LBB79_367
.LBB79_346:
	s_mov_b32 s38, -1
                                        ; implicit-def: $vgpr8
	s_branch .LBB79_355
.LBB79_347:
	s_mov_b32 s38, -1
                                        ; implicit-def: $vgpr8
	s_branch .LBB79_352
.LBB79_348:
	s_mov_b32 s38, -1
                                        ; implicit-def: $vgpr8
.LBB79_349:
	s_delay_alu instid0(SALU_CYCLE_1)
	s_and_not1_b32 vcc_lo, exec_lo, s38
	s_cbranch_vccnz .LBB79_351
; %bb.350:
	global_load_b32 v1, v[6:7], off
	s_wait_loadcnt 0x0
	v_cvt_i32_f32_e32 v8, v1
.LBB79_351:
	s_mov_b32 s38, 0
.LBB79_352:
	s_delay_alu instid0(SALU_CYCLE_1)
	s_and_not1_b32 vcc_lo, exec_lo, s38
	s_cbranch_vccnz .LBB79_354
; %bb.353:
	global_load_b32 v1, v[6:7], off
	s_wait_loadcnt 0x0
	v_cvt_i16_f16_e32 v8, v1
.LBB79_354:
	s_mov_b32 s38, 0
.LBB79_355:
	s_delay_alu instid0(SALU_CYCLE_1)
	s_and_not1_b32 vcc_lo, exec_lo, s38
	s_cbranch_vccnz .LBB79_366
; %bb.356:
	s_cmp_lt_i32 s0, 6
	s_cbranch_scc1 .LBB79_359
; %bb.357:
	s_cmp_gt_i32 s0, 6
	s_cbranch_scc0 .LBB79_360
; %bb.358:
	s_wait_loadcnt 0x0
	global_load_b64 v[8:9], v[6:7], off
	s_mov_b32 s38, 0
	s_wait_loadcnt 0x0
	v_cvt_i32_f64_e32 v8, v[8:9]
	s_branch .LBB79_361
.LBB79_359:
	s_mov_b32 s38, -1
                                        ; implicit-def: $vgpr8
	s_branch .LBB79_364
.LBB79_360:
	s_mov_b32 s38, -1
                                        ; implicit-def: $vgpr8
.LBB79_361:
	s_delay_alu instid0(SALU_CYCLE_1)
	s_and_not1_b32 vcc_lo, exec_lo, s38
	s_cbranch_vccnz .LBB79_363
; %bb.362:
	global_load_b32 v1, v[6:7], off
	s_wait_loadcnt 0x0
	v_cvt_i32_f32_e32 v8, v1
.LBB79_363:
	s_mov_b32 s38, 0
.LBB79_364:
	s_delay_alu instid0(SALU_CYCLE_1)
	s_and_not1_b32 vcc_lo, exec_lo, s38
	s_cbranch_vccnz .LBB79_366
; %bb.365:
	global_load_u16 v1, v[6:7], off
	s_wait_loadcnt 0x0
	v_cvt_i16_f16_e32 v8, v1
.LBB79_366:
	s_mov_b32 s38, 0
.LBB79_367:
	s_delay_alu instid0(SALU_CYCLE_1)
	s_and_not1_b32 vcc_lo, exec_lo, s38
	s_cbranch_vccnz .LBB79_387
; %bb.368:
	s_cmp_lt_i32 s0, 2
	s_cbranch_scc1 .LBB79_372
; %bb.369:
	s_cmp_lt_i32 s0, 3
	s_cbranch_scc1 .LBB79_373
; %bb.370:
	s_cmp_gt_i32 s0, 3
	s_cbranch_scc0 .LBB79_374
; %bb.371:
	s_wait_loadcnt 0x0
	global_load_b64 v[8:9], v[6:7], off
	s_mov_b32 s38, 0
	s_branch .LBB79_375
.LBB79_372:
	s_mov_b32 s38, -1
                                        ; implicit-def: $vgpr8
	s_branch .LBB79_381
.LBB79_373:
	s_mov_b32 s38, -1
                                        ; implicit-def: $vgpr8
	s_branch .LBB79_378
.LBB79_374:
	s_mov_b32 s38, -1
                                        ; implicit-def: $vgpr8
.LBB79_375:
	s_delay_alu instid0(SALU_CYCLE_1)
	s_and_not1_b32 vcc_lo, exec_lo, s38
	s_cbranch_vccnz .LBB79_377
; %bb.376:
	s_wait_loadcnt 0x0
	global_load_b32 v8, v[6:7], off
.LBB79_377:
	s_mov_b32 s38, 0
.LBB79_378:
	s_delay_alu instid0(SALU_CYCLE_1)
	s_and_not1_b32 vcc_lo, exec_lo, s38
	s_cbranch_vccnz .LBB79_380
; %bb.379:
	s_wait_loadcnt 0x0
	global_load_u16 v8, v[6:7], off
.LBB79_380:
	s_mov_b32 s38, 0
.LBB79_381:
	s_delay_alu instid0(SALU_CYCLE_1)
	s_and_not1_b32 vcc_lo, exec_lo, s38
	s_cbranch_vccnz .LBB79_387
; %bb.382:
	s_cmp_gt_i32 s0, 0
	s_mov_b32 s0, 0
	s_cbranch_scc0 .LBB79_384
; %bb.383:
	s_wait_loadcnt 0x0
	global_load_i8 v8, v[6:7], off
	s_branch .LBB79_385
.LBB79_384:
	s_mov_b32 s0, -1
                                        ; implicit-def: $vgpr8
.LBB79_385:
	s_delay_alu instid0(SALU_CYCLE_1)
	s_and_not1_b32 vcc_lo, exec_lo, s0
	s_cbranch_vccnz .LBB79_387
; %bb.386:
	s_wait_loadcnt 0x0
	global_load_u8 v8, v[6:7], off
.LBB79_387:
	s_branch .LBB79_32
.LBB79_388:
	s_mov_b32 s0, 0
.LBB79_389:
	s_mov_b32 s42, 0
                                        ; implicit-def: $vgpr0
.LBB79_390:
	s_and_b32 s38, s0, exec_lo
	s_and_b32 s39, s25, exec_lo
	;; [unrolled: 1-line block ×3, first 2 shown]
	s_or_not1_b32 s25, s42, exec_lo
.LBB79_391:
	s_wait_xcnt 0x0
	s_or_b32 exec_lo, exec_lo, s41
	s_mov_b32 s43, 0
	s_mov_b32 s24, 0
                                        ; implicit-def: $sgpr0
                                        ; implicit-def: $vgpr8_vgpr9
                                        ; implicit-def: $vgpr6
                                        ; implicit-def: $vgpr2
                                        ; implicit-def: $vgpr4
	s_and_saveexec_b32 s41, s25
	s_cbranch_execz .LBB79_399
; %bb.392:
	s_mov_b32 s47, -1
	s_mov_b32 s42, s40
	s_mov_b32 s44, s39
	;; [unrolled: 1-line block ×3, first 2 shown]
	s_mov_b32 s45, exec_lo
	v_cmpx_gt_i32_e64 s36, v0
	s_cbranch_execz .LBB79_793
; %bb.393:
	s_and_not1_b32 vcc_lo, exec_lo, s29
	s_cbranch_vccnz .LBB79_402
; %bb.394:
	s_and_not1_b32 vcc_lo, exec_lo, s37
	s_cbranch_vccnz .LBB79_403
; %bb.395:
	v_dual_mov_b32 v2, 0 :: v_dual_mov_b32 v1, v0
	s_wait_loadcnt 0x0
	v_dual_mov_b32 v4, 0 :: v_dual_mov_b32 v6, 0
	s_add_co_i32 s0, s35, 1
	s_mov_b64 s[24:25], 0xffffffffffffffe8
	s_and_b32 s0, s0, 30
	s_add_nc_u64 s[24:25], s[2:3], s[24:25]
.LBB79_396:                             ; =>This Inner Loop Header: Depth=1
	s_clause 0x3
	s_load_b128 s[48:51], s[24:25], 0x1c
	s_load_b64 s[42:43], s[24:25], 0x2c
	s_load_b128 s[52:55], s[24:25], 0xdc
	s_load_b64 s[46:47], s[24:25], 0xec
	s_add_co_i32 s0, s0, -2
	s_wait_xcnt 0x0
	s_add_nc_u64 s[24:25], s[24:25], 24
	s_cmp_eq_u32 s0, 0
	s_wait_kmcnt 0x0
	v_mul_hi_u32 v3, s49, v1
	s_delay_alu instid0(VALU_DEP_1) | instskip(NEXT) | instid1(VALU_DEP_1)
	v_add_nc_u32_e32 v3, v1, v3
	v_lshrrev_b32_e32 v3, s50, v3
	s_delay_alu instid0(VALU_DEP_1) | instskip(SKIP_1) | instid1(VALU_DEP_1)
	v_mul_hi_u32 v5, s42, v3
	v_mul_lo_u32 v7, v3, s48
	v_dual_add_nc_u32 v5, v3, v5 :: v_dual_sub_nc_u32 v7, v1, v7
	s_delay_alu instid0(VALU_DEP_1) | instskip(NEXT) | instid1(VALU_DEP_2)
	v_lshrrev_b32_e32 v1, s43, v5
	v_mad_u32 v2, v7, s52, v2
	v_mad_u32 v6, v7, s54, v6
	;; [unrolled: 1-line block ×3, first 2 shown]
	s_delay_alu instid0(VALU_DEP_4) | instskip(NEXT) | instid1(VALU_DEP_1)
	v_mul_lo_u32 v5, v1, s51
	v_sub_nc_u32_e32 v3, v3, v5
	s_delay_alu instid0(VALU_DEP_1)
	v_mad_u32 v2, v3, s55, v2
	v_mad_u32 v6, v3, s47, v6
	;; [unrolled: 1-line block ×3, first 2 shown]
	s_cbranch_scc0 .LBB79_396
; %bb.397:
	s_bitcmp1_b32 s35, 0
	s_cselect_b32 s0, -1, 0
	s_delay_alu instid0(SALU_CYCLE_1)
	s_and_b32 vcc_lo, exec_lo, s0
	s_cbranch_vccnz .LBB79_404
; %bb.398:
	s_clause 0x1
	s_load_b96 s[48:50], s[24:25], 0x1c
	s_load_b96 s[52:54], s[24:25], 0xdc
	s_wait_kmcnt 0x0
	v_mul_hi_u32 v3, s49, v1
	s_delay_alu instid0(VALU_DEP_1) | instskip(NEXT) | instid1(VALU_DEP_1)
	v_add_nc_u32_e32 v3, v1, v3
	v_lshrrev_b32_e32 v3, s50, v3
	s_delay_alu instid0(VALU_DEP_1) | instskip(NEXT) | instid1(VALU_DEP_1)
	v_mul_lo_u32 v3, v3, s48
	v_sub_nc_u32_e32 v1, v1, v3
	s_delay_alu instid0(VALU_DEP_1)
	v_mad_u32 v2, v1, s52, v2
	v_mad_u32 v4, v1, s53, v4
	v_mad_u32 v6, v1, s54, v6
	s_branch .LBB79_404
.LBB79_399:
	s_or_b32 exec_lo, exec_lo, s41
	s_mov_b32 s1, 0
	s_and_saveexec_b32 s6, s40
	s_cbranch_execnz .LBB79_1287
.LBB79_400:
	s_or_b32 exec_lo, exec_lo, s6
	s_and_saveexec_b32 s6, s19
	s_delay_alu instid0(SALU_CYCLE_1)
	s_xor_b32 s6, exec_lo, s6
	s_cbranch_execz .LBB79_1288
.LBB79_401:
	s_wait_loadcnt 0x0
	global_load_u8 v0, v[8:9], off
	s_or_b32 s24, s24, exec_lo
	s_wait_loadcnt 0x0
	v_cmp_ne_u16_e32 vcc_lo, 0, v0
	v_cndmask_b32_e64 v4, 0, 1, vcc_lo
	s_wait_xcnt 0x0
	s_or_b32 exec_lo, exec_lo, s6
	s_and_saveexec_b32 s6, s43
	s_cbranch_execz .LBB79_1334
	s_branch .LBB79_1289
.LBB79_402:
                                        ; implicit-def: $vgpr6
                                        ; implicit-def: $vgpr4
                                        ; implicit-def: $vgpr2
	s_branch .LBB79_405
.LBB79_403:
	s_wait_loadcnt 0x0
	v_dual_mov_b32 v6, 0 :: v_dual_mov_b32 v4, 0
	v_mov_b32_e32 v2, 0
.LBB79_404:
	s_cbranch_execnz .LBB79_407
.LBB79_405:
	v_mov_b32_e32 v1, 0
	s_and_not1_b32 vcc_lo, exec_lo, s34
	s_delay_alu instid0(VALU_DEP_1) | instskip(NEXT) | instid1(VALU_DEP_1)
	v_mul_u64_e32 v[2:3], s[18:19], v[0:1]
	v_add_nc_u32_e32 v2, v0, v3
	s_wait_loadcnt 0x0
	s_delay_alu instid0(VALU_DEP_1) | instskip(NEXT) | instid1(VALU_DEP_1)
	v_lshrrev_b32_e32 v8, s10, v2
	v_mul_lo_u32 v2, v8, s8
	s_delay_alu instid0(VALU_DEP_1) | instskip(NEXT) | instid1(VALU_DEP_1)
	v_sub_nc_u32_e32 v3, v0, v2
	v_mul_lo_u32 v2, v3, s12
	v_mul_lo_u32 v6, v3, s14
	;; [unrolled: 1-line block ×3, first 2 shown]
	s_cbranch_vccnz .LBB79_407
; %bb.406:
	v_mov_b32_e32 v9, v1
	s_delay_alu instid0(VALU_DEP_1) | instskip(NEXT) | instid1(VALU_DEP_1)
	v_mul_u64_e32 v[10:11], s[22:23], v[8:9]
	v_add_nc_u32_e32 v1, v8, v11
	s_delay_alu instid0(VALU_DEP_1) | instskip(NEXT) | instid1(VALU_DEP_1)
	v_lshrrev_b32_e32 v1, s1, v1
	v_mul_lo_u32 v1, v1, s11
	s_delay_alu instid0(VALU_DEP_1) | instskip(NEXT) | instid1(VALU_DEP_1)
	v_sub_nc_u32_e32 v1, v8, v1
	v_mad_u32 v2, v1, s15, v2
	v_mad_u32 v4, v1, s20, v4
	;; [unrolled: 1-line block ×3, first 2 shown]
.LBB79_407:
	s_wait_loadcnt 0x0
	v_mov_b32_e32 v5, 0
	s_and_b32 s0, s33, 0xff
	s_delay_alu instid0(SALU_CYCLE_1) | instskip(NEXT) | instid1(VALU_DEP_1)
	s_cmp_lt_i32 s0, 11
	v_add_nc_u64_e32 v[8:9], s[6:7], v[4:5]
	s_cbranch_scc1 .LBB79_414
; %bb.408:
	s_and_b32 s25, 0xffff, s0
	s_delay_alu instid0(SALU_CYCLE_1)
	s_cmp_gt_i32 s25, 25
	s_cbranch_scc0 .LBB79_423
; %bb.409:
	s_cmp_gt_i32 s25, 28
	s_cbranch_scc0 .LBB79_425
; %bb.410:
	;; [unrolled: 3-line block ×4, first 2 shown]
	s_cmp_eq_u32 s25, 46
	s_mov_b32 s43, 0
	s_cbranch_scc0 .LBB79_433
; %bb.413:
	global_load_b32 v1, v[8:9], off
	s_mov_b32 s42, -1
	s_mov_b32 s24, 0
	s_wait_loadcnt 0x0
	v_lshlrev_b32_e32 v1, 16, v1
	s_delay_alu instid0(VALU_DEP_1)
	v_cvt_i32_f32_e32 v4, v1
	s_branch .LBB79_435
.LBB79_414:
	s_mov_b32 s42, 0
	s_mov_b32 s24, s40
                                        ; implicit-def: $vgpr4
	s_cbranch_execnz .LBB79_497
.LBB79_415:
	s_and_not1_b32 vcc_lo, exec_lo, s42
	s_cbranch_vccnz .LBB79_545
.LBB79_416:
	v_mov_b32_e32 v7, 0
	s_and_b32 s0, s9, 0xff
	s_delay_alu instid0(SALU_CYCLE_1) | instskip(NEXT) | instid1(VALU_DEP_1)
	s_cmp_lt_i32 s0, 11
	v_add_nc_u64_e32 v[6:7], s[16:17], v[6:7]
	s_cbranch_scc1 .LBB79_424
; %bb.417:
	s_and_b32 s42, 0xffff, s0
	s_delay_alu instid0(SALU_CYCLE_1)
	s_cmp_gt_i32 s42, 25
	s_cbranch_scc0 .LBB79_426
; %bb.418:
	s_cmp_gt_i32 s42, 28
	s_cbranch_scc0 .LBB79_428
; %bb.419:
	;; [unrolled: 3-line block ×4, first 2 shown]
	s_cmp_eq_u32 s42, 46
	s_mov_b32 s44, 0
	s_cbranch_scc0 .LBB79_548
; %bb.422:
	global_load_b32 v1, v[6:7], off
	s_mov_b32 s43, -1
	s_mov_b32 s25, 0
	s_wait_loadcnt 0x0
	v_lshlrev_b32_e32 v1, 16, v1
	s_wait_xcnt 0x1
	s_delay_alu instid0(VALU_DEP_1)
	v_cvt_i32_f32_e32 v8, v1
	s_branch .LBB79_550
.LBB79_423:
	s_mov_b32 s43, -1
	s_mov_b32 s42, 0
	s_mov_b32 s24, s40
                                        ; implicit-def: $vgpr4
	s_branch .LBB79_463
.LBB79_424:
	s_mov_b32 s42, -1
	s_mov_b32 s43, 0
	s_mov_b32 s25, s39
                                        ; implicit-def: $vgpr8
	s_branch .LBB79_611
.LBB79_425:
	s_mov_b32 s43, -1
	s_mov_b32 s42, 0
	s_mov_b32 s24, s40
                                        ; implicit-def: $vgpr4
	s_branch .LBB79_446
.LBB79_426:
	s_mov_b32 s44, -1
	s_mov_b32 s43, 0
	s_mov_b32 s25, s39
                                        ; implicit-def: $vgpr8
	s_branch .LBB79_577
.LBB79_427:
	s_mov_b32 s43, -1
	s_mov_b32 s42, 0
	s_mov_b32 s24, s40
                                        ; implicit-def: $vgpr4
	s_branch .LBB79_441
.LBB79_428:
	s_mov_b32 s44, -1
	s_mov_b32 s43, 0
	s_mov_b32 s25, s39
                                        ; implicit-def: $vgpr8
	s_branch .LBB79_560
.LBB79_429:
	s_mov_b32 s43, -1
	s_mov_b32 s42, 0
	s_mov_b32 s24, s40
	s_branch .LBB79_434
.LBB79_430:
	s_mov_b32 s44, -1
	s_mov_b32 s43, 0
	s_mov_b32 s25, s39
                                        ; implicit-def: $vgpr8
	s_branch .LBB79_555
.LBB79_431:
	s_and_not1_saveexec_b32 s43, s43
	s_cbranch_execz .LBB79_193
.LBB79_432:
	v_add_f32_e64 v5, 0x46000000, |v4|
	s_and_not1_b32 s42, s42, exec_lo
	s_delay_alu instid0(VALU_DEP_1) | instskip(NEXT) | instid1(VALU_DEP_1)
	v_and_b32_e32 v5, 0xff, v5
	v_cmp_ne_u32_e32 vcc_lo, 0, v5
	s_and_b32 s44, vcc_lo, exec_lo
	s_delay_alu instid0(SALU_CYCLE_1)
	s_or_b32 s42, s42, s44
	s_or_b32 exec_lo, exec_lo, s43
	v_mov_b32_e32 v6, 0
	s_and_saveexec_b32 s43, s42
	s_cbranch_execnz .LBB79_194
	s_branch .LBB79_195
.LBB79_433:
	s_mov_b32 s24, -1
	s_mov_b32 s42, 0
.LBB79_434:
                                        ; implicit-def: $vgpr4
.LBB79_435:
	s_and_b32 vcc_lo, exec_lo, s43
	s_cbranch_vccz .LBB79_440
; %bb.436:
	s_cmp_eq_u32 s25, 44
	s_cbranch_scc0 .LBB79_439
; %bb.437:
	global_load_u8 v1, v[8:9], off
	s_mov_b32 s24, 0
	s_mov_b32 s42, -1
	s_wait_loadcnt 0x0
	v_lshlrev_b32_e32 v3, 23, v1
	v_cmp_ne_u32_e32 vcc_lo, 0, v1
	s_delay_alu instid0(VALU_DEP_2) | instskip(NEXT) | instid1(VALU_DEP_1)
	v_cvt_i32_f32_e32 v3, v3
	v_cndmask_b32_e32 v4, 0, v3, vcc_lo
	s_branch .LBB79_440
.LBB79_438:
	s_mov_b32 s44, -1
	s_mov_b32 s43, 0
	s_mov_b32 s25, s39
	s_branch .LBB79_549
.LBB79_439:
	s_mov_b32 s24, -1
                                        ; implicit-def: $vgpr4
.LBB79_440:
	s_mov_b32 s43, 0
.LBB79_441:
	s_delay_alu instid0(SALU_CYCLE_1)
	s_and_b32 vcc_lo, exec_lo, s43
	s_cbranch_vccz .LBB79_445
; %bb.442:
	s_cmp_eq_u32 s25, 29
	s_cbranch_scc0 .LBB79_444
; %bb.443:
	global_load_b64 v[4:5], v[8:9], off
	s_mov_b32 s42, -1
	s_mov_b32 s24, 0
	s_branch .LBB79_445
.LBB79_444:
	s_mov_b32 s24, -1
                                        ; implicit-def: $vgpr4
.LBB79_445:
	s_mov_b32 s43, 0
.LBB79_446:
	s_delay_alu instid0(SALU_CYCLE_1)
	s_and_b32 vcc_lo, exec_lo, s43
	s_cbranch_vccz .LBB79_462
; %bb.447:
	s_cmp_lt_i32 s25, 27
	s_cbranch_scc1 .LBB79_450
; %bb.448:
	s_cmp_gt_i32 s25, 27
	s_cbranch_scc0 .LBB79_451
; %bb.449:
	s_wait_loadcnt 0x0
	global_load_b32 v4, v[8:9], off
	s_mov_b32 s42, 0
	s_branch .LBB79_452
.LBB79_450:
	s_mov_b32 s42, -1
                                        ; implicit-def: $vgpr4
	s_branch .LBB79_455
.LBB79_451:
	s_mov_b32 s42, -1
                                        ; implicit-def: $vgpr4
.LBB79_452:
	s_delay_alu instid0(SALU_CYCLE_1)
	s_and_not1_b32 vcc_lo, exec_lo, s42
	s_cbranch_vccnz .LBB79_454
; %bb.453:
	s_wait_loadcnt 0x0
	global_load_u16 v4, v[8:9], off
.LBB79_454:
	s_mov_b32 s42, 0
.LBB79_455:
	s_delay_alu instid0(SALU_CYCLE_1)
	s_and_not1_b32 vcc_lo, exec_lo, s42
	s_cbranch_vccnz .LBB79_461
; %bb.456:
	global_load_u8 v1, v[8:9], off
	s_mov_b32 s43, 0
	s_mov_b32 s42, exec_lo
	s_wait_loadcnt 0x0
	v_cmpx_lt_i16_e32 0x7f, v1
	s_xor_b32 s42, exec_lo, s42
	s_cbranch_execz .LBB79_473
; %bb.457:
	v_cmp_ne_u16_e32 vcc_lo, 0x80, v1
	s_and_b32 s43, vcc_lo, exec_lo
	s_and_not1_saveexec_b32 s42, s42
	s_cbranch_execnz .LBB79_474
.LBB79_458:
	s_or_b32 exec_lo, exec_lo, s42
	v_mov_b32_e32 v4, 0
	s_and_saveexec_b32 s42, s43
	s_cbranch_execz .LBB79_460
.LBB79_459:
	v_and_b32_e32 v3, 0xffff, v1
	s_delay_alu instid0(VALU_DEP_1) | instskip(SKIP_1) | instid1(VALU_DEP_2)
	v_and_b32_e32 v4, 7, v3
	v_bfe_u32 v10, v3, 3, 4
	v_clz_i32_u32_e32 v5, v4
	s_delay_alu instid0(VALU_DEP_2) | instskip(NEXT) | instid1(VALU_DEP_2)
	v_cmp_eq_u32_e32 vcc_lo, 0, v10
	v_min_u32_e32 v5, 32, v5
	s_delay_alu instid0(VALU_DEP_1) | instskip(NEXT) | instid1(VALU_DEP_1)
	v_subrev_nc_u32_e32 v7, 28, v5
	v_dual_lshlrev_b32 v3, v7, v3 :: v_dual_sub_nc_u32 v5, 29, v5
	s_delay_alu instid0(VALU_DEP_1) | instskip(NEXT) | instid1(VALU_DEP_1)
	v_dual_lshlrev_b32 v1, 24, v1 :: v_dual_bitop2_b32 v3, 7, v3 bitop3:0x40
	v_dual_cndmask_b32 v3, v4, v3, vcc_lo :: v_dual_cndmask_b32 v5, v10, v5, vcc_lo
	s_delay_alu instid0(VALU_DEP_2) | instskip(NEXT) | instid1(VALU_DEP_2)
	v_and_b32_e32 v1, 0x80000000, v1
	v_lshlrev_b32_e32 v3, 20, v3
	s_delay_alu instid0(VALU_DEP_3) | instskip(NEXT) | instid1(VALU_DEP_1)
	v_lshl_add_u32 v4, v5, 23, 0x3b800000
	v_or3_b32 v1, v1, v4, v3
	s_delay_alu instid0(VALU_DEP_1)
	v_cvt_i32_f32_e32 v4, v1
.LBB79_460:
	s_or_b32 exec_lo, exec_lo, s42
.LBB79_461:
	s_mov_b32 s42, -1
.LBB79_462:
	s_mov_b32 s43, 0
.LBB79_463:
	s_delay_alu instid0(SALU_CYCLE_1)
	s_and_b32 vcc_lo, exec_lo, s43
	s_cbranch_vccz .LBB79_496
; %bb.464:
	s_cmp_gt_i32 s25, 22
	s_cbranch_scc0 .LBB79_472
; %bb.465:
	s_cmp_lt_i32 s25, 24
	s_cbranch_scc1 .LBB79_475
; %bb.466:
	s_cmp_gt_i32 s25, 24
	s_cbranch_scc0 .LBB79_476
; %bb.467:
	global_load_u8 v1, v[8:9], off
	s_mov_b32 s43, 0
	s_mov_b32 s42, exec_lo
	s_wait_loadcnt 0x0
	v_cmpx_lt_i16_e32 0x7f, v1
	s_xor_b32 s42, exec_lo, s42
	s_cbranch_execz .LBB79_488
; %bb.468:
	v_cmp_ne_u16_e32 vcc_lo, 0x80, v1
	s_and_b32 s43, vcc_lo, exec_lo
	s_and_not1_saveexec_b32 s42, s42
	s_cbranch_execnz .LBB79_489
.LBB79_469:
	s_or_b32 exec_lo, exec_lo, s42
	v_mov_b32_e32 v4, 0
	s_and_saveexec_b32 s42, s43
	s_cbranch_execz .LBB79_471
.LBB79_470:
	v_and_b32_e32 v3, 0xffff, v1
	s_delay_alu instid0(VALU_DEP_1) | instskip(SKIP_1) | instid1(VALU_DEP_2)
	v_and_b32_e32 v4, 3, v3
	v_bfe_u32 v10, v3, 2, 5
	v_clz_i32_u32_e32 v5, v4
	s_delay_alu instid0(VALU_DEP_2) | instskip(NEXT) | instid1(VALU_DEP_2)
	v_cmp_eq_u32_e32 vcc_lo, 0, v10
	v_min_u32_e32 v5, 32, v5
	s_delay_alu instid0(VALU_DEP_1) | instskip(NEXT) | instid1(VALU_DEP_1)
	v_subrev_nc_u32_e32 v7, 29, v5
	v_dual_lshlrev_b32 v3, v7, v3 :: v_dual_sub_nc_u32 v5, 30, v5
	s_delay_alu instid0(VALU_DEP_1) | instskip(NEXT) | instid1(VALU_DEP_1)
	v_dual_lshlrev_b32 v1, 24, v1 :: v_dual_bitop2_b32 v3, 3, v3 bitop3:0x40
	v_dual_cndmask_b32 v3, v4, v3, vcc_lo :: v_dual_cndmask_b32 v5, v10, v5, vcc_lo
	s_delay_alu instid0(VALU_DEP_2) | instskip(NEXT) | instid1(VALU_DEP_2)
	v_and_b32_e32 v1, 0x80000000, v1
	v_lshlrev_b32_e32 v3, 21, v3
	s_delay_alu instid0(VALU_DEP_3) | instskip(NEXT) | instid1(VALU_DEP_1)
	v_lshl_add_u32 v4, v5, 23, 0x37800000
	v_or3_b32 v1, v1, v4, v3
	s_delay_alu instid0(VALU_DEP_1)
	v_cvt_i32_f32_e32 v4, v1
.LBB79_471:
	s_or_b32 exec_lo, exec_lo, s42
	s_mov_b32 s42, 0
	s_branch .LBB79_477
.LBB79_472:
	s_mov_b32 s43, -1
                                        ; implicit-def: $vgpr4
	s_branch .LBB79_483
.LBB79_473:
	s_and_not1_saveexec_b32 s42, s42
	s_cbranch_execz .LBB79_458
.LBB79_474:
	v_cmp_ne_u16_e32 vcc_lo, 0, v1
	s_and_not1_b32 s43, s43, exec_lo
	s_and_b32 s44, vcc_lo, exec_lo
	s_delay_alu instid0(SALU_CYCLE_1)
	s_or_b32 s43, s43, s44
	s_or_b32 exec_lo, exec_lo, s42
	v_mov_b32_e32 v4, 0
	s_and_saveexec_b32 s42, s43
	s_cbranch_execnz .LBB79_459
	s_branch .LBB79_460
.LBB79_475:
	s_mov_b32 s42, -1
                                        ; implicit-def: $vgpr4
	s_branch .LBB79_480
.LBB79_476:
	s_mov_b32 s42, -1
                                        ; implicit-def: $vgpr4
.LBB79_477:
	s_delay_alu instid0(SALU_CYCLE_1)
	s_and_b32 vcc_lo, exec_lo, s42
	s_cbranch_vccz .LBB79_479
; %bb.478:
	global_load_u8 v1, v[8:9], off
	s_wait_loadcnt 0x0
	v_lshlrev_b32_e32 v1, 24, v1
	s_delay_alu instid0(VALU_DEP_1) | instskip(NEXT) | instid1(VALU_DEP_1)
	v_and_b32_e32 v3, 0x7f000000, v1
	v_clz_i32_u32_e32 v4, v3
	v_add_nc_u32_e32 v7, 0x1000000, v3
	v_cmp_ne_u32_e32 vcc_lo, 0, v3
	s_delay_alu instid0(VALU_DEP_3) | instskip(NEXT) | instid1(VALU_DEP_1)
	v_min_u32_e32 v4, 32, v4
	v_sub_nc_u32_e64 v4, v4, 4 clamp
	s_delay_alu instid0(VALU_DEP_1) | instskip(NEXT) | instid1(VALU_DEP_1)
	v_dual_lshlrev_b32 v5, v4, v3 :: v_dual_lshlrev_b32 v4, 23, v4
	v_lshrrev_b32_e32 v5, 4, v5
	s_delay_alu instid0(VALU_DEP_1) | instskip(NEXT) | instid1(VALU_DEP_1)
	v_dual_sub_nc_u32 v4, v5, v4 :: v_dual_ashrrev_i32 v5, 8, v7
	v_add_nc_u32_e32 v4, 0x3c000000, v4
	s_delay_alu instid0(VALU_DEP_1) | instskip(NEXT) | instid1(VALU_DEP_1)
	v_and_or_b32 v4, 0x7f800000, v5, v4
	v_cndmask_b32_e32 v3, 0, v4, vcc_lo
	s_delay_alu instid0(VALU_DEP_1) | instskip(NEXT) | instid1(VALU_DEP_1)
	v_and_or_b32 v1, 0x80000000, v1, v3
	v_cvt_i32_f32_e32 v4, v1
.LBB79_479:
	s_mov_b32 s42, 0
.LBB79_480:
	s_delay_alu instid0(SALU_CYCLE_1)
	s_and_not1_b32 vcc_lo, exec_lo, s42
	s_cbranch_vccnz .LBB79_482
; %bb.481:
	global_load_u8 v1, v[8:9], off
	s_wait_loadcnt 0x0
	v_lshlrev_b32_e32 v3, 25, v1
	v_lshlrev_b16 v1, 8, v1
	s_delay_alu instid0(VALU_DEP_1) | instskip(NEXT) | instid1(VALU_DEP_3)
	v_and_or_b32 v5, 0x7f00, v1, 0.5
	v_lshrrev_b32_e32 v4, 4, v3
	v_bfe_i32 v1, v1, 0, 16
	s_delay_alu instid0(VALU_DEP_3) | instskip(NEXT) | instid1(VALU_DEP_3)
	v_add_f32_e32 v5, -0.5, v5
	v_or_b32_e32 v4, 0x70000000, v4
	s_delay_alu instid0(VALU_DEP_1) | instskip(SKIP_1) | instid1(VALU_DEP_2)
	v_mul_f32_e32 v4, 0x7800000, v4
	v_cmp_gt_u32_e32 vcc_lo, 0x8000000, v3
	v_cndmask_b32_e32 v3, v4, v5, vcc_lo
	s_delay_alu instid0(VALU_DEP_1) | instskip(NEXT) | instid1(VALU_DEP_1)
	v_and_or_b32 v1, 0x80000000, v1, v3
	v_cvt_i32_f32_e32 v4, v1
.LBB79_482:
	s_mov_b32 s43, 0
	s_mov_b32 s42, -1
.LBB79_483:
	s_and_not1_b32 vcc_lo, exec_lo, s43
	s_cbranch_vccnz .LBB79_496
; %bb.484:
	s_cmp_gt_i32 s25, 14
	s_cbranch_scc0 .LBB79_487
; %bb.485:
	s_cmp_eq_u32 s25, 15
	s_cbranch_scc0 .LBB79_490
; %bb.486:
	global_load_u16 v1, v[8:9], off
	s_mov_b32 s42, -1
	s_mov_b32 s24, 0
	s_wait_loadcnt 0x0
	v_lshlrev_b32_e32 v1, 16, v1
	s_delay_alu instid0(VALU_DEP_1)
	v_cvt_i32_f32_e32 v4, v1
	s_branch .LBB79_491
.LBB79_487:
	s_mov_b32 s43, -1
                                        ; implicit-def: $vgpr4
	s_branch .LBB79_492
.LBB79_488:
	s_and_not1_saveexec_b32 s42, s42
	s_cbranch_execz .LBB79_469
.LBB79_489:
	v_cmp_ne_u16_e32 vcc_lo, 0, v1
	s_and_not1_b32 s43, s43, exec_lo
	s_and_b32 s44, vcc_lo, exec_lo
	s_delay_alu instid0(SALU_CYCLE_1)
	s_or_b32 s43, s43, s44
	s_or_b32 exec_lo, exec_lo, s42
	v_mov_b32_e32 v4, 0
	s_and_saveexec_b32 s42, s43
	s_cbranch_execnz .LBB79_470
	s_branch .LBB79_471
.LBB79_490:
	s_mov_b32 s24, -1
                                        ; implicit-def: $vgpr4
.LBB79_491:
	s_mov_b32 s43, 0
.LBB79_492:
	s_delay_alu instid0(SALU_CYCLE_1)
	s_and_b32 vcc_lo, exec_lo, s43
	s_cbranch_vccz .LBB79_496
; %bb.493:
	s_cmp_eq_u32 s25, 11
	s_cbranch_scc0 .LBB79_495
; %bb.494:
	global_load_u8 v1, v[8:9], off
	s_mov_b32 s24, 0
	s_mov_b32 s42, -1
	s_wait_loadcnt 0x0
	v_cmp_ne_u16_e32 vcc_lo, 0, v1
	v_cndmask_b32_e64 v4, 0, 1, vcc_lo
	s_branch .LBB79_496
.LBB79_495:
	s_mov_b32 s24, -1
                                        ; implicit-def: $vgpr4
.LBB79_496:
	s_branch .LBB79_415
.LBB79_497:
	s_and_b32 s0, 0xffff, s0
	s_delay_alu instid0(SALU_CYCLE_1)
	s_cmp_lt_i32 s0, 5
	s_cbranch_scc1 .LBB79_502
; %bb.498:
	s_cmp_lt_i32 s0, 8
	s_cbranch_scc1 .LBB79_503
; %bb.499:
	;; [unrolled: 3-line block ×3, first 2 shown]
	s_cmp_gt_i32 s0, 9
	s_cbranch_scc0 .LBB79_505
; %bb.501:
	s_wait_loadcnt 0x0
	global_load_b64 v[4:5], v[8:9], off
	s_mov_b32 s25, 0
	s_wait_loadcnt 0x0
	v_cvt_i32_f64_e32 v4, v[4:5]
	s_branch .LBB79_506
.LBB79_502:
	s_mov_b32 s25, -1
                                        ; implicit-def: $vgpr4
	s_branch .LBB79_524
.LBB79_503:
	s_mov_b32 s25, -1
                                        ; implicit-def: $vgpr4
	s_branch .LBB79_512
.LBB79_504:
	s_mov_b32 s25, -1
                                        ; implicit-def: $vgpr4
	s_branch .LBB79_509
.LBB79_505:
	s_mov_b32 s25, -1
                                        ; implicit-def: $vgpr4
.LBB79_506:
	s_delay_alu instid0(SALU_CYCLE_1)
	s_and_not1_b32 vcc_lo, exec_lo, s25
	s_cbranch_vccnz .LBB79_508
; %bb.507:
	global_load_b32 v1, v[8:9], off
	s_wait_loadcnt 0x0
	v_cvt_i32_f32_e32 v4, v1
.LBB79_508:
	s_mov_b32 s25, 0
.LBB79_509:
	s_delay_alu instid0(SALU_CYCLE_1)
	s_and_not1_b32 vcc_lo, exec_lo, s25
	s_cbranch_vccnz .LBB79_511
; %bb.510:
	global_load_b32 v1, v[8:9], off
	s_wait_loadcnt 0x0
	v_cvt_i16_f16_e32 v4, v1
.LBB79_511:
	s_mov_b32 s25, 0
.LBB79_512:
	s_delay_alu instid0(SALU_CYCLE_1)
	s_and_not1_b32 vcc_lo, exec_lo, s25
	s_cbranch_vccnz .LBB79_523
; %bb.513:
	s_cmp_lt_i32 s0, 6
	s_cbranch_scc1 .LBB79_516
; %bb.514:
	s_cmp_gt_i32 s0, 6
	s_cbranch_scc0 .LBB79_517
; %bb.515:
	s_wait_loadcnt 0x0
	global_load_b64 v[4:5], v[8:9], off
	s_mov_b32 s25, 0
	s_wait_loadcnt 0x0
	v_cvt_i32_f64_e32 v4, v[4:5]
	s_branch .LBB79_518
.LBB79_516:
	s_mov_b32 s25, -1
                                        ; implicit-def: $vgpr4
	s_branch .LBB79_521
.LBB79_517:
	s_mov_b32 s25, -1
                                        ; implicit-def: $vgpr4
.LBB79_518:
	s_delay_alu instid0(SALU_CYCLE_1)
	s_and_not1_b32 vcc_lo, exec_lo, s25
	s_cbranch_vccnz .LBB79_520
; %bb.519:
	global_load_b32 v1, v[8:9], off
	s_wait_loadcnt 0x0
	v_cvt_i32_f32_e32 v4, v1
.LBB79_520:
	s_mov_b32 s25, 0
.LBB79_521:
	s_delay_alu instid0(SALU_CYCLE_1)
	s_and_not1_b32 vcc_lo, exec_lo, s25
	s_cbranch_vccnz .LBB79_523
; %bb.522:
	global_load_u16 v1, v[8:9], off
	s_wait_loadcnt 0x0
	v_cvt_i16_f16_e32 v4, v1
.LBB79_523:
	s_mov_b32 s25, 0
.LBB79_524:
	s_delay_alu instid0(SALU_CYCLE_1)
	s_and_not1_b32 vcc_lo, exec_lo, s25
	s_cbranch_vccnz .LBB79_544
; %bb.525:
	s_cmp_lt_i32 s0, 2
	s_cbranch_scc1 .LBB79_529
; %bb.526:
	s_cmp_lt_i32 s0, 3
	s_cbranch_scc1 .LBB79_530
; %bb.527:
	s_cmp_gt_i32 s0, 3
	s_cbranch_scc0 .LBB79_531
; %bb.528:
	s_wait_loadcnt 0x0
	global_load_b64 v[4:5], v[8:9], off
	s_mov_b32 s25, 0
	s_branch .LBB79_532
.LBB79_529:
	s_mov_b32 s25, -1
                                        ; implicit-def: $vgpr4
	s_branch .LBB79_538
.LBB79_530:
	s_mov_b32 s25, -1
                                        ; implicit-def: $vgpr4
	s_branch .LBB79_535
.LBB79_531:
	s_mov_b32 s25, -1
                                        ; implicit-def: $vgpr4
.LBB79_532:
	s_delay_alu instid0(SALU_CYCLE_1)
	s_and_not1_b32 vcc_lo, exec_lo, s25
	s_cbranch_vccnz .LBB79_534
; %bb.533:
	s_wait_loadcnt 0x0
	global_load_b32 v4, v[8:9], off
.LBB79_534:
	s_mov_b32 s25, 0
.LBB79_535:
	s_delay_alu instid0(SALU_CYCLE_1)
	s_and_not1_b32 vcc_lo, exec_lo, s25
	s_cbranch_vccnz .LBB79_537
; %bb.536:
	s_wait_loadcnt 0x0
	global_load_u16 v4, v[8:9], off
.LBB79_537:
	s_mov_b32 s25, 0
.LBB79_538:
	s_delay_alu instid0(SALU_CYCLE_1)
	s_and_not1_b32 vcc_lo, exec_lo, s25
	s_cbranch_vccnz .LBB79_544
; %bb.539:
	s_cmp_gt_i32 s0, 0
	s_mov_b32 s0, 0
	s_cbranch_scc0 .LBB79_541
; %bb.540:
	s_wait_loadcnt 0x0
	global_load_i8 v4, v[8:9], off
	s_branch .LBB79_542
.LBB79_541:
	s_mov_b32 s0, -1
                                        ; implicit-def: $vgpr4
.LBB79_542:
	s_delay_alu instid0(SALU_CYCLE_1)
	s_and_not1_b32 vcc_lo, exec_lo, s0
	s_cbranch_vccnz .LBB79_544
; %bb.543:
	s_wait_loadcnt 0x0
	global_load_u8 v4, v[8:9], off
.LBB79_544:
	s_branch .LBB79_416
.LBB79_545:
	s_mov_b32 s46, 0
	s_mov_b32 s0, s38
	;; [unrolled: 1-line block ×3, first 2 shown]
	s_branch .LBB79_791
.LBB79_546:
	s_and_not1_saveexec_b32 s43, s43
	s_cbranch_execz .LBB79_206
.LBB79_547:
	v_add_f32_e64 v5, 0x42800000, |v4|
	s_and_not1_b32 s42, s42, exec_lo
	s_delay_alu instid0(VALU_DEP_1) | instskip(NEXT) | instid1(VALU_DEP_1)
	v_and_b32_e32 v5, 0xff, v5
	v_cmp_ne_u32_e32 vcc_lo, 0, v5
	s_and_b32 s44, vcc_lo, exec_lo
	s_delay_alu instid0(SALU_CYCLE_1)
	s_or_b32 s42, s42, s44
	s_or_b32 exec_lo, exec_lo, s43
	v_mov_b32_e32 v6, 0
	s_and_saveexec_b32 s43, s42
	s_cbranch_execnz .LBB79_207
	s_branch .LBB79_208
.LBB79_548:
	s_mov_b32 s25, -1
	s_mov_b32 s43, 0
.LBB79_549:
                                        ; implicit-def: $vgpr8
.LBB79_550:
	s_and_b32 vcc_lo, exec_lo, s44
	s_cbranch_vccz .LBB79_554
; %bb.551:
	s_cmp_eq_u32 s42, 44
	s_cbranch_scc0 .LBB79_553
; %bb.552:
	global_load_u8 v1, v[6:7], off
	s_mov_b32 s25, 0
	s_mov_b32 s43, -1
	s_wait_loadcnt 0x0
	v_lshlrev_b32_e32 v3, 23, v1
	v_cmp_ne_u32_e32 vcc_lo, 0, v1
	s_delay_alu instid0(VALU_DEP_2) | instskip(SKIP_1) | instid1(VALU_DEP_1)
	v_cvt_i32_f32_e32 v3, v3
	s_wait_xcnt 0x1
	v_cndmask_b32_e32 v8, 0, v3, vcc_lo
	s_branch .LBB79_554
.LBB79_553:
	s_mov_b32 s25, -1
                                        ; implicit-def: $vgpr8
.LBB79_554:
	s_mov_b32 s44, 0
.LBB79_555:
	s_delay_alu instid0(SALU_CYCLE_1)
	s_and_b32 vcc_lo, exec_lo, s44
	s_cbranch_vccz .LBB79_559
; %bb.556:
	s_cmp_eq_u32 s42, 29
	s_cbranch_scc0 .LBB79_558
; %bb.557:
	global_load_b64 v[8:9], v[6:7], off
	s_mov_b32 s43, -1
	s_mov_b32 s25, 0
	s_branch .LBB79_559
.LBB79_558:
	s_mov_b32 s25, -1
                                        ; implicit-def: $vgpr8
.LBB79_559:
	s_mov_b32 s44, 0
.LBB79_560:
	s_delay_alu instid0(SALU_CYCLE_1)
	s_and_b32 vcc_lo, exec_lo, s44
	s_cbranch_vccz .LBB79_576
; %bb.561:
	s_cmp_lt_i32 s42, 27
	s_cbranch_scc1 .LBB79_564
; %bb.562:
	s_cmp_gt_i32 s42, 27
	s_cbranch_scc0 .LBB79_565
; %bb.563:
	s_wait_loadcnt 0x0
	global_load_b32 v8, v[6:7], off
	s_mov_b32 s43, 0
	s_branch .LBB79_566
.LBB79_564:
	s_mov_b32 s43, -1
                                        ; implicit-def: $vgpr8
	s_branch .LBB79_569
.LBB79_565:
	s_mov_b32 s43, -1
                                        ; implicit-def: $vgpr8
.LBB79_566:
	s_delay_alu instid0(SALU_CYCLE_1)
	s_and_not1_b32 vcc_lo, exec_lo, s43
	s_cbranch_vccnz .LBB79_568
; %bb.567:
	s_wait_loadcnt 0x0
	global_load_u16 v8, v[6:7], off
.LBB79_568:
	s_mov_b32 s43, 0
.LBB79_569:
	s_delay_alu instid0(SALU_CYCLE_1)
	s_and_not1_b32 vcc_lo, exec_lo, s43
	s_cbranch_vccnz .LBB79_575
; %bb.570:
	global_load_u8 v1, v[6:7], off
	s_mov_b32 s44, 0
	s_mov_b32 s43, exec_lo
	s_wait_loadcnt 0x0
	v_cmpx_lt_i16_e32 0x7f, v1
	s_xor_b32 s43, exec_lo, s43
	s_cbranch_execz .LBB79_587
; %bb.571:
	v_cmp_ne_u16_e32 vcc_lo, 0x80, v1
	s_and_b32 s44, vcc_lo, exec_lo
	s_and_not1_saveexec_b32 s43, s43
	s_cbranch_execnz .LBB79_588
.LBB79_572:
	s_or_b32 exec_lo, exec_lo, s43
	v_mov_b32_e32 v8, 0
	s_and_saveexec_b32 s43, s44
	s_cbranch_execz .LBB79_574
.LBB79_573:
	v_and_b32_e32 v3, 0xffff, v1
	s_delay_alu instid0(VALU_DEP_1) | instskip(SKIP_1) | instid1(VALU_DEP_2)
	v_and_b32_e32 v5, 7, v3
	v_bfe_u32 v10, v3, 3, 4
	v_clz_i32_u32_e32 v8, v5
	s_delay_alu instid0(VALU_DEP_2) | instskip(NEXT) | instid1(VALU_DEP_2)
	v_cmp_eq_u32_e32 vcc_lo, 0, v10
	v_min_u32_e32 v8, 32, v8
	s_delay_alu instid0(VALU_DEP_1) | instskip(NEXT) | instid1(VALU_DEP_1)
	v_subrev_nc_u32_e32 v9, 28, v8
	v_dual_lshlrev_b32 v3, v9, v3 :: v_dual_sub_nc_u32 v8, 29, v8
	s_delay_alu instid0(VALU_DEP_1) | instskip(NEXT) | instid1(VALU_DEP_1)
	v_dual_lshlrev_b32 v1, 24, v1 :: v_dual_bitop2_b32 v3, 7, v3 bitop3:0x40
	v_dual_cndmask_b32 v8, v10, v8 :: v_dual_cndmask_b32 v3, v5, v3
	s_delay_alu instid0(VALU_DEP_2) | instskip(NEXT) | instid1(VALU_DEP_2)
	v_and_b32_e32 v1, 0x80000000, v1
	v_lshl_add_u32 v5, v8, 23, 0x3b800000
	s_delay_alu instid0(VALU_DEP_3) | instskip(NEXT) | instid1(VALU_DEP_1)
	v_lshlrev_b32_e32 v3, 20, v3
	v_or3_b32 v1, v1, v5, v3
	s_delay_alu instid0(VALU_DEP_1)
	v_cvt_i32_f32_e32 v8, v1
.LBB79_574:
	s_or_b32 exec_lo, exec_lo, s43
.LBB79_575:
	s_mov_b32 s43, -1
.LBB79_576:
	s_mov_b32 s44, 0
.LBB79_577:
	s_delay_alu instid0(SALU_CYCLE_1)
	s_and_b32 vcc_lo, exec_lo, s44
	s_cbranch_vccz .LBB79_610
; %bb.578:
	s_cmp_gt_i32 s42, 22
	s_cbranch_scc0 .LBB79_586
; %bb.579:
	s_cmp_lt_i32 s42, 24
	s_cbranch_scc1 .LBB79_589
; %bb.580:
	s_cmp_gt_i32 s42, 24
	s_cbranch_scc0 .LBB79_590
; %bb.581:
	global_load_u8 v1, v[6:7], off
	s_mov_b32 s44, 0
	s_mov_b32 s43, exec_lo
	s_wait_loadcnt 0x0
	v_cmpx_lt_i16_e32 0x7f, v1
	s_xor_b32 s43, exec_lo, s43
	s_cbranch_execz .LBB79_602
; %bb.582:
	v_cmp_ne_u16_e32 vcc_lo, 0x80, v1
	s_and_b32 s44, vcc_lo, exec_lo
	s_and_not1_saveexec_b32 s43, s43
	s_cbranch_execnz .LBB79_603
.LBB79_583:
	s_or_b32 exec_lo, exec_lo, s43
	v_mov_b32_e32 v8, 0
	s_and_saveexec_b32 s43, s44
	s_cbranch_execz .LBB79_585
.LBB79_584:
	v_and_b32_e32 v3, 0xffff, v1
	s_delay_alu instid0(VALU_DEP_1) | instskip(SKIP_1) | instid1(VALU_DEP_2)
	v_and_b32_e32 v5, 3, v3
	v_bfe_u32 v10, v3, 2, 5
	v_clz_i32_u32_e32 v8, v5
	s_delay_alu instid0(VALU_DEP_2) | instskip(NEXT) | instid1(VALU_DEP_2)
	v_cmp_eq_u32_e32 vcc_lo, 0, v10
	v_min_u32_e32 v8, 32, v8
	s_delay_alu instid0(VALU_DEP_1) | instskip(NEXT) | instid1(VALU_DEP_1)
	v_subrev_nc_u32_e32 v9, 29, v8
	v_dual_lshlrev_b32 v3, v9, v3 :: v_dual_sub_nc_u32 v8, 30, v8
	s_delay_alu instid0(VALU_DEP_1) | instskip(NEXT) | instid1(VALU_DEP_1)
	v_dual_lshlrev_b32 v1, 24, v1 :: v_dual_bitop2_b32 v3, 3, v3 bitop3:0x40
	v_dual_cndmask_b32 v8, v10, v8 :: v_dual_cndmask_b32 v3, v5, v3
	s_delay_alu instid0(VALU_DEP_2) | instskip(NEXT) | instid1(VALU_DEP_2)
	v_and_b32_e32 v1, 0x80000000, v1
	v_lshl_add_u32 v5, v8, 23, 0x37800000
	s_delay_alu instid0(VALU_DEP_3) | instskip(NEXT) | instid1(VALU_DEP_1)
	v_lshlrev_b32_e32 v3, 21, v3
	v_or3_b32 v1, v1, v5, v3
	s_delay_alu instid0(VALU_DEP_1)
	v_cvt_i32_f32_e32 v8, v1
.LBB79_585:
	s_or_b32 exec_lo, exec_lo, s43
	s_mov_b32 s43, 0
	s_branch .LBB79_591
.LBB79_586:
	s_mov_b32 s44, -1
                                        ; implicit-def: $vgpr8
	s_branch .LBB79_597
.LBB79_587:
	s_and_not1_saveexec_b32 s43, s43
	s_cbranch_execz .LBB79_572
.LBB79_588:
	v_cmp_ne_u16_e32 vcc_lo, 0, v1
	s_and_not1_b32 s44, s44, exec_lo
	s_and_b32 s46, vcc_lo, exec_lo
	s_delay_alu instid0(SALU_CYCLE_1)
	s_or_b32 s44, s44, s46
	s_or_b32 exec_lo, exec_lo, s43
	v_mov_b32_e32 v8, 0
	s_and_saveexec_b32 s43, s44
	s_cbranch_execnz .LBB79_573
	s_branch .LBB79_574
.LBB79_589:
	s_mov_b32 s43, -1
                                        ; implicit-def: $vgpr8
	s_branch .LBB79_594
.LBB79_590:
	s_mov_b32 s43, -1
                                        ; implicit-def: $vgpr8
.LBB79_591:
	s_delay_alu instid0(SALU_CYCLE_1)
	s_and_b32 vcc_lo, exec_lo, s43
	s_cbranch_vccz .LBB79_593
; %bb.592:
	global_load_u8 v1, v[6:7], off
	s_wait_loadcnt 0x0
	v_lshlrev_b32_e32 v1, 24, v1
	s_delay_alu instid0(VALU_DEP_1) | instskip(NEXT) | instid1(VALU_DEP_1)
	v_and_b32_e32 v3, 0x7f000000, v1
	v_clz_i32_u32_e32 v5, v3
	s_wait_xcnt 0x1
	v_add_nc_u32_e32 v9, 0x1000000, v3
	v_cmp_ne_u32_e32 vcc_lo, 0, v3
	s_delay_alu instid0(VALU_DEP_3) | instskip(NEXT) | instid1(VALU_DEP_1)
	v_min_u32_e32 v5, 32, v5
	v_sub_nc_u32_e64 v5, v5, 4 clamp
	s_delay_alu instid0(VALU_DEP_1) | instskip(NEXT) | instid1(VALU_DEP_1)
	v_dual_lshlrev_b32 v8, v5, v3 :: v_dual_lshlrev_b32 v5, 23, v5
	v_lshrrev_b32_e32 v8, 4, v8
	s_delay_alu instid0(VALU_DEP_1) | instskip(SKIP_1) | instid1(VALU_DEP_2)
	v_sub_nc_u32_e32 v5, v8, v5
	v_ashrrev_i32_e32 v8, 8, v9
	v_add_nc_u32_e32 v5, 0x3c000000, v5
	s_delay_alu instid0(VALU_DEP_1) | instskip(NEXT) | instid1(VALU_DEP_1)
	v_and_or_b32 v5, 0x7f800000, v8, v5
	v_cndmask_b32_e32 v3, 0, v5, vcc_lo
	s_delay_alu instid0(VALU_DEP_1) | instskip(NEXT) | instid1(VALU_DEP_1)
	v_and_or_b32 v1, 0x80000000, v1, v3
	v_cvt_i32_f32_e32 v8, v1
.LBB79_593:
	s_mov_b32 s43, 0
.LBB79_594:
	s_delay_alu instid0(SALU_CYCLE_1)
	s_and_not1_b32 vcc_lo, exec_lo, s43
	s_cbranch_vccnz .LBB79_596
; %bb.595:
	global_load_u8 v1, v[6:7], off
	s_wait_loadcnt 0x0
	v_lshlrev_b32_e32 v3, 25, v1
	v_lshlrev_b16 v1, 8, v1
	s_wait_xcnt 0x1
	s_delay_alu instid0(VALU_DEP_1) | instskip(SKIP_1) | instid1(VALU_DEP_2)
	v_and_or_b32 v8, 0x7f00, v1, 0.5
	v_bfe_i32 v1, v1, 0, 16
	v_dual_add_f32 v8, -0.5, v8 :: v_dual_lshrrev_b32 v5, 4, v3
	v_cmp_gt_u32_e32 vcc_lo, 0x8000000, v3
	s_delay_alu instid0(VALU_DEP_2) | instskip(NEXT) | instid1(VALU_DEP_1)
	v_or_b32_e32 v5, 0x70000000, v5
	v_mul_f32_e32 v5, 0x7800000, v5
	s_delay_alu instid0(VALU_DEP_1) | instskip(NEXT) | instid1(VALU_DEP_1)
	v_cndmask_b32_e32 v3, v5, v8, vcc_lo
	v_and_or_b32 v1, 0x80000000, v1, v3
	s_delay_alu instid0(VALU_DEP_1)
	v_cvt_i32_f32_e32 v8, v1
.LBB79_596:
	s_mov_b32 s44, 0
	s_mov_b32 s43, -1
.LBB79_597:
	s_and_not1_b32 vcc_lo, exec_lo, s44
	s_cbranch_vccnz .LBB79_610
; %bb.598:
	s_cmp_gt_i32 s42, 14
	s_cbranch_scc0 .LBB79_601
; %bb.599:
	s_cmp_eq_u32 s42, 15
	s_cbranch_scc0 .LBB79_604
; %bb.600:
	global_load_u16 v1, v[6:7], off
	s_mov_b32 s43, -1
	s_mov_b32 s25, 0
	s_wait_loadcnt 0x0
	v_lshlrev_b32_e32 v1, 16, v1
	s_wait_xcnt 0x1
	s_delay_alu instid0(VALU_DEP_1)
	v_cvt_i32_f32_e32 v8, v1
	s_branch .LBB79_605
.LBB79_601:
	s_mov_b32 s44, -1
                                        ; implicit-def: $vgpr8
	s_branch .LBB79_606
.LBB79_602:
	s_and_not1_saveexec_b32 s43, s43
	s_cbranch_execz .LBB79_583
.LBB79_603:
	v_cmp_ne_u16_e32 vcc_lo, 0, v1
	s_and_not1_b32 s44, s44, exec_lo
	s_and_b32 s46, vcc_lo, exec_lo
	s_delay_alu instid0(SALU_CYCLE_1)
	s_or_b32 s44, s44, s46
	s_or_b32 exec_lo, exec_lo, s43
	v_mov_b32_e32 v8, 0
	s_and_saveexec_b32 s43, s44
	s_cbranch_execnz .LBB79_584
	s_branch .LBB79_585
.LBB79_604:
	s_mov_b32 s25, -1
                                        ; implicit-def: $vgpr8
.LBB79_605:
	s_mov_b32 s44, 0
.LBB79_606:
	s_delay_alu instid0(SALU_CYCLE_1)
	s_and_b32 vcc_lo, exec_lo, s44
	s_cbranch_vccz .LBB79_610
; %bb.607:
	s_cmp_eq_u32 s42, 11
	s_cbranch_scc0 .LBB79_609
; %bb.608:
	global_load_u8 v1, v[6:7], off
	s_mov_b32 s25, 0
	s_mov_b32 s43, -1
	s_wait_loadcnt 0x0
	v_cmp_ne_u16_e32 vcc_lo, 0, v1
	s_wait_xcnt 0x1
	v_cndmask_b32_e64 v8, 0, 1, vcc_lo
	s_branch .LBB79_610
.LBB79_609:
	s_mov_b32 s25, -1
                                        ; implicit-def: $vgpr8
.LBB79_610:
	s_mov_b32 s42, 0
.LBB79_611:
	s_delay_alu instid0(SALU_CYCLE_1)
	s_and_b32 vcc_lo, exec_lo, s42
	s_cbranch_vccz .LBB79_660
; %bb.612:
	s_and_b32 s0, 0xffff, s0
	s_delay_alu instid0(SALU_CYCLE_1)
	s_cmp_lt_i32 s0, 5
	s_cbranch_scc1 .LBB79_617
; %bb.613:
	s_cmp_lt_i32 s0, 8
	s_cbranch_scc1 .LBB79_618
; %bb.614:
	;; [unrolled: 3-line block ×3, first 2 shown]
	s_cmp_gt_i32 s0, 9
	s_cbranch_scc0 .LBB79_620
; %bb.616:
	s_wait_loadcnt 0x0
	global_load_b64 v[8:9], v[6:7], off
	s_mov_b32 s42, 0
	s_wait_loadcnt 0x0
	v_cvt_i32_f64_e32 v8, v[8:9]
	s_branch .LBB79_621
.LBB79_617:
	s_mov_b32 s42, -1
                                        ; implicit-def: $vgpr8
	s_branch .LBB79_639
.LBB79_618:
	s_mov_b32 s42, -1
                                        ; implicit-def: $vgpr8
	s_branch .LBB79_627
.LBB79_619:
	s_mov_b32 s42, -1
                                        ; implicit-def: $vgpr8
	s_branch .LBB79_624
.LBB79_620:
	s_mov_b32 s42, -1
                                        ; implicit-def: $vgpr8
.LBB79_621:
	s_delay_alu instid0(SALU_CYCLE_1)
	s_and_not1_b32 vcc_lo, exec_lo, s42
	s_cbranch_vccnz .LBB79_623
; %bb.622:
	global_load_b32 v1, v[6:7], off
	s_wait_loadcnt 0x0
	s_wait_xcnt 0x1
	v_cvt_i32_f32_e32 v8, v1
.LBB79_623:
	s_mov_b32 s42, 0
.LBB79_624:
	s_delay_alu instid0(SALU_CYCLE_1)
	s_and_not1_b32 vcc_lo, exec_lo, s42
	s_cbranch_vccnz .LBB79_626
; %bb.625:
	global_load_b32 v1, v[6:7], off
	s_wait_loadcnt 0x0
	s_wait_xcnt 0x1
	v_cvt_i16_f16_e32 v8, v1
.LBB79_626:
	s_mov_b32 s42, 0
.LBB79_627:
	s_delay_alu instid0(SALU_CYCLE_1)
	s_and_not1_b32 vcc_lo, exec_lo, s42
	s_cbranch_vccnz .LBB79_638
; %bb.628:
	s_cmp_lt_i32 s0, 6
	s_cbranch_scc1 .LBB79_631
; %bb.629:
	s_cmp_gt_i32 s0, 6
	s_cbranch_scc0 .LBB79_632
; %bb.630:
	s_wait_loadcnt 0x0
	global_load_b64 v[8:9], v[6:7], off
	s_mov_b32 s42, 0
	s_wait_loadcnt 0x0
	v_cvt_i32_f64_e32 v8, v[8:9]
	s_branch .LBB79_633
.LBB79_631:
	s_mov_b32 s42, -1
                                        ; implicit-def: $vgpr8
	s_branch .LBB79_636
.LBB79_632:
	s_mov_b32 s42, -1
                                        ; implicit-def: $vgpr8
.LBB79_633:
	s_delay_alu instid0(SALU_CYCLE_1)
	s_and_not1_b32 vcc_lo, exec_lo, s42
	s_cbranch_vccnz .LBB79_635
; %bb.634:
	global_load_b32 v1, v[6:7], off
	s_wait_loadcnt 0x0
	s_wait_xcnt 0x1
	v_cvt_i32_f32_e32 v8, v1
.LBB79_635:
	s_mov_b32 s42, 0
.LBB79_636:
	s_delay_alu instid0(SALU_CYCLE_1)
	s_and_not1_b32 vcc_lo, exec_lo, s42
	s_cbranch_vccnz .LBB79_638
; %bb.637:
	global_load_u16 v1, v[6:7], off
	s_wait_loadcnt 0x0
	s_wait_xcnt 0x1
	v_cvt_i16_f16_e32 v8, v1
.LBB79_638:
	s_mov_b32 s42, 0
.LBB79_639:
	s_delay_alu instid0(SALU_CYCLE_1)
	s_and_not1_b32 vcc_lo, exec_lo, s42
	s_cbranch_vccnz .LBB79_659
; %bb.640:
	s_cmp_lt_i32 s0, 2
	s_cbranch_scc1 .LBB79_644
; %bb.641:
	s_cmp_lt_i32 s0, 3
	s_cbranch_scc1 .LBB79_645
; %bb.642:
	s_cmp_gt_i32 s0, 3
	s_cbranch_scc0 .LBB79_646
; %bb.643:
	s_wait_loadcnt 0x0
	global_load_b64 v[8:9], v[6:7], off
	s_mov_b32 s42, 0
	s_branch .LBB79_647
.LBB79_644:
	s_mov_b32 s42, -1
                                        ; implicit-def: $vgpr8
	s_branch .LBB79_653
.LBB79_645:
	s_mov_b32 s42, -1
                                        ; implicit-def: $vgpr8
	s_branch .LBB79_650
.LBB79_646:
	s_mov_b32 s42, -1
                                        ; implicit-def: $vgpr8
.LBB79_647:
	s_delay_alu instid0(SALU_CYCLE_1)
	s_and_not1_b32 vcc_lo, exec_lo, s42
	s_cbranch_vccnz .LBB79_649
; %bb.648:
	s_wait_loadcnt 0x0
	global_load_b32 v8, v[6:7], off
.LBB79_649:
	s_mov_b32 s42, 0
.LBB79_650:
	s_delay_alu instid0(SALU_CYCLE_1)
	s_and_not1_b32 vcc_lo, exec_lo, s42
	s_cbranch_vccnz .LBB79_652
; %bb.651:
	s_wait_loadcnt 0x0
	global_load_u16 v8, v[6:7], off
.LBB79_652:
	s_mov_b32 s42, 0
.LBB79_653:
	s_delay_alu instid0(SALU_CYCLE_1)
	s_and_not1_b32 vcc_lo, exec_lo, s42
	s_cbranch_vccnz .LBB79_659
; %bb.654:
	s_cmp_gt_i32 s0, 0
	s_mov_b32 s0, 0
	s_cbranch_scc0 .LBB79_656
; %bb.655:
	s_wait_loadcnt 0x0
	global_load_i8 v8, v[6:7], off
	s_branch .LBB79_657
.LBB79_656:
	s_mov_b32 s0, -1
                                        ; implicit-def: $vgpr8
.LBB79_657:
	s_delay_alu instid0(SALU_CYCLE_1)
	s_and_not1_b32 vcc_lo, exec_lo, s0
	s_cbranch_vccnz .LBB79_659
; %bb.658:
	s_wait_loadcnt 0x0
	global_load_u8 v8, v[6:7], off
.LBB79_659:
	s_mov_b32 s43, -1
.LBB79_660:
	s_delay_alu instid0(SALU_CYCLE_1)
	s_and_not1_b32 vcc_lo, exec_lo, s43
	s_cbranch_vccnz .LBB79_674
; %bb.661:
	s_wait_loadcnt 0x0
	s_delay_alu instid0(VALU_DEP_1) | instskip(SKIP_2) | instid1(VALU_DEP_1)
	v_sub_nc_u16 v1, 0, v8
	s_mov_b32 s42, 0
	s_mov_b32 s0, exec_lo
	v_max_i16 v3, v8, v1
	s_wait_xcnt 0x0
	v_cmpx_ne_u16_e32 0, v4
	s_cbranch_execz .LBB79_665
; %bb.662:
	v_sub_nc_u16 v1, 0, v4
	s_delay_alu instid0(VALU_DEP_1) | instskip(SKIP_1) | instid1(VALU_DEP_2)
	v_max_i16 v5, v4, v1
	v_and_b32_e32 v1, 0xffff, v3
	v_and_b32_e32 v5, 0xffff, v5
.LBB79_663:                             ; =>This Inner Loop Header: Depth=1
	s_delay_alu instid0(VALU_DEP_1) | instskip(NEXT) | instid1(VALU_DEP_2)
	v_bfe_i32 v7, v1, 0, 16
	v_mov_b32_e32 v3, v5
	s_delay_alu instid0(VALU_DEP_2) | instskip(NEXT) | instid1(VALU_DEP_2)
	v_cvt_f32_i32_e32 v10, v7
	v_bfe_i32 v5, v3, 0, 16
	s_delay_alu instid0(VALU_DEP_1) | instskip(SKIP_1) | instid1(VALU_DEP_2)
	v_cvt_f32_i32_e32 v6, v5
	v_xor_b32_e32 v5, v7, v5
	v_rcp_iflag_f32_e32 v9, v6
	v_nop
	s_delay_alu instid0(TRANS32_DEP_1) | instskip(NEXT) | instid1(VALU_DEP_1)
	v_mul_f32_e32 v7, v10, v9
	v_trunc_f32_e32 v7, v7
	s_delay_alu instid0(VALU_DEP_1) | instskip(NEXT) | instid1(VALU_DEP_1)
	v_dual_ashrrev_i32 v5, 30, v5 :: v_dual_fma_f32 v9, -v7, v6, v10
	v_or_b32_e32 v5, 1, v5
	v_cvt_i32_f32_e32 v7, v7
	s_delay_alu instid0(VALU_DEP_3) | instskip(NEXT) | instid1(VALU_DEP_3)
	v_cmp_ge_f32_e64 vcc_lo, |v9|, |v6|
	v_cndmask_b32_e32 v5, 0, v5, vcc_lo
	s_delay_alu instid0(VALU_DEP_1) | instskip(NEXT) | instid1(VALU_DEP_1)
	v_add_nc_u32_e32 v5, v7, v5
	v_mul_lo_u32 v5, v5, v3
	s_delay_alu instid0(VALU_DEP_1) | instskip(NEXT) | instid1(VALU_DEP_1)
	v_sub_nc_u32_e32 v5, v1, v5
	v_and_b32_e32 v1, 0xffff, v5
	v_bfe_i32 v5, v5, 0, 16
	s_delay_alu instid0(VALU_DEP_2) | instskip(SKIP_2) | instid1(SALU_CYCLE_1)
	v_cmp_eq_u32_e32 vcc_lo, 0, v1
	v_mov_b32_e32 v1, v3
	s_or_b32 s42, vcc_lo, s42
	s_and_not1_b32 exec_lo, exec_lo, s42
	s_cbranch_execnz .LBB79_663
; %bb.664:
	s_or_b32 exec_lo, exec_lo, s42
.LBB79_665:
	s_delay_alu instid0(SALU_CYCLE_1)
	s_or_b32 exec_lo, exec_lo, s0
	v_mov_b32_e32 v1, 0
	s_mov_b32 s0, exec_lo
	v_cmpx_ne_u16_e32 0, v3
	s_cbranch_execz .LBB79_667
; %bb.666:
	v_bfe_i32 v1, v3, 0, 16
	v_bfe_i32 v4, v4, 0, 16
	s_delay_alu instid0(VALU_DEP_2) | instskip(NEXT) | instid1(VALU_DEP_2)
	v_cvt_f32_i32_e32 v3, v1
	v_cvt_f32_i32_e32 v6, v4
	v_xor_b32_e32 v1, v4, v1
	s_delay_alu instid0(VALU_DEP_3) | instskip(SKIP_1) | instid1(TRANS32_DEP_1)
	v_rcp_iflag_f32_e32 v5, v3
	v_nop
	v_mul_f32_e32 v5, v6, v5
	s_delay_alu instid0(VALU_DEP_1) | instskip(NEXT) | instid1(VALU_DEP_1)
	v_trunc_f32_e32 v4, v5
	v_dual_fma_f32 v5, -v4, v3, v6 :: v_dual_ashrrev_i32 v1, 30, v1
	v_cvt_i32_f32_e32 v4, v4
	s_delay_alu instid0(VALU_DEP_2) | instskip(NEXT) | instid1(VALU_DEP_3)
	v_cmp_ge_f32_e64 vcc_lo, |v5|, |v3|
	v_or_b32_e32 v1, 1, v1
	v_bfe_i32 v3, v8, 0, 16
	s_delay_alu instid0(VALU_DEP_2) | instskip(NEXT) | instid1(VALU_DEP_1)
	v_cndmask_b32_e32 v1, 0, v1, vcc_lo
	v_add_nc_u32_e32 v1, v4, v1
	s_delay_alu instid0(VALU_DEP_1) | instskip(NEXT) | instid1(VALU_DEP_1)
	v_bfe_i32 v1, v1, 0, 16
	v_mul_i32_i24_e32 v1, v1, v3
	s_delay_alu instid0(VALU_DEP_1) | instskip(NEXT) | instid1(VALU_DEP_1)
	v_sub_nc_u32_e32 v3, 0, v1
	v_max_i32_e32 v1, v1, v3
.LBB79_667:
	s_or_b32 exec_lo, exec_lo, s0
	v_mov_b32_e32 v3, 0
	s_and_b32 s42, s31, 0xff
	s_delay_alu instid0(SALU_CYCLE_1) | instskip(NEXT) | instid1(VALU_DEP_1)
	s_cmp_lt_i32 s42, 11
	v_add_nc_u64_e32 v[2:3], s[4:5], v[2:3]
	s_cbranch_scc1 .LBB79_675
; %bb.668:
	s_and_b32 s43, 0xffff, s42
	s_delay_alu instid0(SALU_CYCLE_1)
	s_cmp_gt_i32 s43, 25
	s_cbranch_scc0 .LBB79_676
; %bb.669:
	s_cmp_gt_i32 s43, 28
	s_cbranch_scc0 .LBB79_677
; %bb.670:
	;; [unrolled: 3-line block ×4, first 2 shown]
	s_mov_b32 s46, 0
	s_mov_b32 s0, -1
	s_cmp_eq_u32 s43, 46
	s_mov_b32 s44, 0
	s_cbranch_scc0 .LBB79_680
; %bb.673:
	v_bfe_i32 v4, v1, 0, 16
	s_mov_b32 s44, -1
	s_mov_b32 s0, 0
	s_delay_alu instid0(VALU_DEP_1) | instskip(NEXT) | instid1(VALU_DEP_1)
	v_cvt_f32_i32_e32 v4, v4
	v_bfe_u32 v5, v4, 16, 1
	s_delay_alu instid0(VALU_DEP_1) | instskip(NEXT) | instid1(VALU_DEP_1)
	v_add3_u32 v4, v4, v5, 0x7fff
	v_lshrrev_b32_e32 v4, 16, v4
	global_store_b32 v[2:3], v4, off
	s_branch .LBB79_680
.LBB79_674:
	s_mov_b32 s46, 0
	s_mov_b32 s0, s38
	s_branch .LBB79_791
.LBB79_675:
	s_mov_b32 s43, -1
	s_mov_b32 s44, 0
	s_mov_b32 s0, s38
	s_branch .LBB79_749
.LBB79_676:
	s_mov_b32 s46, -1
	s_mov_b32 s44, 0
	s_mov_b32 s0, s38
	s_branch .LBB79_707
.LBB79_677:
	s_mov_b32 s46, -1
	s_mov_b32 s44, 0
	s_mov_b32 s0, s38
	s_branch .LBB79_690
.LBB79_678:
	s_mov_b32 s46, -1
	s_mov_b32 s44, 0
	s_mov_b32 s0, s38
	s_branch .LBB79_686
.LBB79_679:
	s_mov_b32 s46, -1
	s_mov_b32 s44, 0
	s_mov_b32 s0, s38
.LBB79_680:
	s_and_b32 vcc_lo, exec_lo, s46
	s_cbranch_vccz .LBB79_685
; %bb.681:
	s_cmp_eq_u32 s43, 44
	s_mov_b32 s0, -1
	s_cbranch_scc0 .LBB79_685
; %bb.682:
	s_wait_xcnt 0x0
	v_bfe_i32 v4, v1, 0, 16
	v_mov_b32_e32 v5, 0xff
	s_mov_b32 s44, exec_lo
	s_delay_alu instid0(VALU_DEP_2) | instskip(NEXT) | instid1(VALU_DEP_1)
	v_cvt_f32_i32_e32 v4, v4
	v_bfe_u32 v6, v4, 23, 8
	s_delay_alu instid0(VALU_DEP_1)
	v_cmpx_ne_u32_e32 0xff, v6
	s_cbranch_execz .LBB79_684
; %bb.683:
	v_and_b32_e32 v5, 0x400000, v4
	v_and_or_b32 v6, 0x3fffff, v4, v6
	v_lshrrev_b32_e32 v4, 23, v4
	s_delay_alu instid0(VALU_DEP_3) | instskip(NEXT) | instid1(VALU_DEP_3)
	v_cmp_ne_u32_e32 vcc_lo, 0, v5
	v_cmp_ne_u32_e64 s0, 0, v6
	s_and_b32 s0, vcc_lo, s0
	s_delay_alu instid0(SALU_CYCLE_1) | instskip(NEXT) | instid1(VALU_DEP_1)
	v_cndmask_b32_e64 v5, 0, 1, s0
	v_add_nc_u32_e32 v5, v4, v5
.LBB79_684:
	s_or_b32 exec_lo, exec_lo, s44
	s_mov_b32 s44, -1
	s_mov_b32 s0, 0
	global_store_b8 v[2:3], v5, off
.LBB79_685:
	s_mov_b32 s46, 0
.LBB79_686:
	s_delay_alu instid0(SALU_CYCLE_1)
	s_and_b32 vcc_lo, exec_lo, s46
	s_cbranch_vccz .LBB79_689
; %bb.687:
	s_cmp_eq_u32 s43, 29
	s_mov_b32 s0, -1
	s_cbranch_scc0 .LBB79_689
; %bb.688:
	s_wait_xcnt 0x0
	v_bfe_i32 v4, v1, 0, 16
	s_mov_b32 s0, 0
	s_mov_b32 s44, -1
	s_mov_b32 s46, 0
	s_delay_alu instid0(VALU_DEP_1)
	v_ashrrev_i32_e32 v5, 31, v4
	global_store_b64 v[2:3], v[4:5], off
	s_branch .LBB79_690
.LBB79_689:
	s_mov_b32 s46, 0
.LBB79_690:
	s_delay_alu instid0(SALU_CYCLE_1)
	s_and_b32 vcc_lo, exec_lo, s46
	s_cbranch_vccz .LBB79_706
; %bb.691:
	s_cmp_lt_i32 s43, 27
	s_mov_b32 s44, -1
	s_cbranch_scc1 .LBB79_697
; %bb.692:
	s_cmp_gt_i32 s43, 27
	s_cbranch_scc0 .LBB79_694
; %bb.693:
	s_wait_xcnt 0x0
	v_bfe_i32 v4, v1, 0, 16
	s_mov_b32 s44, 0
	global_store_b32 v[2:3], v4, off
.LBB79_694:
	s_and_not1_b32 vcc_lo, exec_lo, s44
	s_cbranch_vccnz .LBB79_696
; %bb.695:
	global_store_b16 v[2:3], v1, off
.LBB79_696:
	s_mov_b32 s44, 0
.LBB79_697:
	s_delay_alu instid0(SALU_CYCLE_1)
	s_and_not1_b32 vcc_lo, exec_lo, s44
	s_cbranch_vccnz .LBB79_705
; %bb.698:
	s_wait_xcnt 0x0
	v_bfe_i32 v4, v1, 0, 16
	v_mov_b32_e32 v6, 0x80
	s_mov_b32 s44, exec_lo
	s_delay_alu instid0(VALU_DEP_2) | instskip(NEXT) | instid1(VALU_DEP_1)
	v_cvt_f32_i32_e32 v4, v4
	v_and_b32_e32 v5, 0x7fffffff, v4
	s_delay_alu instid0(VALU_DEP_1)
	v_cmpx_gt_u32_e32 0x43800000, v5
	s_cbranch_execz .LBB79_704
; %bb.699:
	v_cmp_lt_u32_e32 vcc_lo, 0x3bffffff, v5
	s_mov_b32 s46, 0
                                        ; implicit-def: $vgpr5
	s_and_saveexec_b32 s47, vcc_lo
	s_delay_alu instid0(SALU_CYCLE_1)
	s_xor_b32 s47, exec_lo, s47
	s_cbranch_execz .LBB79_819
; %bb.700:
	v_bfe_u32 v5, v4, 20, 1
	s_mov_b32 s46, exec_lo
	s_delay_alu instid0(VALU_DEP_1) | instskip(NEXT) | instid1(VALU_DEP_1)
	v_add3_u32 v5, v4, v5, 0x487ffff
	v_lshrrev_b32_e32 v5, 20, v5
	s_and_not1_saveexec_b32 s47, s47
	s_cbranch_execnz .LBB79_820
.LBB79_701:
	s_or_b32 exec_lo, exec_lo, s47
	v_mov_b32_e32 v6, 0
	s_and_saveexec_b32 s47, s46
.LBB79_702:
	v_lshrrev_b32_e32 v4, 24, v4
	s_delay_alu instid0(VALU_DEP_1)
	v_and_or_b32 v6, 0x80, v4, v5
.LBB79_703:
	s_or_b32 exec_lo, exec_lo, s47
.LBB79_704:
	s_delay_alu instid0(SALU_CYCLE_1)
	s_or_b32 exec_lo, exec_lo, s44
	global_store_b8 v[2:3], v6, off
.LBB79_705:
	s_mov_b32 s44, -1
.LBB79_706:
	s_mov_b32 s46, 0
.LBB79_707:
	s_delay_alu instid0(SALU_CYCLE_1)
	s_and_b32 vcc_lo, exec_lo, s46
	s_cbranch_vccz .LBB79_748
; %bb.708:
	s_cmp_gt_i32 s43, 22
	s_mov_b32 s46, -1
	s_cbranch_scc0 .LBB79_740
; %bb.709:
	s_cmp_lt_i32 s43, 24
	s_mov_b32 s44, -1
	s_cbranch_scc1 .LBB79_729
; %bb.710:
	s_cmp_gt_i32 s43, 24
	s_cbranch_scc0 .LBB79_718
; %bb.711:
	s_wait_xcnt 0x0
	v_bfe_i32 v4, v1, 0, 16
	v_mov_b32_e32 v6, 0x80
	s_mov_b32 s44, exec_lo
	s_delay_alu instid0(VALU_DEP_2) | instskip(NEXT) | instid1(VALU_DEP_1)
	v_cvt_f32_i32_e32 v4, v4
	v_and_b32_e32 v5, 0x7fffffff, v4
	s_delay_alu instid0(VALU_DEP_1)
	v_cmpx_gt_u32_e32 0x47800000, v5
	s_cbranch_execz .LBB79_717
; %bb.712:
	v_cmp_lt_u32_e32 vcc_lo, 0x37ffffff, v5
	s_mov_b32 s46, 0
                                        ; implicit-def: $vgpr5
	s_and_saveexec_b32 s47, vcc_lo
	s_delay_alu instid0(SALU_CYCLE_1)
	s_xor_b32 s47, exec_lo, s47
	s_cbranch_execz .LBB79_947
; %bb.713:
	v_bfe_u32 v5, v4, 21, 1
	s_mov_b32 s46, exec_lo
	s_delay_alu instid0(VALU_DEP_1) | instskip(NEXT) | instid1(VALU_DEP_1)
	v_add3_u32 v5, v4, v5, 0x88fffff
	v_lshrrev_b32_e32 v5, 21, v5
	s_and_not1_saveexec_b32 s47, s47
	s_cbranch_execnz .LBB79_948
.LBB79_714:
	s_or_b32 exec_lo, exec_lo, s47
	v_mov_b32_e32 v6, 0
	s_and_saveexec_b32 s47, s46
.LBB79_715:
	v_lshrrev_b32_e32 v4, 24, v4
	s_delay_alu instid0(VALU_DEP_1)
	v_and_or_b32 v6, 0x80, v4, v5
.LBB79_716:
	s_or_b32 exec_lo, exec_lo, s47
.LBB79_717:
	s_delay_alu instid0(SALU_CYCLE_1)
	s_or_b32 exec_lo, exec_lo, s44
	s_mov_b32 s44, 0
	global_store_b8 v[2:3], v6, off
.LBB79_718:
	s_and_b32 vcc_lo, exec_lo, s44
	s_cbranch_vccz .LBB79_728
; %bb.719:
	s_wait_xcnt 0x0
	v_bfe_i32 v4, v1, 0, 16
	s_mov_b32 s44, exec_lo
                                        ; implicit-def: $vgpr5
	s_delay_alu instid0(VALU_DEP_1) | instskip(NEXT) | instid1(VALU_DEP_1)
	v_cvt_f32_i32_e32 v4, v4
	v_and_b32_e32 v6, 0x7fffffff, v4
	s_delay_alu instid0(VALU_DEP_1)
	v_cmpx_gt_u32_e32 0x43f00000, v6
	s_xor_b32 s44, exec_lo, s44
	s_cbranch_execz .LBB79_725
; %bb.720:
	s_mov_b32 s46, exec_lo
                                        ; implicit-def: $vgpr5
	v_cmpx_lt_u32_e32 0x3c7fffff, v6
	s_xor_b32 s46, exec_lo, s46
; %bb.721:
	v_bfe_u32 v5, v4, 20, 1
	s_delay_alu instid0(VALU_DEP_1) | instskip(NEXT) | instid1(VALU_DEP_1)
	v_add3_u32 v5, v4, v5, 0x407ffff
	v_and_b32_e32 v6, 0xff00000, v5
	v_lshrrev_b32_e32 v5, 20, v5
	s_delay_alu instid0(VALU_DEP_2) | instskip(NEXT) | instid1(VALU_DEP_2)
	v_cmp_ne_u32_e32 vcc_lo, 0x7f00000, v6
	v_cndmask_b32_e32 v5, 0x7e, v5, vcc_lo
; %bb.722:
	s_and_not1_saveexec_b32 s46, s46
; %bb.723:
	v_add_f32_e64 v5, 0x46800000, |v4|
; %bb.724:
	s_or_b32 exec_lo, exec_lo, s46
                                        ; implicit-def: $vgpr6
.LBB79_725:
	s_and_not1_saveexec_b32 s44, s44
; %bb.726:
	v_mov_b32_e32 v5, 0x7f
	v_cmp_lt_u32_e32 vcc_lo, 0x7f800000, v6
	s_delay_alu instid0(VALU_DEP_2)
	v_cndmask_b32_e32 v5, 0x7e, v5, vcc_lo
; %bb.727:
	s_or_b32 exec_lo, exec_lo, s44
	v_lshrrev_b32_e32 v4, 24, v4
	s_delay_alu instid0(VALU_DEP_1)
	v_and_or_b32 v4, 0x80, v4, v5
	global_store_b8 v[2:3], v4, off
.LBB79_728:
	s_mov_b32 s44, 0
.LBB79_729:
	s_delay_alu instid0(SALU_CYCLE_1)
	s_and_not1_b32 vcc_lo, exec_lo, s44
	s_cbranch_vccnz .LBB79_739
; %bb.730:
	s_wait_xcnt 0x0
	v_bfe_i32 v4, v1, 0, 16
	s_mov_b32 s44, exec_lo
                                        ; implicit-def: $vgpr5
	s_delay_alu instid0(VALU_DEP_1) | instskip(NEXT) | instid1(VALU_DEP_1)
	v_cvt_f32_i32_e32 v4, v4
	v_and_b32_e32 v6, 0x7fffffff, v4
	s_delay_alu instid0(VALU_DEP_1)
	v_cmpx_gt_u32_e32 0x47800000, v6
	s_xor_b32 s44, exec_lo, s44
	s_cbranch_execz .LBB79_736
; %bb.731:
	s_mov_b32 s46, exec_lo
                                        ; implicit-def: $vgpr5
	v_cmpx_lt_u32_e32 0x387fffff, v6
	s_xor_b32 s46, exec_lo, s46
; %bb.732:
	v_bfe_u32 v5, v4, 21, 1
	s_delay_alu instid0(VALU_DEP_1) | instskip(NEXT) | instid1(VALU_DEP_1)
	v_add3_u32 v5, v4, v5, 0x80fffff
	v_lshrrev_b32_e32 v5, 21, v5
; %bb.733:
	s_and_not1_saveexec_b32 s46, s46
; %bb.734:
	v_add_f32_e64 v5, 0x43000000, |v4|
; %bb.735:
	s_or_b32 exec_lo, exec_lo, s46
                                        ; implicit-def: $vgpr6
.LBB79_736:
	s_and_not1_saveexec_b32 s44, s44
; %bb.737:
	v_mov_b32_e32 v5, 0x7f
	v_cmp_lt_u32_e32 vcc_lo, 0x7f800000, v6
	s_delay_alu instid0(VALU_DEP_2)
	v_cndmask_b32_e32 v5, 0x7c, v5, vcc_lo
; %bb.738:
	s_or_b32 exec_lo, exec_lo, s44
	v_lshrrev_b32_e32 v4, 24, v4
	s_delay_alu instid0(VALU_DEP_1)
	v_and_or_b32 v4, 0x80, v4, v5
	global_store_b8 v[2:3], v4, off
.LBB79_739:
	s_mov_b32 s46, 0
	s_mov_b32 s44, -1
.LBB79_740:
	s_and_not1_b32 vcc_lo, exec_lo, s46
	s_cbranch_vccnz .LBB79_748
; %bb.741:
	s_cmp_gt_i32 s43, 14
	s_mov_b32 s46, -1
	s_cbranch_scc0 .LBB79_745
; %bb.742:
	s_cmp_eq_u32 s43, 15
	s_mov_b32 s0, -1
	s_cbranch_scc0 .LBB79_744
; %bb.743:
	s_wait_xcnt 0x0
	v_bfe_i32 v4, v1, 0, 16
	s_mov_b32 s44, -1
	s_mov_b32 s0, 0
	s_delay_alu instid0(VALU_DEP_1) | instskip(NEXT) | instid1(VALU_DEP_1)
	v_cvt_f32_i32_e32 v4, v4
	v_bfe_u32 v5, v4, 16, 1
	s_delay_alu instid0(VALU_DEP_1)
	v_add3_u32 v4, v4, v5, 0x7fff
	global_store_d16_hi_b16 v[2:3], v4, off
.LBB79_744:
	s_mov_b32 s46, 0
.LBB79_745:
	s_delay_alu instid0(SALU_CYCLE_1)
	s_and_b32 vcc_lo, exec_lo, s46
	s_cbranch_vccz .LBB79_748
; %bb.746:
	s_cmp_eq_u32 s43, 11
	s_mov_b32 s0, -1
	s_cbranch_scc0 .LBB79_748
; %bb.747:
	v_cmp_ne_u16_e32 vcc_lo, 0, v1
	s_mov_b32 s0, 0
	s_mov_b32 s44, -1
	s_wait_xcnt 0x0
	v_cndmask_b32_e64 v4, 0, 1, vcc_lo
	global_store_b8 v[2:3], v4, off
.LBB79_748:
	s_mov_b32 s43, 0
.LBB79_749:
	s_delay_alu instid0(SALU_CYCLE_1)
	s_and_b32 vcc_lo, exec_lo, s43
	s_cbranch_vccz .LBB79_788
; %bb.750:
	s_and_b32 s42, 0xffff, s42
	s_mov_b32 s43, -1
	s_cmp_lt_i32 s42, 5
	s_cbranch_scc1 .LBB79_771
; %bb.751:
	s_cmp_lt_i32 s42, 8
	s_cbranch_scc1 .LBB79_761
; %bb.752:
	;; [unrolled: 3-line block ×3, first 2 shown]
	s_cmp_gt_i32 s42, 9
	s_cbranch_scc0 .LBB79_755
; %bb.754:
	s_wait_xcnt 0x0
	v_bfe_i32 v4, v1, 0, 16
	v_mov_b32_e32 v6, 0
	s_mov_b32 s43, 0
	s_delay_alu instid0(VALU_DEP_2) | instskip(NEXT) | instid1(VALU_DEP_2)
	v_cvt_f64_i32_e32 v[4:5], v4
	v_mov_b32_e32 v7, v6
	global_store_b128 v[2:3], v[4:7], off
.LBB79_755:
	s_and_not1_b32 vcc_lo, exec_lo, s43
	s_cbranch_vccnz .LBB79_757
; %bb.756:
	s_wait_xcnt 0x0
	v_bfe_i32 v4, v1, 0, 16
	v_mov_b32_e32 v5, 0
	s_delay_alu instid0(VALU_DEP_2)
	v_cvt_f32_i32_e32 v4, v4
	global_store_b64 v[2:3], v[4:5], off
.LBB79_757:
	s_mov_b32 s43, 0
.LBB79_758:
	s_delay_alu instid0(SALU_CYCLE_1)
	s_and_not1_b32 vcc_lo, exec_lo, s43
	s_cbranch_vccnz .LBB79_760
; %bb.759:
	s_wait_xcnt 0x0
	v_cvt_f16_i16_e32 v4, v1
	s_delay_alu instid0(VALU_DEP_1)
	v_and_b32_e32 v4, 0xffff, v4
	global_store_b32 v[2:3], v4, off
.LBB79_760:
	s_mov_b32 s43, 0
.LBB79_761:
	s_delay_alu instid0(SALU_CYCLE_1)
	s_and_not1_b32 vcc_lo, exec_lo, s43
	s_cbranch_vccnz .LBB79_770
; %bb.762:
	s_cmp_lt_i32 s42, 6
	s_mov_b32 s43, -1
	s_cbranch_scc1 .LBB79_768
; %bb.763:
	s_cmp_gt_i32 s42, 6
	s_cbranch_scc0 .LBB79_765
; %bb.764:
	s_wait_xcnt 0x0
	v_bfe_i32 v4, v1, 0, 16
	s_mov_b32 s43, 0
	s_delay_alu instid0(VALU_DEP_1)
	v_cvt_f64_i32_e32 v[4:5], v4
	global_store_b64 v[2:3], v[4:5], off
.LBB79_765:
	s_and_not1_b32 vcc_lo, exec_lo, s43
	s_cbranch_vccnz .LBB79_767
; %bb.766:
	s_wait_xcnt 0x0
	v_bfe_i32 v4, v1, 0, 16
	s_delay_alu instid0(VALU_DEP_1)
	v_cvt_f32_i32_e32 v4, v4
	global_store_b32 v[2:3], v4, off
.LBB79_767:
	s_mov_b32 s43, 0
.LBB79_768:
	s_delay_alu instid0(SALU_CYCLE_1)
	s_and_not1_b32 vcc_lo, exec_lo, s43
	s_cbranch_vccnz .LBB79_770
; %bb.769:
	s_wait_xcnt 0x0
	v_cvt_f16_i16_e32 v4, v1
	global_store_b16 v[2:3], v4, off
.LBB79_770:
	s_mov_b32 s43, 0
.LBB79_771:
	s_delay_alu instid0(SALU_CYCLE_1)
	s_and_not1_b32 vcc_lo, exec_lo, s43
	s_cbranch_vccnz .LBB79_787
; %bb.772:
	s_cmp_lt_i32 s42, 2
	s_mov_b32 s43, -1
	s_cbranch_scc1 .LBB79_782
; %bb.773:
	s_cmp_lt_i32 s42, 3
	s_cbranch_scc1 .LBB79_779
; %bb.774:
	s_wait_xcnt 0x0
	v_bfe_i32 v4, v1, 0, 16
	s_cmp_gt_i32 s42, 3
	s_cbranch_scc0 .LBB79_776
; %bb.775:
	s_delay_alu instid0(VALU_DEP_1)
	v_ashrrev_i32_e32 v5, 31, v4
	s_mov_b32 s43, 0
	global_store_b64 v[2:3], v[4:5], off
.LBB79_776:
	s_and_not1_b32 vcc_lo, exec_lo, s43
	s_cbranch_vccnz .LBB79_778
; %bb.777:
	global_store_b32 v[2:3], v4, off
.LBB79_778:
	s_mov_b32 s43, 0
.LBB79_779:
	s_delay_alu instid0(SALU_CYCLE_1)
	s_and_not1_b32 vcc_lo, exec_lo, s43
	s_cbranch_vccnz .LBB79_781
; %bb.780:
	global_store_b16 v[2:3], v1, off
.LBB79_781:
	s_mov_b32 s43, 0
.LBB79_782:
	s_delay_alu instid0(SALU_CYCLE_1)
	s_and_not1_b32 vcc_lo, exec_lo, s43
	s_cbranch_vccnz .LBB79_787
; %bb.783:
	s_cmp_gt_i32 s42, 0
	s_mov_b32 s42, -1
	s_cbranch_scc0 .LBB79_785
; %bb.784:
	s_mov_b32 s42, 0
	global_store_b8 v[2:3], v1, off
.LBB79_785:
	s_and_not1_b32 vcc_lo, exec_lo, s42
	s_cbranch_vccnz .LBB79_787
; %bb.786:
	global_store_b8 v[2:3], v1, off
.LBB79_787:
	s_mov_b32 s44, -1
.LBB79_788:
	s_delay_alu instid0(SALU_CYCLE_1)
	s_and_not1_b32 vcc_lo, exec_lo, s44
	s_cbranch_vccnz .LBB79_790
; %bb.789:
	v_add_nc_u32_e32 v0, 0x80, v0
	s_mov_b32 s46, -1
	s_branch .LBB79_792
.LBB79_790:
	s_mov_b32 s46, 0
.LBB79_791:
                                        ; implicit-def: $vgpr0
.LBB79_792:
	s_and_not1_b32 s42, s38, exec_lo
	s_and_b32 s0, s0, exec_lo
	s_and_b32 s25, s25, exec_lo
	s_or_b32 s43, s42, s0
	s_and_not1_b32 s0, s39, exec_lo
	s_and_not1_b32 s42, s40, exec_lo
	s_and_b32 s24, s24, exec_lo
	s_or_b32 s44, s0, s25
	s_or_b32 s42, s42, s24
	s_or_not1_b32 s47, s46, exec_lo
.LBB79_793:
	s_wait_xcnt 0x0
	s_or_b32 exec_lo, exec_lo, s45
	s_mov_b32 s25, 0
	s_mov_b32 s46, 0
	;; [unrolled: 1-line block ×3, first 2 shown]
                                        ; implicit-def: $sgpr0
                                        ; implicit-def: $vgpr8_vgpr9
                                        ; implicit-def: $vgpr6
                                        ; implicit-def: $vgpr2
                                        ; implicit-def: $vgpr4
	s_and_saveexec_b32 s45, s47
	s_cbranch_execz .LBB79_1286
; %bb.794:
	s_mov_b32 s51, -1
	s_mov_b32 s47, s42
	s_mov_b32 s49, s44
	;; [unrolled: 1-line block ×3, first 2 shown]
	s_mov_b32 s46, exec_lo
	v_cmpx_gt_i32_e64 s36, v0
	s_cbranch_execz .LBB79_1194
; %bb.795:
	s_and_not1_b32 vcc_lo, exec_lo, s29
	s_cbranch_vccnz .LBB79_801
; %bb.796:
	s_and_not1_b32 vcc_lo, exec_lo, s37
	s_cbranch_vccnz .LBB79_802
; %bb.797:
	v_dual_mov_b32 v2, 0 :: v_dual_mov_b32 v1, v0
	s_wait_loadcnt 0x0
	v_dual_mov_b32 v4, 0 :: v_dual_mov_b32 v6, 0
	s_add_co_i32 s0, s35, 1
	s_mov_b64 s[24:25], 0xffffffffffffffe8
	s_and_b32 s0, s0, 30
	s_add_nc_u64 s[24:25], s[2:3], s[24:25]
.LBB79_798:                             ; =>This Inner Loop Header: Depth=1
	s_clause 0x1
	s_load_b128 s[48:51], s[24:25], 0x1c
	s_load_b64 s[56:57], s[24:25], 0x2c
	s_add_co_i32 s0, s0, -2
	s_delay_alu instid0(SALU_CYCLE_1) | instskip(SKIP_2) | instid1(VALU_DEP_1)
	s_cmp_eq_u32 s0, 0
	s_wait_kmcnt 0x0
	v_mul_hi_u32 v3, s49, v1
	v_add_nc_u32_e32 v3, v1, v3
	s_delay_alu instid0(VALU_DEP_1) | instskip(NEXT) | instid1(VALU_DEP_1)
	v_lshrrev_b32_e32 v3, s50, v3
	v_mul_hi_u32 v5, s56, v3
	v_mul_lo_u32 v7, v3, s48
	s_clause 0x1
	s_load_b128 s[52:55], s[24:25], 0xdc
	s_load_b64 s[48:49], s[24:25], 0xec
	s_wait_xcnt 0x0
	s_add_nc_u64 s[24:25], s[24:25], 24
	s_delay_alu instid0(VALU_DEP_1) | instskip(NEXT) | instid1(VALU_DEP_1)
	v_dual_add_nc_u32 v5, v3, v5 :: v_dual_sub_nc_u32 v7, v1, v7
	v_lshrrev_b32_e32 v1, s57, v5
	s_wait_kmcnt 0x0
	s_delay_alu instid0(VALU_DEP_2) | instskip(NEXT) | instid1(VALU_DEP_2)
	v_mad_u32 v2, v7, s52, v2
	v_mul_lo_u32 v5, v1, s51
	v_mad_u32 v6, v7, s54, v6
	v_mad_u32 v4, v7, s53, v4
	s_delay_alu instid0(VALU_DEP_3) | instskip(NEXT) | instid1(VALU_DEP_1)
	v_sub_nc_u32_e32 v3, v3, v5
	v_mad_u32 v2, v3, s55, v2
	s_delay_alu instid0(VALU_DEP_4) | instskip(NEXT) | instid1(VALU_DEP_4)
	v_mad_u32 v6, v3, s49, v6
	v_mad_u32 v4, v3, s48, v4
	s_cbranch_scc0 .LBB79_798
; %bb.799:
	s_bitcmp1_b32 s35, 0
	s_cselect_b32 s0, -1, 0
	s_delay_alu instid0(SALU_CYCLE_1)
	s_and_b32 vcc_lo, exec_lo, s0
	s_cbranch_vccnz .LBB79_803
; %bb.800:
	s_clause 0x1
	s_load_b96 s[48:50], s[24:25], 0x1c
	s_load_b96 s[52:54], s[24:25], 0xdc
	s_wait_kmcnt 0x0
	v_mul_hi_u32 v3, s49, v1
	s_delay_alu instid0(VALU_DEP_1) | instskip(NEXT) | instid1(VALU_DEP_1)
	v_add_nc_u32_e32 v3, v1, v3
	v_lshrrev_b32_e32 v3, s50, v3
	s_delay_alu instid0(VALU_DEP_1) | instskip(NEXT) | instid1(VALU_DEP_1)
	v_mul_lo_u32 v3, v3, s48
	v_sub_nc_u32_e32 v1, v1, v3
	s_delay_alu instid0(VALU_DEP_1)
	v_mad_u32 v2, v1, s52, v2
	v_mad_u32 v4, v1, s53, v4
	;; [unrolled: 1-line block ×3, first 2 shown]
	s_branch .LBB79_803
.LBB79_801:
	s_mov_b32 s0, -1
                                        ; implicit-def: $vgpr6
                                        ; implicit-def: $vgpr4
                                        ; implicit-def: $vgpr2
	s_branch .LBB79_804
.LBB79_802:
	s_wait_loadcnt 0x0
	v_dual_mov_b32 v6, 0 :: v_dual_mov_b32 v4, 0
	v_mov_b32_e32 v2, 0
.LBB79_803:
	s_mov_b32 s0, 0
.LBB79_804:
	s_delay_alu instid0(SALU_CYCLE_1)
	s_and_not1_b32 vcc_lo, exec_lo, s0
	s_cbranch_vccnz .LBB79_807
; %bb.805:
	v_mov_b32_e32 v1, 0
	s_and_not1_b32 vcc_lo, exec_lo, s34
	s_delay_alu instid0(VALU_DEP_1) | instskip(NEXT) | instid1(VALU_DEP_1)
	v_mul_u64_e32 v[2:3], s[18:19], v[0:1]
	v_add_nc_u32_e32 v2, v0, v3
	s_wait_loadcnt 0x0
	s_delay_alu instid0(VALU_DEP_1) | instskip(NEXT) | instid1(VALU_DEP_1)
	v_lshrrev_b32_e32 v8, s10, v2
	v_mul_lo_u32 v2, v8, s8
	s_delay_alu instid0(VALU_DEP_1) | instskip(NEXT) | instid1(VALU_DEP_1)
	v_sub_nc_u32_e32 v3, v0, v2
	v_mul_lo_u32 v2, v3, s12
	v_mul_lo_u32 v6, v3, s14
	;; [unrolled: 1-line block ×3, first 2 shown]
	s_cbranch_vccnz .LBB79_807
; %bb.806:
	v_mov_b32_e32 v9, v1
	s_delay_alu instid0(VALU_DEP_1) | instskip(NEXT) | instid1(VALU_DEP_1)
	v_mul_u64_e32 v[10:11], s[22:23], v[8:9]
	v_add_nc_u32_e32 v1, v8, v11
	s_delay_alu instid0(VALU_DEP_1) | instskip(NEXT) | instid1(VALU_DEP_1)
	v_lshrrev_b32_e32 v1, s1, v1
	v_mul_lo_u32 v1, v1, s11
	s_delay_alu instid0(VALU_DEP_1) | instskip(NEXT) | instid1(VALU_DEP_1)
	v_sub_nc_u32_e32 v1, v8, v1
	v_mad_u32 v2, v1, s15, v2
	v_mad_u32 v4, v1, s20, v4
	;; [unrolled: 1-line block ×3, first 2 shown]
.LBB79_807:
	s_wait_loadcnt 0x0
	v_mov_b32_e32 v5, 0
	s_and_b32 s0, s33, 0xff
	s_delay_alu instid0(SALU_CYCLE_1) | instskip(NEXT) | instid1(VALU_DEP_1)
	s_cmp_lt_i32 s0, 11
	v_add_nc_u64_e32 v[8:9], s[6:7], v[4:5]
	s_cbranch_scc1 .LBB79_814
; %bb.808:
	s_and_b32 s25, 0xffff, s0
	s_delay_alu instid0(SALU_CYCLE_1)
	s_cmp_gt_i32 s25, 25
	s_cbranch_scc0 .LBB79_815
; %bb.809:
	s_cmp_gt_i32 s25, 28
	s_cbranch_scc0 .LBB79_816
; %bb.810:
	s_cmp_gt_i32 s25, 43
	s_cbranch_scc0 .LBB79_817
; %bb.811:
	s_cmp_gt_i32 s25, 45
	s_cbranch_scc0 .LBB79_818
; %bb.812:
	s_cmp_eq_u32 s25, 46
	s_mov_b32 s48, 0
	s_cbranch_scc0 .LBB79_821
; %bb.813:
	global_load_b32 v1, v[8:9], off
	s_mov_b32 s47, -1
	s_mov_b32 s24, 0
	s_wait_loadcnt 0x0
	v_lshlrev_b32_e32 v1, 16, v1
	s_delay_alu instid0(VALU_DEP_1)
	v_cvt_i32_f32_e32 v4, v1
	s_branch .LBB79_823
.LBB79_814:
	s_mov_b32 s25, -1
	s_mov_b32 s47, 0
	s_mov_b32 s24, s42
                                        ; implicit-def: $vgpr4
	s_branch .LBB79_884
.LBB79_815:
	s_mov_b32 s48, -1
	s_mov_b32 s47, 0
	s_mov_b32 s24, s42
                                        ; implicit-def: $vgpr4
	s_branch .LBB79_850
.LBB79_816:
	s_mov_b32 s48, -1
	s_mov_b32 s47, 0
	s_mov_b32 s24, s42
                                        ; implicit-def: $vgpr4
	s_branch .LBB79_833
.LBB79_817:
	s_mov_b32 s48, -1
	s_mov_b32 s47, 0
	s_mov_b32 s24, s42
                                        ; implicit-def: $vgpr4
	s_branch .LBB79_828
.LBB79_818:
	s_mov_b32 s48, -1
	s_mov_b32 s47, 0
	s_mov_b32 s24, s42
	s_branch .LBB79_822
.LBB79_819:
	s_and_not1_saveexec_b32 s47, s47
	s_cbranch_execz .LBB79_701
.LBB79_820:
	v_add_f32_e64 v5, 0x46000000, |v4|
	s_and_not1_b32 s46, s46, exec_lo
	s_delay_alu instid0(VALU_DEP_1) | instskip(NEXT) | instid1(VALU_DEP_1)
	v_and_b32_e32 v5, 0xff, v5
	v_cmp_ne_u32_e32 vcc_lo, 0, v5
	s_and_b32 s48, vcc_lo, exec_lo
	s_delay_alu instid0(SALU_CYCLE_1)
	s_or_b32 s46, s46, s48
	s_or_b32 exec_lo, exec_lo, s47
	v_mov_b32_e32 v6, 0
	s_and_saveexec_b32 s47, s46
	s_cbranch_execnz .LBB79_702
	s_branch .LBB79_703
.LBB79_821:
	s_mov_b32 s24, -1
	s_mov_b32 s47, 0
.LBB79_822:
                                        ; implicit-def: $vgpr4
.LBB79_823:
	s_and_b32 vcc_lo, exec_lo, s48
	s_cbranch_vccz .LBB79_827
; %bb.824:
	s_cmp_eq_u32 s25, 44
	s_cbranch_scc0 .LBB79_826
; %bb.825:
	global_load_u8 v1, v[8:9], off
	s_mov_b32 s24, 0
	s_mov_b32 s47, -1
	s_wait_loadcnt 0x0
	v_lshlrev_b32_e32 v3, 23, v1
	v_cmp_ne_u32_e32 vcc_lo, 0, v1
	s_delay_alu instid0(VALU_DEP_2) | instskip(NEXT) | instid1(VALU_DEP_1)
	v_cvt_i32_f32_e32 v3, v3
	v_cndmask_b32_e32 v4, 0, v3, vcc_lo
	s_branch .LBB79_827
.LBB79_826:
	s_mov_b32 s24, -1
                                        ; implicit-def: $vgpr4
.LBB79_827:
	s_mov_b32 s48, 0
.LBB79_828:
	s_delay_alu instid0(SALU_CYCLE_1)
	s_and_b32 vcc_lo, exec_lo, s48
	s_cbranch_vccz .LBB79_832
; %bb.829:
	s_cmp_eq_u32 s25, 29
	s_cbranch_scc0 .LBB79_831
; %bb.830:
	global_load_b64 v[4:5], v[8:9], off
	s_mov_b32 s47, -1
	s_mov_b32 s24, 0
	s_branch .LBB79_832
.LBB79_831:
	s_mov_b32 s24, -1
                                        ; implicit-def: $vgpr4
.LBB79_832:
	s_mov_b32 s48, 0
.LBB79_833:
	s_delay_alu instid0(SALU_CYCLE_1)
	s_and_b32 vcc_lo, exec_lo, s48
	s_cbranch_vccz .LBB79_849
; %bb.834:
	s_cmp_lt_i32 s25, 27
	s_cbranch_scc1 .LBB79_837
; %bb.835:
	s_cmp_gt_i32 s25, 27
	s_cbranch_scc0 .LBB79_838
; %bb.836:
	s_wait_loadcnt 0x0
	global_load_b32 v4, v[8:9], off
	s_mov_b32 s47, 0
	s_branch .LBB79_839
.LBB79_837:
	s_mov_b32 s47, -1
                                        ; implicit-def: $vgpr4
	s_branch .LBB79_842
.LBB79_838:
	s_mov_b32 s47, -1
                                        ; implicit-def: $vgpr4
.LBB79_839:
	s_delay_alu instid0(SALU_CYCLE_1)
	s_and_not1_b32 vcc_lo, exec_lo, s47
	s_cbranch_vccnz .LBB79_841
; %bb.840:
	s_wait_loadcnt 0x0
	global_load_u16 v4, v[8:9], off
.LBB79_841:
	s_mov_b32 s47, 0
.LBB79_842:
	s_delay_alu instid0(SALU_CYCLE_1)
	s_and_not1_b32 vcc_lo, exec_lo, s47
	s_cbranch_vccnz .LBB79_848
; %bb.843:
	global_load_u8 v1, v[8:9], off
	s_mov_b32 s48, 0
	s_mov_b32 s47, exec_lo
	s_wait_loadcnt 0x0
	v_cmpx_lt_i16_e32 0x7f, v1
	s_xor_b32 s47, exec_lo, s47
	s_cbranch_execz .LBB79_860
; %bb.844:
	v_cmp_ne_u16_e32 vcc_lo, 0x80, v1
	s_and_b32 s48, vcc_lo, exec_lo
	s_and_not1_saveexec_b32 s47, s47
	s_cbranch_execnz .LBB79_861
.LBB79_845:
	s_or_b32 exec_lo, exec_lo, s47
	v_mov_b32_e32 v4, 0
	s_and_saveexec_b32 s47, s48
	s_cbranch_execz .LBB79_847
.LBB79_846:
	v_and_b32_e32 v3, 0xffff, v1
	s_delay_alu instid0(VALU_DEP_1) | instskip(SKIP_1) | instid1(VALU_DEP_2)
	v_and_b32_e32 v4, 7, v3
	v_bfe_u32 v10, v3, 3, 4
	v_clz_i32_u32_e32 v5, v4
	s_delay_alu instid0(VALU_DEP_2) | instskip(NEXT) | instid1(VALU_DEP_2)
	v_cmp_eq_u32_e32 vcc_lo, 0, v10
	v_min_u32_e32 v5, 32, v5
	s_delay_alu instid0(VALU_DEP_1) | instskip(NEXT) | instid1(VALU_DEP_1)
	v_subrev_nc_u32_e32 v7, 28, v5
	v_dual_lshlrev_b32 v3, v7, v3 :: v_dual_sub_nc_u32 v5, 29, v5
	s_delay_alu instid0(VALU_DEP_1) | instskip(NEXT) | instid1(VALU_DEP_1)
	v_dual_lshlrev_b32 v1, 24, v1 :: v_dual_bitop2_b32 v3, 7, v3 bitop3:0x40
	v_dual_cndmask_b32 v3, v4, v3, vcc_lo :: v_dual_cndmask_b32 v5, v10, v5, vcc_lo
	s_delay_alu instid0(VALU_DEP_2) | instskip(NEXT) | instid1(VALU_DEP_2)
	v_and_b32_e32 v1, 0x80000000, v1
	v_lshlrev_b32_e32 v3, 20, v3
	s_delay_alu instid0(VALU_DEP_3) | instskip(NEXT) | instid1(VALU_DEP_1)
	v_lshl_add_u32 v4, v5, 23, 0x3b800000
	v_or3_b32 v1, v1, v4, v3
	s_delay_alu instid0(VALU_DEP_1)
	v_cvt_i32_f32_e32 v4, v1
.LBB79_847:
	s_or_b32 exec_lo, exec_lo, s47
.LBB79_848:
	s_mov_b32 s47, -1
.LBB79_849:
	s_mov_b32 s48, 0
.LBB79_850:
	s_delay_alu instid0(SALU_CYCLE_1)
	s_and_b32 vcc_lo, exec_lo, s48
	s_cbranch_vccz .LBB79_883
; %bb.851:
	s_cmp_gt_i32 s25, 22
	s_cbranch_scc0 .LBB79_859
; %bb.852:
	s_cmp_lt_i32 s25, 24
	s_cbranch_scc1 .LBB79_862
; %bb.853:
	s_cmp_gt_i32 s25, 24
	s_cbranch_scc0 .LBB79_863
; %bb.854:
	global_load_u8 v1, v[8:9], off
	s_mov_b32 s48, 0
	s_mov_b32 s47, exec_lo
	s_wait_loadcnt 0x0
	v_cmpx_lt_i16_e32 0x7f, v1
	s_xor_b32 s47, exec_lo, s47
	s_cbranch_execz .LBB79_875
; %bb.855:
	v_cmp_ne_u16_e32 vcc_lo, 0x80, v1
	s_and_b32 s48, vcc_lo, exec_lo
	s_and_not1_saveexec_b32 s47, s47
	s_cbranch_execnz .LBB79_876
.LBB79_856:
	s_or_b32 exec_lo, exec_lo, s47
	v_mov_b32_e32 v4, 0
	s_and_saveexec_b32 s47, s48
	s_cbranch_execz .LBB79_858
.LBB79_857:
	v_and_b32_e32 v3, 0xffff, v1
	s_delay_alu instid0(VALU_DEP_1) | instskip(SKIP_1) | instid1(VALU_DEP_2)
	v_and_b32_e32 v4, 3, v3
	v_bfe_u32 v10, v3, 2, 5
	v_clz_i32_u32_e32 v5, v4
	s_delay_alu instid0(VALU_DEP_2) | instskip(NEXT) | instid1(VALU_DEP_2)
	v_cmp_eq_u32_e32 vcc_lo, 0, v10
	v_min_u32_e32 v5, 32, v5
	s_delay_alu instid0(VALU_DEP_1) | instskip(NEXT) | instid1(VALU_DEP_1)
	v_subrev_nc_u32_e32 v7, 29, v5
	v_dual_lshlrev_b32 v3, v7, v3 :: v_dual_sub_nc_u32 v5, 30, v5
	s_delay_alu instid0(VALU_DEP_1) | instskip(NEXT) | instid1(VALU_DEP_1)
	v_dual_lshlrev_b32 v1, 24, v1 :: v_dual_bitop2_b32 v3, 3, v3 bitop3:0x40
	v_dual_cndmask_b32 v3, v4, v3, vcc_lo :: v_dual_cndmask_b32 v5, v10, v5, vcc_lo
	s_delay_alu instid0(VALU_DEP_2) | instskip(NEXT) | instid1(VALU_DEP_2)
	v_and_b32_e32 v1, 0x80000000, v1
	v_lshlrev_b32_e32 v3, 21, v3
	s_delay_alu instid0(VALU_DEP_3) | instskip(NEXT) | instid1(VALU_DEP_1)
	v_lshl_add_u32 v4, v5, 23, 0x37800000
	v_or3_b32 v1, v1, v4, v3
	s_delay_alu instid0(VALU_DEP_1)
	v_cvt_i32_f32_e32 v4, v1
.LBB79_858:
	s_or_b32 exec_lo, exec_lo, s47
	s_mov_b32 s47, 0
	s_branch .LBB79_864
.LBB79_859:
	s_mov_b32 s48, -1
                                        ; implicit-def: $vgpr4
	s_branch .LBB79_870
.LBB79_860:
	s_and_not1_saveexec_b32 s47, s47
	s_cbranch_execz .LBB79_845
.LBB79_861:
	v_cmp_ne_u16_e32 vcc_lo, 0, v1
	s_and_not1_b32 s48, s48, exec_lo
	s_and_b32 s49, vcc_lo, exec_lo
	s_delay_alu instid0(SALU_CYCLE_1)
	s_or_b32 s48, s48, s49
	s_or_b32 exec_lo, exec_lo, s47
	v_mov_b32_e32 v4, 0
	s_and_saveexec_b32 s47, s48
	s_cbranch_execnz .LBB79_846
	s_branch .LBB79_847
.LBB79_862:
	s_mov_b32 s47, -1
                                        ; implicit-def: $vgpr4
	s_branch .LBB79_867
.LBB79_863:
	s_mov_b32 s47, -1
                                        ; implicit-def: $vgpr4
.LBB79_864:
	s_delay_alu instid0(SALU_CYCLE_1)
	s_and_b32 vcc_lo, exec_lo, s47
	s_cbranch_vccz .LBB79_866
; %bb.865:
	global_load_u8 v1, v[8:9], off
	s_wait_loadcnt 0x0
	v_lshlrev_b32_e32 v1, 24, v1
	s_delay_alu instid0(VALU_DEP_1) | instskip(NEXT) | instid1(VALU_DEP_1)
	v_and_b32_e32 v3, 0x7f000000, v1
	v_clz_i32_u32_e32 v4, v3
	v_add_nc_u32_e32 v7, 0x1000000, v3
	v_cmp_ne_u32_e32 vcc_lo, 0, v3
	s_delay_alu instid0(VALU_DEP_3) | instskip(NEXT) | instid1(VALU_DEP_1)
	v_min_u32_e32 v4, 32, v4
	v_sub_nc_u32_e64 v4, v4, 4 clamp
	s_delay_alu instid0(VALU_DEP_1) | instskip(NEXT) | instid1(VALU_DEP_1)
	v_dual_lshlrev_b32 v5, v4, v3 :: v_dual_lshlrev_b32 v4, 23, v4
	v_lshrrev_b32_e32 v5, 4, v5
	s_delay_alu instid0(VALU_DEP_1) | instskip(NEXT) | instid1(VALU_DEP_1)
	v_dual_sub_nc_u32 v4, v5, v4 :: v_dual_ashrrev_i32 v5, 8, v7
	v_add_nc_u32_e32 v4, 0x3c000000, v4
	s_delay_alu instid0(VALU_DEP_1) | instskip(NEXT) | instid1(VALU_DEP_1)
	v_and_or_b32 v4, 0x7f800000, v5, v4
	v_cndmask_b32_e32 v3, 0, v4, vcc_lo
	s_delay_alu instid0(VALU_DEP_1) | instskip(NEXT) | instid1(VALU_DEP_1)
	v_and_or_b32 v1, 0x80000000, v1, v3
	v_cvt_i32_f32_e32 v4, v1
.LBB79_866:
	s_mov_b32 s47, 0
.LBB79_867:
	s_delay_alu instid0(SALU_CYCLE_1)
	s_and_not1_b32 vcc_lo, exec_lo, s47
	s_cbranch_vccnz .LBB79_869
; %bb.868:
	global_load_u8 v1, v[8:9], off
	s_wait_loadcnt 0x0
	v_lshlrev_b32_e32 v3, 25, v1
	v_lshlrev_b16 v1, 8, v1
	s_delay_alu instid0(VALU_DEP_1) | instskip(NEXT) | instid1(VALU_DEP_3)
	v_and_or_b32 v5, 0x7f00, v1, 0.5
	v_lshrrev_b32_e32 v4, 4, v3
	v_bfe_i32 v1, v1, 0, 16
	s_delay_alu instid0(VALU_DEP_3) | instskip(NEXT) | instid1(VALU_DEP_3)
	v_add_f32_e32 v5, -0.5, v5
	v_or_b32_e32 v4, 0x70000000, v4
	s_delay_alu instid0(VALU_DEP_1) | instskip(SKIP_1) | instid1(VALU_DEP_2)
	v_mul_f32_e32 v4, 0x7800000, v4
	v_cmp_gt_u32_e32 vcc_lo, 0x8000000, v3
	v_cndmask_b32_e32 v3, v4, v5, vcc_lo
	s_delay_alu instid0(VALU_DEP_1) | instskip(NEXT) | instid1(VALU_DEP_1)
	v_and_or_b32 v1, 0x80000000, v1, v3
	v_cvt_i32_f32_e32 v4, v1
.LBB79_869:
	s_mov_b32 s48, 0
	s_mov_b32 s47, -1
.LBB79_870:
	s_and_not1_b32 vcc_lo, exec_lo, s48
	s_cbranch_vccnz .LBB79_883
; %bb.871:
	s_cmp_gt_i32 s25, 14
	s_cbranch_scc0 .LBB79_874
; %bb.872:
	s_cmp_eq_u32 s25, 15
	s_cbranch_scc0 .LBB79_877
; %bb.873:
	global_load_u16 v1, v[8:9], off
	s_mov_b32 s47, -1
	s_mov_b32 s24, 0
	s_wait_loadcnt 0x0
	v_lshlrev_b32_e32 v1, 16, v1
	s_delay_alu instid0(VALU_DEP_1)
	v_cvt_i32_f32_e32 v4, v1
	s_branch .LBB79_878
.LBB79_874:
	s_mov_b32 s48, -1
                                        ; implicit-def: $vgpr4
	s_branch .LBB79_879
.LBB79_875:
	s_and_not1_saveexec_b32 s47, s47
	s_cbranch_execz .LBB79_856
.LBB79_876:
	v_cmp_ne_u16_e32 vcc_lo, 0, v1
	s_and_not1_b32 s48, s48, exec_lo
	s_and_b32 s49, vcc_lo, exec_lo
	s_delay_alu instid0(SALU_CYCLE_1)
	s_or_b32 s48, s48, s49
	s_or_b32 exec_lo, exec_lo, s47
	v_mov_b32_e32 v4, 0
	s_and_saveexec_b32 s47, s48
	s_cbranch_execnz .LBB79_857
	s_branch .LBB79_858
.LBB79_877:
	s_mov_b32 s24, -1
                                        ; implicit-def: $vgpr4
.LBB79_878:
	s_mov_b32 s48, 0
.LBB79_879:
	s_delay_alu instid0(SALU_CYCLE_1)
	s_and_b32 vcc_lo, exec_lo, s48
	s_cbranch_vccz .LBB79_883
; %bb.880:
	s_cmp_eq_u32 s25, 11
	s_cbranch_scc0 .LBB79_882
; %bb.881:
	global_load_u8 v1, v[8:9], off
	s_mov_b32 s24, 0
	s_mov_b32 s47, -1
	s_wait_loadcnt 0x0
	v_cmp_ne_u16_e32 vcc_lo, 0, v1
	v_cndmask_b32_e64 v4, 0, 1, vcc_lo
	s_branch .LBB79_883
.LBB79_882:
	s_mov_b32 s24, -1
                                        ; implicit-def: $vgpr4
.LBB79_883:
	s_mov_b32 s25, 0
.LBB79_884:
	s_delay_alu instid0(SALU_CYCLE_1)
	s_and_b32 vcc_lo, exec_lo, s25
	s_cbranch_vccz .LBB79_933
; %bb.885:
	s_and_b32 s0, 0xffff, s0
	s_delay_alu instid0(SALU_CYCLE_1)
	s_cmp_lt_i32 s0, 5
	s_cbranch_scc1 .LBB79_890
; %bb.886:
	s_cmp_lt_i32 s0, 8
	s_cbranch_scc1 .LBB79_891
; %bb.887:
	;; [unrolled: 3-line block ×3, first 2 shown]
	s_cmp_gt_i32 s0, 9
	s_cbranch_scc0 .LBB79_893
; %bb.889:
	s_wait_loadcnt 0x0
	global_load_b64 v[4:5], v[8:9], off
	s_mov_b32 s25, 0
	s_wait_loadcnt 0x0
	v_cvt_i32_f64_e32 v4, v[4:5]
	s_branch .LBB79_894
.LBB79_890:
	s_mov_b32 s25, -1
                                        ; implicit-def: $vgpr4
	s_branch .LBB79_912
.LBB79_891:
	s_mov_b32 s25, -1
                                        ; implicit-def: $vgpr4
	s_branch .LBB79_900
.LBB79_892:
	s_mov_b32 s25, -1
                                        ; implicit-def: $vgpr4
	s_branch .LBB79_897
.LBB79_893:
	s_mov_b32 s25, -1
                                        ; implicit-def: $vgpr4
.LBB79_894:
	s_delay_alu instid0(SALU_CYCLE_1)
	s_and_not1_b32 vcc_lo, exec_lo, s25
	s_cbranch_vccnz .LBB79_896
; %bb.895:
	global_load_b32 v1, v[8:9], off
	s_wait_loadcnt 0x0
	v_cvt_i32_f32_e32 v4, v1
.LBB79_896:
	s_mov_b32 s25, 0
.LBB79_897:
	s_delay_alu instid0(SALU_CYCLE_1)
	s_and_not1_b32 vcc_lo, exec_lo, s25
	s_cbranch_vccnz .LBB79_899
; %bb.898:
	global_load_b32 v1, v[8:9], off
	s_wait_loadcnt 0x0
	v_cvt_i16_f16_e32 v4, v1
.LBB79_899:
	s_mov_b32 s25, 0
.LBB79_900:
	s_delay_alu instid0(SALU_CYCLE_1)
	s_and_not1_b32 vcc_lo, exec_lo, s25
	s_cbranch_vccnz .LBB79_911
; %bb.901:
	s_cmp_lt_i32 s0, 6
	s_cbranch_scc1 .LBB79_904
; %bb.902:
	s_cmp_gt_i32 s0, 6
	s_cbranch_scc0 .LBB79_905
; %bb.903:
	s_wait_loadcnt 0x0
	global_load_b64 v[4:5], v[8:9], off
	s_mov_b32 s25, 0
	s_wait_loadcnt 0x0
	v_cvt_i32_f64_e32 v4, v[4:5]
	s_branch .LBB79_906
.LBB79_904:
	s_mov_b32 s25, -1
                                        ; implicit-def: $vgpr4
	s_branch .LBB79_909
.LBB79_905:
	s_mov_b32 s25, -1
                                        ; implicit-def: $vgpr4
.LBB79_906:
	s_delay_alu instid0(SALU_CYCLE_1)
	s_and_not1_b32 vcc_lo, exec_lo, s25
	s_cbranch_vccnz .LBB79_908
; %bb.907:
	global_load_b32 v1, v[8:9], off
	s_wait_loadcnt 0x0
	v_cvt_i32_f32_e32 v4, v1
.LBB79_908:
	s_mov_b32 s25, 0
.LBB79_909:
	s_delay_alu instid0(SALU_CYCLE_1)
	s_and_not1_b32 vcc_lo, exec_lo, s25
	s_cbranch_vccnz .LBB79_911
; %bb.910:
	global_load_u16 v1, v[8:9], off
	s_wait_loadcnt 0x0
	v_cvt_i16_f16_e32 v4, v1
.LBB79_911:
	s_mov_b32 s25, 0
.LBB79_912:
	s_delay_alu instid0(SALU_CYCLE_1)
	s_and_not1_b32 vcc_lo, exec_lo, s25
	s_cbranch_vccnz .LBB79_932
; %bb.913:
	s_cmp_lt_i32 s0, 2
	s_cbranch_scc1 .LBB79_917
; %bb.914:
	s_cmp_lt_i32 s0, 3
	s_cbranch_scc1 .LBB79_918
; %bb.915:
	s_cmp_gt_i32 s0, 3
	s_cbranch_scc0 .LBB79_919
; %bb.916:
	s_wait_loadcnt 0x0
	global_load_b64 v[4:5], v[8:9], off
	s_mov_b32 s25, 0
	s_branch .LBB79_920
.LBB79_917:
	s_mov_b32 s25, -1
                                        ; implicit-def: $vgpr4
	s_branch .LBB79_926
.LBB79_918:
	s_mov_b32 s25, -1
                                        ; implicit-def: $vgpr4
	s_branch .LBB79_923
.LBB79_919:
	s_mov_b32 s25, -1
                                        ; implicit-def: $vgpr4
.LBB79_920:
	s_delay_alu instid0(SALU_CYCLE_1)
	s_and_not1_b32 vcc_lo, exec_lo, s25
	s_cbranch_vccnz .LBB79_922
; %bb.921:
	s_wait_loadcnt 0x0
	global_load_b32 v4, v[8:9], off
.LBB79_922:
	s_mov_b32 s25, 0
.LBB79_923:
	s_delay_alu instid0(SALU_CYCLE_1)
	s_and_not1_b32 vcc_lo, exec_lo, s25
	s_cbranch_vccnz .LBB79_925
; %bb.924:
	s_wait_loadcnt 0x0
	global_load_u16 v4, v[8:9], off
.LBB79_925:
	s_mov_b32 s25, 0
.LBB79_926:
	s_delay_alu instid0(SALU_CYCLE_1)
	s_and_not1_b32 vcc_lo, exec_lo, s25
	s_cbranch_vccnz .LBB79_932
; %bb.927:
	s_cmp_gt_i32 s0, 0
	s_mov_b32 s0, 0
	s_cbranch_scc0 .LBB79_929
; %bb.928:
	s_wait_loadcnt 0x0
	global_load_i8 v4, v[8:9], off
	s_branch .LBB79_930
.LBB79_929:
	s_mov_b32 s0, -1
                                        ; implicit-def: $vgpr4
.LBB79_930:
	s_delay_alu instid0(SALU_CYCLE_1)
	s_and_not1_b32 vcc_lo, exec_lo, s0
	s_cbranch_vccnz .LBB79_932
; %bb.931:
	s_wait_loadcnt 0x0
	global_load_u8 v4, v[8:9], off
.LBB79_932:
	s_mov_b32 s47, -1
.LBB79_933:
	s_delay_alu instid0(SALU_CYCLE_1)
	s_and_not1_b32 vcc_lo, exec_lo, s47
	s_cbranch_vccnz .LBB79_941
; %bb.934:
	v_mov_b32_e32 v7, 0
	s_and_b32 s0, s9, 0xff
	s_delay_alu instid0(SALU_CYCLE_1) | instskip(NEXT) | instid1(VALU_DEP_1)
	s_cmp_lt_i32 s0, 11
	v_add_nc_u64_e32 v[6:7], s[16:17], v[6:7]
	s_cbranch_scc1 .LBB79_942
; %bb.935:
	s_and_b32 s47, 0xffff, s0
	s_delay_alu instid0(SALU_CYCLE_1)
	s_cmp_gt_i32 s47, 25
	s_cbranch_scc0 .LBB79_943
; %bb.936:
	s_cmp_gt_i32 s47, 28
	s_cbranch_scc0 .LBB79_944
; %bb.937:
	;; [unrolled: 3-line block ×4, first 2 shown]
	s_cmp_eq_u32 s47, 46
	s_mov_b32 s49, 0
	s_cbranch_scc0 .LBB79_949
; %bb.940:
	global_load_b32 v1, v[6:7], off
	s_mov_b32 s48, -1
	s_mov_b32 s25, 0
	s_wait_loadcnt 0x0
	v_lshlrev_b32_e32 v1, 16, v1
	s_wait_xcnt 0x1
	s_delay_alu instid0(VALU_DEP_1)
	v_cvt_i32_f32_e32 v8, v1
	s_branch .LBB79_951
.LBB79_941:
	s_mov_b32 s50, 0
	s_mov_b32 s0, s43
	;; [unrolled: 1-line block ×3, first 2 shown]
	s_branch .LBB79_1192
.LBB79_942:
	s_mov_b32 s47, -1
	s_mov_b32 s48, 0
	s_mov_b32 s25, s44
                                        ; implicit-def: $vgpr8
	s_branch .LBB79_1012
.LBB79_943:
	s_mov_b32 s49, -1
	s_mov_b32 s48, 0
	s_mov_b32 s25, s44
                                        ; implicit-def: $vgpr8
	s_branch .LBB79_978
.LBB79_944:
	s_mov_b32 s49, -1
	s_mov_b32 s48, 0
	s_mov_b32 s25, s44
                                        ; implicit-def: $vgpr8
	s_branch .LBB79_961
.LBB79_945:
	s_mov_b32 s49, -1
	s_mov_b32 s48, 0
	s_mov_b32 s25, s44
                                        ; implicit-def: $vgpr8
	s_branch .LBB79_956
.LBB79_946:
	s_mov_b32 s49, -1
	s_mov_b32 s48, 0
	s_mov_b32 s25, s44
	s_branch .LBB79_950
.LBB79_947:
	s_and_not1_saveexec_b32 s47, s47
	s_cbranch_execz .LBB79_714
.LBB79_948:
	v_add_f32_e64 v5, 0x42800000, |v4|
	s_and_not1_b32 s46, s46, exec_lo
	s_delay_alu instid0(VALU_DEP_1) | instskip(NEXT) | instid1(VALU_DEP_1)
	v_and_b32_e32 v5, 0xff, v5
	v_cmp_ne_u32_e32 vcc_lo, 0, v5
	s_and_b32 s48, vcc_lo, exec_lo
	s_delay_alu instid0(SALU_CYCLE_1)
	s_or_b32 s46, s46, s48
	s_or_b32 exec_lo, exec_lo, s47
	v_mov_b32_e32 v6, 0
	s_and_saveexec_b32 s47, s46
	s_cbranch_execnz .LBB79_715
	s_branch .LBB79_716
.LBB79_949:
	s_mov_b32 s25, -1
	s_mov_b32 s48, 0
.LBB79_950:
                                        ; implicit-def: $vgpr8
.LBB79_951:
	s_and_b32 vcc_lo, exec_lo, s49
	s_cbranch_vccz .LBB79_955
; %bb.952:
	s_cmp_eq_u32 s47, 44
	s_cbranch_scc0 .LBB79_954
; %bb.953:
	global_load_u8 v1, v[6:7], off
	s_mov_b32 s25, 0
	s_mov_b32 s48, -1
	s_wait_loadcnt 0x0
	v_lshlrev_b32_e32 v3, 23, v1
	v_cmp_ne_u32_e32 vcc_lo, 0, v1
	s_delay_alu instid0(VALU_DEP_2) | instskip(SKIP_1) | instid1(VALU_DEP_1)
	v_cvt_i32_f32_e32 v3, v3
	s_wait_xcnt 0x1
	v_cndmask_b32_e32 v8, 0, v3, vcc_lo
	s_branch .LBB79_955
.LBB79_954:
	s_mov_b32 s25, -1
                                        ; implicit-def: $vgpr8
.LBB79_955:
	s_mov_b32 s49, 0
.LBB79_956:
	s_delay_alu instid0(SALU_CYCLE_1)
	s_and_b32 vcc_lo, exec_lo, s49
	s_cbranch_vccz .LBB79_960
; %bb.957:
	s_cmp_eq_u32 s47, 29
	s_cbranch_scc0 .LBB79_959
; %bb.958:
	global_load_b64 v[8:9], v[6:7], off
	s_mov_b32 s48, -1
	s_mov_b32 s25, 0
	s_branch .LBB79_960
.LBB79_959:
	s_mov_b32 s25, -1
                                        ; implicit-def: $vgpr8
.LBB79_960:
	s_mov_b32 s49, 0
.LBB79_961:
	s_delay_alu instid0(SALU_CYCLE_1)
	s_and_b32 vcc_lo, exec_lo, s49
	s_cbranch_vccz .LBB79_977
; %bb.962:
	s_cmp_lt_i32 s47, 27
	s_cbranch_scc1 .LBB79_965
; %bb.963:
	s_cmp_gt_i32 s47, 27
	s_cbranch_scc0 .LBB79_966
; %bb.964:
	s_wait_loadcnt 0x0
	global_load_b32 v8, v[6:7], off
	s_mov_b32 s48, 0
	s_branch .LBB79_967
.LBB79_965:
	s_mov_b32 s48, -1
                                        ; implicit-def: $vgpr8
	s_branch .LBB79_970
.LBB79_966:
	s_mov_b32 s48, -1
                                        ; implicit-def: $vgpr8
.LBB79_967:
	s_delay_alu instid0(SALU_CYCLE_1)
	s_and_not1_b32 vcc_lo, exec_lo, s48
	s_cbranch_vccnz .LBB79_969
; %bb.968:
	s_wait_loadcnt 0x0
	global_load_u16 v8, v[6:7], off
.LBB79_969:
	s_mov_b32 s48, 0
.LBB79_970:
	s_delay_alu instid0(SALU_CYCLE_1)
	s_and_not1_b32 vcc_lo, exec_lo, s48
	s_cbranch_vccnz .LBB79_976
; %bb.971:
	global_load_u8 v1, v[6:7], off
	s_mov_b32 s49, 0
	s_mov_b32 s48, exec_lo
	s_wait_loadcnt 0x0
	v_cmpx_lt_i16_e32 0x7f, v1
	s_xor_b32 s48, exec_lo, s48
	s_cbranch_execz .LBB79_988
; %bb.972:
	v_cmp_ne_u16_e32 vcc_lo, 0x80, v1
	s_and_b32 s49, vcc_lo, exec_lo
	s_and_not1_saveexec_b32 s48, s48
	s_cbranch_execnz .LBB79_989
.LBB79_973:
	s_or_b32 exec_lo, exec_lo, s48
	v_mov_b32_e32 v8, 0
	s_and_saveexec_b32 s48, s49
	s_cbranch_execz .LBB79_975
.LBB79_974:
	v_and_b32_e32 v3, 0xffff, v1
	s_delay_alu instid0(VALU_DEP_1) | instskip(SKIP_1) | instid1(VALU_DEP_2)
	v_and_b32_e32 v5, 7, v3
	v_bfe_u32 v10, v3, 3, 4
	v_clz_i32_u32_e32 v8, v5
	s_delay_alu instid0(VALU_DEP_2) | instskip(NEXT) | instid1(VALU_DEP_2)
	v_cmp_eq_u32_e32 vcc_lo, 0, v10
	v_min_u32_e32 v8, 32, v8
	s_delay_alu instid0(VALU_DEP_1) | instskip(NEXT) | instid1(VALU_DEP_1)
	v_subrev_nc_u32_e32 v9, 28, v8
	v_dual_lshlrev_b32 v3, v9, v3 :: v_dual_sub_nc_u32 v8, 29, v8
	s_delay_alu instid0(VALU_DEP_1) | instskip(NEXT) | instid1(VALU_DEP_1)
	v_dual_lshlrev_b32 v1, 24, v1 :: v_dual_bitop2_b32 v3, 7, v3 bitop3:0x40
	v_dual_cndmask_b32 v8, v10, v8 :: v_dual_cndmask_b32 v3, v5, v3
	s_delay_alu instid0(VALU_DEP_2) | instskip(NEXT) | instid1(VALU_DEP_2)
	v_and_b32_e32 v1, 0x80000000, v1
	v_lshl_add_u32 v5, v8, 23, 0x3b800000
	s_delay_alu instid0(VALU_DEP_3) | instskip(NEXT) | instid1(VALU_DEP_1)
	v_lshlrev_b32_e32 v3, 20, v3
	v_or3_b32 v1, v1, v5, v3
	s_delay_alu instid0(VALU_DEP_1)
	v_cvt_i32_f32_e32 v8, v1
.LBB79_975:
	s_or_b32 exec_lo, exec_lo, s48
.LBB79_976:
	s_mov_b32 s48, -1
.LBB79_977:
	s_mov_b32 s49, 0
.LBB79_978:
	s_delay_alu instid0(SALU_CYCLE_1)
	s_and_b32 vcc_lo, exec_lo, s49
	s_cbranch_vccz .LBB79_1011
; %bb.979:
	s_cmp_gt_i32 s47, 22
	s_cbranch_scc0 .LBB79_987
; %bb.980:
	s_cmp_lt_i32 s47, 24
	s_cbranch_scc1 .LBB79_990
; %bb.981:
	s_cmp_gt_i32 s47, 24
	s_cbranch_scc0 .LBB79_991
; %bb.982:
	global_load_u8 v1, v[6:7], off
	s_mov_b32 s49, 0
	s_mov_b32 s48, exec_lo
	s_wait_loadcnt 0x0
	v_cmpx_lt_i16_e32 0x7f, v1
	s_xor_b32 s48, exec_lo, s48
	s_cbranch_execz .LBB79_1003
; %bb.983:
	v_cmp_ne_u16_e32 vcc_lo, 0x80, v1
	s_and_b32 s49, vcc_lo, exec_lo
	s_and_not1_saveexec_b32 s48, s48
	s_cbranch_execnz .LBB79_1004
.LBB79_984:
	s_or_b32 exec_lo, exec_lo, s48
	v_mov_b32_e32 v8, 0
	s_and_saveexec_b32 s48, s49
	s_cbranch_execz .LBB79_986
.LBB79_985:
	v_and_b32_e32 v3, 0xffff, v1
	s_delay_alu instid0(VALU_DEP_1) | instskip(SKIP_1) | instid1(VALU_DEP_2)
	v_and_b32_e32 v5, 3, v3
	v_bfe_u32 v10, v3, 2, 5
	v_clz_i32_u32_e32 v8, v5
	s_delay_alu instid0(VALU_DEP_2) | instskip(NEXT) | instid1(VALU_DEP_2)
	v_cmp_eq_u32_e32 vcc_lo, 0, v10
	v_min_u32_e32 v8, 32, v8
	s_delay_alu instid0(VALU_DEP_1) | instskip(NEXT) | instid1(VALU_DEP_1)
	v_subrev_nc_u32_e32 v9, 29, v8
	v_dual_lshlrev_b32 v3, v9, v3 :: v_dual_sub_nc_u32 v8, 30, v8
	s_delay_alu instid0(VALU_DEP_1) | instskip(NEXT) | instid1(VALU_DEP_1)
	v_dual_lshlrev_b32 v1, 24, v1 :: v_dual_bitop2_b32 v3, 3, v3 bitop3:0x40
	v_dual_cndmask_b32 v8, v10, v8 :: v_dual_cndmask_b32 v3, v5, v3
	s_delay_alu instid0(VALU_DEP_2) | instskip(NEXT) | instid1(VALU_DEP_2)
	v_and_b32_e32 v1, 0x80000000, v1
	v_lshl_add_u32 v5, v8, 23, 0x37800000
	s_delay_alu instid0(VALU_DEP_3) | instskip(NEXT) | instid1(VALU_DEP_1)
	v_lshlrev_b32_e32 v3, 21, v3
	v_or3_b32 v1, v1, v5, v3
	s_delay_alu instid0(VALU_DEP_1)
	v_cvt_i32_f32_e32 v8, v1
.LBB79_986:
	s_or_b32 exec_lo, exec_lo, s48
	s_mov_b32 s48, 0
	s_branch .LBB79_992
.LBB79_987:
	s_mov_b32 s49, -1
                                        ; implicit-def: $vgpr8
	s_branch .LBB79_998
.LBB79_988:
	s_and_not1_saveexec_b32 s48, s48
	s_cbranch_execz .LBB79_973
.LBB79_989:
	v_cmp_ne_u16_e32 vcc_lo, 0, v1
	s_and_not1_b32 s49, s49, exec_lo
	s_and_b32 s50, vcc_lo, exec_lo
	s_delay_alu instid0(SALU_CYCLE_1)
	s_or_b32 s49, s49, s50
	s_or_b32 exec_lo, exec_lo, s48
	v_mov_b32_e32 v8, 0
	s_and_saveexec_b32 s48, s49
	s_cbranch_execnz .LBB79_974
	s_branch .LBB79_975
.LBB79_990:
	s_mov_b32 s48, -1
                                        ; implicit-def: $vgpr8
	s_branch .LBB79_995
.LBB79_991:
	s_mov_b32 s48, -1
                                        ; implicit-def: $vgpr8
.LBB79_992:
	s_delay_alu instid0(SALU_CYCLE_1)
	s_and_b32 vcc_lo, exec_lo, s48
	s_cbranch_vccz .LBB79_994
; %bb.993:
	global_load_u8 v1, v[6:7], off
	s_wait_loadcnt 0x0
	v_lshlrev_b32_e32 v1, 24, v1
	s_delay_alu instid0(VALU_DEP_1) | instskip(NEXT) | instid1(VALU_DEP_1)
	v_and_b32_e32 v3, 0x7f000000, v1
	v_clz_i32_u32_e32 v5, v3
	s_wait_xcnt 0x1
	v_add_nc_u32_e32 v9, 0x1000000, v3
	v_cmp_ne_u32_e32 vcc_lo, 0, v3
	s_delay_alu instid0(VALU_DEP_3) | instskip(NEXT) | instid1(VALU_DEP_1)
	v_min_u32_e32 v5, 32, v5
	v_sub_nc_u32_e64 v5, v5, 4 clamp
	s_delay_alu instid0(VALU_DEP_1) | instskip(NEXT) | instid1(VALU_DEP_1)
	v_dual_lshlrev_b32 v8, v5, v3 :: v_dual_lshlrev_b32 v5, 23, v5
	v_lshrrev_b32_e32 v8, 4, v8
	s_delay_alu instid0(VALU_DEP_1) | instskip(SKIP_1) | instid1(VALU_DEP_2)
	v_sub_nc_u32_e32 v5, v8, v5
	v_ashrrev_i32_e32 v8, 8, v9
	v_add_nc_u32_e32 v5, 0x3c000000, v5
	s_delay_alu instid0(VALU_DEP_1) | instskip(NEXT) | instid1(VALU_DEP_1)
	v_and_or_b32 v5, 0x7f800000, v8, v5
	v_cndmask_b32_e32 v3, 0, v5, vcc_lo
	s_delay_alu instid0(VALU_DEP_1) | instskip(NEXT) | instid1(VALU_DEP_1)
	v_and_or_b32 v1, 0x80000000, v1, v3
	v_cvt_i32_f32_e32 v8, v1
.LBB79_994:
	s_mov_b32 s48, 0
.LBB79_995:
	s_delay_alu instid0(SALU_CYCLE_1)
	s_and_not1_b32 vcc_lo, exec_lo, s48
	s_cbranch_vccnz .LBB79_997
; %bb.996:
	global_load_u8 v1, v[6:7], off
	s_wait_loadcnt 0x0
	v_lshlrev_b32_e32 v3, 25, v1
	v_lshlrev_b16 v1, 8, v1
	s_wait_xcnt 0x1
	s_delay_alu instid0(VALU_DEP_1) | instskip(SKIP_1) | instid1(VALU_DEP_2)
	v_and_or_b32 v8, 0x7f00, v1, 0.5
	v_bfe_i32 v1, v1, 0, 16
	v_dual_add_f32 v8, -0.5, v8 :: v_dual_lshrrev_b32 v5, 4, v3
	v_cmp_gt_u32_e32 vcc_lo, 0x8000000, v3
	s_delay_alu instid0(VALU_DEP_2) | instskip(NEXT) | instid1(VALU_DEP_1)
	v_or_b32_e32 v5, 0x70000000, v5
	v_mul_f32_e32 v5, 0x7800000, v5
	s_delay_alu instid0(VALU_DEP_1) | instskip(NEXT) | instid1(VALU_DEP_1)
	v_cndmask_b32_e32 v3, v5, v8, vcc_lo
	v_and_or_b32 v1, 0x80000000, v1, v3
	s_delay_alu instid0(VALU_DEP_1)
	v_cvt_i32_f32_e32 v8, v1
.LBB79_997:
	s_mov_b32 s49, 0
	s_mov_b32 s48, -1
.LBB79_998:
	s_and_not1_b32 vcc_lo, exec_lo, s49
	s_cbranch_vccnz .LBB79_1011
; %bb.999:
	s_cmp_gt_i32 s47, 14
	s_cbranch_scc0 .LBB79_1002
; %bb.1000:
	s_cmp_eq_u32 s47, 15
	s_cbranch_scc0 .LBB79_1005
; %bb.1001:
	global_load_u16 v1, v[6:7], off
	s_mov_b32 s48, -1
	s_mov_b32 s25, 0
	s_wait_loadcnt 0x0
	v_lshlrev_b32_e32 v1, 16, v1
	s_wait_xcnt 0x1
	s_delay_alu instid0(VALU_DEP_1)
	v_cvt_i32_f32_e32 v8, v1
	s_branch .LBB79_1006
.LBB79_1002:
	s_mov_b32 s49, -1
                                        ; implicit-def: $vgpr8
	s_branch .LBB79_1007
.LBB79_1003:
	s_and_not1_saveexec_b32 s48, s48
	s_cbranch_execz .LBB79_984
.LBB79_1004:
	v_cmp_ne_u16_e32 vcc_lo, 0, v1
	s_and_not1_b32 s49, s49, exec_lo
	s_and_b32 s50, vcc_lo, exec_lo
	s_delay_alu instid0(SALU_CYCLE_1)
	s_or_b32 s49, s49, s50
	s_or_b32 exec_lo, exec_lo, s48
	v_mov_b32_e32 v8, 0
	s_and_saveexec_b32 s48, s49
	s_cbranch_execnz .LBB79_985
	s_branch .LBB79_986
.LBB79_1005:
	s_mov_b32 s25, -1
                                        ; implicit-def: $vgpr8
.LBB79_1006:
	s_mov_b32 s49, 0
.LBB79_1007:
	s_delay_alu instid0(SALU_CYCLE_1)
	s_and_b32 vcc_lo, exec_lo, s49
	s_cbranch_vccz .LBB79_1011
; %bb.1008:
	s_cmp_eq_u32 s47, 11
	s_cbranch_scc0 .LBB79_1010
; %bb.1009:
	global_load_u8 v1, v[6:7], off
	s_mov_b32 s25, 0
	s_mov_b32 s48, -1
	s_wait_loadcnt 0x0
	v_cmp_ne_u16_e32 vcc_lo, 0, v1
	s_wait_xcnt 0x1
	v_cndmask_b32_e64 v8, 0, 1, vcc_lo
	s_branch .LBB79_1011
.LBB79_1010:
	s_mov_b32 s25, -1
                                        ; implicit-def: $vgpr8
.LBB79_1011:
	s_mov_b32 s47, 0
.LBB79_1012:
	s_delay_alu instid0(SALU_CYCLE_1)
	s_and_b32 vcc_lo, exec_lo, s47
	s_cbranch_vccz .LBB79_1061
; %bb.1013:
	s_and_b32 s0, 0xffff, s0
	s_delay_alu instid0(SALU_CYCLE_1)
	s_cmp_lt_i32 s0, 5
	s_cbranch_scc1 .LBB79_1018
; %bb.1014:
	s_cmp_lt_i32 s0, 8
	s_cbranch_scc1 .LBB79_1019
; %bb.1015:
	;; [unrolled: 3-line block ×3, first 2 shown]
	s_cmp_gt_i32 s0, 9
	s_cbranch_scc0 .LBB79_1021
; %bb.1017:
	s_wait_loadcnt 0x0
	global_load_b64 v[8:9], v[6:7], off
	s_mov_b32 s47, 0
	s_wait_loadcnt 0x0
	v_cvt_i32_f64_e32 v8, v[8:9]
	s_branch .LBB79_1022
.LBB79_1018:
	s_mov_b32 s47, -1
                                        ; implicit-def: $vgpr8
	s_branch .LBB79_1040
.LBB79_1019:
	s_mov_b32 s47, -1
                                        ; implicit-def: $vgpr8
	s_branch .LBB79_1028
.LBB79_1020:
	s_mov_b32 s47, -1
                                        ; implicit-def: $vgpr8
	s_branch .LBB79_1025
.LBB79_1021:
	s_mov_b32 s47, -1
                                        ; implicit-def: $vgpr8
.LBB79_1022:
	s_delay_alu instid0(SALU_CYCLE_1)
	s_and_not1_b32 vcc_lo, exec_lo, s47
	s_cbranch_vccnz .LBB79_1024
; %bb.1023:
	global_load_b32 v1, v[6:7], off
	s_wait_loadcnt 0x0
	s_wait_xcnt 0x1
	v_cvt_i32_f32_e32 v8, v1
.LBB79_1024:
	s_mov_b32 s47, 0
.LBB79_1025:
	s_delay_alu instid0(SALU_CYCLE_1)
	s_and_not1_b32 vcc_lo, exec_lo, s47
	s_cbranch_vccnz .LBB79_1027
; %bb.1026:
	global_load_b32 v1, v[6:7], off
	s_wait_loadcnt 0x0
	s_wait_xcnt 0x1
	v_cvt_i16_f16_e32 v8, v1
.LBB79_1027:
	s_mov_b32 s47, 0
.LBB79_1028:
	s_delay_alu instid0(SALU_CYCLE_1)
	s_and_not1_b32 vcc_lo, exec_lo, s47
	s_cbranch_vccnz .LBB79_1039
; %bb.1029:
	s_cmp_lt_i32 s0, 6
	s_cbranch_scc1 .LBB79_1032
; %bb.1030:
	s_cmp_gt_i32 s0, 6
	s_cbranch_scc0 .LBB79_1033
; %bb.1031:
	s_wait_loadcnt 0x0
	global_load_b64 v[8:9], v[6:7], off
	s_mov_b32 s47, 0
	s_wait_loadcnt 0x0
	v_cvt_i32_f64_e32 v8, v[8:9]
	s_branch .LBB79_1034
.LBB79_1032:
	s_mov_b32 s47, -1
                                        ; implicit-def: $vgpr8
	s_branch .LBB79_1037
.LBB79_1033:
	s_mov_b32 s47, -1
                                        ; implicit-def: $vgpr8
.LBB79_1034:
	s_delay_alu instid0(SALU_CYCLE_1)
	s_and_not1_b32 vcc_lo, exec_lo, s47
	s_cbranch_vccnz .LBB79_1036
; %bb.1035:
	global_load_b32 v1, v[6:7], off
	s_wait_loadcnt 0x0
	s_wait_xcnt 0x1
	v_cvt_i32_f32_e32 v8, v1
.LBB79_1036:
	s_mov_b32 s47, 0
.LBB79_1037:
	s_delay_alu instid0(SALU_CYCLE_1)
	s_and_not1_b32 vcc_lo, exec_lo, s47
	s_cbranch_vccnz .LBB79_1039
; %bb.1038:
	global_load_u16 v1, v[6:7], off
	s_wait_loadcnt 0x0
	s_wait_xcnt 0x1
	v_cvt_i16_f16_e32 v8, v1
.LBB79_1039:
	s_mov_b32 s47, 0
.LBB79_1040:
	s_delay_alu instid0(SALU_CYCLE_1)
	s_and_not1_b32 vcc_lo, exec_lo, s47
	s_cbranch_vccnz .LBB79_1060
; %bb.1041:
	s_cmp_lt_i32 s0, 2
	s_cbranch_scc1 .LBB79_1045
; %bb.1042:
	s_cmp_lt_i32 s0, 3
	s_cbranch_scc1 .LBB79_1046
; %bb.1043:
	s_cmp_gt_i32 s0, 3
	s_cbranch_scc0 .LBB79_1047
; %bb.1044:
	s_wait_loadcnt 0x0
	global_load_b64 v[8:9], v[6:7], off
	s_mov_b32 s47, 0
	s_branch .LBB79_1048
.LBB79_1045:
	s_mov_b32 s47, -1
                                        ; implicit-def: $vgpr8
	s_branch .LBB79_1054
.LBB79_1046:
	s_mov_b32 s47, -1
                                        ; implicit-def: $vgpr8
	s_branch .LBB79_1051
.LBB79_1047:
	s_mov_b32 s47, -1
                                        ; implicit-def: $vgpr8
.LBB79_1048:
	s_delay_alu instid0(SALU_CYCLE_1)
	s_and_not1_b32 vcc_lo, exec_lo, s47
	s_cbranch_vccnz .LBB79_1050
; %bb.1049:
	s_wait_loadcnt 0x0
	global_load_b32 v8, v[6:7], off
.LBB79_1050:
	s_mov_b32 s47, 0
.LBB79_1051:
	s_delay_alu instid0(SALU_CYCLE_1)
	s_and_not1_b32 vcc_lo, exec_lo, s47
	s_cbranch_vccnz .LBB79_1053
; %bb.1052:
	s_wait_loadcnt 0x0
	global_load_u16 v8, v[6:7], off
.LBB79_1053:
	s_mov_b32 s47, 0
.LBB79_1054:
	s_delay_alu instid0(SALU_CYCLE_1)
	s_and_not1_b32 vcc_lo, exec_lo, s47
	s_cbranch_vccnz .LBB79_1060
; %bb.1055:
	s_cmp_gt_i32 s0, 0
	s_mov_b32 s0, 0
	s_cbranch_scc0 .LBB79_1057
; %bb.1056:
	s_wait_loadcnt 0x0
	global_load_i8 v8, v[6:7], off
	s_branch .LBB79_1058
.LBB79_1057:
	s_mov_b32 s0, -1
                                        ; implicit-def: $vgpr8
.LBB79_1058:
	s_delay_alu instid0(SALU_CYCLE_1)
	s_and_not1_b32 vcc_lo, exec_lo, s0
	s_cbranch_vccnz .LBB79_1060
; %bb.1059:
	s_wait_loadcnt 0x0
	global_load_u8 v8, v[6:7], off
.LBB79_1060:
	s_mov_b32 s48, -1
.LBB79_1061:
	s_delay_alu instid0(SALU_CYCLE_1)
	s_and_not1_b32 vcc_lo, exec_lo, s48
	s_cbranch_vccnz .LBB79_1075
; %bb.1062:
	s_wait_loadcnt 0x0
	s_delay_alu instid0(VALU_DEP_1) | instskip(SKIP_2) | instid1(VALU_DEP_1)
	v_sub_nc_u16 v1, 0, v8
	s_mov_b32 s47, 0
	s_mov_b32 s0, exec_lo
	v_max_i16 v3, v8, v1
	s_wait_xcnt 0x0
	v_cmpx_ne_u16_e32 0, v4
	s_cbranch_execz .LBB79_1066
; %bb.1063:
	v_sub_nc_u16 v1, 0, v4
	s_delay_alu instid0(VALU_DEP_1) | instskip(SKIP_1) | instid1(VALU_DEP_2)
	v_max_i16 v5, v4, v1
	v_and_b32_e32 v1, 0xffff, v3
	v_and_b32_e32 v5, 0xffff, v5
.LBB79_1064:                            ; =>This Inner Loop Header: Depth=1
	s_delay_alu instid0(VALU_DEP_1) | instskip(NEXT) | instid1(VALU_DEP_2)
	v_bfe_i32 v7, v1, 0, 16
	v_mov_b32_e32 v3, v5
	s_delay_alu instid0(VALU_DEP_2) | instskip(NEXT) | instid1(VALU_DEP_2)
	v_cvt_f32_i32_e32 v10, v7
	v_bfe_i32 v5, v3, 0, 16
	s_delay_alu instid0(VALU_DEP_1) | instskip(SKIP_1) | instid1(VALU_DEP_2)
	v_cvt_f32_i32_e32 v6, v5
	v_xor_b32_e32 v5, v7, v5
	v_rcp_iflag_f32_e32 v9, v6
	v_nop
	s_delay_alu instid0(TRANS32_DEP_1) | instskip(NEXT) | instid1(VALU_DEP_1)
	v_mul_f32_e32 v7, v10, v9
	v_trunc_f32_e32 v7, v7
	s_delay_alu instid0(VALU_DEP_1) | instskip(NEXT) | instid1(VALU_DEP_1)
	v_dual_ashrrev_i32 v5, 30, v5 :: v_dual_fma_f32 v9, -v7, v6, v10
	v_or_b32_e32 v5, 1, v5
	v_cvt_i32_f32_e32 v7, v7
	s_delay_alu instid0(VALU_DEP_3) | instskip(NEXT) | instid1(VALU_DEP_3)
	v_cmp_ge_f32_e64 vcc_lo, |v9|, |v6|
	v_cndmask_b32_e32 v5, 0, v5, vcc_lo
	s_delay_alu instid0(VALU_DEP_1) | instskip(NEXT) | instid1(VALU_DEP_1)
	v_add_nc_u32_e32 v5, v7, v5
	v_mul_lo_u32 v5, v5, v3
	s_delay_alu instid0(VALU_DEP_1) | instskip(NEXT) | instid1(VALU_DEP_1)
	v_sub_nc_u32_e32 v5, v1, v5
	v_and_b32_e32 v1, 0xffff, v5
	v_bfe_i32 v5, v5, 0, 16
	s_delay_alu instid0(VALU_DEP_2) | instskip(SKIP_2) | instid1(SALU_CYCLE_1)
	v_cmp_eq_u32_e32 vcc_lo, 0, v1
	v_mov_b32_e32 v1, v3
	s_or_b32 s47, vcc_lo, s47
	s_and_not1_b32 exec_lo, exec_lo, s47
	s_cbranch_execnz .LBB79_1064
; %bb.1065:
	s_or_b32 exec_lo, exec_lo, s47
.LBB79_1066:
	s_delay_alu instid0(SALU_CYCLE_1)
	s_or_b32 exec_lo, exec_lo, s0
	v_mov_b32_e32 v1, 0
	s_mov_b32 s0, exec_lo
	v_cmpx_ne_u16_e32 0, v3
	s_cbranch_execz .LBB79_1068
; %bb.1067:
	v_bfe_i32 v1, v3, 0, 16
	v_bfe_i32 v4, v4, 0, 16
	s_delay_alu instid0(VALU_DEP_2) | instskip(NEXT) | instid1(VALU_DEP_2)
	v_cvt_f32_i32_e32 v3, v1
	v_cvt_f32_i32_e32 v6, v4
	v_xor_b32_e32 v1, v4, v1
	s_delay_alu instid0(VALU_DEP_3) | instskip(SKIP_1) | instid1(TRANS32_DEP_1)
	v_rcp_iflag_f32_e32 v5, v3
	v_nop
	v_mul_f32_e32 v5, v6, v5
	s_delay_alu instid0(VALU_DEP_1) | instskip(NEXT) | instid1(VALU_DEP_1)
	v_trunc_f32_e32 v4, v5
	v_dual_fma_f32 v5, -v4, v3, v6 :: v_dual_ashrrev_i32 v1, 30, v1
	v_cvt_i32_f32_e32 v4, v4
	s_delay_alu instid0(VALU_DEP_2) | instskip(NEXT) | instid1(VALU_DEP_3)
	v_cmp_ge_f32_e64 vcc_lo, |v5|, |v3|
	v_or_b32_e32 v1, 1, v1
	v_bfe_i32 v3, v8, 0, 16
	s_delay_alu instid0(VALU_DEP_2) | instskip(NEXT) | instid1(VALU_DEP_1)
	v_cndmask_b32_e32 v1, 0, v1, vcc_lo
	v_add_nc_u32_e32 v1, v4, v1
	s_delay_alu instid0(VALU_DEP_1) | instskip(NEXT) | instid1(VALU_DEP_1)
	v_bfe_i32 v1, v1, 0, 16
	v_mul_i32_i24_e32 v1, v1, v3
	s_delay_alu instid0(VALU_DEP_1) | instskip(NEXT) | instid1(VALU_DEP_1)
	v_sub_nc_u32_e32 v3, 0, v1
	v_max_i32_e32 v1, v1, v3
.LBB79_1068:
	s_or_b32 exec_lo, exec_lo, s0
	v_mov_b32_e32 v3, 0
	s_and_b32 s47, s31, 0xff
	s_delay_alu instid0(SALU_CYCLE_1) | instskip(NEXT) | instid1(VALU_DEP_1)
	s_cmp_lt_i32 s47, 11
	v_add_nc_u64_e32 v[2:3], s[4:5], v[2:3]
	s_cbranch_scc1 .LBB79_1076
; %bb.1069:
	s_and_b32 s48, 0xffff, s47
	s_delay_alu instid0(SALU_CYCLE_1)
	s_cmp_gt_i32 s48, 25
	s_cbranch_scc0 .LBB79_1077
; %bb.1070:
	s_cmp_gt_i32 s48, 28
	s_cbranch_scc0 .LBB79_1078
; %bb.1071:
	;; [unrolled: 3-line block ×4, first 2 shown]
	s_mov_b32 s50, 0
	s_mov_b32 s0, -1
	s_cmp_eq_u32 s48, 46
	s_mov_b32 s49, 0
	s_cbranch_scc0 .LBB79_1081
; %bb.1074:
	v_bfe_i32 v4, v1, 0, 16
	s_mov_b32 s49, -1
	s_mov_b32 s0, 0
	s_delay_alu instid0(VALU_DEP_1) | instskip(NEXT) | instid1(VALU_DEP_1)
	v_cvt_f32_i32_e32 v4, v4
	v_bfe_u32 v5, v4, 16, 1
	s_delay_alu instid0(VALU_DEP_1) | instskip(NEXT) | instid1(VALU_DEP_1)
	v_add3_u32 v4, v4, v5, 0x7fff
	v_lshrrev_b32_e32 v4, 16, v4
	global_store_b32 v[2:3], v4, off
	s_branch .LBB79_1081
.LBB79_1075:
	s_mov_b32 s50, 0
	s_mov_b32 s0, s43
	s_branch .LBB79_1192
.LBB79_1076:
	s_mov_b32 s48, -1
	s_mov_b32 s49, 0
	s_mov_b32 s0, s43
	s_branch .LBB79_1150
.LBB79_1077:
	s_mov_b32 s50, -1
	s_mov_b32 s49, 0
	s_mov_b32 s0, s43
	s_branch .LBB79_1108
.LBB79_1078:
	s_mov_b32 s50, -1
	s_mov_b32 s49, 0
	s_mov_b32 s0, s43
	s_branch .LBB79_1091
.LBB79_1079:
	s_mov_b32 s50, -1
	s_mov_b32 s49, 0
	s_mov_b32 s0, s43
	s_branch .LBB79_1087
.LBB79_1080:
	s_mov_b32 s50, -1
	s_mov_b32 s49, 0
	s_mov_b32 s0, s43
.LBB79_1081:
	s_and_b32 vcc_lo, exec_lo, s50
	s_cbranch_vccz .LBB79_1086
; %bb.1082:
	s_cmp_eq_u32 s48, 44
	s_mov_b32 s0, -1
	s_cbranch_scc0 .LBB79_1086
; %bb.1083:
	s_wait_xcnt 0x0
	v_bfe_i32 v4, v1, 0, 16
	v_mov_b32_e32 v5, 0xff
	s_mov_b32 s49, exec_lo
	s_delay_alu instid0(VALU_DEP_2) | instskip(NEXT) | instid1(VALU_DEP_1)
	v_cvt_f32_i32_e32 v4, v4
	v_bfe_u32 v6, v4, 23, 8
	s_delay_alu instid0(VALU_DEP_1)
	v_cmpx_ne_u32_e32 0xff, v6
	s_cbranch_execz .LBB79_1085
; %bb.1084:
	v_and_b32_e32 v5, 0x400000, v4
	v_and_or_b32 v6, 0x3fffff, v4, v6
	v_lshrrev_b32_e32 v4, 23, v4
	s_delay_alu instid0(VALU_DEP_3) | instskip(NEXT) | instid1(VALU_DEP_3)
	v_cmp_ne_u32_e32 vcc_lo, 0, v5
	v_cmp_ne_u32_e64 s0, 0, v6
	s_and_b32 s0, vcc_lo, s0
	s_delay_alu instid0(SALU_CYCLE_1) | instskip(NEXT) | instid1(VALU_DEP_1)
	v_cndmask_b32_e64 v5, 0, 1, s0
	v_add_nc_u32_e32 v5, v4, v5
.LBB79_1085:
	s_or_b32 exec_lo, exec_lo, s49
	s_mov_b32 s49, -1
	s_mov_b32 s0, 0
	global_store_b8 v[2:3], v5, off
.LBB79_1086:
	s_mov_b32 s50, 0
.LBB79_1087:
	s_delay_alu instid0(SALU_CYCLE_1)
	s_and_b32 vcc_lo, exec_lo, s50
	s_cbranch_vccz .LBB79_1090
; %bb.1088:
	s_cmp_eq_u32 s48, 29
	s_mov_b32 s0, -1
	s_cbranch_scc0 .LBB79_1090
; %bb.1089:
	s_wait_xcnt 0x0
	v_bfe_i32 v4, v1, 0, 16
	s_mov_b32 s0, 0
	s_mov_b32 s49, -1
	s_mov_b32 s50, 0
	s_delay_alu instid0(VALU_DEP_1)
	v_ashrrev_i32_e32 v5, 31, v4
	global_store_b64 v[2:3], v[4:5], off
	s_branch .LBB79_1091
.LBB79_1090:
	s_mov_b32 s50, 0
.LBB79_1091:
	s_delay_alu instid0(SALU_CYCLE_1)
	s_and_b32 vcc_lo, exec_lo, s50
	s_cbranch_vccz .LBB79_1107
; %bb.1092:
	s_cmp_lt_i32 s48, 27
	s_mov_b32 s49, -1
	s_cbranch_scc1 .LBB79_1098
; %bb.1093:
	s_cmp_gt_i32 s48, 27
	s_cbranch_scc0 .LBB79_1095
; %bb.1094:
	s_wait_xcnt 0x0
	v_bfe_i32 v4, v1, 0, 16
	s_mov_b32 s49, 0
	global_store_b32 v[2:3], v4, off
.LBB79_1095:
	s_and_not1_b32 vcc_lo, exec_lo, s49
	s_cbranch_vccnz .LBB79_1097
; %bb.1096:
	global_store_b16 v[2:3], v1, off
.LBB79_1097:
	s_mov_b32 s49, 0
.LBB79_1098:
	s_delay_alu instid0(SALU_CYCLE_1)
	s_and_not1_b32 vcc_lo, exec_lo, s49
	s_cbranch_vccnz .LBB79_1106
; %bb.1099:
	s_wait_xcnt 0x0
	v_bfe_i32 v4, v1, 0, 16
	v_mov_b32_e32 v6, 0x80
	s_mov_b32 s49, exec_lo
	s_delay_alu instid0(VALU_DEP_2) | instskip(NEXT) | instid1(VALU_DEP_1)
	v_cvt_f32_i32_e32 v4, v4
	v_and_b32_e32 v5, 0x7fffffff, v4
	s_delay_alu instid0(VALU_DEP_1)
	v_cmpx_gt_u32_e32 0x43800000, v5
	s_cbranch_execz .LBB79_1105
; %bb.1100:
	v_cmp_lt_u32_e32 vcc_lo, 0x3bffffff, v5
	s_mov_b32 s50, 0
                                        ; implicit-def: $vgpr5
	s_and_saveexec_b32 s51, vcc_lo
	s_delay_alu instid0(SALU_CYCLE_1)
	s_xor_b32 s51, exec_lo, s51
	s_cbranch_execz .LBB79_1220
; %bb.1101:
	v_bfe_u32 v5, v4, 20, 1
	s_mov_b32 s50, exec_lo
	s_delay_alu instid0(VALU_DEP_1) | instskip(NEXT) | instid1(VALU_DEP_1)
	v_add3_u32 v5, v4, v5, 0x487ffff
	v_lshrrev_b32_e32 v5, 20, v5
	s_and_not1_saveexec_b32 s51, s51
	s_cbranch_execnz .LBB79_1221
.LBB79_1102:
	s_or_b32 exec_lo, exec_lo, s51
	v_mov_b32_e32 v6, 0
	s_and_saveexec_b32 s51, s50
.LBB79_1103:
	v_lshrrev_b32_e32 v4, 24, v4
	s_delay_alu instid0(VALU_DEP_1)
	v_and_or_b32 v6, 0x80, v4, v5
.LBB79_1104:
	s_or_b32 exec_lo, exec_lo, s51
.LBB79_1105:
	s_delay_alu instid0(SALU_CYCLE_1)
	s_or_b32 exec_lo, exec_lo, s49
	global_store_b8 v[2:3], v6, off
.LBB79_1106:
	s_mov_b32 s49, -1
.LBB79_1107:
	s_mov_b32 s50, 0
.LBB79_1108:
	s_delay_alu instid0(SALU_CYCLE_1)
	s_and_b32 vcc_lo, exec_lo, s50
	s_cbranch_vccz .LBB79_1149
; %bb.1109:
	s_cmp_gt_i32 s48, 22
	s_mov_b32 s50, -1
	s_cbranch_scc0 .LBB79_1141
; %bb.1110:
	s_cmp_lt_i32 s48, 24
	s_mov_b32 s49, -1
	s_cbranch_scc1 .LBB79_1130
; %bb.1111:
	s_cmp_gt_i32 s48, 24
	s_cbranch_scc0 .LBB79_1119
; %bb.1112:
	s_wait_xcnt 0x0
	v_bfe_i32 v4, v1, 0, 16
	v_mov_b32_e32 v6, 0x80
	s_mov_b32 s49, exec_lo
	s_delay_alu instid0(VALU_DEP_2) | instskip(NEXT) | instid1(VALU_DEP_1)
	v_cvt_f32_i32_e32 v4, v4
	v_and_b32_e32 v5, 0x7fffffff, v4
	s_delay_alu instid0(VALU_DEP_1)
	v_cmpx_gt_u32_e32 0x47800000, v5
	s_cbranch_execz .LBB79_1118
; %bb.1113:
	v_cmp_lt_u32_e32 vcc_lo, 0x37ffffff, v5
	s_mov_b32 s50, 0
                                        ; implicit-def: $vgpr5
	s_and_saveexec_b32 s51, vcc_lo
	s_delay_alu instid0(SALU_CYCLE_1)
	s_xor_b32 s51, exec_lo, s51
	s_cbranch_execz .LBB79_2281
; %bb.1114:
	v_bfe_u32 v5, v4, 21, 1
	s_mov_b32 s50, exec_lo
	s_delay_alu instid0(VALU_DEP_1) | instskip(NEXT) | instid1(VALU_DEP_1)
	v_add3_u32 v5, v4, v5, 0x88fffff
	v_lshrrev_b32_e32 v5, 21, v5
	s_and_not1_saveexec_b32 s51, s51
	s_cbranch_execnz .LBB79_2282
.LBB79_1115:
	s_or_b32 exec_lo, exec_lo, s51
	v_mov_b32_e32 v6, 0
	s_and_saveexec_b32 s51, s50
.LBB79_1116:
	v_lshrrev_b32_e32 v4, 24, v4
	s_delay_alu instid0(VALU_DEP_1)
	v_and_or_b32 v6, 0x80, v4, v5
.LBB79_1117:
	s_or_b32 exec_lo, exec_lo, s51
.LBB79_1118:
	s_delay_alu instid0(SALU_CYCLE_1)
	s_or_b32 exec_lo, exec_lo, s49
	s_mov_b32 s49, 0
	global_store_b8 v[2:3], v6, off
.LBB79_1119:
	s_and_b32 vcc_lo, exec_lo, s49
	s_cbranch_vccz .LBB79_1129
; %bb.1120:
	s_wait_xcnt 0x0
	v_bfe_i32 v4, v1, 0, 16
	s_mov_b32 s49, exec_lo
                                        ; implicit-def: $vgpr5
	s_delay_alu instid0(VALU_DEP_1) | instskip(NEXT) | instid1(VALU_DEP_1)
	v_cvt_f32_i32_e32 v4, v4
	v_and_b32_e32 v6, 0x7fffffff, v4
	s_delay_alu instid0(VALU_DEP_1)
	v_cmpx_gt_u32_e32 0x43f00000, v6
	s_xor_b32 s49, exec_lo, s49
	s_cbranch_execz .LBB79_1126
; %bb.1121:
	s_mov_b32 s50, exec_lo
                                        ; implicit-def: $vgpr5
	v_cmpx_lt_u32_e32 0x3c7fffff, v6
	s_xor_b32 s50, exec_lo, s50
; %bb.1122:
	v_bfe_u32 v5, v4, 20, 1
	s_delay_alu instid0(VALU_DEP_1) | instskip(NEXT) | instid1(VALU_DEP_1)
	v_add3_u32 v5, v4, v5, 0x407ffff
	v_and_b32_e32 v6, 0xff00000, v5
	v_lshrrev_b32_e32 v5, 20, v5
	s_delay_alu instid0(VALU_DEP_2) | instskip(NEXT) | instid1(VALU_DEP_2)
	v_cmp_ne_u32_e32 vcc_lo, 0x7f00000, v6
	v_cndmask_b32_e32 v5, 0x7e, v5, vcc_lo
; %bb.1123:
	s_and_not1_saveexec_b32 s50, s50
; %bb.1124:
	v_add_f32_e64 v5, 0x46800000, |v4|
; %bb.1125:
	s_or_b32 exec_lo, exec_lo, s50
                                        ; implicit-def: $vgpr6
.LBB79_1126:
	s_and_not1_saveexec_b32 s49, s49
; %bb.1127:
	v_mov_b32_e32 v5, 0x7f
	v_cmp_lt_u32_e32 vcc_lo, 0x7f800000, v6
	s_delay_alu instid0(VALU_DEP_2)
	v_cndmask_b32_e32 v5, 0x7e, v5, vcc_lo
; %bb.1128:
	s_or_b32 exec_lo, exec_lo, s49
	v_lshrrev_b32_e32 v4, 24, v4
	s_delay_alu instid0(VALU_DEP_1)
	v_and_or_b32 v4, 0x80, v4, v5
	global_store_b8 v[2:3], v4, off
.LBB79_1129:
	s_mov_b32 s49, 0
.LBB79_1130:
	s_delay_alu instid0(SALU_CYCLE_1)
	s_and_not1_b32 vcc_lo, exec_lo, s49
	s_cbranch_vccnz .LBB79_1140
; %bb.1131:
	s_wait_xcnt 0x0
	v_bfe_i32 v4, v1, 0, 16
	s_mov_b32 s49, exec_lo
                                        ; implicit-def: $vgpr5
	s_delay_alu instid0(VALU_DEP_1) | instskip(NEXT) | instid1(VALU_DEP_1)
	v_cvt_f32_i32_e32 v4, v4
	v_and_b32_e32 v6, 0x7fffffff, v4
	s_delay_alu instid0(VALU_DEP_1)
	v_cmpx_gt_u32_e32 0x47800000, v6
	s_xor_b32 s49, exec_lo, s49
	s_cbranch_execz .LBB79_1137
; %bb.1132:
	s_mov_b32 s50, exec_lo
                                        ; implicit-def: $vgpr5
	v_cmpx_lt_u32_e32 0x387fffff, v6
	s_xor_b32 s50, exec_lo, s50
; %bb.1133:
	v_bfe_u32 v5, v4, 21, 1
	s_delay_alu instid0(VALU_DEP_1) | instskip(NEXT) | instid1(VALU_DEP_1)
	v_add3_u32 v5, v4, v5, 0x80fffff
	v_lshrrev_b32_e32 v5, 21, v5
; %bb.1134:
	s_and_not1_saveexec_b32 s50, s50
; %bb.1135:
	v_add_f32_e64 v5, 0x43000000, |v4|
; %bb.1136:
	s_or_b32 exec_lo, exec_lo, s50
                                        ; implicit-def: $vgpr6
.LBB79_1137:
	s_and_not1_saveexec_b32 s49, s49
; %bb.1138:
	v_mov_b32_e32 v5, 0x7f
	v_cmp_lt_u32_e32 vcc_lo, 0x7f800000, v6
	s_delay_alu instid0(VALU_DEP_2)
	v_cndmask_b32_e32 v5, 0x7c, v5, vcc_lo
; %bb.1139:
	s_or_b32 exec_lo, exec_lo, s49
	v_lshrrev_b32_e32 v4, 24, v4
	s_delay_alu instid0(VALU_DEP_1)
	v_and_or_b32 v4, 0x80, v4, v5
	global_store_b8 v[2:3], v4, off
.LBB79_1140:
	s_mov_b32 s50, 0
	s_mov_b32 s49, -1
.LBB79_1141:
	s_and_not1_b32 vcc_lo, exec_lo, s50
	s_cbranch_vccnz .LBB79_1149
; %bb.1142:
	s_cmp_gt_i32 s48, 14
	s_mov_b32 s50, -1
	s_cbranch_scc0 .LBB79_1146
; %bb.1143:
	s_cmp_eq_u32 s48, 15
	s_mov_b32 s0, -1
	s_cbranch_scc0 .LBB79_1145
; %bb.1144:
	s_wait_xcnt 0x0
	v_bfe_i32 v4, v1, 0, 16
	s_mov_b32 s49, -1
	s_mov_b32 s0, 0
	s_delay_alu instid0(VALU_DEP_1) | instskip(NEXT) | instid1(VALU_DEP_1)
	v_cvt_f32_i32_e32 v4, v4
	v_bfe_u32 v5, v4, 16, 1
	s_delay_alu instid0(VALU_DEP_1)
	v_add3_u32 v4, v4, v5, 0x7fff
	global_store_d16_hi_b16 v[2:3], v4, off
.LBB79_1145:
	s_mov_b32 s50, 0
.LBB79_1146:
	s_delay_alu instid0(SALU_CYCLE_1)
	s_and_b32 vcc_lo, exec_lo, s50
	s_cbranch_vccz .LBB79_1149
; %bb.1147:
	s_cmp_eq_u32 s48, 11
	s_mov_b32 s0, -1
	s_cbranch_scc0 .LBB79_1149
; %bb.1148:
	v_cmp_ne_u16_e32 vcc_lo, 0, v1
	s_mov_b32 s0, 0
	s_mov_b32 s49, -1
	s_wait_xcnt 0x0
	v_cndmask_b32_e64 v4, 0, 1, vcc_lo
	global_store_b8 v[2:3], v4, off
.LBB79_1149:
	s_mov_b32 s48, 0
.LBB79_1150:
	s_delay_alu instid0(SALU_CYCLE_1)
	s_and_b32 vcc_lo, exec_lo, s48
	s_cbranch_vccz .LBB79_1189
; %bb.1151:
	s_and_b32 s47, 0xffff, s47
	s_mov_b32 s48, -1
	s_cmp_lt_i32 s47, 5
	s_cbranch_scc1 .LBB79_1172
; %bb.1152:
	s_cmp_lt_i32 s47, 8
	s_cbranch_scc1 .LBB79_1162
; %bb.1153:
	;; [unrolled: 3-line block ×3, first 2 shown]
	s_cmp_gt_i32 s47, 9
	s_cbranch_scc0 .LBB79_1156
; %bb.1155:
	s_wait_xcnt 0x0
	v_bfe_i32 v4, v1, 0, 16
	v_mov_b32_e32 v6, 0
	s_mov_b32 s48, 0
	s_delay_alu instid0(VALU_DEP_2) | instskip(NEXT) | instid1(VALU_DEP_2)
	v_cvt_f64_i32_e32 v[4:5], v4
	v_mov_b32_e32 v7, v6
	global_store_b128 v[2:3], v[4:7], off
.LBB79_1156:
	s_and_not1_b32 vcc_lo, exec_lo, s48
	s_cbranch_vccnz .LBB79_1158
; %bb.1157:
	s_wait_xcnt 0x0
	v_bfe_i32 v4, v1, 0, 16
	v_mov_b32_e32 v5, 0
	s_delay_alu instid0(VALU_DEP_2)
	v_cvt_f32_i32_e32 v4, v4
	global_store_b64 v[2:3], v[4:5], off
.LBB79_1158:
	s_mov_b32 s48, 0
.LBB79_1159:
	s_delay_alu instid0(SALU_CYCLE_1)
	s_and_not1_b32 vcc_lo, exec_lo, s48
	s_cbranch_vccnz .LBB79_1161
; %bb.1160:
	s_wait_xcnt 0x0
	v_cvt_f16_i16_e32 v4, v1
	s_delay_alu instid0(VALU_DEP_1)
	v_and_b32_e32 v4, 0xffff, v4
	global_store_b32 v[2:3], v4, off
.LBB79_1161:
	s_mov_b32 s48, 0
.LBB79_1162:
	s_delay_alu instid0(SALU_CYCLE_1)
	s_and_not1_b32 vcc_lo, exec_lo, s48
	s_cbranch_vccnz .LBB79_1171
; %bb.1163:
	s_cmp_lt_i32 s47, 6
	s_mov_b32 s48, -1
	s_cbranch_scc1 .LBB79_1169
; %bb.1164:
	s_cmp_gt_i32 s47, 6
	s_cbranch_scc0 .LBB79_1166
; %bb.1165:
	s_wait_xcnt 0x0
	v_bfe_i32 v4, v1, 0, 16
	s_mov_b32 s48, 0
	s_delay_alu instid0(VALU_DEP_1)
	v_cvt_f64_i32_e32 v[4:5], v4
	global_store_b64 v[2:3], v[4:5], off
.LBB79_1166:
	s_and_not1_b32 vcc_lo, exec_lo, s48
	s_cbranch_vccnz .LBB79_1168
; %bb.1167:
	s_wait_xcnt 0x0
	v_bfe_i32 v4, v1, 0, 16
	s_delay_alu instid0(VALU_DEP_1)
	v_cvt_f32_i32_e32 v4, v4
	global_store_b32 v[2:3], v4, off
.LBB79_1168:
	s_mov_b32 s48, 0
.LBB79_1169:
	s_delay_alu instid0(SALU_CYCLE_1)
	s_and_not1_b32 vcc_lo, exec_lo, s48
	s_cbranch_vccnz .LBB79_1171
; %bb.1170:
	s_wait_xcnt 0x0
	v_cvt_f16_i16_e32 v4, v1
	global_store_b16 v[2:3], v4, off
.LBB79_1171:
	s_mov_b32 s48, 0
.LBB79_1172:
	s_delay_alu instid0(SALU_CYCLE_1)
	s_and_not1_b32 vcc_lo, exec_lo, s48
	s_cbranch_vccnz .LBB79_1188
; %bb.1173:
	s_cmp_lt_i32 s47, 2
	s_mov_b32 s48, -1
	s_cbranch_scc1 .LBB79_1183
; %bb.1174:
	s_cmp_lt_i32 s47, 3
	s_cbranch_scc1 .LBB79_1180
; %bb.1175:
	s_cmp_gt_i32 s47, 3
	s_cbranch_scc0 .LBB79_1177
; %bb.1176:
	s_wait_xcnt 0x0
	v_bfe_i32 v4, v1, 0, 16
	s_mov_b32 s48, 0
	s_delay_alu instid0(VALU_DEP_1)
	v_ashrrev_i32_e32 v5, 31, v4
	global_store_b64 v[2:3], v[4:5], off
.LBB79_1177:
	s_and_not1_b32 vcc_lo, exec_lo, s48
	s_cbranch_vccnz .LBB79_1179
; %bb.1178:
	s_wait_xcnt 0x0
	v_bfe_i32 v4, v1, 0, 16
	global_store_b32 v[2:3], v4, off
.LBB79_1179:
	s_mov_b32 s48, 0
.LBB79_1180:
	s_delay_alu instid0(SALU_CYCLE_1)
	s_and_not1_b32 vcc_lo, exec_lo, s48
	s_cbranch_vccnz .LBB79_1182
; %bb.1181:
	global_store_b16 v[2:3], v1, off
.LBB79_1182:
	s_mov_b32 s48, 0
.LBB79_1183:
	s_delay_alu instid0(SALU_CYCLE_1)
	s_and_not1_b32 vcc_lo, exec_lo, s48
	s_cbranch_vccnz .LBB79_1188
; %bb.1184:
	s_cmp_gt_i32 s47, 0
	s_mov_b32 s47, -1
	s_cbranch_scc0 .LBB79_1186
; %bb.1185:
	s_mov_b32 s47, 0
	global_store_b8 v[2:3], v1, off
.LBB79_1186:
	s_and_not1_b32 vcc_lo, exec_lo, s47
	s_cbranch_vccnz .LBB79_1188
; %bb.1187:
	global_store_b8 v[2:3], v1, off
.LBB79_1188:
	s_mov_b32 s49, -1
.LBB79_1189:
	s_delay_alu instid0(SALU_CYCLE_1)
	s_and_not1_b32 vcc_lo, exec_lo, s49
	s_cbranch_vccnz .LBB79_1191
; %bb.1190:
	v_add_nc_u32_e32 v0, 0x80, v0
	s_mov_b32 s50, -1
	s_branch .LBB79_1193
.LBB79_1191:
	s_mov_b32 s50, 0
.LBB79_1192:
                                        ; implicit-def: $vgpr0
.LBB79_1193:
	s_and_not1_b32 s47, s43, exec_lo
	s_and_b32 s0, s0, exec_lo
	s_and_b32 s25, s25, exec_lo
	s_or_b32 s48, s47, s0
	s_and_not1_b32 s0, s44, exec_lo
	s_and_not1_b32 s47, s42, exec_lo
	s_and_b32 s24, s24, exec_lo
	s_or_b32 s49, s0, s25
	s_or_b32 s47, s47, s24
	s_or_not1_b32 s51, s50, exec_lo
.LBB79_1194:
	s_wait_xcnt 0x0
	s_or_b32 exec_lo, exec_lo, s46
	s_mov_b32 s25, 0
	s_mov_b32 s50, 0
	;; [unrolled: 1-line block ×3, first 2 shown]
                                        ; implicit-def: $sgpr0
                                        ; implicit-def: $vgpr8_vgpr9
                                        ; implicit-def: $vgpr6
                                        ; implicit-def: $vgpr2
                                        ; implicit-def: $vgpr4
	s_and_saveexec_b32 s46, s51
	s_cbranch_execz .LBB79_1285
; %bb.1195:
	v_cmp_gt_i32_e32 vcc_lo, s36, v0
	s_mov_b32 s51, s47
                                        ; implicit-def: $sgpr0
                                        ; implicit-def: $vgpr8_vgpr9
                                        ; implicit-def: $vgpr6
                                        ; implicit-def: $vgpr2
                                        ; implicit-def: $vgpr4
	s_and_saveexec_b32 s36, vcc_lo
	s_cbranch_execz .LBB79_1284
; %bb.1196:
	s_and_not1_b32 vcc_lo, exec_lo, s29
	s_cbranch_vccnz .LBB79_1202
; %bb.1197:
	s_and_not1_b32 vcc_lo, exec_lo, s37
	s_cbranch_vccnz .LBB79_1203
; %bb.1198:
	v_dual_mov_b32 v2, 0 :: v_dual_mov_b32 v1, v0
	s_wait_loadcnt 0x0
	v_dual_mov_b32 v4, 0 :: v_dual_mov_b32 v6, 0
	s_add_co_i32 s0, s35, 1
	s_mov_b64 s[24:25], 0xffffffffffffffe8
	s_and_b32 s0, s0, 30
	s_add_nc_u64 s[24:25], s[2:3], s[24:25]
.LBB79_1199:                            ; =>This Inner Loop Header: Depth=1
	s_clause 0x1
	s_load_b128 s[52:55], s[24:25], 0x1c
	s_load_b64 s[50:51], s[24:25], 0x2c
	s_add_co_i32 s0, s0, -2
	s_delay_alu instid0(SALU_CYCLE_1) | instskip(SKIP_2) | instid1(VALU_DEP_1)
	s_cmp_eq_u32 s0, 0
	s_wait_kmcnt 0x0
	v_mul_hi_u32 v3, s53, v1
	v_add_nc_u32_e32 v3, v1, v3
	s_delay_alu instid0(VALU_DEP_1) | instskip(NEXT) | instid1(VALU_DEP_1)
	v_lshrrev_b32_e32 v3, s54, v3
	v_mul_hi_u32 v5, s50, v3
	v_mul_lo_u32 v7, v3, s52
	s_clause 0x1
	s_load_b128 s[56:59], s[24:25], 0xdc
	s_load_b64 s[52:53], s[24:25], 0xec
	s_wait_xcnt 0x0
	s_add_nc_u64 s[24:25], s[24:25], 24
	s_delay_alu instid0(VALU_DEP_1) | instskip(NEXT) | instid1(VALU_DEP_1)
	v_dual_add_nc_u32 v5, v3, v5 :: v_dual_sub_nc_u32 v7, v1, v7
	v_lshrrev_b32_e32 v1, s51, v5
	s_wait_kmcnt 0x0
	s_delay_alu instid0(VALU_DEP_2) | instskip(NEXT) | instid1(VALU_DEP_2)
	v_mad_u32 v2, v7, s56, v2
	v_mul_lo_u32 v5, v1, s55
	v_mad_u32 v6, v7, s58, v6
	v_mad_u32 v4, v7, s57, v4
	s_delay_alu instid0(VALU_DEP_3) | instskip(NEXT) | instid1(VALU_DEP_1)
	v_sub_nc_u32_e32 v3, v3, v5
	v_mad_u32 v2, v3, s59, v2
	s_delay_alu instid0(VALU_DEP_4) | instskip(NEXT) | instid1(VALU_DEP_4)
	v_mad_u32 v6, v3, s53, v6
	v_mad_u32 v4, v3, s52, v4
	s_cbranch_scc0 .LBB79_1199
; %bb.1200:
	s_bitcmp1_b32 s35, 0
	s_cselect_b32 s0, -1, 0
	s_delay_alu instid0(SALU_CYCLE_1)
	s_and_b32 vcc_lo, exec_lo, s0
	s_cbranch_vccnz .LBB79_1204
; %bb.1201:
	s_clause 0x1
	s_load_b96 s[52:54], s[24:25], 0x1c
	s_load_b96 s[56:58], s[24:25], 0xdc
	s_wait_kmcnt 0x0
	v_mul_hi_u32 v3, s53, v1
	s_delay_alu instid0(VALU_DEP_1) | instskip(NEXT) | instid1(VALU_DEP_1)
	v_add_nc_u32_e32 v3, v1, v3
	v_lshrrev_b32_e32 v3, s54, v3
	s_delay_alu instid0(VALU_DEP_1) | instskip(NEXT) | instid1(VALU_DEP_1)
	v_mul_lo_u32 v3, v3, s52
	v_sub_nc_u32_e32 v1, v1, v3
	s_delay_alu instid0(VALU_DEP_1)
	v_mad_u32 v2, v1, s56, v2
	v_mad_u32 v4, v1, s57, v4
	;; [unrolled: 1-line block ×3, first 2 shown]
	s_branch .LBB79_1204
.LBB79_1202:
	s_mov_b32 s0, -1
                                        ; implicit-def: $vgpr6
                                        ; implicit-def: $vgpr4
                                        ; implicit-def: $vgpr2
	s_branch .LBB79_1205
.LBB79_1203:
	s_wait_loadcnt 0x0
	v_dual_mov_b32 v6, 0 :: v_dual_mov_b32 v4, 0
	v_mov_b32_e32 v2, 0
.LBB79_1204:
	s_mov_b32 s0, 0
.LBB79_1205:
	s_delay_alu instid0(SALU_CYCLE_1)
	s_and_not1_b32 vcc_lo, exec_lo, s0
	s_cbranch_vccnz .LBB79_1208
; %bb.1206:
	v_mov_b32_e32 v1, 0
	s_and_not1_b32 vcc_lo, exec_lo, s34
	s_delay_alu instid0(VALU_DEP_1) | instskip(NEXT) | instid1(VALU_DEP_1)
	v_mul_u64_e32 v[2:3], s[18:19], v[0:1]
	v_add_nc_u32_e32 v2, v0, v3
	s_wait_loadcnt 0x0
	s_delay_alu instid0(VALU_DEP_1) | instskip(NEXT) | instid1(VALU_DEP_1)
	v_lshrrev_b32_e32 v8, s10, v2
	v_mul_lo_u32 v2, v8, s8
	s_delay_alu instid0(VALU_DEP_1) | instskip(NEXT) | instid1(VALU_DEP_1)
	v_sub_nc_u32_e32 v0, v0, v2
	v_mul_lo_u32 v2, v0, s12
	v_mul_lo_u32 v6, v0, s14
	;; [unrolled: 1-line block ×3, first 2 shown]
	s_cbranch_vccnz .LBB79_1208
; %bb.1207:
	v_mov_b32_e32 v9, v1
	s_delay_alu instid0(VALU_DEP_1) | instskip(NEXT) | instid1(VALU_DEP_1)
	v_mul_u64_e32 v[0:1], s[22:23], v[8:9]
	v_add_nc_u32_e32 v0, v8, v1
	s_delay_alu instid0(VALU_DEP_1) | instskip(NEXT) | instid1(VALU_DEP_1)
	v_lshrrev_b32_e32 v0, s1, v0
	v_mul_lo_u32 v0, v0, s11
	s_delay_alu instid0(VALU_DEP_1) | instskip(NEXT) | instid1(VALU_DEP_1)
	v_sub_nc_u32_e32 v0, v8, v0
	v_mad_u32 v2, v0, s15, v2
	v_mad_u32 v4, v0, s20, v4
	;; [unrolled: 1-line block ×3, first 2 shown]
.LBB79_1208:
	s_wait_loadcnt 0x0
	v_mov_b32_e32 v5, 0
	s_and_b32 s0, s33, 0xff
	s_delay_alu instid0(SALU_CYCLE_1) | instskip(NEXT) | instid1(VALU_DEP_1)
	s_cmp_lt_i32 s0, 11
	v_add_nc_u64_e32 v[8:9], s[6:7], v[4:5]
	s_cbranch_scc1 .LBB79_1215
; %bb.1209:
	s_and_b32 s1, 0xffff, s0
	s_mov_b32 s7, 0
	s_cmp_gt_i32 s1, 25
	s_cbranch_scc0 .LBB79_1216
; %bb.1210:
	s_cmp_gt_i32 s1, 28
	s_cbranch_scc0 .LBB79_1217
; %bb.1211:
	;; [unrolled: 3-line block ×4, first 2 shown]
	s_cmp_eq_u32 s1, 46
	s_mov_b32 s10, 0
	s_cbranch_scc0 .LBB79_1222
; %bb.1214:
	global_load_b32 v0, v[8:9], off
	s_mov_b32 s6, 0
	s_mov_b32 s8, -1
	s_wait_loadcnt 0x0
	v_lshlrev_b32_e32 v0, 16, v0
	s_delay_alu instid0(VALU_DEP_1)
	v_cvt_i32_f32_e32 v4, v0
	s_branch .LBB79_1224
.LBB79_1215:
	s_mov_b32 s1, -1
	s_mov_b32 s8, 0
	s_mov_b32 s7, 0
	;; [unrolled: 1-line block ×3, first 2 shown]
                                        ; implicit-def: $vgpr4
	s_branch .LBB79_1283
.LBB79_1216:
	s_mov_b32 s10, -1
	s_mov_b32 s8, 0
	s_mov_b32 s6, s47
                                        ; implicit-def: $vgpr4
	s_branch .LBB79_1251
.LBB79_1217:
	s_mov_b32 s10, -1
	s_mov_b32 s8, 0
	s_mov_b32 s6, s47
                                        ; implicit-def: $vgpr4
	s_branch .LBB79_1234
.LBB79_1218:
	s_mov_b32 s10, -1
	s_mov_b32 s8, 0
	s_mov_b32 s6, s47
                                        ; implicit-def: $vgpr4
	s_branch .LBB79_1229
.LBB79_1219:
	s_mov_b32 s10, -1
	s_mov_b32 s8, 0
	s_mov_b32 s6, s47
	s_branch .LBB79_1223
.LBB79_1220:
	s_and_not1_saveexec_b32 s51, s51
	s_cbranch_execz .LBB79_1102
.LBB79_1221:
	v_add_f32_e64 v5, 0x46000000, |v4|
	s_and_not1_b32 s50, s50, exec_lo
	s_delay_alu instid0(VALU_DEP_1) | instskip(NEXT) | instid1(VALU_DEP_1)
	v_and_b32_e32 v5, 0xff, v5
	v_cmp_ne_u32_e32 vcc_lo, 0, v5
	s_and_b32 s52, vcc_lo, exec_lo
	s_delay_alu instid0(SALU_CYCLE_1)
	s_or_b32 s50, s50, s52
	s_or_b32 exec_lo, exec_lo, s51
	v_mov_b32_e32 v6, 0
	s_and_saveexec_b32 s51, s50
	s_cbranch_execnz .LBB79_1103
	s_branch .LBB79_1104
.LBB79_1222:
	s_mov_b32 s6, -1
	s_mov_b32 s8, 0
.LBB79_1223:
                                        ; implicit-def: $vgpr4
.LBB79_1224:
	s_and_b32 vcc_lo, exec_lo, s10
	s_cbranch_vccz .LBB79_1228
; %bb.1225:
	s_cmp_eq_u32 s1, 44
	s_cbranch_scc0 .LBB79_1227
; %bb.1226:
	global_load_u8 v0, v[8:9], off
	s_mov_b32 s6, 0
	s_mov_b32 s8, -1
	s_wait_loadcnt 0x0
	v_lshlrev_b32_e32 v1, 23, v0
	v_cmp_ne_u32_e32 vcc_lo, 0, v0
	s_delay_alu instid0(VALU_DEP_2) | instskip(NEXT) | instid1(VALU_DEP_1)
	v_cvt_i32_f32_e32 v1, v1
	v_cndmask_b32_e32 v4, 0, v1, vcc_lo
	s_branch .LBB79_1228
.LBB79_1227:
	s_mov_b32 s6, -1
                                        ; implicit-def: $vgpr4
.LBB79_1228:
	s_mov_b32 s10, 0
.LBB79_1229:
	s_delay_alu instid0(SALU_CYCLE_1)
	s_and_b32 vcc_lo, exec_lo, s10
	s_cbranch_vccz .LBB79_1233
; %bb.1230:
	s_cmp_eq_u32 s1, 29
	s_cbranch_scc0 .LBB79_1232
; %bb.1231:
	global_load_b64 v[4:5], v[8:9], off
	s_mov_b32 s6, 0
	s_mov_b32 s8, -1
	s_branch .LBB79_1233
.LBB79_1232:
	s_mov_b32 s6, -1
                                        ; implicit-def: $vgpr4
.LBB79_1233:
	s_mov_b32 s10, 0
.LBB79_1234:
	s_delay_alu instid0(SALU_CYCLE_1)
	s_and_b32 vcc_lo, exec_lo, s10
	s_cbranch_vccz .LBB79_1250
; %bb.1235:
	s_cmp_lt_i32 s1, 27
	s_cbranch_scc1 .LBB79_1238
; %bb.1236:
	s_cmp_gt_i32 s1, 27
	s_cbranch_scc0 .LBB79_1239
; %bb.1237:
	s_wait_loadcnt 0x0
	global_load_b32 v4, v[8:9], off
	s_mov_b32 s8, 0
	s_branch .LBB79_1240
.LBB79_1238:
	s_mov_b32 s8, -1
                                        ; implicit-def: $vgpr4
	s_branch .LBB79_1243
.LBB79_1239:
	s_mov_b32 s8, -1
                                        ; implicit-def: $vgpr4
.LBB79_1240:
	s_delay_alu instid0(SALU_CYCLE_1)
	s_and_not1_b32 vcc_lo, exec_lo, s8
	s_cbranch_vccnz .LBB79_1242
; %bb.1241:
	s_wait_loadcnt 0x0
	global_load_u16 v4, v[8:9], off
.LBB79_1242:
	s_mov_b32 s8, 0
.LBB79_1243:
	s_delay_alu instid0(SALU_CYCLE_1)
	s_and_not1_b32 vcc_lo, exec_lo, s8
	s_cbranch_vccnz .LBB79_1249
; %bb.1244:
	global_load_u8 v0, v[8:9], off
	s_mov_b32 s10, 0
	s_mov_b32 s8, exec_lo
	s_wait_loadcnt 0x0
	v_cmpx_lt_i16_e32 0x7f, v0
	s_xor_b32 s8, exec_lo, s8
	s_cbranch_execz .LBB79_1261
; %bb.1245:
	v_cmp_ne_u16_e32 vcc_lo, 0x80, v0
	s_and_b32 s10, vcc_lo, exec_lo
	s_and_not1_saveexec_b32 s8, s8
	s_cbranch_execnz .LBB79_1262
.LBB79_1246:
	s_or_b32 exec_lo, exec_lo, s8
	v_mov_b32_e32 v4, 0
	s_and_saveexec_b32 s8, s10
	s_cbranch_execz .LBB79_1248
.LBB79_1247:
	v_and_b32_e32 v1, 0xffff, v0
	s_delay_alu instid0(VALU_DEP_1) | instskip(SKIP_1) | instid1(VALU_DEP_2)
	v_and_b32_e32 v3, 7, v1
	v_bfe_u32 v7, v1, 3, 4
	v_clz_i32_u32_e32 v4, v3
	s_delay_alu instid0(VALU_DEP_2) | instskip(NEXT) | instid1(VALU_DEP_2)
	v_cmp_eq_u32_e32 vcc_lo, 0, v7
	v_min_u32_e32 v4, 32, v4
	s_delay_alu instid0(VALU_DEP_1) | instskip(NEXT) | instid1(VALU_DEP_1)
	v_subrev_nc_u32_e32 v5, 28, v4
	v_dual_lshlrev_b32 v1, v5, v1 :: v_dual_sub_nc_u32 v4, 29, v4
	s_delay_alu instid0(VALU_DEP_1) | instskip(NEXT) | instid1(VALU_DEP_1)
	v_dual_lshlrev_b32 v0, 24, v0 :: v_dual_bitop2_b32 v1, 7, v1 bitop3:0x40
	v_cndmask_b32_e32 v1, v3, v1, vcc_lo
	s_delay_alu instid0(VALU_DEP_3) | instskip(NEXT) | instid1(VALU_DEP_3)
	v_cndmask_b32_e32 v4, v7, v4, vcc_lo
	v_and_b32_e32 v0, 0x80000000, v0
	s_delay_alu instid0(VALU_DEP_3) | instskip(NEXT) | instid1(VALU_DEP_3)
	v_lshlrev_b32_e32 v1, 20, v1
	v_lshl_add_u32 v3, v4, 23, 0x3b800000
	s_delay_alu instid0(VALU_DEP_1) | instskip(NEXT) | instid1(VALU_DEP_1)
	v_or3_b32 v0, v0, v3, v1
	v_cvt_i32_f32_e32 v4, v0
.LBB79_1248:
	s_or_b32 exec_lo, exec_lo, s8
.LBB79_1249:
	s_mov_b32 s8, -1
.LBB79_1250:
	s_mov_b32 s10, 0
.LBB79_1251:
	s_delay_alu instid0(SALU_CYCLE_1)
	s_and_b32 vcc_lo, exec_lo, s10
	s_cbranch_vccz .LBB79_1282
; %bb.1252:
	s_cmp_gt_i32 s1, 22
	s_cbranch_scc0 .LBB79_1260
; %bb.1253:
	s_cmp_lt_i32 s1, 24
	s_cbranch_scc1 .LBB79_1263
; %bb.1254:
	s_cmp_gt_i32 s1, 24
	s_cbranch_scc0 .LBB79_1264
; %bb.1255:
	global_load_u8 v0, v[8:9], off
	s_mov_b32 s8, 0
	s_mov_b32 s7, exec_lo
	s_wait_loadcnt 0x0
	v_cmpx_lt_i16_e32 0x7f, v0
	s_xor_b32 s7, exec_lo, s7
	s_cbranch_execz .LBB79_1276
; %bb.1256:
	v_cmp_ne_u16_e32 vcc_lo, 0x80, v0
	s_and_b32 s8, vcc_lo, exec_lo
	s_and_not1_saveexec_b32 s7, s7
	s_cbranch_execnz .LBB79_1277
.LBB79_1257:
	s_or_b32 exec_lo, exec_lo, s7
	v_mov_b32_e32 v4, 0
	s_and_saveexec_b32 s7, s8
	s_cbranch_execz .LBB79_1259
.LBB79_1258:
	v_and_b32_e32 v1, 0xffff, v0
	s_delay_alu instid0(VALU_DEP_1) | instskip(SKIP_1) | instid1(VALU_DEP_2)
	v_and_b32_e32 v3, 3, v1
	v_bfe_u32 v7, v1, 2, 5
	v_clz_i32_u32_e32 v4, v3
	s_delay_alu instid0(VALU_DEP_2) | instskip(NEXT) | instid1(VALU_DEP_2)
	v_cmp_eq_u32_e32 vcc_lo, 0, v7
	v_min_u32_e32 v4, 32, v4
	s_delay_alu instid0(VALU_DEP_1) | instskip(NEXT) | instid1(VALU_DEP_1)
	v_subrev_nc_u32_e32 v5, 29, v4
	v_dual_lshlrev_b32 v1, v5, v1 :: v_dual_sub_nc_u32 v4, 30, v4
	s_delay_alu instid0(VALU_DEP_1) | instskip(NEXT) | instid1(VALU_DEP_1)
	v_dual_lshlrev_b32 v0, 24, v0 :: v_dual_bitop2_b32 v1, 3, v1 bitop3:0x40
	v_cndmask_b32_e32 v1, v3, v1, vcc_lo
	s_delay_alu instid0(VALU_DEP_3) | instskip(NEXT) | instid1(VALU_DEP_3)
	v_cndmask_b32_e32 v4, v7, v4, vcc_lo
	v_and_b32_e32 v0, 0x80000000, v0
	s_delay_alu instid0(VALU_DEP_3) | instskip(NEXT) | instid1(VALU_DEP_3)
	v_lshlrev_b32_e32 v1, 21, v1
	v_lshl_add_u32 v3, v4, 23, 0x37800000
	s_delay_alu instid0(VALU_DEP_1) | instskip(NEXT) | instid1(VALU_DEP_1)
	v_or3_b32 v0, v0, v3, v1
	v_cvt_i32_f32_e32 v4, v0
.LBB79_1259:
	s_or_b32 exec_lo, exec_lo, s7
	s_mov_b32 s7, 0
	s_branch .LBB79_1265
.LBB79_1260:
	s_mov_b32 s7, -1
                                        ; implicit-def: $vgpr4
	s_branch .LBB79_1271
.LBB79_1261:
	s_and_not1_saveexec_b32 s8, s8
	s_cbranch_execz .LBB79_1246
.LBB79_1262:
	v_cmp_ne_u16_e32 vcc_lo, 0, v0
	s_and_not1_b32 s10, s10, exec_lo
	s_and_b32 s11, vcc_lo, exec_lo
	s_delay_alu instid0(SALU_CYCLE_1)
	s_or_b32 s10, s10, s11
	s_or_b32 exec_lo, exec_lo, s8
	v_mov_b32_e32 v4, 0
	s_and_saveexec_b32 s8, s10
	s_cbranch_execnz .LBB79_1247
	s_branch .LBB79_1248
.LBB79_1263:
	s_mov_b32 s7, -1
                                        ; implicit-def: $vgpr4
	s_branch .LBB79_1268
.LBB79_1264:
	s_mov_b32 s7, -1
                                        ; implicit-def: $vgpr4
.LBB79_1265:
	s_delay_alu instid0(SALU_CYCLE_1)
	s_and_b32 vcc_lo, exec_lo, s7
	s_cbranch_vccz .LBB79_1267
; %bb.1266:
	global_load_u8 v0, v[8:9], off
	s_wait_loadcnt 0x0
	v_lshlrev_b32_e32 v0, 24, v0
	s_delay_alu instid0(VALU_DEP_1) | instskip(NEXT) | instid1(VALU_DEP_1)
	v_and_b32_e32 v1, 0x7f000000, v0
	v_clz_i32_u32_e32 v3, v1
	v_add_nc_u32_e32 v5, 0x1000000, v1
	v_cmp_ne_u32_e32 vcc_lo, 0, v1
	s_delay_alu instid0(VALU_DEP_3) | instskip(NEXT) | instid1(VALU_DEP_1)
	v_min_u32_e32 v3, 32, v3
	v_sub_nc_u32_e64 v3, v3, 4 clamp
	s_delay_alu instid0(VALU_DEP_1) | instskip(NEXT) | instid1(VALU_DEP_1)
	v_dual_lshlrev_b32 v4, v3, v1 :: v_dual_lshlrev_b32 v3, 23, v3
	v_lshrrev_b32_e32 v4, 4, v4
	s_delay_alu instid0(VALU_DEP_1) | instskip(NEXT) | instid1(VALU_DEP_1)
	v_dual_sub_nc_u32 v3, v4, v3 :: v_dual_ashrrev_i32 v4, 8, v5
	v_add_nc_u32_e32 v3, 0x3c000000, v3
	s_delay_alu instid0(VALU_DEP_1) | instskip(NEXT) | instid1(VALU_DEP_1)
	v_and_or_b32 v3, 0x7f800000, v4, v3
	v_cndmask_b32_e32 v1, 0, v3, vcc_lo
	s_delay_alu instid0(VALU_DEP_1) | instskip(NEXT) | instid1(VALU_DEP_1)
	v_and_or_b32 v0, 0x80000000, v0, v1
	v_cvt_i32_f32_e32 v4, v0
.LBB79_1267:
	s_mov_b32 s7, 0
.LBB79_1268:
	s_delay_alu instid0(SALU_CYCLE_1)
	s_and_not1_b32 vcc_lo, exec_lo, s7
	s_cbranch_vccnz .LBB79_1270
; %bb.1269:
	global_load_u8 v0, v[8:9], off
	s_wait_loadcnt 0x0
	v_lshlrev_b32_e32 v1, 25, v0
	v_lshlrev_b16 v0, 8, v0
	s_delay_alu instid0(VALU_DEP_2) | instskip(NEXT) | instid1(VALU_DEP_2)
	v_cmp_gt_u32_e32 vcc_lo, 0x8000000, v1
	v_and_or_b32 v4, 0x7f00, v0, 0.5
	v_lshrrev_b32_e32 v3, 4, v1
	v_bfe_i32 v0, v0, 0, 16
	s_delay_alu instid0(VALU_DEP_3) | instskip(NEXT) | instid1(VALU_DEP_3)
	v_add_f32_e32 v4, -0.5, v4
	v_or_b32_e32 v3, 0x70000000, v3
	s_delay_alu instid0(VALU_DEP_1) | instskip(NEXT) | instid1(VALU_DEP_1)
	v_mul_f32_e32 v3, 0x7800000, v3
	v_cndmask_b32_e32 v1, v3, v4, vcc_lo
	s_delay_alu instid0(VALU_DEP_1) | instskip(NEXT) | instid1(VALU_DEP_1)
	v_and_or_b32 v0, 0x80000000, v0, v1
	v_cvt_i32_f32_e32 v4, v0
.LBB79_1270:
	s_mov_b32 s7, 0
	s_mov_b32 s8, -1
.LBB79_1271:
	s_and_not1_b32 vcc_lo, exec_lo, s7
	s_mov_b32 s7, 0
	s_cbranch_vccnz .LBB79_1282
; %bb.1272:
	s_cmp_gt_i32 s1, 14
	s_cbranch_scc0 .LBB79_1275
; %bb.1273:
	s_cmp_eq_u32 s1, 15
	s_cbranch_scc0 .LBB79_1278
; %bb.1274:
	global_load_u16 v0, v[8:9], off
	s_mov_b32 s6, 0
	s_mov_b32 s8, -1
	s_wait_loadcnt 0x0
	v_lshlrev_b32_e32 v0, 16, v0
	s_delay_alu instid0(VALU_DEP_1)
	v_cvt_i32_f32_e32 v4, v0
	s_branch .LBB79_1280
.LBB79_1275:
	s_mov_b32 s7, -1
	s_branch .LBB79_1279
.LBB79_1276:
	s_and_not1_saveexec_b32 s7, s7
	s_cbranch_execz .LBB79_1257
.LBB79_1277:
	v_cmp_ne_u16_e32 vcc_lo, 0, v0
	s_and_not1_b32 s8, s8, exec_lo
	s_and_b32 s10, vcc_lo, exec_lo
	s_delay_alu instid0(SALU_CYCLE_1)
	s_or_b32 s8, s8, s10
	s_or_b32 exec_lo, exec_lo, s7
	v_mov_b32_e32 v4, 0
	s_and_saveexec_b32 s7, s8
	s_cbranch_execnz .LBB79_1258
	s_branch .LBB79_1259
.LBB79_1278:
	s_mov_b32 s6, -1
.LBB79_1279:
                                        ; implicit-def: $vgpr4
.LBB79_1280:
	s_and_b32 vcc_lo, exec_lo, s7
	s_mov_b32 s7, 0
	s_cbranch_vccz .LBB79_1282
; %bb.1281:
	s_cmp_lg_u32 s1, 11
	s_mov_b32 s7, -1
	s_cselect_b32 s1, -1, 0
	s_and_not1_b32 s6, s6, exec_lo
	s_and_b32 s1, s1, exec_lo
	s_delay_alu instid0(SALU_CYCLE_1)
	s_or_b32 s6, s6, s1
.LBB79_1282:
	s_mov_b32 s1, 0
.LBB79_1283:
	s_delay_alu instid0(SALU_CYCLE_1)
	s_and_b32 s50, s1, exec_lo
	s_and_not1_b32 s1, s47, exec_lo
	s_and_b32 s6, s6, exec_lo
	s_and_b32 s24, s8, exec_lo
	s_and_b32 s25, s7, exec_lo
	s_or_b32 s51, s1, s6
.LBB79_1284:
	s_wait_xcnt 0x0
	s_or_b32 exec_lo, exec_lo, s36
	s_delay_alu instid0(SALU_CYCLE_1)
	s_and_not1_b32 s1, s47, exec_lo
	s_and_b32 s6, s51, exec_lo
	s_and_b32 s24, s24, exec_lo
	;; [unrolled: 1-line block ×4, first 2 shown]
	s_or_b32 s47, s1, s6
.LBB79_1285:
	s_or_b32 exec_lo, exec_lo, s46
	s_delay_alu instid0(SALU_CYCLE_1)
	s_and_not1_b32 s1, s43, exec_lo
	s_and_b32 s6, s48, exec_lo
	s_and_not1_b32 s7, s44, exec_lo
	s_and_b32 s8, s49, exec_lo
	s_or_b32 s43, s1, s6
	s_and_not1_b32 s1, s42, exec_lo
	s_and_b32 s6, s47, exec_lo
	s_or_b32 s44, s7, s8
	s_and_b32 s24, s24, exec_lo
	s_and_b32 s46, s50, exec_lo
	;; [unrolled: 1-line block ×3, first 2 shown]
	s_or_b32 s42, s1, s6
.LBB79_1286:
	s_or_b32 exec_lo, exec_lo, s45
	s_delay_alu instid0(SALU_CYCLE_1)
	s_and_not1_b32 s1, s38, exec_lo
	s_and_b32 s6, s43, exec_lo
	s_and_not1_b32 s7, s39, exec_lo
	s_and_b32 s8, s44, exec_lo
	s_or_b32 s38, s1, s6
	s_and_not1_b32 s1, s40, exec_lo
	s_and_b32 s6, s42, exec_lo
	s_or_b32 s39, s7, s8
	s_and_b32 s24, s24, exec_lo
	s_and_b32 s43, s46, exec_lo
	s_and_b32 s19, s25, exec_lo
	s_or_b32 s40, s1, s6
	s_or_b32 exec_lo, exec_lo, s41
	s_mov_b32 s1, 0
	s_and_saveexec_b32 s6, s40
	s_cbranch_execz .LBB79_400
.LBB79_1287:
	s_mov_b32 s1, exec_lo
	s_and_not1_b32 s19, s19, exec_lo
	s_trap 2
	s_or_b32 exec_lo, exec_lo, s6
	s_and_saveexec_b32 s6, s19
	s_delay_alu instid0(SALU_CYCLE_1)
	s_xor_b32 s6, exec_lo, s6
	s_cbranch_execnz .LBB79_401
.LBB79_1288:
	s_or_b32 exec_lo, exec_lo, s6
	s_and_saveexec_b32 s6, s43
	s_cbranch_execz .LBB79_1334
.LBB79_1289:
	s_sext_i32_i16 s7, s0
	s_delay_alu instid0(SALU_CYCLE_1)
	s_cmp_lt_i32 s7, 5
	s_cbranch_scc1 .LBB79_1294
; %bb.1290:
	s_cmp_lt_i32 s7, 8
	s_cbranch_scc1 .LBB79_1295
; %bb.1291:
	;; [unrolled: 3-line block ×3, first 2 shown]
	s_cmp_gt_i32 s7, 9
	s_cbranch_scc0 .LBB79_1297
; %bb.1293:
	s_wait_loadcnt 0x0
	global_load_b64 v[0:1], v[8:9], off
	s_mov_b32 s7, 0
	s_wait_loadcnt 0x0
	v_cvt_i32_f64_e32 v4, v[0:1]
	s_branch .LBB79_1298
.LBB79_1294:
                                        ; implicit-def: $vgpr4
	s_branch .LBB79_1315
.LBB79_1295:
                                        ; implicit-def: $vgpr4
	s_branch .LBB79_1304
.LBB79_1296:
	s_mov_b32 s7, -1
                                        ; implicit-def: $vgpr4
	s_branch .LBB79_1301
.LBB79_1297:
	s_mov_b32 s7, -1
                                        ; implicit-def: $vgpr4
.LBB79_1298:
	s_delay_alu instid0(SALU_CYCLE_1)
	s_and_not1_b32 vcc_lo, exec_lo, s7
	s_cbranch_vccnz .LBB79_1300
; %bb.1299:
	s_wait_loadcnt 0x0
	global_load_b32 v0, v[8:9], off
	s_wait_loadcnt 0x0
	v_cvt_i32_f32_e32 v4, v0
.LBB79_1300:
	s_mov_b32 s7, 0
.LBB79_1301:
	s_delay_alu instid0(SALU_CYCLE_1)
	s_and_not1_b32 vcc_lo, exec_lo, s7
	s_cbranch_vccnz .LBB79_1303
; %bb.1302:
	s_wait_loadcnt 0x0
	global_load_b32 v0, v[8:9], off
	s_wait_loadcnt 0x0
	v_cvt_i16_f16_e32 v4, v0
.LBB79_1303:
	s_cbranch_execnz .LBB79_1314
.LBB79_1304:
	s_sext_i32_i16 s7, s0
	s_delay_alu instid0(SALU_CYCLE_1)
	s_cmp_lt_i32 s7, 6
	s_cbranch_scc1 .LBB79_1307
; %bb.1305:
	s_cmp_gt_i32 s7, 6
	s_cbranch_scc0 .LBB79_1308
; %bb.1306:
	s_wait_loadcnt 0x0
	global_load_b64 v[0:1], v[8:9], off
	s_mov_b32 s7, 0
	s_wait_loadcnt 0x0
	v_cvt_i32_f64_e32 v4, v[0:1]
	s_branch .LBB79_1309
.LBB79_1307:
	s_mov_b32 s7, -1
                                        ; implicit-def: $vgpr4
	s_branch .LBB79_1312
.LBB79_1308:
	s_mov_b32 s7, -1
                                        ; implicit-def: $vgpr4
.LBB79_1309:
	s_delay_alu instid0(SALU_CYCLE_1)
	s_and_not1_b32 vcc_lo, exec_lo, s7
	s_cbranch_vccnz .LBB79_1311
; %bb.1310:
	s_wait_loadcnt 0x0
	global_load_b32 v0, v[8:9], off
	s_wait_loadcnt 0x0
	v_cvt_i32_f32_e32 v4, v0
.LBB79_1311:
	s_mov_b32 s7, 0
.LBB79_1312:
	s_delay_alu instid0(SALU_CYCLE_1)
	s_and_not1_b32 vcc_lo, exec_lo, s7
	s_cbranch_vccnz .LBB79_1314
; %bb.1313:
	s_wait_loadcnt 0x0
	global_load_u16 v0, v[8:9], off
	s_wait_loadcnt 0x0
	v_cvt_i16_f16_e32 v4, v0
.LBB79_1314:
	s_cbranch_execnz .LBB79_1333
.LBB79_1315:
	s_sext_i32_i16 s7, s0
	s_delay_alu instid0(SALU_CYCLE_1)
	s_cmp_lt_i32 s7, 2
	s_cbranch_scc1 .LBB79_1319
; %bb.1316:
	s_cmp_lt_i32 s7, 3
	s_cbranch_scc1 .LBB79_1320
; %bb.1317:
	s_cmp_gt_i32 s7, 3
	s_cbranch_scc0 .LBB79_1321
; %bb.1318:
	s_wait_loadcnt 0x0
	global_load_b64 v[4:5], v[8:9], off
	s_mov_b32 s7, 0
	s_branch .LBB79_1322
.LBB79_1319:
                                        ; implicit-def: $vgpr4
	s_branch .LBB79_1328
.LBB79_1320:
	s_mov_b32 s7, -1
                                        ; implicit-def: $vgpr4
	s_branch .LBB79_1325
.LBB79_1321:
	s_mov_b32 s7, -1
                                        ; implicit-def: $vgpr4
.LBB79_1322:
	s_delay_alu instid0(SALU_CYCLE_1)
	s_and_not1_b32 vcc_lo, exec_lo, s7
	s_cbranch_vccnz .LBB79_1324
; %bb.1323:
	s_wait_loadcnt 0x0
	global_load_b32 v4, v[8:9], off
.LBB79_1324:
	s_mov_b32 s7, 0
.LBB79_1325:
	s_delay_alu instid0(SALU_CYCLE_1)
	s_and_not1_b32 vcc_lo, exec_lo, s7
	s_cbranch_vccnz .LBB79_1327
; %bb.1326:
	s_wait_loadcnt 0x0
	global_load_u16 v4, v[8:9], off
.LBB79_1327:
	s_cbranch_execnz .LBB79_1333
.LBB79_1328:
	s_sext_i32_i16 s0, s0
	s_delay_alu instid0(SALU_CYCLE_1)
	s_cmp_gt_i32 s0, 0
	s_mov_b32 s0, 0
	s_cbranch_scc0 .LBB79_1330
; %bb.1329:
	s_wait_loadcnt 0x0
	global_load_i8 v4, v[8:9], off
	s_branch .LBB79_1331
.LBB79_1330:
	s_mov_b32 s0, -1
                                        ; implicit-def: $vgpr4
.LBB79_1331:
	s_delay_alu instid0(SALU_CYCLE_1)
	s_and_not1_b32 vcc_lo, exec_lo, s0
	s_cbranch_vccnz .LBB79_1333
; %bb.1332:
	s_wait_loadcnt 0x0
	global_load_u8 v4, v[8:9], off
.LBB79_1333:
	s_or_b32 s24, s24, exec_lo
.LBB79_1334:
	s_wait_xcnt 0x0
	s_or_b32 exec_lo, exec_lo, s6
	s_mov_b32 s8, 0
	s_mov_b32 s7, 0
	;; [unrolled: 1-line block ×3, first 2 shown]
                                        ; implicit-def: $sgpr0
                                        ; implicit-def: $vgpr0_vgpr1
                                        ; implicit-def: $vgpr8
	s_and_saveexec_b32 s6, s24
	s_cbranch_execz .LBB79_1342
; %bb.1335:
	v_mov_b32_e32 v7, 0
	s_and_b32 s0, s9, 0xff
	s_delay_alu instid0(SALU_CYCLE_1) | instskip(NEXT) | instid1(VALU_DEP_1)
	s_cmp_lt_i32 s0, 11
	v_add_nc_u64_e32 v[0:1], s[16:17], v[6:7]
	s_cbranch_scc1 .LBB79_1345
; %bb.1336:
	s_and_b32 s7, 0xffff, s0
	s_mov_b32 s9, 0
	s_cmp_gt_i32 s7, 25
	s_cbranch_scc0 .LBB79_1346
; %bb.1337:
	s_cmp_gt_i32 s7, 28
	s_cbranch_scc0 .LBB79_1347
; %bb.1338:
	;; [unrolled: 3-line block ×4, first 2 shown]
	s_cmp_eq_u32 s7, 46
	s_mov_b32 s11, 0
	s_cbranch_scc0 .LBB79_1350
; %bb.1341:
	global_load_b32 v3, v[0:1], off
	s_mov_b32 s10, -1
	s_wait_loadcnt 0x0
	v_lshlrev_b32_e32 v3, 16, v3
	s_delay_alu instid0(VALU_DEP_1)
	v_cvt_i32_f32_e32 v8, v3
	s_branch .LBB79_1352
.LBB79_1342:
	s_or_b32 exec_lo, exec_lo, s6
	s_and_saveexec_b32 s6, s39
	s_cbranch_execnz .LBB79_1411
.LBB79_1343:
	s_or_b32 exec_lo, exec_lo, s6
	s_and_saveexec_b32 s6, s8
	s_delay_alu instid0(SALU_CYCLE_1)
	s_xor_b32 s6, exec_lo, s6
	s_cbranch_execz .LBB79_1412
.LBB79_1344:
	global_load_u8 v3, v[0:1], off
	s_or_b32 s10, s10, exec_lo
	s_wait_loadcnt 0x0
	v_cmp_ne_u16_e32 vcc_lo, 0, v3
	v_cndmask_b32_e64 v8, 0, 1, vcc_lo
	s_wait_xcnt 0x0
	s_or_b32 exec_lo, exec_lo, s6
	s_and_saveexec_b32 s6, s7
	s_cbranch_execz .LBB79_1458
	s_branch .LBB79_1413
.LBB79_1345:
	s_mov_b32 s7, -1
	s_mov_b32 s9, 0
	s_mov_b32 s8, s39
                                        ; implicit-def: $vgpr8
	s_branch .LBB79_1410
.LBB79_1346:
	s_mov_b32 s8, s39
                                        ; implicit-def: $vgpr8
	s_cbranch_execnz .LBB79_1379
	s_branch .LBB79_1409
.LBB79_1347:
	s_mov_b32 s11, -1
	s_mov_b32 s8, s39
                                        ; implicit-def: $vgpr8
	s_branch .LBB79_1362
.LBB79_1348:
	s_mov_b32 s11, -1
	s_mov_b32 s8, s39
                                        ; implicit-def: $vgpr8
	s_branch .LBB79_1357
.LBB79_1349:
	s_mov_b32 s11, -1
	s_mov_b32 s8, s39
	s_branch .LBB79_1351
.LBB79_1350:
	s_mov_b32 s8, -1
.LBB79_1351:
                                        ; implicit-def: $vgpr8
.LBB79_1352:
	s_and_b32 vcc_lo, exec_lo, s11
	s_cbranch_vccz .LBB79_1356
; %bb.1353:
	s_cmp_eq_u32 s7, 44
	s_cbranch_scc0 .LBB79_1355
; %bb.1354:
	global_load_u8 v3, v[0:1], off
	s_mov_b32 s8, 0
	s_mov_b32 s10, -1
	s_wait_loadcnt 0x0
	v_lshlrev_b32_e32 v5, 23, v3
	v_cmp_ne_u32_e32 vcc_lo, 0, v3
	s_delay_alu instid0(VALU_DEP_2) | instskip(NEXT) | instid1(VALU_DEP_1)
	v_cvt_i32_f32_e32 v5, v5
	v_cndmask_b32_e32 v8, 0, v5, vcc_lo
	s_branch .LBB79_1356
.LBB79_1355:
	s_mov_b32 s8, -1
                                        ; implicit-def: $vgpr8
.LBB79_1356:
	s_mov_b32 s11, 0
.LBB79_1357:
	s_delay_alu instid0(SALU_CYCLE_1)
	s_and_b32 vcc_lo, exec_lo, s11
	s_cbranch_vccz .LBB79_1361
; %bb.1358:
	s_cmp_eq_u32 s7, 29
	s_cbranch_scc0 .LBB79_1360
; %bb.1359:
	s_wait_loadcnt 0x0
	global_load_b64 v[8:9], v[0:1], off
	s_mov_b32 s8, 0
	s_mov_b32 s10, -1
	s_branch .LBB79_1361
.LBB79_1360:
	s_mov_b32 s8, -1
                                        ; implicit-def: $vgpr8
.LBB79_1361:
	s_mov_b32 s11, 0
.LBB79_1362:
	s_delay_alu instid0(SALU_CYCLE_1)
	s_and_b32 vcc_lo, exec_lo, s11
	s_cbranch_vccz .LBB79_1378
; %bb.1363:
	s_cmp_lt_i32 s7, 27
	s_cbranch_scc1 .LBB79_1366
; %bb.1364:
	s_cmp_gt_i32 s7, 27
	s_cbranch_scc0 .LBB79_1367
; %bb.1365:
	s_wait_loadcnt 0x0
	global_load_b32 v8, v[0:1], off
	s_mov_b32 s10, 0
	s_branch .LBB79_1368
.LBB79_1366:
	s_mov_b32 s10, -1
                                        ; implicit-def: $vgpr8
	s_branch .LBB79_1371
.LBB79_1367:
	s_mov_b32 s10, -1
                                        ; implicit-def: $vgpr8
.LBB79_1368:
	s_delay_alu instid0(SALU_CYCLE_1)
	s_and_not1_b32 vcc_lo, exec_lo, s10
	s_cbranch_vccnz .LBB79_1370
; %bb.1369:
	s_wait_loadcnt 0x0
	global_load_u16 v8, v[0:1], off
.LBB79_1370:
	s_mov_b32 s10, 0
.LBB79_1371:
	s_delay_alu instid0(SALU_CYCLE_1)
	s_and_not1_b32 vcc_lo, exec_lo, s10
	s_cbranch_vccnz .LBB79_1377
; %bb.1372:
	global_load_u8 v3, v[0:1], off
	s_mov_b32 s11, 0
	s_mov_b32 s10, exec_lo
	s_wait_loadcnt 0x0
	v_cmpx_lt_i16_e32 0x7f, v3
	s_xor_b32 s10, exec_lo, s10
	s_cbranch_execz .LBB79_1388
; %bb.1373:
	v_cmp_ne_u16_e32 vcc_lo, 0x80, v3
	s_and_b32 s11, vcc_lo, exec_lo
	s_and_not1_saveexec_b32 s10, s10
	s_cbranch_execnz .LBB79_1389
.LBB79_1374:
	s_or_b32 exec_lo, exec_lo, s10
	v_mov_b32_e32 v8, 0
	s_and_saveexec_b32 s10, s11
	s_cbranch_execz .LBB79_1376
.LBB79_1375:
	v_and_b32_e32 v5, 0xffff, v3
	s_delay_alu instid0(VALU_DEP_1) | instskip(SKIP_1) | instid1(VALU_DEP_2)
	v_and_b32_e32 v6, 7, v5
	v_bfe_u32 v9, v5, 3, 4
	v_clz_i32_u32_e32 v7, v6
	s_delay_alu instid0(VALU_DEP_2) | instskip(NEXT) | instid1(VALU_DEP_2)
	v_cmp_eq_u32_e32 vcc_lo, 0, v9
	v_min_u32_e32 v7, 32, v7
	s_delay_alu instid0(VALU_DEP_1) | instskip(NEXT) | instid1(VALU_DEP_1)
	v_subrev_nc_u32_e32 v8, 28, v7
	v_dual_lshlrev_b32 v5, v8, v5 :: v_dual_sub_nc_u32 v7, 29, v7
	s_delay_alu instid0(VALU_DEP_1) | instskip(NEXT) | instid1(VALU_DEP_1)
	v_dual_lshlrev_b32 v3, 24, v3 :: v_dual_bitop2_b32 v5, 7, v5 bitop3:0x40
	v_dual_cndmask_b32 v5, v6, v5, vcc_lo :: v_dual_cndmask_b32 v7, v9, v7, vcc_lo
	s_delay_alu instid0(VALU_DEP_2) | instskip(NEXT) | instid1(VALU_DEP_2)
	v_and_b32_e32 v3, 0x80000000, v3
	v_lshlrev_b32_e32 v5, 20, v5
	s_delay_alu instid0(VALU_DEP_3) | instskip(NEXT) | instid1(VALU_DEP_1)
	v_lshl_add_u32 v6, v7, 23, 0x3b800000
	v_or3_b32 v3, v3, v6, v5
	s_delay_alu instid0(VALU_DEP_1)
	v_cvt_i32_f32_e32 v8, v3
.LBB79_1376:
	s_or_b32 exec_lo, exec_lo, s10
.LBB79_1377:
	s_mov_b32 s10, -1
.LBB79_1378:
	s_branch .LBB79_1409
.LBB79_1379:
	s_cmp_gt_i32 s7, 22
	s_cbranch_scc0 .LBB79_1387
; %bb.1380:
	s_cmp_lt_i32 s7, 24
	s_cbranch_scc1 .LBB79_1390
; %bb.1381:
	s_cmp_gt_i32 s7, 24
	s_cbranch_scc0 .LBB79_1391
; %bb.1382:
	global_load_u8 v3, v[0:1], off
	s_mov_b32 s10, 0
	s_mov_b32 s9, exec_lo
	s_wait_loadcnt 0x0
	v_cmpx_lt_i16_e32 0x7f, v3
	s_xor_b32 s9, exec_lo, s9
	s_cbranch_execz .LBB79_1403
; %bb.1383:
	v_cmp_ne_u16_e32 vcc_lo, 0x80, v3
	s_and_b32 s10, vcc_lo, exec_lo
	s_and_not1_saveexec_b32 s9, s9
	s_cbranch_execnz .LBB79_1404
.LBB79_1384:
	s_or_b32 exec_lo, exec_lo, s9
	v_mov_b32_e32 v8, 0
	s_and_saveexec_b32 s9, s10
	s_cbranch_execz .LBB79_1386
.LBB79_1385:
	v_and_b32_e32 v5, 0xffff, v3
	s_delay_alu instid0(VALU_DEP_1) | instskip(SKIP_1) | instid1(VALU_DEP_2)
	v_and_b32_e32 v6, 3, v5
	v_bfe_u32 v9, v5, 2, 5
	v_clz_i32_u32_e32 v7, v6
	s_delay_alu instid0(VALU_DEP_2) | instskip(NEXT) | instid1(VALU_DEP_2)
	v_cmp_eq_u32_e32 vcc_lo, 0, v9
	v_min_u32_e32 v7, 32, v7
	s_delay_alu instid0(VALU_DEP_1) | instskip(NEXT) | instid1(VALU_DEP_1)
	v_subrev_nc_u32_e32 v8, 29, v7
	v_dual_lshlrev_b32 v5, v8, v5 :: v_dual_sub_nc_u32 v7, 30, v7
	s_delay_alu instid0(VALU_DEP_1) | instskip(NEXT) | instid1(VALU_DEP_1)
	v_dual_lshlrev_b32 v3, 24, v3 :: v_dual_bitop2_b32 v5, 3, v5 bitop3:0x40
	v_dual_cndmask_b32 v5, v6, v5, vcc_lo :: v_dual_cndmask_b32 v7, v9, v7, vcc_lo
	s_delay_alu instid0(VALU_DEP_2) | instskip(NEXT) | instid1(VALU_DEP_2)
	v_and_b32_e32 v3, 0x80000000, v3
	v_lshlrev_b32_e32 v5, 21, v5
	s_delay_alu instid0(VALU_DEP_3) | instskip(NEXT) | instid1(VALU_DEP_1)
	v_lshl_add_u32 v6, v7, 23, 0x37800000
	v_or3_b32 v3, v3, v6, v5
	s_delay_alu instid0(VALU_DEP_1)
	v_cvt_i32_f32_e32 v8, v3
.LBB79_1386:
	s_or_b32 exec_lo, exec_lo, s9
	s_mov_b32 s9, 0
	s_branch .LBB79_1392
.LBB79_1387:
	s_mov_b32 s9, -1
                                        ; implicit-def: $vgpr8
	s_branch .LBB79_1398
.LBB79_1388:
	s_and_not1_saveexec_b32 s10, s10
	s_cbranch_execz .LBB79_1374
.LBB79_1389:
	v_cmp_ne_u16_e32 vcc_lo, 0, v3
	s_and_not1_b32 s11, s11, exec_lo
	s_and_b32 s12, vcc_lo, exec_lo
	s_delay_alu instid0(SALU_CYCLE_1)
	s_or_b32 s11, s11, s12
	s_or_b32 exec_lo, exec_lo, s10
	v_mov_b32_e32 v8, 0
	s_and_saveexec_b32 s10, s11
	s_cbranch_execnz .LBB79_1375
	s_branch .LBB79_1376
.LBB79_1390:
	s_mov_b32 s9, -1
                                        ; implicit-def: $vgpr8
	s_branch .LBB79_1395
.LBB79_1391:
	s_mov_b32 s9, -1
                                        ; implicit-def: $vgpr8
.LBB79_1392:
	s_delay_alu instid0(SALU_CYCLE_1)
	s_and_b32 vcc_lo, exec_lo, s9
	s_cbranch_vccz .LBB79_1394
; %bb.1393:
	global_load_u8 v3, v[0:1], off
	s_wait_loadcnt 0x0
	v_lshlrev_b32_e32 v3, 24, v3
	s_delay_alu instid0(VALU_DEP_1) | instskip(NEXT) | instid1(VALU_DEP_1)
	v_and_b32_e32 v5, 0x7f000000, v3
	v_clz_i32_u32_e32 v6, v5
	v_cmp_ne_u32_e32 vcc_lo, 0, v5
	v_add_nc_u32_e32 v8, 0x1000000, v5
	s_delay_alu instid0(VALU_DEP_3) | instskip(NEXT) | instid1(VALU_DEP_1)
	v_min_u32_e32 v6, 32, v6
	v_sub_nc_u32_e64 v6, v6, 4 clamp
	s_delay_alu instid0(VALU_DEP_1) | instskip(NEXT) | instid1(VALU_DEP_1)
	v_dual_lshlrev_b32 v7, v6, v5 :: v_dual_lshlrev_b32 v6, 23, v6
	v_lshrrev_b32_e32 v7, 4, v7
	s_delay_alu instid0(VALU_DEP_1) | instskip(NEXT) | instid1(VALU_DEP_1)
	v_dual_sub_nc_u32 v6, v7, v6 :: v_dual_ashrrev_i32 v7, 8, v8
	v_add_nc_u32_e32 v6, 0x3c000000, v6
	s_delay_alu instid0(VALU_DEP_1) | instskip(NEXT) | instid1(VALU_DEP_1)
	v_and_or_b32 v6, 0x7f800000, v7, v6
	v_cndmask_b32_e32 v5, 0, v6, vcc_lo
	s_delay_alu instid0(VALU_DEP_1) | instskip(NEXT) | instid1(VALU_DEP_1)
	v_and_or_b32 v3, 0x80000000, v3, v5
	v_cvt_i32_f32_e32 v8, v3
.LBB79_1394:
	s_mov_b32 s9, 0
.LBB79_1395:
	s_delay_alu instid0(SALU_CYCLE_1)
	s_and_not1_b32 vcc_lo, exec_lo, s9
	s_cbranch_vccnz .LBB79_1397
; %bb.1396:
	global_load_u8 v3, v[0:1], off
	s_wait_loadcnt 0x0
	v_lshlrev_b32_e32 v5, 25, v3
	v_lshlrev_b16 v3, 8, v3
	s_delay_alu instid0(VALU_DEP_1) | instskip(NEXT) | instid1(VALU_DEP_3)
	v_and_or_b32 v7, 0x7f00, v3, 0.5
	v_lshrrev_b32_e32 v6, 4, v5
	v_bfe_i32 v3, v3, 0, 16
	s_delay_alu instid0(VALU_DEP_3) | instskip(NEXT) | instid1(VALU_DEP_3)
	v_add_f32_e32 v7, -0.5, v7
	v_or_b32_e32 v6, 0x70000000, v6
	s_delay_alu instid0(VALU_DEP_1) | instskip(SKIP_1) | instid1(VALU_DEP_2)
	v_mul_f32_e32 v6, 0x7800000, v6
	v_cmp_gt_u32_e32 vcc_lo, 0x8000000, v5
	v_cndmask_b32_e32 v5, v6, v7, vcc_lo
	s_delay_alu instid0(VALU_DEP_1) | instskip(NEXT) | instid1(VALU_DEP_1)
	v_and_or_b32 v3, 0x80000000, v3, v5
	v_cvt_i32_f32_e32 v8, v3
.LBB79_1397:
	s_mov_b32 s9, 0
	s_mov_b32 s10, -1
.LBB79_1398:
	s_and_not1_b32 vcc_lo, exec_lo, s9
	s_mov_b32 s9, 0
	s_cbranch_vccnz .LBB79_1409
; %bb.1399:
	s_cmp_gt_i32 s7, 14
	s_cbranch_scc0 .LBB79_1402
; %bb.1400:
	s_cmp_eq_u32 s7, 15
	s_cbranch_scc0 .LBB79_1405
; %bb.1401:
	global_load_u16 v3, v[0:1], off
	s_mov_b32 s8, 0
	s_mov_b32 s10, -1
	s_wait_loadcnt 0x0
	v_lshlrev_b32_e32 v3, 16, v3
	s_delay_alu instid0(VALU_DEP_1)
	v_cvt_i32_f32_e32 v8, v3
	s_branch .LBB79_1407
.LBB79_1402:
	s_mov_b32 s9, -1
	s_branch .LBB79_1406
.LBB79_1403:
	s_and_not1_saveexec_b32 s9, s9
	s_cbranch_execz .LBB79_1384
.LBB79_1404:
	v_cmp_ne_u16_e32 vcc_lo, 0, v3
	s_and_not1_b32 s10, s10, exec_lo
	s_and_b32 s11, vcc_lo, exec_lo
	s_delay_alu instid0(SALU_CYCLE_1)
	s_or_b32 s10, s10, s11
	s_or_b32 exec_lo, exec_lo, s9
	v_mov_b32_e32 v8, 0
	s_and_saveexec_b32 s9, s10
	s_cbranch_execnz .LBB79_1385
	s_branch .LBB79_1386
.LBB79_1405:
	s_mov_b32 s8, -1
.LBB79_1406:
                                        ; implicit-def: $vgpr8
.LBB79_1407:
	s_and_b32 vcc_lo, exec_lo, s9
	s_mov_b32 s9, 0
	s_cbranch_vccz .LBB79_1409
; %bb.1408:
	s_cmp_lg_u32 s7, 11
	s_mov_b32 s9, -1
	s_cselect_b32 s7, -1, 0
	s_and_not1_b32 s8, s8, exec_lo
	s_and_b32 s7, s7, exec_lo
	s_delay_alu instid0(SALU_CYCLE_1)
	s_or_b32 s8, s8, s7
.LBB79_1409:
	s_mov_b32 s7, 0
.LBB79_1410:
	s_and_not1_b32 s11, s39, exec_lo
	s_and_b32 s12, s8, exec_lo
	s_and_b32 s10, s10, exec_lo
	;; [unrolled: 1-line block ×4, first 2 shown]
	s_or_b32 s39, s11, s12
	s_wait_xcnt 0x0
	s_or_b32 exec_lo, exec_lo, s6
	s_and_saveexec_b32 s6, s39
	s_cbranch_execz .LBB79_1343
.LBB79_1411:
	s_or_b32 s1, s1, exec_lo
	s_and_not1_b32 s8, s8, exec_lo
	s_trap 2
	s_or_b32 exec_lo, exec_lo, s6
	s_and_saveexec_b32 s6, s8
	s_delay_alu instid0(SALU_CYCLE_1)
	s_xor_b32 s6, exec_lo, s6
	s_cbranch_execnz .LBB79_1344
.LBB79_1412:
	s_or_b32 exec_lo, exec_lo, s6
	s_and_saveexec_b32 s6, s7
	s_cbranch_execz .LBB79_1458
.LBB79_1413:
	s_sext_i32_i16 s7, s0
	s_delay_alu instid0(SALU_CYCLE_1)
	s_cmp_lt_i32 s7, 5
	s_cbranch_scc1 .LBB79_1418
; %bb.1414:
	s_cmp_lt_i32 s7, 8
	s_cbranch_scc1 .LBB79_1419
; %bb.1415:
	;; [unrolled: 3-line block ×3, first 2 shown]
	s_cmp_gt_i32 s7, 9
	s_cbranch_scc0 .LBB79_1421
; %bb.1417:
	global_load_b64 v[6:7], v[0:1], off
	s_mov_b32 s7, 0
	s_wait_loadcnt 0x0
	v_cvt_i32_f64_e32 v8, v[6:7]
	s_branch .LBB79_1422
.LBB79_1418:
                                        ; implicit-def: $vgpr8
	s_branch .LBB79_1439
.LBB79_1419:
                                        ; implicit-def: $vgpr8
	s_branch .LBB79_1428
.LBB79_1420:
	s_mov_b32 s7, -1
                                        ; implicit-def: $vgpr8
	s_branch .LBB79_1425
.LBB79_1421:
	s_mov_b32 s7, -1
                                        ; implicit-def: $vgpr8
.LBB79_1422:
	s_delay_alu instid0(SALU_CYCLE_1)
	s_and_not1_b32 vcc_lo, exec_lo, s7
	s_cbranch_vccnz .LBB79_1424
; %bb.1423:
	global_load_b32 v3, v[0:1], off
	s_wait_loadcnt 0x0
	v_cvt_i32_f32_e32 v8, v3
.LBB79_1424:
	s_mov_b32 s7, 0
.LBB79_1425:
	s_delay_alu instid0(SALU_CYCLE_1)
	s_and_not1_b32 vcc_lo, exec_lo, s7
	s_cbranch_vccnz .LBB79_1427
; %bb.1426:
	global_load_b32 v3, v[0:1], off
	s_wait_loadcnt 0x0
	v_cvt_i16_f16_e32 v8, v3
.LBB79_1427:
	s_cbranch_execnz .LBB79_1438
.LBB79_1428:
	s_sext_i32_i16 s7, s0
	s_delay_alu instid0(SALU_CYCLE_1)
	s_cmp_lt_i32 s7, 6
	s_cbranch_scc1 .LBB79_1431
; %bb.1429:
	s_cmp_gt_i32 s7, 6
	s_cbranch_scc0 .LBB79_1432
; %bb.1430:
	global_load_b64 v[6:7], v[0:1], off
	s_mov_b32 s7, 0
	s_wait_loadcnt 0x0
	v_cvt_i32_f64_e32 v8, v[6:7]
	s_branch .LBB79_1433
.LBB79_1431:
	s_mov_b32 s7, -1
                                        ; implicit-def: $vgpr8
	s_branch .LBB79_1436
.LBB79_1432:
	s_mov_b32 s7, -1
                                        ; implicit-def: $vgpr8
.LBB79_1433:
	s_delay_alu instid0(SALU_CYCLE_1)
	s_and_not1_b32 vcc_lo, exec_lo, s7
	s_cbranch_vccnz .LBB79_1435
; %bb.1434:
	global_load_b32 v3, v[0:1], off
	s_wait_loadcnt 0x0
	v_cvt_i32_f32_e32 v8, v3
.LBB79_1435:
	s_mov_b32 s7, 0
.LBB79_1436:
	s_delay_alu instid0(SALU_CYCLE_1)
	s_and_not1_b32 vcc_lo, exec_lo, s7
	s_cbranch_vccnz .LBB79_1438
; %bb.1437:
	global_load_u16 v3, v[0:1], off
	s_wait_loadcnt 0x0
	v_cvt_i16_f16_e32 v8, v3
.LBB79_1438:
	s_cbranch_execnz .LBB79_1457
.LBB79_1439:
	s_sext_i32_i16 s7, s0
	s_delay_alu instid0(SALU_CYCLE_1)
	s_cmp_lt_i32 s7, 2
	s_cbranch_scc1 .LBB79_1443
; %bb.1440:
	s_cmp_lt_i32 s7, 3
	s_cbranch_scc1 .LBB79_1444
; %bb.1441:
	s_cmp_gt_i32 s7, 3
	s_cbranch_scc0 .LBB79_1445
; %bb.1442:
	s_wait_loadcnt 0x0
	global_load_b64 v[8:9], v[0:1], off
	s_mov_b32 s7, 0
	s_branch .LBB79_1446
.LBB79_1443:
                                        ; implicit-def: $vgpr8
	s_branch .LBB79_1452
.LBB79_1444:
	s_mov_b32 s7, -1
                                        ; implicit-def: $vgpr8
	s_branch .LBB79_1449
.LBB79_1445:
	s_mov_b32 s7, -1
                                        ; implicit-def: $vgpr8
.LBB79_1446:
	s_delay_alu instid0(SALU_CYCLE_1)
	s_and_not1_b32 vcc_lo, exec_lo, s7
	s_cbranch_vccnz .LBB79_1448
; %bb.1447:
	s_wait_loadcnt 0x0
	global_load_b32 v8, v[0:1], off
.LBB79_1448:
	s_mov_b32 s7, 0
.LBB79_1449:
	s_delay_alu instid0(SALU_CYCLE_1)
	s_and_not1_b32 vcc_lo, exec_lo, s7
	s_cbranch_vccnz .LBB79_1451
; %bb.1450:
	s_wait_loadcnt 0x0
	global_load_u16 v8, v[0:1], off
.LBB79_1451:
	s_cbranch_execnz .LBB79_1457
.LBB79_1452:
	s_sext_i32_i16 s0, s0
	s_delay_alu instid0(SALU_CYCLE_1)
	s_cmp_gt_i32 s0, 0
	s_mov_b32 s0, 0
	s_cbranch_scc0 .LBB79_1454
; %bb.1453:
	s_wait_loadcnt 0x0
	global_load_i8 v8, v[0:1], off
	s_branch .LBB79_1455
.LBB79_1454:
	s_mov_b32 s0, -1
                                        ; implicit-def: $vgpr8
.LBB79_1455:
	s_delay_alu instid0(SALU_CYCLE_1)
	s_and_not1_b32 vcc_lo, exec_lo, s0
	s_cbranch_vccnz .LBB79_1457
; %bb.1456:
	s_wait_loadcnt 0x0
	global_load_u8 v8, v[0:1], off
.LBB79_1457:
	s_or_b32 s10, s10, exec_lo
.LBB79_1458:
	s_wait_xcnt 0x0
	s_or_b32 exec_lo, exec_lo, s6
	s_mov_b32 s0, 0
	s_mov_b32 s8, 0
                                        ; implicit-def: $sgpr6
                                        ; implicit-def: $vgpr0_vgpr1
                                        ; implicit-def: $vgpr5
	s_and_saveexec_b32 s7, s10
	s_cbranch_execz .LBB79_1472
; %bb.1459:
	s_wait_loadcnt 0x0
	s_delay_alu instid0(VALU_DEP_1) | instskip(SKIP_2) | instid1(VALU_DEP_1)
	v_sub_nc_u16 v0, 0, v8
	s_mov_b32 s6, 0
	s_mov_b32 s0, exec_lo
	v_max_i16 v0, v8, v0
	v_cmpx_ne_u16_e32 0, v4
	s_cbranch_execz .LBB79_1463
; %bb.1460:
	v_sub_nc_u16 v1, 0, v4
	s_delay_alu instid0(VALU_DEP_1) | instskip(SKIP_1) | instid1(VALU_DEP_2)
	v_max_i16 v3, v4, v1
	v_and_b32_e32 v1, 0xffff, v0
	v_and_b32_e32 v3, 0xffff, v3
.LBB79_1461:                            ; =>This Inner Loop Header: Depth=1
	s_delay_alu instid0(VALU_DEP_1) | instskip(NEXT) | instid1(VALU_DEP_2)
	v_bfe_i32 v6, v1, 0, 16
	v_mov_b32_e32 v0, v3
	s_delay_alu instid0(VALU_DEP_2) | instskip(NEXT) | instid1(VALU_DEP_2)
	v_cvt_f32_i32_e32 v9, v6
	v_bfe_i32 v3, v0, 0, 16
	s_delay_alu instid0(VALU_DEP_1) | instskip(SKIP_1) | instid1(VALU_DEP_2)
	v_cvt_f32_i32_e32 v5, v3
	v_xor_b32_e32 v3, v6, v3
	v_rcp_iflag_f32_e32 v7, v5
	v_nop
	s_delay_alu instid0(TRANS32_DEP_1) | instskip(NEXT) | instid1(VALU_DEP_1)
	v_mul_f32_e32 v6, v9, v7
	v_trunc_f32_e32 v6, v6
	s_delay_alu instid0(VALU_DEP_1) | instskip(NEXT) | instid1(VALU_DEP_1)
	v_dual_ashrrev_i32 v3, 30, v3 :: v_dual_fma_f32 v7, -v6, v5, v9
	v_or_b32_e32 v3, 1, v3
	v_cvt_i32_f32_e32 v6, v6
	s_delay_alu instid0(VALU_DEP_3) | instskip(NEXT) | instid1(VALU_DEP_3)
	v_cmp_ge_f32_e64 vcc_lo, |v7|, |v5|
	v_cndmask_b32_e32 v3, 0, v3, vcc_lo
	s_delay_alu instid0(VALU_DEP_1) | instskip(NEXT) | instid1(VALU_DEP_1)
	v_add_nc_u32_e32 v3, v6, v3
	v_mul_lo_u32 v3, v3, v0
	s_delay_alu instid0(VALU_DEP_1) | instskip(NEXT) | instid1(VALU_DEP_1)
	v_sub_nc_u32_e32 v3, v1, v3
	v_and_b32_e32 v1, 0xffff, v3
	v_bfe_i32 v3, v3, 0, 16
	s_delay_alu instid0(VALU_DEP_2) | instskip(SKIP_2) | instid1(SALU_CYCLE_1)
	v_cmp_eq_u32_e32 vcc_lo, 0, v1
	v_mov_b32_e32 v1, v0
	s_or_b32 s6, vcc_lo, s6
	s_and_not1_b32 exec_lo, exec_lo, s6
	s_cbranch_execnz .LBB79_1461
; %bb.1462:
	s_or_b32 exec_lo, exec_lo, s6
.LBB79_1463:
	s_delay_alu instid0(SALU_CYCLE_1)
	s_or_b32 exec_lo, exec_lo, s0
	v_mov_b32_e32 v5, 0
	s_mov_b32 s0, exec_lo
	v_cmpx_ne_u16_e32 0, v0
	s_cbranch_execz .LBB79_1465
; %bb.1464:
	v_bfe_i32 v0, v0, 0, 16
	v_bfe_i32 v3, v4, 0, 16
	s_delay_alu instid0(VALU_DEP_2) | instskip(NEXT) | instid1(VALU_DEP_2)
	v_cvt_f32_i32_e32 v1, v0
	v_cvt_f32_i32_e32 v5, v3
	v_xor_b32_e32 v0, v3, v0
	s_delay_alu instid0(VALU_DEP_3) | instskip(SKIP_1) | instid1(TRANS32_DEP_1)
	v_rcp_iflag_f32_e32 v4, v1
	v_nop
	v_mul_f32_e32 v4, v5, v4
	s_delay_alu instid0(VALU_DEP_1) | instskip(NEXT) | instid1(VALU_DEP_1)
	v_trunc_f32_e32 v3, v4
	v_dual_fma_f32 v4, -v3, v1, v5 :: v_dual_ashrrev_i32 v0, 30, v0
	v_cvt_i32_f32_e32 v3, v3
	s_delay_alu instid0(VALU_DEP_2) | instskip(NEXT) | instid1(VALU_DEP_3)
	v_cmp_ge_f32_e64 vcc_lo, |v4|, |v1|
	v_or_b32_e32 v0, 1, v0
	v_bfe_i32 v1, v8, 0, 16
	s_delay_alu instid0(VALU_DEP_2) | instskip(NEXT) | instid1(VALU_DEP_1)
	v_cndmask_b32_e32 v0, 0, v0, vcc_lo
	v_add_nc_u32_e32 v0, v3, v0
	s_delay_alu instid0(VALU_DEP_1) | instskip(NEXT) | instid1(VALU_DEP_1)
	v_bfe_i32 v0, v0, 0, 16
	v_mul_i32_i24_e32 v0, v0, v1
	s_delay_alu instid0(VALU_DEP_1) | instskip(NEXT) | instid1(VALU_DEP_1)
	v_sub_nc_u32_e32 v1, 0, v0
	v_max_i32_e32 v5, v0, v1
.LBB79_1465:
	s_or_b32 exec_lo, exec_lo, s0
	v_mov_b32_e32 v3, 0
	s_and_b32 s6, s31, 0xff
	s_delay_alu instid0(SALU_CYCLE_1) | instskip(NEXT) | instid1(VALU_DEP_1)
	s_cmp_lt_i32 s6, 11
	v_add_nc_u64_e32 v[0:1], s[4:5], v[2:3]
	s_cbranch_scc1 .LBB79_1475
; %bb.1466:
	s_and_b32 s4, 0xffff, s6
	s_mov_b32 s5, -1
	s_cmp_gt_i32 s4, 25
	s_mov_b32 s0, s38
	s_cbranch_scc0 .LBB79_1503
; %bb.1467:
	s_cmp_gt_i32 s4, 28
	s_mov_b32 s0, s38
	s_cbranch_scc0 .LBB79_1487
; %bb.1468:
	;; [unrolled: 4-line block ×4, first 2 shown]
	s_cmp_eq_u32 s4, 46
	s_mov_b32 s0, -1
	s_cbranch_scc0 .LBB79_1476
; %bb.1471:
	v_bfe_i32 v2, v5, 0, 16
	s_mov_b32 s0, 0
	s_mov_b32 s5, 0
	s_delay_alu instid0(VALU_DEP_1) | instskip(NEXT) | instid1(VALU_DEP_1)
	v_cvt_f32_i32_e32 v2, v2
	v_bfe_u32 v3, v2, 16, 1
	s_delay_alu instid0(VALU_DEP_1) | instskip(NEXT) | instid1(VALU_DEP_1)
	v_add3_u32 v2, v2, v3, 0x7fff
	v_lshrrev_b32_e32 v2, 16, v2
	global_store_b32 v[0:1], v2, off
	s_branch .LBB79_1477
.LBB79_1472:
	s_or_b32 exec_lo, exec_lo, s7
	s_and_saveexec_b32 s4, s38
	s_cbranch_execnz .LBB79_1545
.LBB79_1473:
	s_or_b32 exec_lo, exec_lo, s4
	s_and_saveexec_b32 s4, s0
	s_delay_alu instid0(SALU_CYCLE_1)
	s_xor_b32 s0, exec_lo, s4
	s_cbranch_execz .LBB79_1546
.LBB79_1474:
	s_wait_loadcnt 0x0
	v_cmp_ne_u16_e32 vcc_lo, 0, v5
	v_cndmask_b32_e64 v2, 0, 1, vcc_lo
	global_store_b8 v[0:1], v2, off
	s_wait_xcnt 0x0
	s_or_b32 exec_lo, exec_lo, s0
	s_and_saveexec_b32 s0, s8
	s_delay_alu instid0(SALU_CYCLE_1)
	s_xor_b32 s0, exec_lo, s0
	s_cbranch_execz .LBB79_1584
	s_branch .LBB79_1547
.LBB79_1475:
	s_mov_b32 s9, 0
	s_mov_b32 s5, -1
	s_mov_b32 s0, s38
	s_branch .LBB79_1544
.LBB79_1476:
	s_mov_b32 s5, 0
.LBB79_1477:
	s_delay_alu instid0(SALU_CYCLE_1)
	s_and_b32 vcc_lo, exec_lo, s5
	s_cbranch_vccz .LBB79_1482
; %bb.1478:
	s_cmp_eq_u32 s4, 44
	s_mov_b32 s0, -1
	s_cbranch_scc0 .LBB79_1482
; %bb.1479:
	s_wait_xcnt 0x0
	v_bfe_i32 v2, v5, 0, 16
	v_mov_b32_e32 v3, 0xff
	s_mov_b32 s5, exec_lo
	s_delay_alu instid0(VALU_DEP_2) | instskip(NEXT) | instid1(VALU_DEP_1)
	v_cvt_f32_i32_e32 v2, v2
	v_bfe_u32 v4, v2, 23, 8
	s_delay_alu instid0(VALU_DEP_1)
	v_cmpx_ne_u32_e32 0xff, v4
	s_cbranch_execz .LBB79_1481
; %bb.1480:
	v_and_b32_e32 v3, 0x400000, v2
	v_and_or_b32 v4, 0x3fffff, v2, v4
	v_lshrrev_b32_e32 v2, 23, v2
	s_delay_alu instid0(VALU_DEP_3) | instskip(NEXT) | instid1(VALU_DEP_3)
	v_cmp_ne_u32_e32 vcc_lo, 0, v3
	v_cmp_ne_u32_e64 s0, 0, v4
	s_and_b32 s0, vcc_lo, s0
	s_delay_alu instid0(SALU_CYCLE_1) | instskip(NEXT) | instid1(VALU_DEP_1)
	v_cndmask_b32_e64 v3, 0, 1, s0
	v_add_nc_u32_e32 v3, v2, v3
.LBB79_1481:
	s_or_b32 exec_lo, exec_lo, s5
	s_mov_b32 s0, 0
	global_store_b8 v[0:1], v3, off
.LBB79_1482:
	s_mov_b32 s5, 0
.LBB79_1483:
	s_delay_alu instid0(SALU_CYCLE_1)
	s_and_b32 vcc_lo, exec_lo, s5
	s_cbranch_vccz .LBB79_1486
; %bb.1484:
	s_cmp_eq_u32 s4, 29
	s_mov_b32 s0, -1
	s_cbranch_scc0 .LBB79_1486
; %bb.1485:
	s_wait_xcnt 0x0
	v_bfe_i32 v2, v5, 0, 16
	s_mov_b32 s0, 0
	s_mov_b32 s5, 0
	s_delay_alu instid0(VALU_DEP_1)
	v_ashrrev_i32_e32 v3, 31, v2
	global_store_b64 v[0:1], v[2:3], off
	s_branch .LBB79_1487
.LBB79_1486:
	s_mov_b32 s5, 0
.LBB79_1487:
	s_delay_alu instid0(SALU_CYCLE_1)
	s_and_b32 vcc_lo, exec_lo, s5
	s_cbranch_vccz .LBB79_1502
; %bb.1488:
	s_cmp_lt_i32 s4, 27
	s_mov_b32 s5, -1
	s_cbranch_scc1 .LBB79_1494
; %bb.1489:
	s_cmp_gt_i32 s4, 27
	s_cbranch_scc0 .LBB79_1491
; %bb.1490:
	s_wait_xcnt 0x0
	v_bfe_i32 v2, v5, 0, 16
	s_mov_b32 s5, 0
	global_store_b32 v[0:1], v2, off
.LBB79_1491:
	s_and_not1_b32 vcc_lo, exec_lo, s5
	s_cbranch_vccnz .LBB79_1493
; %bb.1492:
	global_store_b16 v[0:1], v5, off
.LBB79_1493:
	s_mov_b32 s5, 0
.LBB79_1494:
	s_delay_alu instid0(SALU_CYCLE_1)
	s_and_not1_b32 vcc_lo, exec_lo, s5
	s_cbranch_vccnz .LBB79_1502
; %bb.1495:
	s_wait_xcnt 0x0
	v_bfe_i32 v2, v5, 0, 16
	v_mov_b32_e32 v4, 0x80
	s_mov_b32 s5, exec_lo
	s_delay_alu instid0(VALU_DEP_2) | instskip(NEXT) | instid1(VALU_DEP_1)
	v_cvt_f32_i32_e32 v2, v2
	v_and_b32_e32 v3, 0x7fffffff, v2
	s_delay_alu instid0(VALU_DEP_1)
	v_cmpx_gt_u32_e32 0x43800000, v3
	s_cbranch_execz .LBB79_1501
; %bb.1496:
	v_cmp_lt_u32_e32 vcc_lo, 0x3bffffff, v3
	s_mov_b32 s8, 0
                                        ; implicit-def: $vgpr3
	s_and_saveexec_b32 s9, vcc_lo
	s_delay_alu instid0(SALU_CYCLE_1)
	s_xor_b32 s9, exec_lo, s9
	s_cbranch_execz .LBB79_1643
; %bb.1497:
	v_bfe_u32 v3, v2, 20, 1
	s_mov_b32 s8, exec_lo
	s_delay_alu instid0(VALU_DEP_1) | instskip(NEXT) | instid1(VALU_DEP_1)
	v_add3_u32 v3, v2, v3, 0x487ffff
	v_lshrrev_b32_e32 v3, 20, v3
	s_and_not1_saveexec_b32 s9, s9
	s_cbranch_execnz .LBB79_1644
.LBB79_1498:
	s_or_b32 exec_lo, exec_lo, s9
	v_mov_b32_e32 v4, 0
	s_and_saveexec_b32 s9, s8
.LBB79_1499:
	v_lshrrev_b32_e32 v2, 24, v2
	s_delay_alu instid0(VALU_DEP_1)
	v_and_or_b32 v4, 0x80, v2, v3
.LBB79_1500:
	s_or_b32 exec_lo, exec_lo, s9
.LBB79_1501:
	s_delay_alu instid0(SALU_CYCLE_1)
	s_or_b32 exec_lo, exec_lo, s5
	global_store_b8 v[0:1], v4, off
.LBB79_1502:
	s_mov_b32 s5, 0
.LBB79_1503:
	s_delay_alu instid0(SALU_CYCLE_1)
	s_and_b32 vcc_lo, exec_lo, s5
	s_mov_b32 s5, 0
	s_cbranch_vccz .LBB79_1543
; %bb.1504:
	s_cmp_gt_i32 s4, 22
	s_mov_b32 s8, -1
	s_cbranch_scc0 .LBB79_1536
; %bb.1505:
	s_cmp_lt_i32 s4, 24
	s_cbranch_scc1 .LBB79_1525
; %bb.1506:
	s_cmp_gt_i32 s4, 24
	s_cbranch_scc0 .LBB79_1514
; %bb.1507:
	s_wait_xcnt 0x0
	v_bfe_i32 v2, v5, 0, 16
	v_mov_b32_e32 v4, 0x80
	s_mov_b32 s8, exec_lo
	s_delay_alu instid0(VALU_DEP_2) | instskip(NEXT) | instid1(VALU_DEP_1)
	v_cvt_f32_i32_e32 v2, v2
	v_and_b32_e32 v3, 0x7fffffff, v2
	s_delay_alu instid0(VALU_DEP_1)
	v_cmpx_gt_u32_e32 0x47800000, v3
	s_cbranch_execz .LBB79_1513
; %bb.1508:
	v_cmp_lt_u32_e32 vcc_lo, 0x37ffffff, v3
	s_mov_b32 s9, 0
                                        ; implicit-def: $vgpr3
	s_and_saveexec_b32 s10, vcc_lo
	s_delay_alu instid0(SALU_CYCLE_1)
	s_xor_b32 s10, exec_lo, s10
	s_cbranch_execz .LBB79_1764
; %bb.1509:
	v_bfe_u32 v3, v2, 21, 1
	s_mov_b32 s9, exec_lo
	s_delay_alu instid0(VALU_DEP_1) | instskip(NEXT) | instid1(VALU_DEP_1)
	v_add3_u32 v3, v2, v3, 0x88fffff
	v_lshrrev_b32_e32 v3, 21, v3
	s_and_not1_saveexec_b32 s10, s10
	s_cbranch_execnz .LBB79_1765
.LBB79_1510:
	s_or_b32 exec_lo, exec_lo, s10
	v_mov_b32_e32 v4, 0
	s_and_saveexec_b32 s10, s9
.LBB79_1511:
	v_lshrrev_b32_e32 v2, 24, v2
	s_delay_alu instid0(VALU_DEP_1)
	v_and_or_b32 v4, 0x80, v2, v3
.LBB79_1512:
	s_or_b32 exec_lo, exec_lo, s10
.LBB79_1513:
	s_delay_alu instid0(SALU_CYCLE_1)
	s_or_b32 exec_lo, exec_lo, s8
	s_mov_b32 s8, 0
	global_store_b8 v[0:1], v4, off
.LBB79_1514:
	s_and_b32 vcc_lo, exec_lo, s8
	s_cbranch_vccz .LBB79_1524
; %bb.1515:
	s_wait_xcnt 0x0
	v_bfe_i32 v2, v5, 0, 16
	s_mov_b32 s8, exec_lo
                                        ; implicit-def: $vgpr3
	s_delay_alu instid0(VALU_DEP_1) | instskip(NEXT) | instid1(VALU_DEP_1)
	v_cvt_f32_i32_e32 v2, v2
	v_and_b32_e32 v4, 0x7fffffff, v2
	s_delay_alu instid0(VALU_DEP_1)
	v_cmpx_gt_u32_e32 0x43f00000, v4
	s_xor_b32 s8, exec_lo, s8
	s_cbranch_execz .LBB79_1521
; %bb.1516:
	s_mov_b32 s9, exec_lo
                                        ; implicit-def: $vgpr3
	v_cmpx_lt_u32_e32 0x3c7fffff, v4
	s_xor_b32 s9, exec_lo, s9
; %bb.1517:
	v_bfe_u32 v3, v2, 20, 1
	s_delay_alu instid0(VALU_DEP_1) | instskip(NEXT) | instid1(VALU_DEP_1)
	v_add3_u32 v3, v2, v3, 0x407ffff
	v_and_b32_e32 v4, 0xff00000, v3
	v_lshrrev_b32_e32 v3, 20, v3
	s_delay_alu instid0(VALU_DEP_2) | instskip(NEXT) | instid1(VALU_DEP_2)
	v_cmp_ne_u32_e32 vcc_lo, 0x7f00000, v4
	v_cndmask_b32_e32 v3, 0x7e, v3, vcc_lo
; %bb.1518:
	s_and_not1_saveexec_b32 s9, s9
; %bb.1519:
	v_add_f32_e64 v3, 0x46800000, |v2|
; %bb.1520:
	s_or_b32 exec_lo, exec_lo, s9
                                        ; implicit-def: $vgpr4
.LBB79_1521:
	s_and_not1_saveexec_b32 s8, s8
; %bb.1522:
	v_mov_b32_e32 v3, 0x7f
	v_cmp_lt_u32_e32 vcc_lo, 0x7f800000, v4
	s_delay_alu instid0(VALU_DEP_2)
	v_cndmask_b32_e32 v3, 0x7e, v3, vcc_lo
; %bb.1523:
	s_or_b32 exec_lo, exec_lo, s8
	v_lshrrev_b32_e32 v2, 24, v2
	s_delay_alu instid0(VALU_DEP_1)
	v_and_or_b32 v2, 0x80, v2, v3
	global_store_b8 v[0:1], v2, off
.LBB79_1524:
	s_mov_b32 s8, 0
.LBB79_1525:
	s_delay_alu instid0(SALU_CYCLE_1)
	s_and_not1_b32 vcc_lo, exec_lo, s8
	s_cbranch_vccnz .LBB79_1535
; %bb.1526:
	s_wait_xcnt 0x0
	v_bfe_i32 v2, v5, 0, 16
	s_mov_b32 s8, exec_lo
                                        ; implicit-def: $vgpr3
	s_delay_alu instid0(VALU_DEP_1) | instskip(NEXT) | instid1(VALU_DEP_1)
	v_cvt_f32_i32_e32 v2, v2
	v_and_b32_e32 v4, 0x7fffffff, v2
	s_delay_alu instid0(VALU_DEP_1)
	v_cmpx_gt_u32_e32 0x47800000, v4
	s_xor_b32 s8, exec_lo, s8
	s_cbranch_execz .LBB79_1532
; %bb.1527:
	s_mov_b32 s9, exec_lo
                                        ; implicit-def: $vgpr3
	v_cmpx_lt_u32_e32 0x387fffff, v4
	s_xor_b32 s9, exec_lo, s9
; %bb.1528:
	v_bfe_u32 v3, v2, 21, 1
	s_delay_alu instid0(VALU_DEP_1) | instskip(NEXT) | instid1(VALU_DEP_1)
	v_add3_u32 v3, v2, v3, 0x80fffff
	v_lshrrev_b32_e32 v3, 21, v3
; %bb.1529:
	s_and_not1_saveexec_b32 s9, s9
; %bb.1530:
	v_add_f32_e64 v3, 0x43000000, |v2|
; %bb.1531:
	s_or_b32 exec_lo, exec_lo, s9
                                        ; implicit-def: $vgpr4
.LBB79_1532:
	s_and_not1_saveexec_b32 s8, s8
; %bb.1533:
	v_mov_b32_e32 v3, 0x7f
	v_cmp_lt_u32_e32 vcc_lo, 0x7f800000, v4
	s_delay_alu instid0(VALU_DEP_2)
	v_cndmask_b32_e32 v3, 0x7c, v3, vcc_lo
; %bb.1534:
	s_or_b32 exec_lo, exec_lo, s8
	v_lshrrev_b32_e32 v2, 24, v2
	s_delay_alu instid0(VALU_DEP_1)
	v_and_or_b32 v2, 0x80, v2, v3
	global_store_b8 v[0:1], v2, off
.LBB79_1535:
	s_mov_b32 s8, 0
.LBB79_1536:
	s_delay_alu instid0(SALU_CYCLE_1)
	s_and_not1_b32 vcc_lo, exec_lo, s8
	s_mov_b32 s9, 0
	s_cbranch_vccnz .LBB79_1544
; %bb.1537:
	s_cmp_gt_i32 s4, 14
	s_mov_b32 s8, -1
	s_cbranch_scc0 .LBB79_1541
; %bb.1538:
	s_cmp_eq_u32 s4, 15
	s_mov_b32 s0, -1
	s_cbranch_scc0 .LBB79_1540
; %bb.1539:
	s_wait_xcnt 0x0
	v_bfe_i32 v2, v5, 0, 16
	s_mov_b32 s0, 0
	s_delay_alu instid0(VALU_DEP_1) | instskip(NEXT) | instid1(VALU_DEP_1)
	v_cvt_f32_i32_e32 v2, v2
	v_bfe_u32 v3, v2, 16, 1
	s_delay_alu instid0(VALU_DEP_1)
	v_add3_u32 v2, v2, v3, 0x7fff
	global_store_d16_hi_b16 v[0:1], v2, off
.LBB79_1540:
	s_mov_b32 s8, 0
.LBB79_1541:
	s_delay_alu instid0(SALU_CYCLE_1)
	s_and_b32 vcc_lo, exec_lo, s8
	s_cbranch_vccz .LBB79_1544
; %bb.1542:
	s_cmp_lg_u32 s4, 11
	s_mov_b32 s9, -1
	s_cselect_b32 s4, -1, 0
	s_and_not1_b32 s0, s0, exec_lo
	s_and_b32 s4, s4, exec_lo
	s_delay_alu instid0(SALU_CYCLE_1)
	s_or_b32 s0, s0, s4
	s_branch .LBB79_1544
.LBB79_1543:
	s_mov_b32 s9, 0
.LBB79_1544:
	s_and_b32 s8, s5, exec_lo
	s_and_not1_b32 s4, s38, exec_lo
	s_and_b32 s5, s0, exec_lo
	s_and_b32 s0, s9, exec_lo
	s_or_b32 s38, s4, s5
	s_wait_xcnt 0x0
	s_or_b32 exec_lo, exec_lo, s7
	s_and_saveexec_b32 s4, s38
	s_cbranch_execz .LBB79_1473
.LBB79_1545:
	s_or_b32 s1, s1, exec_lo
	s_and_not1_b32 s0, s0, exec_lo
	s_trap 2
	s_or_b32 exec_lo, exec_lo, s4
	s_and_saveexec_b32 s4, s0
	s_delay_alu instid0(SALU_CYCLE_1)
	s_xor_b32 s0, exec_lo, s4
	s_cbranch_execnz .LBB79_1474
.LBB79_1546:
	s_or_b32 exec_lo, exec_lo, s0
	s_and_saveexec_b32 s0, s8
	s_delay_alu instid0(SALU_CYCLE_1)
	s_xor_b32 s0, exec_lo, s0
	s_cbranch_execz .LBB79_1584
.LBB79_1547:
	s_sext_i32_i16 s5, s6
	s_mov_b32 s4, -1
	s_cmp_lt_i32 s5, 5
	s_cbranch_scc1 .LBB79_1568
; %bb.1548:
	s_cmp_lt_i32 s5, 8
	s_cbranch_scc1 .LBB79_1558
; %bb.1549:
	s_cmp_lt_i32 s5, 9
	s_cbranch_scc1 .LBB79_1555
; %bb.1550:
	s_cmp_gt_i32 s5, 9
	s_cbranch_scc0 .LBB79_1552
; %bb.1551:
	s_wait_loadcnt 0x0
	v_bfe_i32 v2, v5, 0, 16
	v_mov_b32_e32 v8, 0
	s_mov_b32 s4, 0
	s_delay_alu instid0(VALU_DEP_2) | instskip(NEXT) | instid1(VALU_DEP_2)
	v_cvt_f64_i32_e32 v[6:7], v2
	v_mov_b32_e32 v9, v8
	global_store_b128 v[0:1], v[6:9], off
.LBB79_1552:
	s_and_not1_b32 vcc_lo, exec_lo, s4
	s_cbranch_vccnz .LBB79_1554
; %bb.1553:
	s_wait_loadcnt 0x0
	v_bfe_i32 v2, v5, 0, 16
	v_mov_b32_e32 v3, 0
	s_delay_alu instid0(VALU_DEP_2)
	v_cvt_f32_i32_e32 v2, v2
	global_store_b64 v[0:1], v[2:3], off
.LBB79_1554:
	s_mov_b32 s4, 0
.LBB79_1555:
	s_delay_alu instid0(SALU_CYCLE_1)
	s_and_not1_b32 vcc_lo, exec_lo, s4
	s_cbranch_vccnz .LBB79_1557
; %bb.1556:
	s_wait_loadcnt 0x0
	v_cvt_f16_i16_e32 v2, v5
	s_delay_alu instid0(VALU_DEP_1)
	v_and_b32_e32 v2, 0xffff, v2
	global_store_b32 v[0:1], v2, off
.LBB79_1557:
	s_mov_b32 s4, 0
.LBB79_1558:
	s_delay_alu instid0(SALU_CYCLE_1)
	s_and_not1_b32 vcc_lo, exec_lo, s4
	s_cbranch_vccnz .LBB79_1567
; %bb.1559:
	s_sext_i32_i16 s5, s6
	s_mov_b32 s4, -1
	s_cmp_lt_i32 s5, 6
	s_cbranch_scc1 .LBB79_1565
; %bb.1560:
	s_cmp_gt_i32 s5, 6
	s_cbranch_scc0 .LBB79_1562
; %bb.1561:
	s_wait_loadcnt 0x0
	v_bfe_i32 v2, v5, 0, 16
	s_mov_b32 s4, 0
	s_delay_alu instid0(VALU_DEP_1)
	v_cvt_f64_i32_e32 v[2:3], v2
	global_store_b64 v[0:1], v[2:3], off
.LBB79_1562:
	s_and_not1_b32 vcc_lo, exec_lo, s4
	s_cbranch_vccnz .LBB79_1564
; %bb.1563:
	s_wait_loadcnt 0x0
	v_bfe_i32 v2, v5, 0, 16
	s_delay_alu instid0(VALU_DEP_1)
	v_cvt_f32_i32_e32 v2, v2
	global_store_b32 v[0:1], v2, off
.LBB79_1564:
	s_mov_b32 s4, 0
.LBB79_1565:
	s_delay_alu instid0(SALU_CYCLE_1)
	s_and_not1_b32 vcc_lo, exec_lo, s4
	s_cbranch_vccnz .LBB79_1567
; %bb.1566:
	s_wait_loadcnt 0x0
	v_cvt_f16_i16_e32 v2, v5
	global_store_b16 v[0:1], v2, off
.LBB79_1567:
	s_mov_b32 s4, 0
.LBB79_1568:
	s_delay_alu instid0(SALU_CYCLE_1)
	s_and_not1_b32 vcc_lo, exec_lo, s4
	s_cbranch_vccnz .LBB79_1584
; %bb.1569:
	s_sext_i32_i16 s5, s6
	s_mov_b32 s4, -1
	s_cmp_lt_i32 s5, 2
	s_cbranch_scc1 .LBB79_1579
; %bb.1570:
	s_cmp_lt_i32 s5, 3
	s_cbranch_scc1 .LBB79_1576
; %bb.1571:
	s_wait_loadcnt 0x0
	v_bfe_i32 v2, v5, 0, 16
	s_cmp_gt_i32 s5, 3
	s_cbranch_scc0 .LBB79_1573
; %bb.1572:
	s_delay_alu instid0(VALU_DEP_1)
	v_ashrrev_i32_e32 v3, 31, v2
	s_mov_b32 s4, 0
	global_store_b64 v[0:1], v[2:3], off
.LBB79_1573:
	s_and_not1_b32 vcc_lo, exec_lo, s4
	s_cbranch_vccnz .LBB79_1575
; %bb.1574:
	global_store_b32 v[0:1], v2, off
.LBB79_1575:
	s_mov_b32 s4, 0
.LBB79_1576:
	s_delay_alu instid0(SALU_CYCLE_1)
	s_and_not1_b32 vcc_lo, exec_lo, s4
	s_cbranch_vccnz .LBB79_1578
; %bb.1577:
	s_wait_loadcnt 0x0
	global_store_b16 v[0:1], v5, off
.LBB79_1578:
	s_mov_b32 s4, 0
.LBB79_1579:
	s_delay_alu instid0(SALU_CYCLE_1)
	s_and_not1_b32 vcc_lo, exec_lo, s4
	s_cbranch_vccnz .LBB79_1584
; %bb.1580:
	s_sext_i32_i16 s4, s6
	s_delay_alu instid0(SALU_CYCLE_1)
	s_cmp_gt_i32 s4, 0
	s_mov_b32 s4, -1
	s_cbranch_scc0 .LBB79_1582
; %bb.1581:
	s_mov_b32 s4, 0
	s_wait_loadcnt 0x0
	global_store_b8 v[0:1], v5, off
.LBB79_1582:
	s_and_not1_b32 vcc_lo, exec_lo, s4
	s_cbranch_vccnz .LBB79_1584
; %bb.1583:
	s_wait_loadcnt 0x0
	global_store_b8 v[0:1], v5, off
.LBB79_1584:
	s_wait_xcnt 0x0
	s_or_b32 exec_lo, exec_lo, s0
	s_delay_alu instid0(SALU_CYCLE_1)
	s_and_b32 s8, s1, exec_lo
                                        ; implicit-def: $vgpr1
                                        ; implicit-def: $vgpr0
.LBB79_1585:
	s_or_saveexec_b32 s9, s30
	s_mov_b32 s0, 0
                                        ; implicit-def: $vgpr2_vgpr3
                                        ; implicit-def: $sgpr1
                                        ; implicit-def: $vgpr11
	s_xor_b32 exec_lo, exec_lo, s9
	s_cbranch_execz .LBB79_2743
; %bb.1586:
	v_cndmask_b32_e64 v3, 0, 1, s29
	s_and_not1_b32 vcc_lo, exec_lo, s29
	s_cbranch_vccnz .LBB79_1592
; %bb.1587:
	s_cmp_lg_u32 s26, 0
	s_mov_b32 s4, 0
	s_cbranch_scc0 .LBB79_1596
; %bb.1588:
	s_min_u32 s5, s27, 15
	v_dual_mov_b32 v6, 0 :: v_dual_mov_b32 v2, v0
	v_dual_mov_b32 v22, 0 :: v_dual_mov_b32 v20, 0
	s_add_co_i32 s6, s5, 1
	s_mov_b64 s[0:1], 0xffffffffffffffe8
	s_and_b32 s6, s6, 30
	s_add_nc_u64 s[0:1], s[2:3], s[0:1]
.LBB79_1589:                            ; =>This Inner Loop Header: Depth=1
	s_clause 0x1
	s_load_b128 s[12:15], s[0:1], 0x1c
	s_load_b64 s[10:11], s[0:1], 0x2c
	s_add_co_i32 s6, s6, -2
	s_delay_alu instid0(SALU_CYCLE_1) | instskip(SKIP_3) | instid1(VALU_DEP_1)
	s_cmp_lg_u32 s6, 0
	s_wait_loadcnt 0x0
	s_wait_kmcnt 0x0
	v_mul_hi_u32 v4, s13, v2
	v_add_nc_u32_e32 v4, v2, v4
	s_delay_alu instid0(VALU_DEP_1) | instskip(NEXT) | instid1(VALU_DEP_1)
	v_lshrrev_b32_e32 v4, s14, v4
	v_mul_hi_u32 v5, s10, v4
	v_mul_lo_u32 v7, v4, s12
	s_clause 0x1
	s_load_b128 s[16:19], s[0:1], 0xdc
	s_load_b64 s[12:13], s[0:1], 0xec
	s_wait_xcnt 0x0
	s_add_nc_u64 s[0:1], s[0:1], 24
	s_delay_alu instid0(VALU_DEP_1) | instskip(NEXT) | instid1(VALU_DEP_1)
	v_dual_add_nc_u32 v5, v4, v5 :: v_dual_sub_nc_u32 v7, v2, v7
	v_lshrrev_b32_e32 v2, s11, v5
	s_wait_kmcnt 0x0
	s_delay_alu instid0(VALU_DEP_2) | instskip(NEXT) | instid1(VALU_DEP_2)
	v_mad_u32 v6, v7, s16, v6
	v_mul_lo_u32 v5, v2, s15
	v_mad_u32 v8, v7, s18, v20
	v_mad_u32 v7, v7, s17, v22
	s_delay_alu instid0(VALU_DEP_3) | instskip(NEXT) | instid1(VALU_DEP_1)
	v_sub_nc_u32_e32 v4, v4, v5
	v_mad_u32 v6, v4, s19, v6
	s_delay_alu instid0(VALU_DEP_4) | instskip(NEXT) | instid1(VALU_DEP_4)
	v_mad_u32 v20, v4, s13, v8
	v_mad_u32 v22, v4, s12, v7
	s_cbranch_scc1 .LBB79_1589
; %bb.1590:
	s_bitcmp1_b32 s5, 0
	s_cselect_b32 s5, -1, 0
	s_delay_alu instid0(SALU_CYCLE_1)
	s_and_b32 vcc_lo, exec_lo, s5
	s_cbranch_vccnz .LBB79_1593
; %bb.1591:
	s_clause 0x1
	s_load_b96 s[12:14], s[0:1], 0x1c
	s_load_b96 s[16:18], s[0:1], 0xdc
	s_wait_kmcnt 0x0
	v_mul_hi_u32 v4, s13, v2
	s_delay_alu instid0(VALU_DEP_1) | instskip(NEXT) | instid1(VALU_DEP_1)
	v_add_nc_u32_e32 v4, v2, v4
	v_lshrrev_b32_e32 v4, s14, v4
	s_delay_alu instid0(VALU_DEP_1) | instskip(NEXT) | instid1(VALU_DEP_1)
	v_mul_lo_u32 v4, v4, s12
	v_sub_nc_u32_e32 v2, v2, v4
	s_delay_alu instid0(VALU_DEP_1)
	v_mad_u32 v6, v2, s16, v6
	v_mad_u32 v22, v2, s17, v22
	;; [unrolled: 1-line block ×3, first 2 shown]
	s_and_not1_b32 vcc_lo, exec_lo, s4
	s_cbranch_vccz .LBB79_1594
	s_branch .LBB79_1597
.LBB79_1592:
	s_mov_b32 s4, -1
                                        ; implicit-def: $vgpr20
                                        ; implicit-def: $vgpr22
                                        ; implicit-def: $vgpr6
.LBB79_1593:
	s_delay_alu instid0(SALU_CYCLE_1)
	s_and_not1_b32 vcc_lo, exec_lo, s4
	s_cbranch_vccnz .LBB79_1597
.LBB79_1594:
	s_clause 0x1
	s_load_b96 s[4:6], s[2:3], 0x4
	s_load_b96 s[12:14], s[2:3], 0xc4
	s_cmp_lt_u32 s26, 2
	s_wait_kmcnt 0x0
	v_mul_hi_u32 v2, s5, v0
	s_delay_alu instid0(VALU_DEP_1) | instskip(NEXT) | instid1(VALU_DEP_1)
	v_add_nc_u32_e32 v2, v0, v2
	v_lshrrev_b32_e32 v2, s6, v2
	s_wait_loadcnt 0x0
	s_delay_alu instid0(VALU_DEP_1) | instskip(NEXT) | instid1(VALU_DEP_1)
	v_mul_lo_u32 v4, v2, s4
	v_sub_nc_u32_e32 v4, v0, v4
	s_delay_alu instid0(VALU_DEP_1)
	v_mul_lo_u32 v6, v4, s12
	v_mul_lo_u32 v20, v4, s14
	;; [unrolled: 1-line block ×3, first 2 shown]
	s_cbranch_scc1 .LBB79_1597
; %bb.1595:
	s_clause 0x1
	s_load_b96 s[4:6], s[2:3], 0x10
	s_load_b96 s[12:14], s[2:3], 0xd0
	s_wait_kmcnt 0x0
	v_mul_hi_u32 v4, s5, v2
	s_delay_alu instid0(VALU_DEP_1) | instskip(NEXT) | instid1(VALU_DEP_1)
	v_add_nc_u32_e32 v4, v2, v4
	v_lshrrev_b32_e32 v4, s6, v4
	s_delay_alu instid0(VALU_DEP_1) | instskip(NEXT) | instid1(VALU_DEP_1)
	v_mul_lo_u32 v4, v4, s4
	v_sub_nc_u32_e32 v2, v2, v4
	s_delay_alu instid0(VALU_DEP_1)
	v_mad_u32 v6, v2, s12, v6
	v_mad_u32 v22, v2, s13, v22
	;; [unrolled: 1-line block ×3, first 2 shown]
	s_branch .LBB79_1597
.LBB79_1596:
	v_dual_mov_b32 v20, 0 :: v_dual_mov_b32 v22, 0
	v_mov_b32_e32 v6, 0
	s_and_not1_b32 vcc_lo, exec_lo, s4
	s_cbranch_vccz .LBB79_1594
.LBB79_1597:
	v_cmp_ne_u32_e32 vcc_lo, 1, v3
	v_add_nc_u32_e32 v2, 0x80, v0
	s_cbranch_vccnz .LBB79_1603
; %bb.1598:
	s_cmp_lg_u32 s26, 0
	s_mov_b32 s4, 0
	s_cbranch_scc0 .LBB79_1607
; %bb.1599:
	s_min_u32 s5, s27, 15
	s_wait_loadcnt 0x0
	v_dual_mov_b32 v4, 0 :: v_dual_mov_b32 v5, v2
	v_dual_mov_b32 v18, 0 :: v_dual_mov_b32 v16, 0
	s_add_co_i32 s6, s5, 1
	s_mov_b64 s[0:1], 0xffffffffffffffe8
	s_and_b32 s6, s6, 30
	s_add_nc_u64 s[0:1], s[2:3], s[0:1]
.LBB79_1600:                            ; =>This Inner Loop Header: Depth=1
	s_clause 0x1
	s_load_b128 s[12:15], s[0:1], 0x1c
	s_load_b64 s[10:11], s[0:1], 0x2c
	s_add_co_i32 s6, s6, -2
	s_delay_alu instid0(SALU_CYCLE_1) | instskip(SKIP_2) | instid1(VALU_DEP_1)
	s_cmp_lg_u32 s6, 0
	s_wait_kmcnt 0x0
	v_mul_hi_u32 v7, s13, v5
	v_add_nc_u32_e32 v7, v5, v7
	s_delay_alu instid0(VALU_DEP_1) | instskip(NEXT) | instid1(VALU_DEP_1)
	v_lshrrev_b32_e32 v7, s14, v7
	v_mul_hi_u32 v8, s10, v7
	v_mul_lo_u32 v9, v7, s12
	s_clause 0x1
	s_load_b128 s[16:19], s[0:1], 0xdc
	s_load_b64 s[12:13], s[0:1], 0xec
	s_wait_xcnt 0x0
	s_add_nc_u64 s[0:1], s[0:1], 24
	s_delay_alu instid0(VALU_DEP_1) | instskip(NEXT) | instid1(VALU_DEP_1)
	v_dual_add_nc_u32 v8, v7, v8 :: v_dual_sub_nc_u32 v9, v5, v9
	v_lshrrev_b32_e32 v5, s11, v8
	s_wait_kmcnt 0x0
	s_delay_alu instid0(VALU_DEP_2) | instskip(NEXT) | instid1(VALU_DEP_2)
	v_mad_u32 v4, v9, s16, v4
	v_mul_lo_u32 v8, v5, s15
	v_mad_u32 v10, v9, s18, v16
	v_mad_u32 v9, v9, s17, v18
	s_delay_alu instid0(VALU_DEP_3) | instskip(NEXT) | instid1(VALU_DEP_1)
	v_sub_nc_u32_e32 v7, v7, v8
	v_mad_u32 v4, v7, s19, v4
	s_delay_alu instid0(VALU_DEP_4) | instskip(NEXT) | instid1(VALU_DEP_4)
	v_mad_u32 v16, v7, s13, v10
	v_mad_u32 v18, v7, s12, v9
	s_cbranch_scc1 .LBB79_1600
; %bb.1601:
	s_bitcmp1_b32 s5, 0
	s_cselect_b32 s5, -1, 0
	s_delay_alu instid0(SALU_CYCLE_1)
	s_and_b32 vcc_lo, exec_lo, s5
	s_cbranch_vccnz .LBB79_1604
; %bb.1602:
	s_clause 0x1
	s_load_b96 s[12:14], s[0:1], 0x1c
	s_load_b96 s[16:18], s[0:1], 0xdc
	s_wait_kmcnt 0x0
	v_mul_hi_u32 v7, s13, v5
	s_delay_alu instid0(VALU_DEP_1) | instskip(NEXT) | instid1(VALU_DEP_1)
	v_add_nc_u32_e32 v7, v5, v7
	v_lshrrev_b32_e32 v7, s14, v7
	s_delay_alu instid0(VALU_DEP_1) | instskip(NEXT) | instid1(VALU_DEP_1)
	v_mul_lo_u32 v7, v7, s12
	v_sub_nc_u32_e32 v5, v5, v7
	s_delay_alu instid0(VALU_DEP_1)
	v_mad_u32 v4, v5, s16, v4
	v_mad_u32 v18, v5, s17, v18
	;; [unrolled: 1-line block ×3, first 2 shown]
	s_and_not1_b32 vcc_lo, exec_lo, s4
	s_cbranch_vccz .LBB79_1605
	s_branch .LBB79_1608
.LBB79_1603:
	s_mov_b32 s4, -1
                                        ; implicit-def: $vgpr16
                                        ; implicit-def: $vgpr18
                                        ; implicit-def: $vgpr4
.LBB79_1604:
	s_delay_alu instid0(SALU_CYCLE_1)
	s_and_not1_b32 vcc_lo, exec_lo, s4
	s_cbranch_vccnz .LBB79_1608
.LBB79_1605:
	s_clause 0x1
	s_load_b96 s[4:6], s[2:3], 0x4
	s_load_b96 s[12:14], s[2:3], 0xc4
	s_cmp_lt_u32 s26, 2
	s_wait_loadcnt 0x0
	s_wait_kmcnt 0x0
	v_mul_hi_u32 v4, s5, v2
	s_delay_alu instid0(VALU_DEP_1) | instskip(NEXT) | instid1(VALU_DEP_1)
	v_add_nc_u32_e32 v4, v2, v4
	v_lshrrev_b32_e32 v5, s6, v4
	s_delay_alu instid0(VALU_DEP_1) | instskip(NEXT) | instid1(VALU_DEP_1)
	v_mul_lo_u32 v4, v5, s4
	v_sub_nc_u32_e32 v2, v2, v4
	s_delay_alu instid0(VALU_DEP_1)
	v_mul_lo_u32 v4, v2, s12
	v_mul_lo_u32 v16, v2, s14
	;; [unrolled: 1-line block ×3, first 2 shown]
	s_cbranch_scc1 .LBB79_1608
; %bb.1606:
	s_clause 0x1
	s_load_b96 s[4:6], s[2:3], 0x10
	s_load_b96 s[12:14], s[2:3], 0xd0
	s_wait_kmcnt 0x0
	v_mul_hi_u32 v2, s5, v5
	s_delay_alu instid0(VALU_DEP_1) | instskip(NEXT) | instid1(VALU_DEP_1)
	v_add_nc_u32_e32 v2, v5, v2
	v_lshrrev_b32_e32 v2, s6, v2
	s_delay_alu instid0(VALU_DEP_1) | instskip(NEXT) | instid1(VALU_DEP_1)
	v_mul_lo_u32 v2, v2, s4
	v_sub_nc_u32_e32 v2, v5, v2
	s_delay_alu instid0(VALU_DEP_1)
	v_mad_u32 v4, v2, s12, v4
	v_mad_u32 v18, v2, s13, v18
	;; [unrolled: 1-line block ×3, first 2 shown]
	s_branch .LBB79_1608
.LBB79_1607:
	v_dual_mov_b32 v16, 0 :: v_dual_mov_b32 v18, 0
	s_wait_loadcnt 0x0
	v_mov_b32_e32 v4, 0
	s_and_not1_b32 vcc_lo, exec_lo, s4
	s_cbranch_vccz .LBB79_1605
.LBB79_1608:
	v_cmp_ne_u32_e32 vcc_lo, 1, v3
	v_add_nc_u32_e32 v0, 0x100, v0
	s_cbranch_vccnz .LBB79_1614
; %bb.1609:
	s_cmp_lg_u32 s26, 0
	s_mov_b32 s4, 0
	s_cbranch_scc0 .LBB79_1618
; %bb.1610:
	s_min_u32 s5, s27, 15
	s_wait_loadcnt 0x0
	v_dual_mov_b32 v2, 0 :: v_dual_mov_b32 v5, v0
	v_dual_mov_b32 v14, 0 :: v_dual_mov_b32 v12, 0
	s_add_co_i32 s6, s5, 1
	s_mov_b64 s[0:1], 0xffffffffffffffe8
	s_and_b32 s6, s6, 30
	s_add_nc_u64 s[0:1], s[2:3], s[0:1]
.LBB79_1611:                            ; =>This Inner Loop Header: Depth=1
	s_clause 0x1
	s_load_b128 s[12:15], s[0:1], 0x1c
	s_load_b64 s[10:11], s[0:1], 0x2c
	s_add_co_i32 s6, s6, -2
	s_delay_alu instid0(SALU_CYCLE_1) | instskip(SKIP_2) | instid1(VALU_DEP_1)
	s_cmp_lg_u32 s6, 0
	s_wait_kmcnt 0x0
	v_mul_hi_u32 v7, s13, v5
	v_add_nc_u32_e32 v7, v5, v7
	s_delay_alu instid0(VALU_DEP_1) | instskip(NEXT) | instid1(VALU_DEP_1)
	v_lshrrev_b32_e32 v7, s14, v7
	v_mul_hi_u32 v8, s10, v7
	v_mul_lo_u32 v9, v7, s12
	s_clause 0x1
	s_load_b128 s[16:19], s[0:1], 0xdc
	s_load_b64 s[12:13], s[0:1], 0xec
	s_wait_xcnt 0x0
	s_add_nc_u64 s[0:1], s[0:1], 24
	s_delay_alu instid0(VALU_DEP_1) | instskip(NEXT) | instid1(VALU_DEP_1)
	v_dual_add_nc_u32 v8, v7, v8 :: v_dual_sub_nc_u32 v9, v5, v9
	v_lshrrev_b32_e32 v5, s11, v8
	s_wait_kmcnt 0x0
	s_delay_alu instid0(VALU_DEP_2) | instskip(NEXT) | instid1(VALU_DEP_2)
	v_mad_u32 v2, v9, s16, v2
	v_mul_lo_u32 v8, v5, s15
	v_mad_u32 v10, v9, s18, v12
	v_mad_u32 v9, v9, s17, v14
	s_delay_alu instid0(VALU_DEP_3) | instskip(NEXT) | instid1(VALU_DEP_1)
	v_sub_nc_u32_e32 v7, v7, v8
	v_mad_u32 v2, v7, s19, v2
	s_delay_alu instid0(VALU_DEP_4) | instskip(NEXT) | instid1(VALU_DEP_4)
	v_mad_u32 v12, v7, s13, v10
	v_mad_u32 v14, v7, s12, v9
	s_cbranch_scc1 .LBB79_1611
; %bb.1612:
	s_bitcmp1_b32 s5, 0
	s_cselect_b32 s5, -1, 0
	s_delay_alu instid0(SALU_CYCLE_1)
	s_and_b32 vcc_lo, exec_lo, s5
	s_cbranch_vccnz .LBB79_1615
; %bb.1613:
	s_clause 0x1
	s_load_b96 s[12:14], s[0:1], 0x1c
	s_load_b96 s[16:18], s[0:1], 0xdc
	s_wait_kmcnt 0x0
	v_mul_hi_u32 v7, s13, v5
	s_delay_alu instid0(VALU_DEP_1) | instskip(NEXT) | instid1(VALU_DEP_1)
	v_add_nc_u32_e32 v7, v5, v7
	v_lshrrev_b32_e32 v7, s14, v7
	s_delay_alu instid0(VALU_DEP_1) | instskip(NEXT) | instid1(VALU_DEP_1)
	v_mul_lo_u32 v7, v7, s12
	v_sub_nc_u32_e32 v5, v5, v7
	s_delay_alu instid0(VALU_DEP_1)
	v_mad_u32 v2, v5, s16, v2
	v_mad_u32 v14, v5, s17, v14
	;; [unrolled: 1-line block ×3, first 2 shown]
	s_and_not1_b32 vcc_lo, exec_lo, s4
	s_cbranch_vccz .LBB79_1616
	s_branch .LBB79_1619
.LBB79_1614:
	s_mov_b32 s4, -1
                                        ; implicit-def: $vgpr12
                                        ; implicit-def: $vgpr14
                                        ; implicit-def: $vgpr2
.LBB79_1615:
	s_delay_alu instid0(SALU_CYCLE_1)
	s_and_not1_b32 vcc_lo, exec_lo, s4
	s_cbranch_vccnz .LBB79_1619
.LBB79_1616:
	s_clause 0x1
	s_load_b96 s[4:6], s[2:3], 0x4
	s_load_b96 s[12:14], s[2:3], 0xc4
	s_cmp_lt_u32 s26, 2
	s_wait_kmcnt 0x0
	v_mul_hi_u32 v2, s5, v0
	s_delay_alu instid0(VALU_DEP_1) | instskip(SKIP_1) | instid1(VALU_DEP_1)
	v_add_nc_u32_e32 v2, v0, v2
	s_wait_loadcnt 0x0
	v_lshrrev_b32_e32 v5, s6, v2
	s_delay_alu instid0(VALU_DEP_1) | instskip(NEXT) | instid1(VALU_DEP_1)
	v_mul_lo_u32 v2, v5, s4
	v_sub_nc_u32_e32 v0, v0, v2
	s_delay_alu instid0(VALU_DEP_1)
	v_mul_lo_u32 v2, v0, s12
	v_mul_lo_u32 v12, v0, s14
	;; [unrolled: 1-line block ×3, first 2 shown]
	s_cbranch_scc1 .LBB79_1619
; %bb.1617:
	s_clause 0x1
	s_load_b96 s[4:6], s[2:3], 0x10
	s_load_b96 s[12:14], s[2:3], 0xd0
	s_wait_kmcnt 0x0
	v_mul_hi_u32 v0, s5, v5
	s_delay_alu instid0(VALU_DEP_1) | instskip(NEXT) | instid1(VALU_DEP_1)
	v_add_nc_u32_e32 v0, v5, v0
	v_lshrrev_b32_e32 v0, s6, v0
	s_delay_alu instid0(VALU_DEP_1) | instskip(NEXT) | instid1(VALU_DEP_1)
	v_mul_lo_u32 v0, v0, s4
	v_sub_nc_u32_e32 v0, v5, v0
	s_delay_alu instid0(VALU_DEP_1)
	v_mad_u32 v2, v0, s12, v2
	v_mad_u32 v14, v0, s13, v14
	;; [unrolled: 1-line block ×3, first 2 shown]
	s_branch .LBB79_1619
.LBB79_1618:
	v_dual_mov_b32 v12, 0 :: v_dual_mov_b32 v14, 0
	v_mov_b32_e32 v2, 0
	s_and_not1_b32 vcc_lo, exec_lo, s4
	s_cbranch_vccz .LBB79_1616
.LBB79_1619:
	v_cmp_ne_u32_e32 vcc_lo, 1, v3
	s_cbranch_vccnz .LBB79_1625
; %bb.1620:
	s_cmp_lg_u32 s26, 0
	s_mov_b32 s4, 0
	s_cbranch_scc0 .LBB79_1629
; %bb.1621:
	s_min_u32 s5, s27, 15
	v_dual_mov_b32 v0, 0 :: v_dual_mov_b32 v3, v1
	s_wait_loadcnt 0x0
	v_dual_mov_b32 v10, 0 :: v_dual_mov_b32 v8, 0
	s_add_co_i32 s6, s5, 1
	s_mov_b64 s[0:1], 0xffffffffffffffe8
	s_and_b32 s6, s6, 30
	s_add_nc_u64 s[0:1], s[2:3], s[0:1]
.LBB79_1622:                            ; =>This Inner Loop Header: Depth=1
	s_clause 0x1
	s_load_b128 s[12:15], s[0:1], 0x1c
	s_load_b64 s[10:11], s[0:1], 0x2c
	s_add_co_i32 s6, s6, -2
	s_delay_alu instid0(SALU_CYCLE_1) | instskip(SKIP_2) | instid1(VALU_DEP_1)
	s_cmp_lg_u32 s6, 0
	s_wait_kmcnt 0x0
	v_mul_hi_u32 v5, s13, v3
	v_add_nc_u32_e32 v5, v3, v5
	s_delay_alu instid0(VALU_DEP_1) | instskip(NEXT) | instid1(VALU_DEP_1)
	v_lshrrev_b32_e32 v5, s14, v5
	v_mul_hi_u32 v7, s10, v5
	v_mul_lo_u32 v9, v5, s12
	s_clause 0x1
	s_load_b128 s[16:19], s[0:1], 0xdc
	s_load_b64 s[12:13], s[0:1], 0xec
	s_wait_xcnt 0x0
	s_add_nc_u64 s[0:1], s[0:1], 24
	s_delay_alu instid0(VALU_DEP_1) | instskip(NEXT) | instid1(VALU_DEP_1)
	v_dual_add_nc_u32 v7, v5, v7 :: v_dual_sub_nc_u32 v9, v3, v9
	v_lshrrev_b32_e32 v3, s11, v7
	s_wait_kmcnt 0x0
	s_delay_alu instid0(VALU_DEP_2) | instskip(NEXT) | instid1(VALU_DEP_2)
	v_mad_u32 v0, v9, s16, v0
	v_mul_lo_u32 v7, v3, s15
	v_mad_u32 v8, v9, s18, v8
	v_mad_u32 v9, v9, s17, v10
	s_delay_alu instid0(VALU_DEP_3) | instskip(NEXT) | instid1(VALU_DEP_1)
	v_sub_nc_u32_e32 v5, v5, v7
	v_mad_u32 v0, v5, s19, v0
	s_delay_alu instid0(VALU_DEP_4) | instskip(NEXT) | instid1(VALU_DEP_4)
	v_mad_u32 v8, v5, s13, v8
	v_mad_u32 v10, v5, s12, v9
	s_cbranch_scc1 .LBB79_1622
; %bb.1623:
	s_bitcmp1_b32 s5, 0
	s_cselect_b32 s5, -1, 0
	s_delay_alu instid0(SALU_CYCLE_1)
	s_and_b32 vcc_lo, exec_lo, s5
	s_cbranch_vccnz .LBB79_1626
; %bb.1624:
	s_clause 0x1
	s_load_b96 s[12:14], s[0:1], 0x1c
	s_load_b96 s[16:18], s[0:1], 0xdc
	s_wait_kmcnt 0x0
	v_mul_hi_u32 v5, s13, v3
	s_delay_alu instid0(VALU_DEP_1) | instskip(NEXT) | instid1(VALU_DEP_1)
	v_add_nc_u32_e32 v5, v3, v5
	v_lshrrev_b32_e32 v5, s14, v5
	s_delay_alu instid0(VALU_DEP_1) | instskip(NEXT) | instid1(VALU_DEP_1)
	v_mul_lo_u32 v5, v5, s12
	v_sub_nc_u32_e32 v3, v3, v5
	s_delay_alu instid0(VALU_DEP_1)
	v_mad_u32 v0, v3, s16, v0
	v_mad_u32 v10, v3, s17, v10
	;; [unrolled: 1-line block ×3, first 2 shown]
	s_and_not1_b32 vcc_lo, exec_lo, s4
	s_cbranch_vccz .LBB79_1627
	s_branch .LBB79_1630
.LBB79_1625:
	s_mov_b32 s4, -1
                                        ; implicit-def: $vgpr8
                                        ; implicit-def: $vgpr10
                                        ; implicit-def: $vgpr0
.LBB79_1626:
	s_delay_alu instid0(SALU_CYCLE_1)
	s_and_not1_b32 vcc_lo, exec_lo, s4
	s_cbranch_vccnz .LBB79_1630
.LBB79_1627:
	s_clause 0x1
	s_load_b96 s[4:6], s[2:3], 0x4
	s_load_b96 s[12:14], s[2:3], 0xc4
	s_cmp_lt_u32 s26, 2
	s_wait_kmcnt 0x0
	v_mul_hi_u32 v0, s5, v1
	s_delay_alu instid0(VALU_DEP_1) | instskip(NEXT) | instid1(VALU_DEP_1)
	v_add_nc_u32_e32 v0, v1, v0
	v_lshrrev_b32_e32 v3, s6, v0
	s_delay_alu instid0(VALU_DEP_1) | instskip(NEXT) | instid1(VALU_DEP_1)
	v_mul_lo_u32 v0, v3, s4
	v_sub_nc_u32_e32 v1, v1, v0
	s_delay_alu instid0(VALU_DEP_1)
	v_mul_lo_u32 v0, v1, s12
	s_wait_loadcnt 0x0
	v_mul_lo_u32 v8, v1, s14
	v_mul_lo_u32 v10, v1, s13
	s_cbranch_scc1 .LBB79_1630
; %bb.1628:
	s_clause 0x1
	s_load_b96 s[4:6], s[2:3], 0x10
	s_load_b96 s[12:14], s[2:3], 0xd0
	s_wait_kmcnt 0x0
	v_mul_hi_u32 v1, s5, v3
	s_delay_alu instid0(VALU_DEP_1) | instskip(NEXT) | instid1(VALU_DEP_1)
	v_add_nc_u32_e32 v1, v3, v1
	v_lshrrev_b32_e32 v1, s6, v1
	s_delay_alu instid0(VALU_DEP_1) | instskip(NEXT) | instid1(VALU_DEP_1)
	v_mul_lo_u32 v1, v1, s4
	v_sub_nc_u32_e32 v1, v3, v1
	s_delay_alu instid0(VALU_DEP_1)
	v_mad_u32 v0, v1, s12, v0
	v_mad_u32 v10, v1, s13, v10
	;; [unrolled: 1-line block ×3, first 2 shown]
	s_branch .LBB79_1630
.LBB79_1629:
	s_wait_loadcnt 0x0
	v_dual_mov_b32 v8, 0 :: v_dual_mov_b32 v10, 0
	v_mov_b32_e32 v0, 0
	s_and_not1_b32 vcc_lo, exec_lo, s4
	s_cbranch_vccz .LBB79_1627
.LBB79_1630:
	v_mov_b32_e32 v23, 0
	s_load_b128 s[4:7], s[2:3], 0x188
	global_load_u8 v1, v23, s[2:3] offset:418
	s_wait_kmcnt 0x0
	v_add_nc_u64_e32 v[24:25], s[6:7], v[22:23]
	s_wait_loadcnt 0x0
	v_and_b32_e32 v3, 0xffff, v1
	v_readfirstlane_b32 s11, v1
	s_delay_alu instid0(VALU_DEP_2)
	v_cmp_gt_i32_e32 vcc_lo, 11, v3
	s_cbranch_vccnz .LBB79_1637
; %bb.1631:
	s_and_b32 s0, 0xffff, s11
	s_mov_b32 s12, 0
	s_cmp_gt_i32 s0, 25
	s_cbranch_scc0 .LBB79_1639
; %bb.1632:
	s_cmp_gt_i32 s0, 28
	s_cbranch_scc0 .LBB79_1640
; %bb.1633:
	;; [unrolled: 3-line block ×4, first 2 shown]
	s_cmp_eq_u32 s0, 46
	s_mov_b32 s10, 0
	s_cbranch_scc0 .LBB79_1645
; %bb.1636:
	global_load_b32 v1, v[24:25], off
	s_mov_b32 s1, 0
	s_mov_b32 s13, -1
	s_wait_loadcnt 0x0
	v_lshlrev_b32_e32 v1, 16, v1
	s_delay_alu instid0(VALU_DEP_1)
	v_cvt_i32_f32_e32 v22, v1
	s_branch .LBB79_1647
.LBB79_1637:
	s_mov_b32 s13, 0
	s_mov_b32 s10, s8
                                        ; implicit-def: $vgpr22
	s_cbranch_execnz .LBB79_1705
.LBB79_1638:
	s_and_not1_b32 vcc_lo, exec_lo, s13
	s_cbranch_vccz .LBB79_1750
	s_branch .LBB79_2741
.LBB79_1639:
	s_mov_b32 s13, 0
	s_mov_b32 s1, 0
                                        ; implicit-def: $vgpr22
	s_cbranch_execnz .LBB79_1672
	s_branch .LBB79_1701
.LBB79_1640:
	s_mov_b32 s13, 0
	s_mov_b32 s1, 0
                                        ; implicit-def: $vgpr22
	s_cbranch_execz .LBB79_1671
	s_branch .LBB79_1656
.LBB79_1641:
	s_mov_b32 s13, 0
	s_mov_b32 s1, 0
                                        ; implicit-def: $vgpr22
	s_cbranch_execnz .LBB79_1652
	s_branch .LBB79_1655
.LBB79_1642:
	s_mov_b32 s10, -1
	s_mov_b32 s13, 0
	s_mov_b32 s1, 0
	s_branch .LBB79_1646
.LBB79_1643:
	s_and_not1_saveexec_b32 s9, s9
	s_cbranch_execz .LBB79_1498
.LBB79_1644:
	v_add_f32_e64 v3, 0x46000000, |v2|
	s_and_not1_b32 s8, s8, exec_lo
	s_delay_alu instid0(VALU_DEP_1) | instskip(NEXT) | instid1(VALU_DEP_1)
	v_and_b32_e32 v3, 0xff, v3
	v_cmp_ne_u32_e32 vcc_lo, 0, v3
	s_and_b32 s10, vcc_lo, exec_lo
	s_delay_alu instid0(SALU_CYCLE_1)
	s_or_b32 s8, s8, s10
	s_or_b32 exec_lo, exec_lo, s9
	v_mov_b32_e32 v4, 0
	s_and_saveexec_b32 s9, s8
	s_cbranch_execnz .LBB79_1499
	s_branch .LBB79_1500
.LBB79_1645:
	s_mov_b32 s1, -1
	s_mov_b32 s13, 0
.LBB79_1646:
                                        ; implicit-def: $vgpr22
.LBB79_1647:
	s_and_b32 vcc_lo, exec_lo, s10
	s_cbranch_vccz .LBB79_1650
; %bb.1648:
	s_cmp_eq_u32 s0, 44
	s_cbranch_scc0 .LBB79_1651
; %bb.1649:
	global_load_u8 v1, v[24:25], off
	s_mov_b32 s1, 0
	s_mov_b32 s13, -1
	s_wait_loadcnt 0x0
	v_lshlrev_b32_e32 v3, 23, v1
	v_cmp_ne_u32_e32 vcc_lo, 0, v1
	s_delay_alu instid0(VALU_DEP_2) | instskip(NEXT) | instid1(VALU_DEP_1)
	v_cvt_i32_f32_e32 v3, v3
	v_cndmask_b32_e32 v22, 0, v3, vcc_lo
.LBB79_1650:
	s_branch .LBB79_1655
.LBB79_1651:
	s_mov_b32 s1, -1
                                        ; implicit-def: $vgpr22
	s_branch .LBB79_1655
.LBB79_1652:
	s_cmp_eq_u32 s0, 29
	s_cbranch_scc0 .LBB79_1654
; %bb.1653:
	global_load_b64 v[22:23], v[24:25], off
	s_mov_b32 s1, 0
	s_mov_b32 s13, -1
	s_branch .LBB79_1655
.LBB79_1654:
	s_mov_b32 s1, -1
                                        ; implicit-def: $vgpr22
.LBB79_1655:
	s_branch .LBB79_1671
.LBB79_1656:
	s_cmp_lt_i32 s0, 27
	s_cbranch_scc1 .LBB79_1659
; %bb.1657:
	s_cmp_gt_i32 s0, 27
	s_cbranch_scc0 .LBB79_1660
; %bb.1658:
	s_wait_loadcnt 0x0
	global_load_b32 v22, v[24:25], off
	s_mov_b32 s10, 0
	s_branch .LBB79_1661
.LBB79_1659:
	s_mov_b32 s10, -1
                                        ; implicit-def: $vgpr22
	s_branch .LBB79_1664
.LBB79_1660:
	s_mov_b32 s10, -1
                                        ; implicit-def: $vgpr22
.LBB79_1661:
	s_delay_alu instid0(SALU_CYCLE_1)
	s_and_not1_b32 vcc_lo, exec_lo, s10
	s_cbranch_vccnz .LBB79_1663
; %bb.1662:
	s_wait_loadcnt 0x0
	global_load_u16 v22, v[24:25], off
.LBB79_1663:
	s_mov_b32 s10, 0
.LBB79_1664:
	s_delay_alu instid0(SALU_CYCLE_1)
	s_and_not1_b32 vcc_lo, exec_lo, s10
	s_cbranch_vccnz .LBB79_1670
; %bb.1665:
	global_load_u8 v1, v[24:25], off
	s_mov_b32 s13, 0
	s_mov_b32 s10, exec_lo
	s_wait_loadcnt 0x0
	v_cmpx_lt_i16_e32 0x7f, v1
	s_xor_b32 s10, exec_lo, s10
	s_cbranch_execz .LBB79_1681
; %bb.1666:
	v_cmp_ne_u16_e32 vcc_lo, 0x80, v1
	s_and_b32 s13, vcc_lo, exec_lo
	s_and_not1_saveexec_b32 s10, s10
	s_cbranch_execnz .LBB79_1682
.LBB79_1667:
	s_or_b32 exec_lo, exec_lo, s10
	v_mov_b32_e32 v22, 0
	s_and_saveexec_b32 s10, s13
	s_cbranch_execz .LBB79_1669
.LBB79_1668:
	v_and_b32_e32 v3, 0xffff, v1
	s_delay_alu instid0(VALU_DEP_1) | instskip(SKIP_1) | instid1(VALU_DEP_2)
	v_dual_lshlrev_b32 v1, 24, v1 :: v_dual_bitop2_b32 v5, 7, v3 bitop3:0x40
	v_bfe_u32 v11, v3, 3, 4
	v_and_b32_e32 v1, 0x80000000, v1
	s_delay_alu instid0(VALU_DEP_3) | instskip(NEXT) | instid1(VALU_DEP_3)
	v_clz_i32_u32_e32 v7, v5
	v_cmp_eq_u32_e32 vcc_lo, 0, v11
	s_delay_alu instid0(VALU_DEP_2) | instskip(NEXT) | instid1(VALU_DEP_1)
	v_min_u32_e32 v7, 32, v7
	v_subrev_nc_u32_e32 v9, 28, v7
	v_sub_nc_u32_e32 v7, 29, v7
	s_delay_alu instid0(VALU_DEP_2) | instskip(NEXT) | instid1(VALU_DEP_2)
	v_lshlrev_b32_e32 v3, v9, v3
	v_cndmask_b32_e32 v7, v11, v7, vcc_lo
	s_delay_alu instid0(VALU_DEP_2) | instskip(NEXT) | instid1(VALU_DEP_1)
	v_and_b32_e32 v3, 7, v3
	v_cndmask_b32_e32 v3, v5, v3, vcc_lo
	s_delay_alu instid0(VALU_DEP_3) | instskip(NEXT) | instid1(VALU_DEP_2)
	v_lshl_add_u32 v5, v7, 23, 0x3b800000
	v_lshlrev_b32_e32 v3, 20, v3
	s_delay_alu instid0(VALU_DEP_1) | instskip(NEXT) | instid1(VALU_DEP_1)
	v_or3_b32 v1, v1, v5, v3
	v_cvt_i32_f32_e32 v22, v1
.LBB79_1669:
	s_or_b32 exec_lo, exec_lo, s10
.LBB79_1670:
	s_mov_b32 s13, -1
.LBB79_1671:
	s_branch .LBB79_1701
.LBB79_1672:
	s_cmp_gt_i32 s0, 22
	s_cbranch_scc0 .LBB79_1680
; %bb.1673:
	s_cmp_lt_i32 s0, 24
	s_cbranch_scc1 .LBB79_1683
; %bb.1674:
	s_cmp_gt_i32 s0, 24
	s_cbranch_scc0 .LBB79_1684
; %bb.1675:
	global_load_u8 v1, v[24:25], off
	s_mov_b32 s10, exec_lo
	s_wait_loadcnt 0x0
	v_cmpx_lt_i16_e32 0x7f, v1
	s_xor_b32 s10, exec_lo, s10
	s_cbranch_execz .LBB79_1695
; %bb.1676:
	v_cmp_ne_u16_e32 vcc_lo, 0x80, v1
	s_and_b32 s12, vcc_lo, exec_lo
	s_and_not1_saveexec_b32 s10, s10
	s_cbranch_execnz .LBB79_1696
.LBB79_1677:
	s_or_b32 exec_lo, exec_lo, s10
	v_mov_b32_e32 v22, 0
	s_and_saveexec_b32 s10, s12
	s_cbranch_execz .LBB79_1679
.LBB79_1678:
	v_and_b32_e32 v3, 0xffff, v1
	s_delay_alu instid0(VALU_DEP_1) | instskip(SKIP_1) | instid1(VALU_DEP_2)
	v_dual_lshlrev_b32 v1, 24, v1 :: v_dual_bitop2_b32 v5, 3, v3 bitop3:0x40
	v_bfe_u32 v11, v3, 2, 5
	v_and_b32_e32 v1, 0x80000000, v1
	s_delay_alu instid0(VALU_DEP_3) | instskip(NEXT) | instid1(VALU_DEP_3)
	v_clz_i32_u32_e32 v7, v5
	v_cmp_eq_u32_e32 vcc_lo, 0, v11
	s_delay_alu instid0(VALU_DEP_2) | instskip(NEXT) | instid1(VALU_DEP_1)
	v_min_u32_e32 v7, 32, v7
	v_subrev_nc_u32_e32 v9, 29, v7
	v_sub_nc_u32_e32 v7, 30, v7
	s_delay_alu instid0(VALU_DEP_2) | instskip(NEXT) | instid1(VALU_DEP_2)
	v_lshlrev_b32_e32 v3, v9, v3
	v_cndmask_b32_e32 v7, v11, v7, vcc_lo
	s_delay_alu instid0(VALU_DEP_2) | instskip(NEXT) | instid1(VALU_DEP_1)
	v_and_b32_e32 v3, 3, v3
	v_cndmask_b32_e32 v3, v5, v3, vcc_lo
	s_delay_alu instid0(VALU_DEP_3) | instskip(NEXT) | instid1(VALU_DEP_2)
	v_lshl_add_u32 v5, v7, 23, 0x37800000
	v_lshlrev_b32_e32 v3, 21, v3
	s_delay_alu instid0(VALU_DEP_1) | instskip(NEXT) | instid1(VALU_DEP_1)
	v_or3_b32 v1, v1, v5, v3
	v_cvt_i32_f32_e32 v22, v1
.LBB79_1679:
	s_or_b32 exec_lo, exec_lo, s10
	s_mov_b32 s10, 0
	s_branch .LBB79_1685
.LBB79_1680:
                                        ; implicit-def: $vgpr22
	s_mov_b32 s12, 0
	s_branch .LBB79_1691
.LBB79_1681:
	s_and_not1_saveexec_b32 s10, s10
	s_cbranch_execz .LBB79_1667
.LBB79_1682:
	v_cmp_ne_u16_e32 vcc_lo, 0, v1
	s_and_not1_b32 s13, s13, exec_lo
	s_and_b32 s14, vcc_lo, exec_lo
	s_delay_alu instid0(SALU_CYCLE_1)
	s_or_b32 s13, s13, s14
	s_or_b32 exec_lo, exec_lo, s10
	v_mov_b32_e32 v22, 0
	s_and_saveexec_b32 s10, s13
	s_cbranch_execnz .LBB79_1668
	s_branch .LBB79_1669
.LBB79_1683:
	s_mov_b32 s10, -1
                                        ; implicit-def: $vgpr22
	s_branch .LBB79_1688
.LBB79_1684:
	s_mov_b32 s10, -1
                                        ; implicit-def: $vgpr22
.LBB79_1685:
	s_delay_alu instid0(SALU_CYCLE_1)
	s_and_b32 vcc_lo, exec_lo, s10
	s_cbranch_vccz .LBB79_1687
; %bb.1686:
	global_load_u8 v1, v[24:25], off
	s_wait_loadcnt 0x0
	v_lshlrev_b32_e32 v1, 24, v1
	s_delay_alu instid0(VALU_DEP_1) | instskip(NEXT) | instid1(VALU_DEP_1)
	v_and_b32_e32 v3, 0x7f000000, v1
	v_clz_i32_u32_e32 v5, v3
	v_add_nc_u32_e32 v9, 0x1000000, v3
	v_cmp_ne_u32_e32 vcc_lo, 0, v3
	s_delay_alu instid0(VALU_DEP_3) | instskip(NEXT) | instid1(VALU_DEP_1)
	v_min_u32_e32 v5, 32, v5
	v_sub_nc_u32_e64 v5, v5, 4 clamp
	s_delay_alu instid0(VALU_DEP_1) | instskip(NEXT) | instid1(VALU_DEP_1)
	v_dual_lshlrev_b32 v7, v5, v3 :: v_dual_lshlrev_b32 v5, 23, v5
	v_lshrrev_b32_e32 v7, 4, v7
	s_delay_alu instid0(VALU_DEP_1) | instskip(SKIP_1) | instid1(VALU_DEP_2)
	v_sub_nc_u32_e32 v5, v7, v5
	v_ashrrev_i32_e32 v7, 8, v9
	v_add_nc_u32_e32 v5, 0x3c000000, v5
	s_delay_alu instid0(VALU_DEP_1) | instskip(NEXT) | instid1(VALU_DEP_1)
	v_and_or_b32 v5, 0x7f800000, v7, v5
	v_cndmask_b32_e32 v3, 0, v5, vcc_lo
	s_delay_alu instid0(VALU_DEP_1) | instskip(NEXT) | instid1(VALU_DEP_1)
	v_and_or_b32 v1, 0x80000000, v1, v3
	v_cvt_i32_f32_e32 v22, v1
.LBB79_1687:
	s_mov_b32 s10, 0
.LBB79_1688:
	s_delay_alu instid0(SALU_CYCLE_1)
	s_and_not1_b32 vcc_lo, exec_lo, s10
	s_cbranch_vccnz .LBB79_1690
; %bb.1689:
	global_load_u8 v1, v[24:25], off
	s_wait_loadcnt 0x0
	v_lshlrev_b32_e32 v3, 25, v1
	v_lshlrev_b16 v1, 8, v1
	s_delay_alu instid0(VALU_DEP_1) | instskip(SKIP_1) | instid1(VALU_DEP_2)
	v_and_or_b32 v7, 0x7f00, v1, 0.5
	v_bfe_i32 v1, v1, 0, 16
	v_add_f32_e32 v7, -0.5, v7
	v_lshrrev_b32_e32 v5, 4, v3
	v_cmp_gt_u32_e32 vcc_lo, 0x8000000, v3
	s_delay_alu instid0(VALU_DEP_2) | instskip(NEXT) | instid1(VALU_DEP_1)
	v_or_b32_e32 v5, 0x70000000, v5
	v_mul_f32_e32 v5, 0x7800000, v5
	s_delay_alu instid0(VALU_DEP_1) | instskip(NEXT) | instid1(VALU_DEP_1)
	v_cndmask_b32_e32 v3, v5, v7, vcc_lo
	v_and_or_b32 v1, 0x80000000, v1, v3
	s_delay_alu instid0(VALU_DEP_1)
	v_cvt_i32_f32_e32 v22, v1
.LBB79_1690:
	s_mov_b32 s13, -1
	s_mov_b32 s12, 0
	s_cbranch_execnz .LBB79_1701
.LBB79_1691:
	s_cmp_gt_i32 s0, 14
	s_cbranch_scc0 .LBB79_1694
; %bb.1692:
	s_cmp_eq_u32 s0, 15
	s_cbranch_scc0 .LBB79_1697
; %bb.1693:
	global_load_u16 v1, v[24:25], off
	s_mov_b32 s1, 0
	s_mov_b32 s13, -1
	s_wait_loadcnt 0x0
	v_lshlrev_b32_e32 v1, 16, v1
	s_delay_alu instid0(VALU_DEP_1)
	v_cvt_i32_f32_e32 v22, v1
	s_branch .LBB79_1698
.LBB79_1694:
	s_mov_b32 s10, -1
                                        ; implicit-def: $vgpr22
	s_branch .LBB79_1699
.LBB79_1695:
	s_and_not1_saveexec_b32 s10, s10
	s_cbranch_execz .LBB79_1677
.LBB79_1696:
	v_cmp_ne_u16_e32 vcc_lo, 0, v1
	s_and_not1_b32 s12, s12, exec_lo
	s_and_b32 s13, vcc_lo, exec_lo
	s_delay_alu instid0(SALU_CYCLE_1)
	s_or_b32 s12, s12, s13
	s_or_b32 exec_lo, exec_lo, s10
	v_mov_b32_e32 v22, 0
	s_and_saveexec_b32 s10, s12
	s_cbranch_execnz .LBB79_1678
	s_branch .LBB79_1679
.LBB79_1697:
	s_mov_b32 s1, -1
                                        ; implicit-def: $vgpr22
.LBB79_1698:
	s_mov_b32 s10, 0
.LBB79_1699:
	s_delay_alu instid0(SALU_CYCLE_1)
	s_and_b32 vcc_lo, exec_lo, s10
	s_cbranch_vccz .LBB79_1701
; %bb.1700:
	s_cmp_lg_u32 s0, 11
	s_mov_b32 s12, -1
	s_cselect_b32 s1, -1, 0
.LBB79_1701:
	s_delay_alu instid0(SALU_CYCLE_1)
	s_and_b32 vcc_lo, exec_lo, s1
	s_mov_b32 s10, s8
	s_cbranch_vccnz .LBB79_1762
; %bb.1702:
	s_and_not1_b32 vcc_lo, exec_lo, s12
	s_cbranch_vccnz .LBB79_1704
.LBB79_1703:
	global_load_u8 v1, v[24:25], off
	s_mov_b32 s13, -1
	s_wait_loadcnt 0x0
	v_cmp_ne_u16_e32 vcc_lo, 0, v1
	v_cndmask_b32_e64 v22, 0, 1, vcc_lo
.LBB79_1704:
	s_branch .LBB79_1638
.LBB79_1705:
	s_and_b32 s0, 0xffff, s11
	s_delay_alu instid0(SALU_CYCLE_1)
	s_cmp_lt_i32 s0, 5
	s_cbranch_scc1 .LBB79_1710
; %bb.1706:
	s_cmp_lt_i32 s0, 8
	s_cbranch_scc1 .LBB79_1711
; %bb.1707:
	s_cmp_lt_i32 s0, 9
	s_cbranch_scc1 .LBB79_1712
; %bb.1708:
	s_cmp_gt_i32 s0, 9
	s_cbranch_scc0 .LBB79_1713
; %bb.1709:
	s_wait_loadcnt 0x0
	global_load_b64 v[22:23], v[24:25], off
	s_mov_b32 s1, 0
	s_wait_loadcnt 0x0
	v_cvt_i32_f64_e32 v22, v[22:23]
	s_branch .LBB79_1714
.LBB79_1710:
                                        ; implicit-def: $vgpr22
	s_branch .LBB79_1731
.LBB79_1711:
                                        ; implicit-def: $vgpr22
	s_branch .LBB79_1720
.LBB79_1712:
	s_mov_b32 s1, -1
                                        ; implicit-def: $vgpr22
	s_branch .LBB79_1717
.LBB79_1713:
	s_mov_b32 s1, -1
                                        ; implicit-def: $vgpr22
.LBB79_1714:
	s_delay_alu instid0(SALU_CYCLE_1)
	s_and_not1_b32 vcc_lo, exec_lo, s1
	s_cbranch_vccnz .LBB79_1716
; %bb.1715:
	global_load_b32 v1, v[24:25], off
	s_wait_loadcnt 0x0
	v_cvt_i32_f32_e32 v22, v1
.LBB79_1716:
	s_mov_b32 s1, 0
.LBB79_1717:
	s_delay_alu instid0(SALU_CYCLE_1)
	s_and_not1_b32 vcc_lo, exec_lo, s1
	s_cbranch_vccnz .LBB79_1719
; %bb.1718:
	global_load_b32 v1, v[24:25], off
	s_wait_loadcnt 0x0
	v_cvt_i16_f16_e32 v22, v1
.LBB79_1719:
	s_cbranch_execnz .LBB79_1730
.LBB79_1720:
	s_cmp_lt_i32 s0, 6
	s_cbranch_scc1 .LBB79_1723
; %bb.1721:
	s_cmp_gt_i32 s0, 6
	s_cbranch_scc0 .LBB79_1724
; %bb.1722:
	s_wait_loadcnt 0x0
	global_load_b64 v[22:23], v[24:25], off
	s_mov_b32 s1, 0
	s_wait_loadcnt 0x0
	v_cvt_i32_f64_e32 v22, v[22:23]
	s_branch .LBB79_1725
.LBB79_1723:
	s_mov_b32 s1, -1
                                        ; implicit-def: $vgpr22
	s_branch .LBB79_1728
.LBB79_1724:
	s_mov_b32 s1, -1
                                        ; implicit-def: $vgpr22
.LBB79_1725:
	s_delay_alu instid0(SALU_CYCLE_1)
	s_and_not1_b32 vcc_lo, exec_lo, s1
	s_cbranch_vccnz .LBB79_1727
; %bb.1726:
	global_load_b32 v1, v[24:25], off
	s_wait_loadcnt 0x0
	v_cvt_i32_f32_e32 v22, v1
.LBB79_1727:
	s_mov_b32 s1, 0
.LBB79_1728:
	s_delay_alu instid0(SALU_CYCLE_1)
	s_and_not1_b32 vcc_lo, exec_lo, s1
	s_cbranch_vccnz .LBB79_1730
; %bb.1729:
	global_load_u16 v1, v[24:25], off
	s_wait_loadcnt 0x0
	v_cvt_i16_f16_e32 v22, v1
.LBB79_1730:
	s_cbranch_execnz .LBB79_1749
.LBB79_1731:
	s_cmp_lt_i32 s0, 2
	s_cbranch_scc1 .LBB79_1735
; %bb.1732:
	s_cmp_lt_i32 s0, 3
	s_cbranch_scc1 .LBB79_1736
; %bb.1733:
	s_cmp_gt_i32 s0, 3
	s_cbranch_scc0 .LBB79_1737
; %bb.1734:
	s_wait_loadcnt 0x0
	global_load_b64 v[22:23], v[24:25], off
	s_mov_b32 s1, 0
	s_branch .LBB79_1738
.LBB79_1735:
                                        ; implicit-def: $vgpr22
	s_branch .LBB79_1744
.LBB79_1736:
	s_mov_b32 s1, -1
                                        ; implicit-def: $vgpr22
	s_branch .LBB79_1741
.LBB79_1737:
	s_mov_b32 s1, -1
                                        ; implicit-def: $vgpr22
.LBB79_1738:
	s_delay_alu instid0(SALU_CYCLE_1)
	s_and_not1_b32 vcc_lo, exec_lo, s1
	s_cbranch_vccnz .LBB79_1740
; %bb.1739:
	s_wait_loadcnt 0x0
	global_load_b32 v22, v[24:25], off
.LBB79_1740:
	s_mov_b32 s1, 0
.LBB79_1741:
	s_delay_alu instid0(SALU_CYCLE_1)
	s_and_not1_b32 vcc_lo, exec_lo, s1
	s_cbranch_vccnz .LBB79_1743
; %bb.1742:
	s_wait_loadcnt 0x0
	global_load_u16 v22, v[24:25], off
.LBB79_1743:
	s_cbranch_execnz .LBB79_1749
.LBB79_1744:
	s_cmp_gt_i32 s0, 0
	s_mov_b32 s0, 0
	s_cbranch_scc0 .LBB79_1746
; %bb.1745:
	s_wait_loadcnt 0x0
	global_load_i8 v22, v[24:25], off
	s_branch .LBB79_1747
.LBB79_1746:
	s_mov_b32 s0, -1
                                        ; implicit-def: $vgpr22
.LBB79_1747:
	s_delay_alu instid0(SALU_CYCLE_1)
	s_and_not1_b32 vcc_lo, exec_lo, s0
	s_cbranch_vccnz .LBB79_1749
; %bb.1748:
	s_wait_loadcnt 0x0
	global_load_u8 v22, v[24:25], off
.LBB79_1749:
.LBB79_1750:
	v_mov_b32_e32 v21, 0
	s_load_b64 s[0:1], s[2:3], 0x198
	global_load_u8 v1, v21, s[2:3] offset:419
	s_wait_kmcnt 0x0
	v_add_nc_u64_e32 v[20:21], s[0:1], v[20:21]
	s_wait_loadcnt 0x0
	v_and_b32_e32 v3, 0xffff, v1
	v_readfirstlane_b32 s12, v1
	s_delay_alu instid0(VALU_DEP_2)
	v_cmp_gt_i32_e32 vcc_lo, 11, v3
	s_cbranch_vccnz .LBB79_1757
; %bb.1751:
	s_and_b32 s13, 0xffff, s12
	s_mov_b32 s15, 0
	s_cmp_gt_i32 s13, 25
	s_cbranch_scc0 .LBB79_1759
; %bb.1752:
	s_cmp_gt_i32 s13, 28
	s_cbranch_scc0 .LBB79_1760
; %bb.1753:
	;; [unrolled: 3-line block ×4, first 2 shown]
	s_cmp_eq_u32 s13, 46
	s_mov_b32 s17, 0
	s_cbranch_scc0 .LBB79_1766
; %bb.1756:
	global_load_b32 v1, v[20:21], off
	s_mov_b32 s14, 0
	s_mov_b32 s16, -1
	s_wait_loadcnt 0x0
	v_lshlrev_b32_e32 v1, 16, v1
	s_delay_alu instid0(VALU_DEP_1)
	v_cvt_i32_f32_e32 v24, v1
	s_branch .LBB79_1768
.LBB79_1757:
	s_mov_b32 s16, 0
                                        ; implicit-def: $vgpr24
	s_cbranch_execnz .LBB79_1829
.LBB79_1758:
	s_and_not1_b32 vcc_lo, exec_lo, s16
	s_cbranch_vccnz .LBB79_2741
	s_branch .LBB79_1876
.LBB79_1759:
	s_mov_b32 s16, 0
	s_mov_b32 s14, 0
                                        ; implicit-def: $vgpr24
	s_cbranch_execnz .LBB79_1795
	s_branch .LBB79_1825
.LBB79_1760:
	s_mov_b32 s17, -1
	s_mov_b32 s16, 0
	s_mov_b32 s14, 0
                                        ; implicit-def: $vgpr24
	s_branch .LBB79_1778
.LBB79_1761:
	s_mov_b32 s17, -1
	s_mov_b32 s16, 0
	s_mov_b32 s14, 0
                                        ; implicit-def: $vgpr24
	s_branch .LBB79_1773
.LBB79_1762:
	s_or_b32 s10, s8, exec_lo
	s_trap 2
	s_cbranch_execz .LBB79_1703
	s_branch .LBB79_1704
.LBB79_1763:
	s_mov_b32 s17, -1
	s_mov_b32 s16, 0
	s_mov_b32 s14, 0
	s_branch .LBB79_1767
.LBB79_1764:
	s_and_not1_saveexec_b32 s10, s10
	s_cbranch_execz .LBB79_1510
.LBB79_1765:
	v_add_f32_e64 v3, 0x42800000, |v2|
	s_and_not1_b32 s9, s9, exec_lo
	s_delay_alu instid0(VALU_DEP_1) | instskip(NEXT) | instid1(VALU_DEP_1)
	v_and_b32_e32 v3, 0xff, v3
	v_cmp_ne_u32_e32 vcc_lo, 0, v3
	s_and_b32 s11, vcc_lo, exec_lo
	s_delay_alu instid0(SALU_CYCLE_1)
	s_or_b32 s9, s9, s11
	s_or_b32 exec_lo, exec_lo, s10
	v_mov_b32_e32 v4, 0
	s_and_saveexec_b32 s10, s9
	s_cbranch_execnz .LBB79_1511
	s_branch .LBB79_1512
.LBB79_1766:
	s_mov_b32 s14, -1
	s_mov_b32 s16, 0
.LBB79_1767:
                                        ; implicit-def: $vgpr24
.LBB79_1768:
	s_and_b32 vcc_lo, exec_lo, s17
	s_cbranch_vccz .LBB79_1772
; %bb.1769:
	s_cmp_eq_u32 s13, 44
	s_cbranch_scc0 .LBB79_1771
; %bb.1770:
	global_load_u8 v1, v[20:21], off
	s_mov_b32 s14, 0
	s_mov_b32 s16, -1
	s_wait_loadcnt 0x0
	v_lshlrev_b32_e32 v3, 23, v1
	v_cmp_ne_u32_e32 vcc_lo, 0, v1
	s_delay_alu instid0(VALU_DEP_2) | instskip(NEXT) | instid1(VALU_DEP_1)
	v_cvt_i32_f32_e32 v3, v3
	v_cndmask_b32_e32 v24, 0, v3, vcc_lo
	s_branch .LBB79_1772
.LBB79_1771:
	s_mov_b32 s14, -1
                                        ; implicit-def: $vgpr24
.LBB79_1772:
	s_mov_b32 s17, 0
.LBB79_1773:
	s_delay_alu instid0(SALU_CYCLE_1)
	s_and_b32 vcc_lo, exec_lo, s17
	s_cbranch_vccz .LBB79_1777
; %bb.1774:
	s_cmp_eq_u32 s13, 29
	s_cbranch_scc0 .LBB79_1776
; %bb.1775:
	global_load_b64 v[24:25], v[20:21], off
	s_mov_b32 s14, 0
	s_mov_b32 s16, -1
	s_branch .LBB79_1777
.LBB79_1776:
	s_mov_b32 s14, -1
                                        ; implicit-def: $vgpr24
.LBB79_1777:
	s_mov_b32 s17, 0
.LBB79_1778:
	s_delay_alu instid0(SALU_CYCLE_1)
	s_and_b32 vcc_lo, exec_lo, s17
	s_cbranch_vccz .LBB79_1794
; %bb.1779:
	s_cmp_lt_i32 s13, 27
	s_cbranch_scc1 .LBB79_1782
; %bb.1780:
	s_cmp_gt_i32 s13, 27
	s_cbranch_scc0 .LBB79_1783
; %bb.1781:
	s_wait_loadcnt 0x0
	global_load_b32 v24, v[20:21], off
	s_mov_b32 s16, 0
	s_branch .LBB79_1784
.LBB79_1782:
	s_mov_b32 s16, -1
                                        ; implicit-def: $vgpr24
	s_branch .LBB79_1787
.LBB79_1783:
	s_mov_b32 s16, -1
                                        ; implicit-def: $vgpr24
.LBB79_1784:
	s_delay_alu instid0(SALU_CYCLE_1)
	s_and_not1_b32 vcc_lo, exec_lo, s16
	s_cbranch_vccnz .LBB79_1786
; %bb.1785:
	s_wait_loadcnt 0x0
	global_load_u16 v24, v[20:21], off
.LBB79_1786:
	s_mov_b32 s16, 0
.LBB79_1787:
	s_delay_alu instid0(SALU_CYCLE_1)
	s_and_not1_b32 vcc_lo, exec_lo, s16
	s_cbranch_vccnz .LBB79_1793
; %bb.1788:
	global_load_u8 v1, v[20:21], off
	s_mov_b32 s17, 0
	s_mov_b32 s16, exec_lo
	s_wait_loadcnt 0x0
	v_cmpx_lt_i16_e32 0x7f, v1
	s_xor_b32 s16, exec_lo, s16
	s_cbranch_execz .LBB79_1804
; %bb.1789:
	v_cmp_ne_u16_e32 vcc_lo, 0x80, v1
	s_and_b32 s17, vcc_lo, exec_lo
	s_and_not1_saveexec_b32 s16, s16
	s_cbranch_execnz .LBB79_1805
.LBB79_1790:
	s_or_b32 exec_lo, exec_lo, s16
	v_mov_b32_e32 v24, 0
	s_and_saveexec_b32 s16, s17
	s_cbranch_execz .LBB79_1792
.LBB79_1791:
	v_and_b32_e32 v3, 0xffff, v1
	s_delay_alu instid0(VALU_DEP_1) | instskip(SKIP_1) | instid1(VALU_DEP_2)
	v_dual_lshlrev_b32 v1, 24, v1 :: v_dual_bitop2_b32 v5, 7, v3 bitop3:0x40
	v_bfe_u32 v11, v3, 3, 4
	v_and_b32_e32 v1, 0x80000000, v1
	s_delay_alu instid0(VALU_DEP_3) | instskip(NEXT) | instid1(VALU_DEP_3)
	v_clz_i32_u32_e32 v7, v5
	v_cmp_eq_u32_e32 vcc_lo, 0, v11
	s_delay_alu instid0(VALU_DEP_2) | instskip(NEXT) | instid1(VALU_DEP_1)
	v_min_u32_e32 v7, 32, v7
	v_subrev_nc_u32_e32 v9, 28, v7
	v_sub_nc_u32_e32 v7, 29, v7
	s_delay_alu instid0(VALU_DEP_2) | instskip(NEXT) | instid1(VALU_DEP_2)
	v_lshlrev_b32_e32 v3, v9, v3
	v_cndmask_b32_e32 v7, v11, v7, vcc_lo
	s_delay_alu instid0(VALU_DEP_2) | instskip(NEXT) | instid1(VALU_DEP_1)
	v_and_b32_e32 v3, 7, v3
	v_cndmask_b32_e32 v3, v5, v3, vcc_lo
	s_delay_alu instid0(VALU_DEP_3) | instskip(NEXT) | instid1(VALU_DEP_2)
	v_lshl_add_u32 v5, v7, 23, 0x3b800000
	v_lshlrev_b32_e32 v3, 20, v3
	s_delay_alu instid0(VALU_DEP_1) | instskip(NEXT) | instid1(VALU_DEP_1)
	v_or3_b32 v1, v1, v5, v3
	v_cvt_i32_f32_e32 v24, v1
.LBB79_1792:
	s_or_b32 exec_lo, exec_lo, s16
.LBB79_1793:
	s_mov_b32 s16, -1
.LBB79_1794:
	s_branch .LBB79_1825
.LBB79_1795:
	s_cmp_gt_i32 s13, 22
	s_cbranch_scc0 .LBB79_1803
; %bb.1796:
	s_cmp_lt_i32 s13, 24
	s_cbranch_scc1 .LBB79_1806
; %bb.1797:
	s_cmp_gt_i32 s13, 24
	s_cbranch_scc0 .LBB79_1807
; %bb.1798:
	global_load_u8 v1, v[20:21], off
	s_mov_b32 s16, 0
	s_mov_b32 s15, exec_lo
	s_wait_loadcnt 0x0
	v_cmpx_lt_i16_e32 0x7f, v1
	s_xor_b32 s15, exec_lo, s15
	s_cbranch_execz .LBB79_1819
; %bb.1799:
	v_cmp_ne_u16_e32 vcc_lo, 0x80, v1
	s_and_b32 s16, vcc_lo, exec_lo
	s_and_not1_saveexec_b32 s15, s15
	s_cbranch_execnz .LBB79_1820
.LBB79_1800:
	s_or_b32 exec_lo, exec_lo, s15
	v_mov_b32_e32 v24, 0
	s_and_saveexec_b32 s15, s16
	s_cbranch_execz .LBB79_1802
.LBB79_1801:
	v_and_b32_e32 v3, 0xffff, v1
	s_delay_alu instid0(VALU_DEP_1) | instskip(SKIP_1) | instid1(VALU_DEP_2)
	v_dual_lshlrev_b32 v1, 24, v1 :: v_dual_bitop2_b32 v5, 3, v3 bitop3:0x40
	v_bfe_u32 v11, v3, 2, 5
	v_and_b32_e32 v1, 0x80000000, v1
	s_delay_alu instid0(VALU_DEP_3) | instskip(NEXT) | instid1(VALU_DEP_3)
	v_clz_i32_u32_e32 v7, v5
	v_cmp_eq_u32_e32 vcc_lo, 0, v11
	s_delay_alu instid0(VALU_DEP_2) | instskip(NEXT) | instid1(VALU_DEP_1)
	v_min_u32_e32 v7, 32, v7
	v_subrev_nc_u32_e32 v9, 29, v7
	v_sub_nc_u32_e32 v7, 30, v7
	s_delay_alu instid0(VALU_DEP_2) | instskip(NEXT) | instid1(VALU_DEP_2)
	v_lshlrev_b32_e32 v3, v9, v3
	v_cndmask_b32_e32 v7, v11, v7, vcc_lo
	s_delay_alu instid0(VALU_DEP_2) | instskip(NEXT) | instid1(VALU_DEP_1)
	v_and_b32_e32 v3, 3, v3
	v_cndmask_b32_e32 v3, v5, v3, vcc_lo
	s_delay_alu instid0(VALU_DEP_3) | instskip(NEXT) | instid1(VALU_DEP_2)
	v_lshl_add_u32 v5, v7, 23, 0x37800000
	v_lshlrev_b32_e32 v3, 21, v3
	s_delay_alu instid0(VALU_DEP_1) | instskip(NEXT) | instid1(VALU_DEP_1)
	v_or3_b32 v1, v1, v5, v3
	v_cvt_i32_f32_e32 v24, v1
.LBB79_1802:
	s_or_b32 exec_lo, exec_lo, s15
	s_mov_b32 s15, 0
	s_branch .LBB79_1808
.LBB79_1803:
	s_mov_b32 s15, -1
                                        ; implicit-def: $vgpr24
	s_branch .LBB79_1814
.LBB79_1804:
	s_and_not1_saveexec_b32 s16, s16
	s_cbranch_execz .LBB79_1790
.LBB79_1805:
	v_cmp_ne_u16_e32 vcc_lo, 0, v1
	s_and_not1_b32 s17, s17, exec_lo
	s_and_b32 s18, vcc_lo, exec_lo
	s_delay_alu instid0(SALU_CYCLE_1)
	s_or_b32 s17, s17, s18
	s_or_b32 exec_lo, exec_lo, s16
	v_mov_b32_e32 v24, 0
	s_and_saveexec_b32 s16, s17
	s_cbranch_execnz .LBB79_1791
	s_branch .LBB79_1792
.LBB79_1806:
	s_mov_b32 s15, -1
                                        ; implicit-def: $vgpr24
	s_branch .LBB79_1811
.LBB79_1807:
	s_mov_b32 s15, -1
                                        ; implicit-def: $vgpr24
.LBB79_1808:
	s_delay_alu instid0(SALU_CYCLE_1)
	s_and_b32 vcc_lo, exec_lo, s15
	s_cbranch_vccz .LBB79_1810
; %bb.1809:
	global_load_u8 v1, v[20:21], off
	s_wait_loadcnt 0x0
	v_lshlrev_b32_e32 v1, 24, v1
	s_delay_alu instid0(VALU_DEP_1) | instskip(NEXT) | instid1(VALU_DEP_1)
	v_and_b32_e32 v3, 0x7f000000, v1
	v_clz_i32_u32_e32 v5, v3
	v_add_nc_u32_e32 v9, 0x1000000, v3
	v_cmp_ne_u32_e32 vcc_lo, 0, v3
	s_delay_alu instid0(VALU_DEP_3) | instskip(NEXT) | instid1(VALU_DEP_1)
	v_min_u32_e32 v5, 32, v5
	v_sub_nc_u32_e64 v5, v5, 4 clamp
	s_delay_alu instid0(VALU_DEP_1) | instskip(NEXT) | instid1(VALU_DEP_1)
	v_dual_lshlrev_b32 v7, v5, v3 :: v_dual_lshlrev_b32 v5, 23, v5
	v_lshrrev_b32_e32 v7, 4, v7
	s_delay_alu instid0(VALU_DEP_1) | instskip(SKIP_1) | instid1(VALU_DEP_2)
	v_sub_nc_u32_e32 v5, v7, v5
	v_ashrrev_i32_e32 v7, 8, v9
	v_add_nc_u32_e32 v5, 0x3c000000, v5
	s_delay_alu instid0(VALU_DEP_1) | instskip(NEXT) | instid1(VALU_DEP_1)
	v_and_or_b32 v5, 0x7f800000, v7, v5
	v_cndmask_b32_e32 v3, 0, v5, vcc_lo
	s_delay_alu instid0(VALU_DEP_1) | instskip(NEXT) | instid1(VALU_DEP_1)
	v_and_or_b32 v1, 0x80000000, v1, v3
	v_cvt_i32_f32_e32 v24, v1
.LBB79_1810:
	s_mov_b32 s15, 0
.LBB79_1811:
	s_delay_alu instid0(SALU_CYCLE_1)
	s_and_not1_b32 vcc_lo, exec_lo, s15
	s_cbranch_vccnz .LBB79_1813
; %bb.1812:
	global_load_u8 v1, v[20:21], off
	s_wait_loadcnt 0x0
	v_lshlrev_b32_e32 v3, 25, v1
	v_lshlrev_b16 v1, 8, v1
	s_delay_alu instid0(VALU_DEP_1) | instskip(SKIP_1) | instid1(VALU_DEP_2)
	v_and_or_b32 v7, 0x7f00, v1, 0.5
	v_bfe_i32 v1, v1, 0, 16
	v_add_f32_e32 v7, -0.5, v7
	v_lshrrev_b32_e32 v5, 4, v3
	v_cmp_gt_u32_e32 vcc_lo, 0x8000000, v3
	s_delay_alu instid0(VALU_DEP_2) | instskip(NEXT) | instid1(VALU_DEP_1)
	v_or_b32_e32 v5, 0x70000000, v5
	v_mul_f32_e32 v5, 0x7800000, v5
	s_delay_alu instid0(VALU_DEP_1) | instskip(NEXT) | instid1(VALU_DEP_1)
	v_cndmask_b32_e32 v3, v5, v7, vcc_lo
	v_and_or_b32 v1, 0x80000000, v1, v3
	s_delay_alu instid0(VALU_DEP_1)
	v_cvt_i32_f32_e32 v24, v1
.LBB79_1813:
	s_mov_b32 s15, 0
	s_mov_b32 s16, -1
.LBB79_1814:
	s_and_not1_b32 vcc_lo, exec_lo, s15
	s_mov_b32 s15, 0
	s_cbranch_vccnz .LBB79_1825
; %bb.1815:
	s_cmp_gt_i32 s13, 14
	s_cbranch_scc0 .LBB79_1818
; %bb.1816:
	s_cmp_eq_u32 s13, 15
	s_cbranch_scc0 .LBB79_1821
; %bb.1817:
	global_load_u16 v1, v[20:21], off
	s_mov_b32 s14, 0
	s_mov_b32 s16, -1
	s_wait_loadcnt 0x0
	v_lshlrev_b32_e32 v1, 16, v1
	s_delay_alu instid0(VALU_DEP_1)
	v_cvt_i32_f32_e32 v24, v1
	s_branch .LBB79_1823
.LBB79_1818:
	s_mov_b32 s15, -1
	s_branch .LBB79_1822
.LBB79_1819:
	s_and_not1_saveexec_b32 s15, s15
	s_cbranch_execz .LBB79_1800
.LBB79_1820:
	v_cmp_ne_u16_e32 vcc_lo, 0, v1
	s_and_not1_b32 s16, s16, exec_lo
	s_and_b32 s17, vcc_lo, exec_lo
	s_delay_alu instid0(SALU_CYCLE_1)
	s_or_b32 s16, s16, s17
	s_or_b32 exec_lo, exec_lo, s15
	v_mov_b32_e32 v24, 0
	s_and_saveexec_b32 s15, s16
	s_cbranch_execnz .LBB79_1801
	s_branch .LBB79_1802
.LBB79_1821:
	s_mov_b32 s14, -1
.LBB79_1822:
                                        ; implicit-def: $vgpr24
.LBB79_1823:
	s_and_b32 vcc_lo, exec_lo, s15
	s_mov_b32 s15, 0
	s_cbranch_vccz .LBB79_1825
; %bb.1824:
	s_cmp_lg_u32 s13, 11
	s_mov_b32 s15, -1
	s_cselect_b32 s14, -1, 0
.LBB79_1825:
	s_delay_alu instid0(SALU_CYCLE_1)
	s_and_b32 vcc_lo, exec_lo, s14
	s_cbranch_vccnz .LBB79_1894
; %bb.1826:
	s_and_not1_b32 vcc_lo, exec_lo, s15
	s_cbranch_vccnz .LBB79_1828
.LBB79_1827:
	global_load_u8 v1, v[20:21], off
	s_mov_b32 s16, -1
	s_wait_loadcnt 0x0
	v_cmp_ne_u16_e32 vcc_lo, 0, v1
	v_cndmask_b32_e64 v24, 0, 1, vcc_lo
.LBB79_1828:
	s_branch .LBB79_1758
.LBB79_1829:
	s_and_b32 s13, 0xffff, s12
	s_delay_alu instid0(SALU_CYCLE_1)
	s_cmp_lt_i32 s13, 5
	s_cbranch_scc1 .LBB79_1834
; %bb.1830:
	s_cmp_lt_i32 s13, 8
	s_cbranch_scc1 .LBB79_1835
; %bb.1831:
	;; [unrolled: 3-line block ×3, first 2 shown]
	s_cmp_gt_i32 s13, 9
	s_cbranch_scc0 .LBB79_1837
; %bb.1833:
	s_wait_loadcnt 0x0
	global_load_b64 v[24:25], v[20:21], off
	s_mov_b32 s14, 0
	s_wait_loadcnt 0x0
	v_cvt_i32_f64_e32 v24, v[24:25]
	s_branch .LBB79_1838
.LBB79_1834:
                                        ; implicit-def: $vgpr24
	s_branch .LBB79_1856
.LBB79_1835:
	s_mov_b32 s14, -1
                                        ; implicit-def: $vgpr24
	s_branch .LBB79_1844
.LBB79_1836:
	s_mov_b32 s14, -1
                                        ; implicit-def: $vgpr24
	s_branch .LBB79_1841
.LBB79_1837:
	s_mov_b32 s14, -1
                                        ; implicit-def: $vgpr24
.LBB79_1838:
	s_delay_alu instid0(SALU_CYCLE_1)
	s_and_not1_b32 vcc_lo, exec_lo, s14
	s_cbranch_vccnz .LBB79_1840
; %bb.1839:
	global_load_b32 v1, v[20:21], off
	s_wait_loadcnt 0x0
	v_cvt_i32_f32_e32 v24, v1
.LBB79_1840:
	s_mov_b32 s14, 0
.LBB79_1841:
	s_delay_alu instid0(SALU_CYCLE_1)
	s_and_not1_b32 vcc_lo, exec_lo, s14
	s_cbranch_vccnz .LBB79_1843
; %bb.1842:
	global_load_b32 v1, v[20:21], off
	s_wait_loadcnt 0x0
	v_cvt_i16_f16_e32 v24, v1
.LBB79_1843:
	s_mov_b32 s14, 0
.LBB79_1844:
	s_delay_alu instid0(SALU_CYCLE_1)
	s_and_not1_b32 vcc_lo, exec_lo, s14
	s_cbranch_vccnz .LBB79_1855
; %bb.1845:
	s_cmp_lt_i32 s13, 6
	s_cbranch_scc1 .LBB79_1848
; %bb.1846:
	s_cmp_gt_i32 s13, 6
	s_cbranch_scc0 .LBB79_1849
; %bb.1847:
	s_wait_loadcnt 0x0
	global_load_b64 v[24:25], v[20:21], off
	s_mov_b32 s14, 0
	s_wait_loadcnt 0x0
	v_cvt_i32_f64_e32 v24, v[24:25]
	s_branch .LBB79_1850
.LBB79_1848:
	s_mov_b32 s14, -1
                                        ; implicit-def: $vgpr24
	s_branch .LBB79_1853
.LBB79_1849:
	s_mov_b32 s14, -1
                                        ; implicit-def: $vgpr24
.LBB79_1850:
	s_delay_alu instid0(SALU_CYCLE_1)
	s_and_not1_b32 vcc_lo, exec_lo, s14
	s_cbranch_vccnz .LBB79_1852
; %bb.1851:
	global_load_b32 v1, v[20:21], off
	s_wait_loadcnt 0x0
	v_cvt_i32_f32_e32 v24, v1
.LBB79_1852:
	s_mov_b32 s14, 0
.LBB79_1853:
	s_delay_alu instid0(SALU_CYCLE_1)
	s_and_not1_b32 vcc_lo, exec_lo, s14
	s_cbranch_vccnz .LBB79_1855
; %bb.1854:
	global_load_u16 v1, v[20:21], off
	s_wait_loadcnt 0x0
	v_cvt_i16_f16_e32 v24, v1
.LBB79_1855:
	s_cbranch_execnz .LBB79_1875
.LBB79_1856:
	s_cmp_lt_i32 s13, 2
	s_cbranch_scc1 .LBB79_1860
; %bb.1857:
	s_cmp_lt_i32 s13, 3
	s_cbranch_scc1 .LBB79_1861
; %bb.1858:
	s_cmp_gt_i32 s13, 3
	s_cbranch_scc0 .LBB79_1862
; %bb.1859:
	s_wait_loadcnt 0x0
	global_load_b64 v[24:25], v[20:21], off
	s_mov_b32 s14, 0
	s_branch .LBB79_1863
.LBB79_1860:
	s_mov_b32 s14, -1
                                        ; implicit-def: $vgpr24
	s_branch .LBB79_1869
.LBB79_1861:
	s_mov_b32 s14, -1
                                        ; implicit-def: $vgpr24
	s_branch .LBB79_1866
.LBB79_1862:
	s_mov_b32 s14, -1
                                        ; implicit-def: $vgpr24
.LBB79_1863:
	s_delay_alu instid0(SALU_CYCLE_1)
	s_and_not1_b32 vcc_lo, exec_lo, s14
	s_cbranch_vccnz .LBB79_1865
; %bb.1864:
	s_wait_loadcnt 0x0
	global_load_b32 v24, v[20:21], off
.LBB79_1865:
	s_mov_b32 s14, 0
.LBB79_1866:
	s_delay_alu instid0(SALU_CYCLE_1)
	s_and_not1_b32 vcc_lo, exec_lo, s14
	s_cbranch_vccnz .LBB79_1868
; %bb.1867:
	s_wait_loadcnt 0x0
	global_load_u16 v24, v[20:21], off
.LBB79_1868:
	s_mov_b32 s14, 0
.LBB79_1869:
	s_delay_alu instid0(SALU_CYCLE_1)
	s_and_not1_b32 vcc_lo, exec_lo, s14
	s_cbranch_vccnz .LBB79_1875
; %bb.1870:
	s_cmp_gt_i32 s13, 0
	s_mov_b32 s13, 0
	s_cbranch_scc0 .LBB79_1872
; %bb.1871:
	s_wait_loadcnt 0x0
	global_load_i8 v24, v[20:21], off
	s_branch .LBB79_1873
.LBB79_1872:
	s_mov_b32 s13, -1
                                        ; implicit-def: $vgpr24
.LBB79_1873:
	s_delay_alu instid0(SALU_CYCLE_1)
	s_and_not1_b32 vcc_lo, exec_lo, s13
	s_cbranch_vccnz .LBB79_1875
; %bb.1874:
	s_wait_loadcnt 0x0
	global_load_u8 v24, v[20:21], off
.LBB79_1875:
.LBB79_1876:
	s_wait_loadcnt 0x0
	s_delay_alu instid0(VALU_DEP_1) | instskip(SKIP_2) | instid1(VALU_DEP_1)
	v_sub_nc_u16 v1, 0, v24
	s_mov_b32 s14, 0
	s_mov_b32 s13, exec_lo
	v_max_i16 v3, v24, v1
	s_wait_xcnt 0x0
	v_cmpx_ne_u16_e32 0, v22
	s_cbranch_execz .LBB79_1880
; %bb.1877:
	v_sub_nc_u16 v1, 0, v22
	s_delay_alu instid0(VALU_DEP_1) | instskip(SKIP_1) | instid1(VALU_DEP_2)
	v_max_i16 v5, v22, v1
	v_and_b32_e32 v1, 0xffff, v3
	v_and_b32_e32 v5, 0xffff, v5
.LBB79_1878:                            ; =>This Inner Loop Header: Depth=1
	s_delay_alu instid0(VALU_DEP_1) | instskip(NEXT) | instid1(VALU_DEP_2)
	v_mov_b32_e32 v3, v5
	v_bfe_i32 v9, v1, 0, 16
	s_delay_alu instid0(VALU_DEP_2) | instskip(NEXT) | instid1(VALU_DEP_2)
	v_bfe_i32 v5, v3, 0, 16
	v_cvt_f32_i32_e32 v13, v9
	s_delay_alu instid0(VALU_DEP_2) | instskip(SKIP_1) | instid1(VALU_DEP_2)
	v_cvt_f32_i32_e32 v7, v5
	v_xor_b32_e32 v5, v9, v5
	v_rcp_iflag_f32_e32 v11, v7
	v_nop
	s_delay_alu instid0(TRANS32_DEP_1) | instskip(NEXT) | instid1(VALU_DEP_1)
	v_mul_f32_e32 v9, v13, v11
	v_trunc_f32_e32 v9, v9
	s_delay_alu instid0(VALU_DEP_1) | instskip(SKIP_1) | instid1(VALU_DEP_2)
	v_dual_fma_f32 v11, -v9, v7, v13 :: v_dual_ashrrev_i32 v5, 30, v5
	v_cvt_i32_f32_e32 v9, v9
	v_cmp_ge_f32_e64 vcc_lo, |v11|, |v7|
	s_delay_alu instid0(VALU_DEP_3) | instskip(NEXT) | instid1(VALU_DEP_1)
	v_or_b32_e32 v5, 1, v5
	v_cndmask_b32_e32 v5, 0, v5, vcc_lo
	s_delay_alu instid0(VALU_DEP_1) | instskip(NEXT) | instid1(VALU_DEP_1)
	v_add_nc_u32_e32 v5, v9, v5
	v_mul_lo_u32 v5, v5, v3
	s_delay_alu instid0(VALU_DEP_1) | instskip(NEXT) | instid1(VALU_DEP_1)
	v_sub_nc_u32_e32 v5, v1, v5
	v_and_b32_e32 v1, 0xffff, v5
	v_bfe_i32 v5, v5, 0, 16
	s_delay_alu instid0(VALU_DEP_2) | instskip(SKIP_2) | instid1(SALU_CYCLE_1)
	v_cmp_eq_u32_e32 vcc_lo, 0, v1
	v_mov_b32_e32 v1, v3
	s_or_b32 s14, vcc_lo, s14
	s_and_not1_b32 exec_lo, exec_lo, s14
	s_cbranch_execnz .LBB79_1878
; %bb.1879:
	s_or_b32 exec_lo, exec_lo, s14
.LBB79_1880:
	s_delay_alu instid0(SALU_CYCLE_1)
	s_or_b32 exec_lo, exec_lo, s13
	v_mov_b32_e32 v1, 0
	s_mov_b32 s13, exec_lo
	v_cmpx_ne_u16_e32 0, v3
	s_cbranch_execz .LBB79_1882
; %bb.1881:
	v_bfe_i32 v1, v3, 0, 16
	v_bfe_i32 v5, v22, 0, 16
	s_delay_alu instid0(VALU_DEP_2) | instskip(NEXT) | instid1(VALU_DEP_2)
	v_cvt_f32_i32_e32 v3, v1
	v_cvt_f32_i32_e32 v9, v5
	v_xor_b32_e32 v1, v5, v1
	s_delay_alu instid0(VALU_DEP_3) | instskip(SKIP_1) | instid1(TRANS32_DEP_1)
	v_rcp_iflag_f32_e32 v7, v3
	v_nop
	v_dual_ashrrev_i32 v1, 30, v1 :: v_dual_mul_f32 v7, v9, v7
	s_delay_alu instid0(VALU_DEP_1) | instskip(NEXT) | instid1(VALU_DEP_2)
	v_or_b32_e32 v1, 1, v1
	v_trunc_f32_e32 v5, v7
	s_delay_alu instid0(VALU_DEP_1) | instskip(SKIP_1) | instid1(VALU_DEP_2)
	v_fma_f32 v7, -v5, v3, v9
	v_cvt_i32_f32_e32 v5, v5
	v_cmp_ge_f32_e64 vcc_lo, |v7|, |v3|
	v_bfe_i32 v3, v24, 0, 16
	v_cndmask_b32_e32 v1, 0, v1, vcc_lo
	s_delay_alu instid0(VALU_DEP_1) | instskip(NEXT) | instid1(VALU_DEP_1)
	v_add_nc_u32_e32 v1, v5, v1
	v_bfe_i32 v1, v1, 0, 16
	s_delay_alu instid0(VALU_DEP_1) | instskip(NEXT) | instid1(VALU_DEP_1)
	v_mul_i32_i24_e32 v1, v1, v3
	v_sub_nc_u32_e32 v3, 0, v1
	s_delay_alu instid0(VALU_DEP_1)
	v_max_i32_e32 v1, v1, v3
.LBB79_1882:
	s_or_b32 exec_lo, exec_lo, s13
	v_mov_b32_e32 v19, 0
	s_and_b32 s11, 0xffff, s11
	s_delay_alu instid0(SALU_CYCLE_1) | instskip(NEXT) | instid1(VALU_DEP_1)
	s_cmp_lt_i32 s11, 11
	v_add_nc_u64_e32 v[20:21], s[6:7], v[18:19]
	s_cbranch_scc1 .LBB79_1889
; %bb.1883:
	s_cmp_gt_i32 s11, 25
	s_mov_b32 s14, 0
	s_cbranch_scc0 .LBB79_1891
; %bb.1884:
	s_cmp_gt_i32 s11, 28
	s_cbranch_scc0 .LBB79_1892
; %bb.1885:
	s_cmp_gt_i32 s11, 43
	;; [unrolled: 3-line block ×3, first 2 shown]
	s_cbranch_scc0 .LBB79_1895
; %bb.1887:
	s_cmp_eq_u32 s11, 46
	s_mov_b32 s16, 0
	s_cbranch_scc0 .LBB79_1896
; %bb.1888:
	global_load_b32 v3, v[20:21], off
	s_mov_b32 s13, 0
	s_mov_b32 s15, -1
	s_wait_loadcnt 0x0
	v_lshlrev_b32_e32 v3, 16, v3
	s_delay_alu instid0(VALU_DEP_1)
	v_cvt_i32_f32_e32 v18, v3
	s_branch .LBB79_1898
.LBB79_1889:
	s_mov_b32 s15, 0
                                        ; implicit-def: $vgpr18
	s_cbranch_execnz .LBB79_1960
.LBB79_1890:
	s_and_not1_b32 vcc_lo, exec_lo, s15
	s_cbranch_vccnz .LBB79_2741
	s_branch .LBB79_2008
.LBB79_1891:
	s_mov_b32 s16, -1
	s_mov_b32 s15, 0
	s_mov_b32 s13, 0
                                        ; implicit-def: $vgpr18
	s_branch .LBB79_1925
.LBB79_1892:
	s_mov_b32 s16, -1
	s_mov_b32 s15, 0
	s_mov_b32 s13, 0
                                        ; implicit-def: $vgpr18
	s_branch .LBB79_1908
.LBB79_1893:
	s_mov_b32 s16, -1
	s_mov_b32 s15, 0
	s_mov_b32 s13, 0
                                        ; implicit-def: $vgpr18
	s_branch .LBB79_1903
.LBB79_1894:
	s_or_b32 s10, s10, exec_lo
	s_trap 2
	s_cbranch_execz .LBB79_1827
	s_branch .LBB79_1828
.LBB79_1895:
	s_mov_b32 s16, -1
	s_mov_b32 s15, 0
	s_mov_b32 s13, 0
	s_branch .LBB79_1897
.LBB79_1896:
	s_mov_b32 s13, -1
	s_mov_b32 s15, 0
.LBB79_1897:
                                        ; implicit-def: $vgpr18
.LBB79_1898:
	s_and_b32 vcc_lo, exec_lo, s16
	s_cbranch_vccz .LBB79_1902
; %bb.1899:
	s_cmp_eq_u32 s11, 44
	s_cbranch_scc0 .LBB79_1901
; %bb.1900:
	global_load_u8 v3, v[20:21], off
	s_mov_b32 s13, 0
	s_mov_b32 s15, -1
	s_wait_loadcnt 0x0
	v_lshlrev_b32_e32 v5, 23, v3
	v_cmp_ne_u32_e32 vcc_lo, 0, v3
	s_delay_alu instid0(VALU_DEP_2) | instskip(NEXT) | instid1(VALU_DEP_1)
	v_cvt_i32_f32_e32 v5, v5
	v_cndmask_b32_e32 v18, 0, v5, vcc_lo
	s_branch .LBB79_1902
.LBB79_1901:
	s_mov_b32 s13, -1
                                        ; implicit-def: $vgpr18
.LBB79_1902:
	s_mov_b32 s16, 0
.LBB79_1903:
	s_delay_alu instid0(SALU_CYCLE_1)
	s_and_b32 vcc_lo, exec_lo, s16
	s_cbranch_vccz .LBB79_1907
; %bb.1904:
	s_cmp_eq_u32 s11, 29
	s_cbranch_scc0 .LBB79_1906
; %bb.1905:
	global_load_b64 v[18:19], v[20:21], off
	s_mov_b32 s13, 0
	s_mov_b32 s15, -1
	s_branch .LBB79_1907
.LBB79_1906:
	s_mov_b32 s13, -1
                                        ; implicit-def: $vgpr18
.LBB79_1907:
	s_mov_b32 s16, 0
.LBB79_1908:
	s_delay_alu instid0(SALU_CYCLE_1)
	s_and_b32 vcc_lo, exec_lo, s16
	s_cbranch_vccz .LBB79_1924
; %bb.1909:
	s_cmp_lt_i32 s11, 27
	s_cbranch_scc1 .LBB79_1912
; %bb.1910:
	s_cmp_gt_i32 s11, 27
	s_cbranch_scc0 .LBB79_1913
; %bb.1911:
	s_wait_loadcnt 0x0
	global_load_b32 v18, v[20:21], off
	s_mov_b32 s15, 0
	s_branch .LBB79_1914
.LBB79_1912:
	s_mov_b32 s15, -1
                                        ; implicit-def: $vgpr18
	s_branch .LBB79_1917
.LBB79_1913:
	s_mov_b32 s15, -1
                                        ; implicit-def: $vgpr18
.LBB79_1914:
	s_delay_alu instid0(SALU_CYCLE_1)
	s_and_not1_b32 vcc_lo, exec_lo, s15
	s_cbranch_vccnz .LBB79_1916
; %bb.1915:
	s_wait_loadcnt 0x0
	global_load_u16 v18, v[20:21], off
.LBB79_1916:
	s_mov_b32 s15, 0
.LBB79_1917:
	s_delay_alu instid0(SALU_CYCLE_1)
	s_and_not1_b32 vcc_lo, exec_lo, s15
	s_cbranch_vccnz .LBB79_1923
; %bb.1918:
	global_load_u8 v3, v[20:21], off
	s_mov_b32 s16, 0
	s_mov_b32 s15, exec_lo
	s_wait_loadcnt 0x0
	v_cmpx_lt_i16_e32 0x7f, v3
	s_xor_b32 s15, exec_lo, s15
	s_cbranch_execz .LBB79_1935
; %bb.1919:
	v_cmp_ne_u16_e32 vcc_lo, 0x80, v3
	s_and_b32 s16, vcc_lo, exec_lo
	s_and_not1_saveexec_b32 s15, s15
	s_cbranch_execnz .LBB79_1936
.LBB79_1920:
	s_or_b32 exec_lo, exec_lo, s15
	v_mov_b32_e32 v18, 0
	s_and_saveexec_b32 s15, s16
	s_cbranch_execz .LBB79_1922
.LBB79_1921:
	v_and_b32_e32 v5, 0xffff, v3
	s_delay_alu instid0(VALU_DEP_1) | instskip(SKIP_1) | instid1(VALU_DEP_2)
	v_dual_lshlrev_b32 v3, 24, v3 :: v_dual_bitop2_b32 v7, 7, v5 bitop3:0x40
	v_bfe_u32 v13, v5, 3, 4
	v_and_b32_e32 v3, 0x80000000, v3
	s_delay_alu instid0(VALU_DEP_3) | instskip(NEXT) | instid1(VALU_DEP_3)
	v_clz_i32_u32_e32 v9, v7
	v_cmp_eq_u32_e32 vcc_lo, 0, v13
	s_delay_alu instid0(VALU_DEP_2) | instskip(NEXT) | instid1(VALU_DEP_1)
	v_min_u32_e32 v9, 32, v9
	v_subrev_nc_u32_e32 v11, 28, v9
	v_sub_nc_u32_e32 v9, 29, v9
	s_delay_alu instid0(VALU_DEP_2) | instskip(NEXT) | instid1(VALU_DEP_2)
	v_lshlrev_b32_e32 v5, v11, v5
	v_cndmask_b32_e32 v9, v13, v9, vcc_lo
	s_delay_alu instid0(VALU_DEP_2) | instskip(NEXT) | instid1(VALU_DEP_1)
	v_and_b32_e32 v5, 7, v5
	v_cndmask_b32_e32 v5, v7, v5, vcc_lo
	s_delay_alu instid0(VALU_DEP_3) | instskip(NEXT) | instid1(VALU_DEP_2)
	v_lshl_add_u32 v7, v9, 23, 0x3b800000
	v_lshlrev_b32_e32 v5, 20, v5
	s_delay_alu instid0(VALU_DEP_1) | instskip(NEXT) | instid1(VALU_DEP_1)
	v_or3_b32 v3, v3, v7, v5
	v_cvt_i32_f32_e32 v18, v3
.LBB79_1922:
	s_or_b32 exec_lo, exec_lo, s15
.LBB79_1923:
	s_mov_b32 s15, -1
.LBB79_1924:
	s_mov_b32 s16, 0
.LBB79_1925:
	s_delay_alu instid0(SALU_CYCLE_1)
	s_and_b32 vcc_lo, exec_lo, s16
	s_cbranch_vccz .LBB79_1956
; %bb.1926:
	s_cmp_gt_i32 s11, 22
	s_cbranch_scc0 .LBB79_1934
; %bb.1927:
	s_cmp_lt_i32 s11, 24
	s_cbranch_scc1 .LBB79_1937
; %bb.1928:
	s_cmp_gt_i32 s11, 24
	s_cbranch_scc0 .LBB79_1938
; %bb.1929:
	global_load_u8 v3, v[20:21], off
	s_mov_b32 s15, 0
	s_mov_b32 s14, exec_lo
	s_wait_loadcnt 0x0
	v_cmpx_lt_i16_e32 0x7f, v3
	s_xor_b32 s14, exec_lo, s14
	s_cbranch_execz .LBB79_1950
; %bb.1930:
	v_cmp_ne_u16_e32 vcc_lo, 0x80, v3
	s_and_b32 s15, vcc_lo, exec_lo
	s_and_not1_saveexec_b32 s14, s14
	s_cbranch_execnz .LBB79_1951
.LBB79_1931:
	s_or_b32 exec_lo, exec_lo, s14
	v_mov_b32_e32 v18, 0
	s_and_saveexec_b32 s14, s15
	s_cbranch_execz .LBB79_1933
.LBB79_1932:
	v_and_b32_e32 v5, 0xffff, v3
	s_delay_alu instid0(VALU_DEP_1) | instskip(SKIP_1) | instid1(VALU_DEP_2)
	v_dual_lshlrev_b32 v3, 24, v3 :: v_dual_bitop2_b32 v7, 3, v5 bitop3:0x40
	v_bfe_u32 v13, v5, 2, 5
	v_and_b32_e32 v3, 0x80000000, v3
	s_delay_alu instid0(VALU_DEP_3) | instskip(NEXT) | instid1(VALU_DEP_3)
	v_clz_i32_u32_e32 v9, v7
	v_cmp_eq_u32_e32 vcc_lo, 0, v13
	s_delay_alu instid0(VALU_DEP_2) | instskip(NEXT) | instid1(VALU_DEP_1)
	v_min_u32_e32 v9, 32, v9
	v_subrev_nc_u32_e32 v11, 29, v9
	v_sub_nc_u32_e32 v9, 30, v9
	s_delay_alu instid0(VALU_DEP_2) | instskip(NEXT) | instid1(VALU_DEP_2)
	v_lshlrev_b32_e32 v5, v11, v5
	v_cndmask_b32_e32 v9, v13, v9, vcc_lo
	s_delay_alu instid0(VALU_DEP_2) | instskip(NEXT) | instid1(VALU_DEP_1)
	v_and_b32_e32 v5, 3, v5
	v_cndmask_b32_e32 v5, v7, v5, vcc_lo
	s_delay_alu instid0(VALU_DEP_3) | instskip(NEXT) | instid1(VALU_DEP_2)
	v_lshl_add_u32 v7, v9, 23, 0x37800000
	v_lshlrev_b32_e32 v5, 21, v5
	s_delay_alu instid0(VALU_DEP_1) | instskip(NEXT) | instid1(VALU_DEP_1)
	v_or3_b32 v3, v3, v7, v5
	v_cvt_i32_f32_e32 v18, v3
.LBB79_1933:
	s_or_b32 exec_lo, exec_lo, s14
	s_mov_b32 s14, 0
	s_branch .LBB79_1939
.LBB79_1934:
	s_mov_b32 s14, -1
                                        ; implicit-def: $vgpr18
	s_branch .LBB79_1945
.LBB79_1935:
	s_and_not1_saveexec_b32 s15, s15
	s_cbranch_execz .LBB79_1920
.LBB79_1936:
	v_cmp_ne_u16_e32 vcc_lo, 0, v3
	s_and_not1_b32 s16, s16, exec_lo
	s_and_b32 s17, vcc_lo, exec_lo
	s_delay_alu instid0(SALU_CYCLE_1)
	s_or_b32 s16, s16, s17
	s_or_b32 exec_lo, exec_lo, s15
	v_mov_b32_e32 v18, 0
	s_and_saveexec_b32 s15, s16
	s_cbranch_execnz .LBB79_1921
	s_branch .LBB79_1922
.LBB79_1937:
	s_mov_b32 s14, -1
                                        ; implicit-def: $vgpr18
	s_branch .LBB79_1942
.LBB79_1938:
	s_mov_b32 s14, -1
                                        ; implicit-def: $vgpr18
.LBB79_1939:
	s_delay_alu instid0(SALU_CYCLE_1)
	s_and_b32 vcc_lo, exec_lo, s14
	s_cbranch_vccz .LBB79_1941
; %bb.1940:
	global_load_u8 v3, v[20:21], off
	s_wait_loadcnt 0x0
	v_lshlrev_b32_e32 v3, 24, v3
	s_delay_alu instid0(VALU_DEP_1) | instskip(NEXT) | instid1(VALU_DEP_1)
	v_and_b32_e32 v5, 0x7f000000, v3
	v_clz_i32_u32_e32 v7, v5
	v_add_nc_u32_e32 v11, 0x1000000, v5
	v_cmp_ne_u32_e32 vcc_lo, 0, v5
	s_delay_alu instid0(VALU_DEP_3) | instskip(NEXT) | instid1(VALU_DEP_1)
	v_min_u32_e32 v7, 32, v7
	v_sub_nc_u32_e64 v7, v7, 4 clamp
	s_delay_alu instid0(VALU_DEP_1) | instskip(NEXT) | instid1(VALU_DEP_1)
	v_dual_lshlrev_b32 v9, v7, v5 :: v_dual_lshlrev_b32 v7, 23, v7
	v_lshrrev_b32_e32 v9, 4, v9
	s_delay_alu instid0(VALU_DEP_1) | instskip(SKIP_1) | instid1(VALU_DEP_2)
	v_sub_nc_u32_e32 v7, v9, v7
	v_ashrrev_i32_e32 v9, 8, v11
	v_add_nc_u32_e32 v7, 0x3c000000, v7
	s_delay_alu instid0(VALU_DEP_1) | instskip(NEXT) | instid1(VALU_DEP_1)
	v_and_or_b32 v7, 0x7f800000, v9, v7
	v_cndmask_b32_e32 v5, 0, v7, vcc_lo
	s_delay_alu instid0(VALU_DEP_1) | instskip(NEXT) | instid1(VALU_DEP_1)
	v_and_or_b32 v3, 0x80000000, v3, v5
	v_cvt_i32_f32_e32 v18, v3
.LBB79_1941:
	s_mov_b32 s14, 0
.LBB79_1942:
	s_delay_alu instid0(SALU_CYCLE_1)
	s_and_not1_b32 vcc_lo, exec_lo, s14
	s_cbranch_vccnz .LBB79_1944
; %bb.1943:
	global_load_u8 v3, v[20:21], off
	s_wait_loadcnt 0x0
	v_lshlrev_b32_e32 v5, 25, v3
	v_lshlrev_b16 v3, 8, v3
	s_delay_alu instid0(VALU_DEP_1) | instskip(SKIP_1) | instid1(VALU_DEP_2)
	v_and_or_b32 v9, 0x7f00, v3, 0.5
	v_bfe_i32 v3, v3, 0, 16
	v_add_f32_e32 v9, -0.5, v9
	v_lshrrev_b32_e32 v7, 4, v5
	v_cmp_gt_u32_e32 vcc_lo, 0x8000000, v5
	s_delay_alu instid0(VALU_DEP_2) | instskip(NEXT) | instid1(VALU_DEP_1)
	v_or_b32_e32 v7, 0x70000000, v7
	v_mul_f32_e32 v7, 0x7800000, v7
	s_delay_alu instid0(VALU_DEP_1) | instskip(NEXT) | instid1(VALU_DEP_1)
	v_cndmask_b32_e32 v5, v7, v9, vcc_lo
	v_and_or_b32 v3, 0x80000000, v3, v5
	s_delay_alu instid0(VALU_DEP_1)
	v_cvt_i32_f32_e32 v18, v3
.LBB79_1944:
	s_mov_b32 s14, 0
	s_mov_b32 s15, -1
.LBB79_1945:
	s_and_not1_b32 vcc_lo, exec_lo, s14
	s_mov_b32 s14, 0
	s_cbranch_vccnz .LBB79_1956
; %bb.1946:
	s_cmp_gt_i32 s11, 14
	s_cbranch_scc0 .LBB79_1949
; %bb.1947:
	s_cmp_eq_u32 s11, 15
	s_cbranch_scc0 .LBB79_1952
; %bb.1948:
	global_load_u16 v3, v[20:21], off
	s_mov_b32 s13, 0
	s_mov_b32 s15, -1
	s_wait_loadcnt 0x0
	v_lshlrev_b32_e32 v3, 16, v3
	s_delay_alu instid0(VALU_DEP_1)
	v_cvt_i32_f32_e32 v18, v3
	s_branch .LBB79_1954
.LBB79_1949:
	s_mov_b32 s14, -1
	s_branch .LBB79_1953
.LBB79_1950:
	s_and_not1_saveexec_b32 s14, s14
	s_cbranch_execz .LBB79_1931
.LBB79_1951:
	v_cmp_ne_u16_e32 vcc_lo, 0, v3
	s_and_not1_b32 s15, s15, exec_lo
	s_and_b32 s16, vcc_lo, exec_lo
	s_delay_alu instid0(SALU_CYCLE_1)
	s_or_b32 s15, s15, s16
	s_or_b32 exec_lo, exec_lo, s14
	v_mov_b32_e32 v18, 0
	s_and_saveexec_b32 s14, s15
	s_cbranch_execnz .LBB79_1932
	s_branch .LBB79_1933
.LBB79_1952:
	s_mov_b32 s13, -1
.LBB79_1953:
                                        ; implicit-def: $vgpr18
.LBB79_1954:
	s_and_b32 vcc_lo, exec_lo, s14
	s_mov_b32 s14, 0
	s_cbranch_vccz .LBB79_1956
; %bb.1955:
	s_cmp_lg_u32 s11, 11
	s_mov_b32 s14, -1
	s_cselect_b32 s13, -1, 0
.LBB79_1956:
	s_delay_alu instid0(SALU_CYCLE_1)
	s_and_b32 vcc_lo, exec_lo, s13
	s_cbranch_vccnz .LBB79_2019
; %bb.1957:
	s_and_not1_b32 vcc_lo, exec_lo, s14
	s_cbranch_vccnz .LBB79_1959
.LBB79_1958:
	global_load_u8 v3, v[20:21], off
	s_mov_b32 s15, -1
	s_wait_loadcnt 0x0
	v_cmp_ne_u16_e32 vcc_lo, 0, v3
	v_cndmask_b32_e64 v18, 0, 1, vcc_lo
.LBB79_1959:
	s_branch .LBB79_1890
.LBB79_1960:
	s_cmp_lt_i32 s11, 5
	s_cbranch_scc1 .LBB79_1965
; %bb.1961:
	s_cmp_lt_i32 s11, 8
	s_cbranch_scc1 .LBB79_1966
; %bb.1962:
	;; [unrolled: 3-line block ×3, first 2 shown]
	s_cmp_gt_i32 s11, 9
	s_cbranch_scc0 .LBB79_1968
; %bb.1964:
	s_wait_loadcnt 0x0
	global_load_b64 v[18:19], v[20:21], off
	s_mov_b32 s13, 0
	s_wait_loadcnt 0x0
	v_cvt_i32_f64_e32 v18, v[18:19]
	s_branch .LBB79_1969
.LBB79_1965:
	s_mov_b32 s13, -1
                                        ; implicit-def: $vgpr18
	s_branch .LBB79_1987
.LBB79_1966:
	s_mov_b32 s13, -1
                                        ; implicit-def: $vgpr18
	s_branch .LBB79_1975
.LBB79_1967:
	s_mov_b32 s13, -1
                                        ; implicit-def: $vgpr18
	s_branch .LBB79_1972
.LBB79_1968:
	s_mov_b32 s13, -1
                                        ; implicit-def: $vgpr18
.LBB79_1969:
	s_delay_alu instid0(SALU_CYCLE_1)
	s_and_not1_b32 vcc_lo, exec_lo, s13
	s_cbranch_vccnz .LBB79_1971
; %bb.1970:
	global_load_b32 v3, v[20:21], off
	s_wait_loadcnt 0x0
	v_cvt_i32_f32_e32 v18, v3
.LBB79_1971:
	s_mov_b32 s13, 0
.LBB79_1972:
	s_delay_alu instid0(SALU_CYCLE_1)
	s_and_not1_b32 vcc_lo, exec_lo, s13
	s_cbranch_vccnz .LBB79_1974
; %bb.1973:
	global_load_b32 v3, v[20:21], off
	s_wait_loadcnt 0x0
	v_cvt_i16_f16_e32 v18, v3
.LBB79_1974:
	s_mov_b32 s13, 0
.LBB79_1975:
	s_delay_alu instid0(SALU_CYCLE_1)
	s_and_not1_b32 vcc_lo, exec_lo, s13
	s_cbranch_vccnz .LBB79_1986
; %bb.1976:
	s_cmp_lt_i32 s11, 6
	s_cbranch_scc1 .LBB79_1979
; %bb.1977:
	s_cmp_gt_i32 s11, 6
	s_cbranch_scc0 .LBB79_1980
; %bb.1978:
	s_wait_loadcnt 0x0
	global_load_b64 v[18:19], v[20:21], off
	s_mov_b32 s13, 0
	s_wait_loadcnt 0x0
	v_cvt_i32_f64_e32 v18, v[18:19]
	s_branch .LBB79_1981
.LBB79_1979:
	s_mov_b32 s13, -1
                                        ; implicit-def: $vgpr18
	s_branch .LBB79_1984
.LBB79_1980:
	s_mov_b32 s13, -1
                                        ; implicit-def: $vgpr18
.LBB79_1981:
	s_delay_alu instid0(SALU_CYCLE_1)
	s_and_not1_b32 vcc_lo, exec_lo, s13
	s_cbranch_vccnz .LBB79_1983
; %bb.1982:
	global_load_b32 v3, v[20:21], off
	s_wait_loadcnt 0x0
	v_cvt_i32_f32_e32 v18, v3
.LBB79_1983:
	s_mov_b32 s13, 0
.LBB79_1984:
	s_delay_alu instid0(SALU_CYCLE_1)
	s_and_not1_b32 vcc_lo, exec_lo, s13
	s_cbranch_vccnz .LBB79_1986
; %bb.1985:
	global_load_u16 v3, v[20:21], off
	s_wait_loadcnt 0x0
	v_cvt_i16_f16_e32 v18, v3
.LBB79_1986:
	s_mov_b32 s13, 0
.LBB79_1987:
	s_delay_alu instid0(SALU_CYCLE_1)
	s_and_not1_b32 vcc_lo, exec_lo, s13
	s_cbranch_vccnz .LBB79_2007
; %bb.1988:
	s_cmp_lt_i32 s11, 2
	s_cbranch_scc1 .LBB79_1992
; %bb.1989:
	s_cmp_lt_i32 s11, 3
	s_cbranch_scc1 .LBB79_1993
; %bb.1990:
	s_cmp_gt_i32 s11, 3
	s_cbranch_scc0 .LBB79_1994
; %bb.1991:
	s_wait_loadcnt 0x0
	global_load_b64 v[18:19], v[20:21], off
	s_mov_b32 s13, 0
	s_branch .LBB79_1995
.LBB79_1992:
	s_mov_b32 s13, -1
                                        ; implicit-def: $vgpr18
	s_branch .LBB79_2001
.LBB79_1993:
	s_mov_b32 s13, -1
                                        ; implicit-def: $vgpr18
	s_branch .LBB79_1998
.LBB79_1994:
	s_mov_b32 s13, -1
                                        ; implicit-def: $vgpr18
.LBB79_1995:
	s_delay_alu instid0(SALU_CYCLE_1)
	s_and_not1_b32 vcc_lo, exec_lo, s13
	s_cbranch_vccnz .LBB79_1997
; %bb.1996:
	s_wait_loadcnt 0x0
	global_load_b32 v18, v[20:21], off
.LBB79_1997:
	s_mov_b32 s13, 0
.LBB79_1998:
	s_delay_alu instid0(SALU_CYCLE_1)
	s_and_not1_b32 vcc_lo, exec_lo, s13
	s_cbranch_vccnz .LBB79_2000
; %bb.1999:
	s_wait_loadcnt 0x0
	global_load_u16 v18, v[20:21], off
.LBB79_2000:
	s_mov_b32 s13, 0
.LBB79_2001:
	s_delay_alu instid0(SALU_CYCLE_1)
	s_and_not1_b32 vcc_lo, exec_lo, s13
	s_cbranch_vccnz .LBB79_2007
; %bb.2002:
	s_cmp_gt_i32 s11, 0
	s_mov_b32 s13, 0
	s_cbranch_scc0 .LBB79_2004
; %bb.2003:
	s_wait_loadcnt 0x0
	global_load_i8 v18, v[20:21], off
	s_branch .LBB79_2005
.LBB79_2004:
	s_mov_b32 s13, -1
                                        ; implicit-def: $vgpr18
.LBB79_2005:
	s_delay_alu instid0(SALU_CYCLE_1)
	s_and_not1_b32 vcc_lo, exec_lo, s13
	s_cbranch_vccnz .LBB79_2007
; %bb.2006:
	s_wait_loadcnt 0x0
	global_load_u8 v18, v[20:21], off
.LBB79_2007:
.LBB79_2008:
	v_mov_b32_e32 v17, 0
	s_and_b32 s12, 0xffff, s12
	s_delay_alu instid0(SALU_CYCLE_1) | instskip(NEXT) | instid1(VALU_DEP_1)
	s_cmp_lt_i32 s12, 11
	v_add_nc_u64_e32 v[16:17], s[0:1], v[16:17]
	s_cbranch_scc1 .LBB79_2015
; %bb.2009:
	s_cmp_gt_i32 s12, 25
	s_mov_b32 s14, 0
	s_cbranch_scc0 .LBB79_2016
; %bb.2010:
	s_cmp_gt_i32 s12, 28
	s_cbranch_scc0 .LBB79_2017
; %bb.2011:
	s_cmp_gt_i32 s12, 43
	;; [unrolled: 3-line block ×3, first 2 shown]
	s_cbranch_scc0 .LBB79_2020
; %bb.2013:
	s_cmp_eq_u32 s12, 46
	s_mov_b32 s16, 0
	s_cbranch_scc0 .LBB79_2021
; %bb.2014:
	global_load_b32 v3, v[16:17], off
	s_mov_b32 s13, 0
	s_mov_b32 s15, -1
	s_wait_loadcnt 0x0
	v_lshlrev_b32_e32 v3, 16, v3
	s_wait_xcnt 0x1
	s_delay_alu instid0(VALU_DEP_1)
	v_cvt_i32_f32_e32 v20, v3
	s_branch .LBB79_2023
.LBB79_2015:
	s_mov_b32 s13, -1
	s_mov_b32 s15, 0
                                        ; implicit-def: $vgpr20
	s_branch .LBB79_2085
.LBB79_2016:
	s_mov_b32 s16, -1
	s_mov_b32 s15, 0
	s_mov_b32 s13, 0
                                        ; implicit-def: $vgpr20
	s_branch .LBB79_2050
.LBB79_2017:
	s_mov_b32 s16, -1
	s_mov_b32 s15, 0
	s_mov_b32 s13, 0
                                        ; implicit-def: $vgpr20
	s_branch .LBB79_2033
.LBB79_2018:
	s_mov_b32 s16, -1
	s_mov_b32 s15, 0
	s_mov_b32 s13, 0
                                        ; implicit-def: $vgpr20
	s_branch .LBB79_2028
.LBB79_2019:
	s_or_b32 s10, s10, exec_lo
	s_trap 2
	s_cbranch_execz .LBB79_1958
	s_branch .LBB79_1959
.LBB79_2020:
	s_mov_b32 s16, -1
	s_mov_b32 s15, 0
	s_mov_b32 s13, 0
	s_branch .LBB79_2022
.LBB79_2021:
	s_mov_b32 s13, -1
	s_mov_b32 s15, 0
.LBB79_2022:
                                        ; implicit-def: $vgpr20
.LBB79_2023:
	s_and_b32 vcc_lo, exec_lo, s16
	s_cbranch_vccz .LBB79_2027
; %bb.2024:
	s_cmp_eq_u32 s12, 44
	s_cbranch_scc0 .LBB79_2026
; %bb.2025:
	global_load_u8 v3, v[16:17], off
	s_mov_b32 s13, 0
	s_mov_b32 s15, -1
	s_wait_loadcnt 0x0
	v_lshlrev_b32_e32 v5, 23, v3
	v_cmp_ne_u32_e32 vcc_lo, 0, v3
	s_delay_alu instid0(VALU_DEP_2) | instskip(SKIP_1) | instid1(VALU_DEP_1)
	v_cvt_i32_f32_e32 v5, v5
	s_wait_xcnt 0x1
	v_cndmask_b32_e32 v20, 0, v5, vcc_lo
	s_branch .LBB79_2027
.LBB79_2026:
	s_mov_b32 s13, -1
                                        ; implicit-def: $vgpr20
.LBB79_2027:
	s_mov_b32 s16, 0
.LBB79_2028:
	s_delay_alu instid0(SALU_CYCLE_1)
	s_and_b32 vcc_lo, exec_lo, s16
	s_cbranch_vccz .LBB79_2032
; %bb.2029:
	s_cmp_eq_u32 s12, 29
	s_cbranch_scc0 .LBB79_2031
; %bb.2030:
	global_load_b64 v[20:21], v[16:17], off
	s_mov_b32 s13, 0
	s_mov_b32 s15, -1
	s_branch .LBB79_2032
.LBB79_2031:
	s_mov_b32 s13, -1
                                        ; implicit-def: $vgpr20
.LBB79_2032:
	s_mov_b32 s16, 0
.LBB79_2033:
	s_delay_alu instid0(SALU_CYCLE_1)
	s_and_b32 vcc_lo, exec_lo, s16
	s_cbranch_vccz .LBB79_2049
; %bb.2034:
	s_cmp_lt_i32 s12, 27
	s_cbranch_scc1 .LBB79_2037
; %bb.2035:
	s_cmp_gt_i32 s12, 27
	s_cbranch_scc0 .LBB79_2038
; %bb.2036:
	s_wait_loadcnt 0x0
	global_load_b32 v20, v[16:17], off
	s_mov_b32 s15, 0
	s_branch .LBB79_2039
.LBB79_2037:
	s_mov_b32 s15, -1
                                        ; implicit-def: $vgpr20
	s_branch .LBB79_2042
.LBB79_2038:
	s_mov_b32 s15, -1
                                        ; implicit-def: $vgpr20
.LBB79_2039:
	s_delay_alu instid0(SALU_CYCLE_1)
	s_and_not1_b32 vcc_lo, exec_lo, s15
	s_cbranch_vccnz .LBB79_2041
; %bb.2040:
	s_wait_loadcnt 0x0
	global_load_u16 v20, v[16:17], off
.LBB79_2041:
	s_mov_b32 s15, 0
.LBB79_2042:
	s_delay_alu instid0(SALU_CYCLE_1)
	s_and_not1_b32 vcc_lo, exec_lo, s15
	s_cbranch_vccnz .LBB79_2048
; %bb.2043:
	global_load_u8 v3, v[16:17], off
	s_mov_b32 s16, 0
	s_mov_b32 s15, exec_lo
	s_wait_loadcnt 0x0
	v_cmpx_lt_i16_e32 0x7f, v3
	s_xor_b32 s15, exec_lo, s15
	s_cbranch_execz .LBB79_2060
; %bb.2044:
	v_cmp_ne_u16_e32 vcc_lo, 0x80, v3
	s_and_b32 s16, vcc_lo, exec_lo
	s_and_not1_saveexec_b32 s15, s15
	s_cbranch_execnz .LBB79_2061
.LBB79_2045:
	s_or_b32 exec_lo, exec_lo, s15
	v_mov_b32_e32 v20, 0
	s_and_saveexec_b32 s15, s16
	s_cbranch_execz .LBB79_2047
.LBB79_2046:
	v_and_b32_e32 v5, 0xffff, v3
	s_delay_alu instid0(VALU_DEP_1) | instskip(SKIP_1) | instid1(VALU_DEP_2)
	v_dual_lshlrev_b32 v3, 24, v3 :: v_dual_bitop2_b32 v7, 7, v5 bitop3:0x40
	v_bfe_u32 v13, v5, 3, 4
	v_and_b32_e32 v3, 0x80000000, v3
	s_delay_alu instid0(VALU_DEP_3) | instskip(NEXT) | instid1(VALU_DEP_3)
	v_clz_i32_u32_e32 v9, v7
	v_cmp_eq_u32_e32 vcc_lo, 0, v13
	s_delay_alu instid0(VALU_DEP_2) | instskip(NEXT) | instid1(VALU_DEP_1)
	v_min_u32_e32 v9, 32, v9
	v_subrev_nc_u32_e32 v11, 28, v9
	v_sub_nc_u32_e32 v9, 29, v9
	s_delay_alu instid0(VALU_DEP_2) | instskip(NEXT) | instid1(VALU_DEP_2)
	v_lshlrev_b32_e32 v5, v11, v5
	v_cndmask_b32_e32 v9, v13, v9, vcc_lo
	s_delay_alu instid0(VALU_DEP_2) | instskip(NEXT) | instid1(VALU_DEP_1)
	v_and_b32_e32 v5, 7, v5
	v_cndmask_b32_e32 v5, v7, v5, vcc_lo
	s_delay_alu instid0(VALU_DEP_3) | instskip(NEXT) | instid1(VALU_DEP_2)
	v_lshl_add_u32 v7, v9, 23, 0x3b800000
	v_lshlrev_b32_e32 v5, 20, v5
	s_delay_alu instid0(VALU_DEP_1) | instskip(NEXT) | instid1(VALU_DEP_1)
	v_or3_b32 v3, v3, v7, v5
	v_cvt_i32_f32_e32 v20, v3
.LBB79_2047:
	s_or_b32 exec_lo, exec_lo, s15
.LBB79_2048:
	s_mov_b32 s15, -1
.LBB79_2049:
	s_mov_b32 s16, 0
.LBB79_2050:
	s_delay_alu instid0(SALU_CYCLE_1)
	s_and_b32 vcc_lo, exec_lo, s16
	s_cbranch_vccz .LBB79_2081
; %bb.2051:
	s_cmp_gt_i32 s12, 22
	s_cbranch_scc0 .LBB79_2059
; %bb.2052:
	s_cmp_lt_i32 s12, 24
	s_cbranch_scc1 .LBB79_2062
; %bb.2053:
	s_cmp_gt_i32 s12, 24
	s_cbranch_scc0 .LBB79_2063
; %bb.2054:
	global_load_u8 v3, v[16:17], off
	s_mov_b32 s15, 0
	s_mov_b32 s14, exec_lo
	s_wait_loadcnt 0x0
	v_cmpx_lt_i16_e32 0x7f, v3
	s_xor_b32 s14, exec_lo, s14
	s_cbranch_execz .LBB79_2075
; %bb.2055:
	v_cmp_ne_u16_e32 vcc_lo, 0x80, v3
	s_and_b32 s15, vcc_lo, exec_lo
	s_and_not1_saveexec_b32 s14, s14
	s_cbranch_execnz .LBB79_2076
.LBB79_2056:
	s_or_b32 exec_lo, exec_lo, s14
	v_mov_b32_e32 v20, 0
	s_and_saveexec_b32 s14, s15
	s_cbranch_execz .LBB79_2058
.LBB79_2057:
	v_and_b32_e32 v5, 0xffff, v3
	s_delay_alu instid0(VALU_DEP_1) | instskip(SKIP_1) | instid1(VALU_DEP_2)
	v_dual_lshlrev_b32 v3, 24, v3 :: v_dual_bitop2_b32 v7, 3, v5 bitop3:0x40
	v_bfe_u32 v13, v5, 2, 5
	v_and_b32_e32 v3, 0x80000000, v3
	s_delay_alu instid0(VALU_DEP_3) | instskip(NEXT) | instid1(VALU_DEP_3)
	v_clz_i32_u32_e32 v9, v7
	v_cmp_eq_u32_e32 vcc_lo, 0, v13
	s_delay_alu instid0(VALU_DEP_2) | instskip(NEXT) | instid1(VALU_DEP_1)
	v_min_u32_e32 v9, 32, v9
	v_subrev_nc_u32_e32 v11, 29, v9
	v_sub_nc_u32_e32 v9, 30, v9
	s_delay_alu instid0(VALU_DEP_2) | instskip(NEXT) | instid1(VALU_DEP_2)
	v_lshlrev_b32_e32 v5, v11, v5
	v_cndmask_b32_e32 v9, v13, v9, vcc_lo
	s_delay_alu instid0(VALU_DEP_2) | instskip(NEXT) | instid1(VALU_DEP_1)
	v_and_b32_e32 v5, 3, v5
	v_cndmask_b32_e32 v5, v7, v5, vcc_lo
	s_delay_alu instid0(VALU_DEP_3) | instskip(NEXT) | instid1(VALU_DEP_2)
	v_lshl_add_u32 v7, v9, 23, 0x37800000
	v_lshlrev_b32_e32 v5, 21, v5
	s_delay_alu instid0(VALU_DEP_1) | instskip(NEXT) | instid1(VALU_DEP_1)
	v_or3_b32 v3, v3, v7, v5
	v_cvt_i32_f32_e32 v20, v3
.LBB79_2058:
	s_or_b32 exec_lo, exec_lo, s14
	s_mov_b32 s14, 0
	s_branch .LBB79_2064
.LBB79_2059:
	s_mov_b32 s14, -1
                                        ; implicit-def: $vgpr20
	s_branch .LBB79_2070
.LBB79_2060:
	s_and_not1_saveexec_b32 s15, s15
	s_cbranch_execz .LBB79_2045
.LBB79_2061:
	v_cmp_ne_u16_e32 vcc_lo, 0, v3
	s_and_not1_b32 s16, s16, exec_lo
	s_and_b32 s17, vcc_lo, exec_lo
	s_delay_alu instid0(SALU_CYCLE_1)
	s_or_b32 s16, s16, s17
	s_or_b32 exec_lo, exec_lo, s15
	v_mov_b32_e32 v20, 0
	s_and_saveexec_b32 s15, s16
	s_cbranch_execnz .LBB79_2046
	s_branch .LBB79_2047
.LBB79_2062:
	s_mov_b32 s14, -1
                                        ; implicit-def: $vgpr20
	s_branch .LBB79_2067
.LBB79_2063:
	s_mov_b32 s14, -1
                                        ; implicit-def: $vgpr20
.LBB79_2064:
	s_delay_alu instid0(SALU_CYCLE_1)
	s_and_b32 vcc_lo, exec_lo, s14
	s_cbranch_vccz .LBB79_2066
; %bb.2065:
	global_load_u8 v3, v[16:17], off
	s_wait_loadcnt 0x0
	v_lshlrev_b32_e32 v3, 24, v3
	s_delay_alu instid0(VALU_DEP_1) | instskip(NEXT) | instid1(VALU_DEP_1)
	v_and_b32_e32 v5, 0x7f000000, v3
	v_clz_i32_u32_e32 v7, v5
	v_add_nc_u32_e32 v11, 0x1000000, v5
	v_cmp_ne_u32_e32 vcc_lo, 0, v5
	s_delay_alu instid0(VALU_DEP_3) | instskip(NEXT) | instid1(VALU_DEP_1)
	v_min_u32_e32 v7, 32, v7
	v_sub_nc_u32_e64 v7, v7, 4 clamp
	s_delay_alu instid0(VALU_DEP_1) | instskip(NEXT) | instid1(VALU_DEP_1)
	v_dual_lshlrev_b32 v9, v7, v5 :: v_dual_lshlrev_b32 v7, 23, v7
	v_lshrrev_b32_e32 v9, 4, v9
	s_delay_alu instid0(VALU_DEP_1) | instskip(SKIP_1) | instid1(VALU_DEP_2)
	v_sub_nc_u32_e32 v7, v9, v7
	v_ashrrev_i32_e32 v9, 8, v11
	v_add_nc_u32_e32 v7, 0x3c000000, v7
	s_delay_alu instid0(VALU_DEP_1) | instskip(NEXT) | instid1(VALU_DEP_1)
	v_and_or_b32 v7, 0x7f800000, v9, v7
	v_cndmask_b32_e32 v5, 0, v7, vcc_lo
	s_delay_alu instid0(VALU_DEP_1) | instskip(SKIP_1) | instid1(VALU_DEP_1)
	v_and_or_b32 v3, 0x80000000, v3, v5
	s_wait_xcnt 0x1
	v_cvt_i32_f32_e32 v20, v3
.LBB79_2066:
	s_mov_b32 s14, 0
.LBB79_2067:
	s_delay_alu instid0(SALU_CYCLE_1)
	s_and_not1_b32 vcc_lo, exec_lo, s14
	s_cbranch_vccnz .LBB79_2069
; %bb.2068:
	global_load_u8 v3, v[16:17], off
	s_wait_loadcnt 0x0
	v_lshlrev_b32_e32 v5, 25, v3
	v_lshlrev_b16 v3, 8, v3
	s_delay_alu instid0(VALU_DEP_1) | instskip(SKIP_1) | instid1(VALU_DEP_2)
	v_and_or_b32 v9, 0x7f00, v3, 0.5
	v_bfe_i32 v3, v3, 0, 16
	v_add_f32_e32 v9, -0.5, v9
	v_lshrrev_b32_e32 v7, 4, v5
	v_cmp_gt_u32_e32 vcc_lo, 0x8000000, v5
	s_delay_alu instid0(VALU_DEP_2) | instskip(NEXT) | instid1(VALU_DEP_1)
	v_or_b32_e32 v7, 0x70000000, v7
	v_mul_f32_e32 v7, 0x7800000, v7
	s_delay_alu instid0(VALU_DEP_1) | instskip(NEXT) | instid1(VALU_DEP_1)
	v_cndmask_b32_e32 v5, v7, v9, vcc_lo
	v_and_or_b32 v3, 0x80000000, v3, v5
	s_wait_xcnt 0x1
	s_delay_alu instid0(VALU_DEP_1)
	v_cvt_i32_f32_e32 v20, v3
.LBB79_2069:
	s_mov_b32 s14, 0
	s_mov_b32 s15, -1
.LBB79_2070:
	s_and_not1_b32 vcc_lo, exec_lo, s14
	s_mov_b32 s14, 0
	s_cbranch_vccnz .LBB79_2081
; %bb.2071:
	s_cmp_gt_i32 s12, 14
	s_cbranch_scc0 .LBB79_2074
; %bb.2072:
	s_cmp_eq_u32 s12, 15
	s_cbranch_scc0 .LBB79_2077
; %bb.2073:
	global_load_u16 v3, v[16:17], off
	s_mov_b32 s13, 0
	s_mov_b32 s15, -1
	s_wait_loadcnt 0x0
	v_lshlrev_b32_e32 v3, 16, v3
	s_wait_xcnt 0x1
	s_delay_alu instid0(VALU_DEP_1)
	v_cvt_i32_f32_e32 v20, v3
	s_branch .LBB79_2079
.LBB79_2074:
	s_mov_b32 s14, -1
	s_branch .LBB79_2078
.LBB79_2075:
	s_and_not1_saveexec_b32 s14, s14
	s_cbranch_execz .LBB79_2056
.LBB79_2076:
	v_cmp_ne_u16_e32 vcc_lo, 0, v3
	s_and_not1_b32 s15, s15, exec_lo
	s_and_b32 s16, vcc_lo, exec_lo
	s_delay_alu instid0(SALU_CYCLE_1)
	s_or_b32 s15, s15, s16
	s_or_b32 exec_lo, exec_lo, s14
	v_mov_b32_e32 v20, 0
	s_and_saveexec_b32 s14, s15
	s_cbranch_execnz .LBB79_2057
	s_branch .LBB79_2058
.LBB79_2077:
	s_mov_b32 s13, -1
.LBB79_2078:
                                        ; implicit-def: $vgpr20
.LBB79_2079:
	s_and_b32 vcc_lo, exec_lo, s14
	s_mov_b32 s14, 0
	s_cbranch_vccz .LBB79_2081
; %bb.2080:
	s_cmp_lg_u32 s12, 11
	s_mov_b32 s14, -1
	s_cselect_b32 s13, -1, 0
.LBB79_2081:
	s_delay_alu instid0(SALU_CYCLE_1)
	s_and_b32 vcc_lo, exec_lo, s13
	s_cbranch_vccnz .LBB79_2152
; %bb.2082:
	s_and_not1_b32 vcc_lo, exec_lo, s14
	s_cbranch_vccnz .LBB79_2084
.LBB79_2083:
	global_load_u8 v3, v[16:17], off
	s_mov_b32 s15, -1
	s_wait_loadcnt 0x0
	v_cmp_ne_u16_e32 vcc_lo, 0, v3
	s_wait_xcnt 0x1
	v_cndmask_b32_e64 v20, 0, 1, vcc_lo
.LBB79_2084:
	s_mov_b32 s13, 0
.LBB79_2085:
	s_delay_alu instid0(SALU_CYCLE_1)
	s_and_b32 vcc_lo, exec_lo, s13
	s_cbranch_vccz .LBB79_2134
; %bb.2086:
	s_cmp_lt_i32 s12, 5
	s_cbranch_scc1 .LBB79_2091
; %bb.2087:
	s_cmp_lt_i32 s12, 8
	s_cbranch_scc1 .LBB79_2092
	;; [unrolled: 3-line block ×3, first 2 shown]
; %bb.2089:
	s_cmp_gt_i32 s12, 9
	s_cbranch_scc0 .LBB79_2094
; %bb.2090:
	s_wait_loadcnt 0x0
	global_load_b64 v[20:21], v[16:17], off
	s_mov_b32 s13, 0
	s_wait_loadcnt 0x0
	v_cvt_i32_f64_e32 v20, v[20:21]
	s_branch .LBB79_2095
.LBB79_2091:
	s_mov_b32 s13, -1
                                        ; implicit-def: $vgpr20
	s_branch .LBB79_2113
.LBB79_2092:
	s_mov_b32 s13, -1
                                        ; implicit-def: $vgpr20
	s_branch .LBB79_2101
.LBB79_2093:
	s_mov_b32 s13, -1
                                        ; implicit-def: $vgpr20
	s_branch .LBB79_2098
.LBB79_2094:
	s_mov_b32 s13, -1
                                        ; implicit-def: $vgpr20
.LBB79_2095:
	s_delay_alu instid0(SALU_CYCLE_1)
	s_and_not1_b32 vcc_lo, exec_lo, s13
	s_cbranch_vccnz .LBB79_2097
; %bb.2096:
	global_load_b32 v3, v[16:17], off
	s_wait_loadcnt 0x0
	s_wait_xcnt 0x1
	v_cvt_i32_f32_e32 v20, v3
.LBB79_2097:
	s_mov_b32 s13, 0
.LBB79_2098:
	s_delay_alu instid0(SALU_CYCLE_1)
	s_and_not1_b32 vcc_lo, exec_lo, s13
	s_cbranch_vccnz .LBB79_2100
; %bb.2099:
	global_load_b32 v3, v[16:17], off
	s_wait_loadcnt 0x0
	s_wait_xcnt 0x1
	v_cvt_i16_f16_e32 v20, v3
.LBB79_2100:
	s_mov_b32 s13, 0
.LBB79_2101:
	s_delay_alu instid0(SALU_CYCLE_1)
	s_and_not1_b32 vcc_lo, exec_lo, s13
	s_cbranch_vccnz .LBB79_2112
; %bb.2102:
	s_cmp_lt_i32 s12, 6
	s_cbranch_scc1 .LBB79_2105
; %bb.2103:
	s_cmp_gt_i32 s12, 6
	s_cbranch_scc0 .LBB79_2106
; %bb.2104:
	s_wait_loadcnt 0x0
	global_load_b64 v[20:21], v[16:17], off
	s_mov_b32 s13, 0
	s_wait_loadcnt 0x0
	v_cvt_i32_f64_e32 v20, v[20:21]
	s_branch .LBB79_2107
.LBB79_2105:
	s_mov_b32 s13, -1
                                        ; implicit-def: $vgpr20
	s_branch .LBB79_2110
.LBB79_2106:
	s_mov_b32 s13, -1
                                        ; implicit-def: $vgpr20
.LBB79_2107:
	s_delay_alu instid0(SALU_CYCLE_1)
	s_and_not1_b32 vcc_lo, exec_lo, s13
	s_cbranch_vccnz .LBB79_2109
; %bb.2108:
	global_load_b32 v3, v[16:17], off
	s_wait_loadcnt 0x0
	s_wait_xcnt 0x1
	v_cvt_i32_f32_e32 v20, v3
.LBB79_2109:
	s_mov_b32 s13, 0
.LBB79_2110:
	s_delay_alu instid0(SALU_CYCLE_1)
	s_and_not1_b32 vcc_lo, exec_lo, s13
	s_cbranch_vccnz .LBB79_2112
; %bb.2111:
	global_load_u16 v3, v[16:17], off
	s_wait_loadcnt 0x0
	s_wait_xcnt 0x1
	v_cvt_i16_f16_e32 v20, v3
.LBB79_2112:
	s_mov_b32 s13, 0
.LBB79_2113:
	s_delay_alu instid0(SALU_CYCLE_1)
	s_and_not1_b32 vcc_lo, exec_lo, s13
	s_cbranch_vccnz .LBB79_2133
; %bb.2114:
	s_cmp_lt_i32 s12, 2
	s_cbranch_scc1 .LBB79_2118
; %bb.2115:
	s_cmp_lt_i32 s12, 3
	s_cbranch_scc1 .LBB79_2119
; %bb.2116:
	s_cmp_gt_i32 s12, 3
	s_cbranch_scc0 .LBB79_2120
; %bb.2117:
	s_wait_loadcnt 0x0
	global_load_b64 v[20:21], v[16:17], off
	s_mov_b32 s13, 0
	s_branch .LBB79_2121
.LBB79_2118:
	s_mov_b32 s13, -1
                                        ; implicit-def: $vgpr20
	s_branch .LBB79_2127
.LBB79_2119:
	s_mov_b32 s13, -1
                                        ; implicit-def: $vgpr20
	s_branch .LBB79_2124
.LBB79_2120:
	s_mov_b32 s13, -1
                                        ; implicit-def: $vgpr20
.LBB79_2121:
	s_delay_alu instid0(SALU_CYCLE_1)
	s_and_not1_b32 vcc_lo, exec_lo, s13
	s_cbranch_vccnz .LBB79_2123
; %bb.2122:
	s_wait_loadcnt 0x0
	global_load_b32 v20, v[16:17], off
.LBB79_2123:
	s_mov_b32 s13, 0
.LBB79_2124:
	s_delay_alu instid0(SALU_CYCLE_1)
	s_and_not1_b32 vcc_lo, exec_lo, s13
	s_cbranch_vccnz .LBB79_2126
; %bb.2125:
	s_wait_loadcnt 0x0
	global_load_u16 v20, v[16:17], off
.LBB79_2126:
	s_mov_b32 s13, 0
.LBB79_2127:
	s_delay_alu instid0(SALU_CYCLE_1)
	s_and_not1_b32 vcc_lo, exec_lo, s13
	s_cbranch_vccnz .LBB79_2133
; %bb.2128:
	s_cmp_gt_i32 s12, 0
	s_mov_b32 s13, 0
	s_cbranch_scc0 .LBB79_2130
; %bb.2129:
	s_wait_loadcnt 0x0
	global_load_i8 v20, v[16:17], off
	s_branch .LBB79_2131
.LBB79_2130:
	s_mov_b32 s13, -1
                                        ; implicit-def: $vgpr20
.LBB79_2131:
	s_delay_alu instid0(SALU_CYCLE_1)
	s_and_not1_b32 vcc_lo, exec_lo, s13
	s_cbranch_vccnz .LBB79_2133
; %bb.2132:
	s_wait_loadcnt 0x0
	global_load_u8 v20, v[16:17], off
.LBB79_2133:
	s_mov_b32 s15, -1
.LBB79_2134:
	s_delay_alu instid0(SALU_CYCLE_1)
	s_and_not1_b32 vcc_lo, exec_lo, s15
	s_cbranch_vccnz .LBB79_2741
; %bb.2135:
	s_wait_loadcnt 0x0
	s_delay_alu instid0(VALU_DEP_1) | instskip(SKIP_2) | instid1(VALU_DEP_1)
	v_sub_nc_u16 v3, 0, v20
	s_mov_b32 s14, 0
	s_mov_b32 s13, exec_lo
	v_max_i16 v5, v20, v3
	s_wait_xcnt 0x0
	v_cmpx_ne_u16_e32 0, v18
	s_cbranch_execz .LBB79_2139
; %bb.2136:
	v_sub_nc_u16 v3, 0, v18
	s_delay_alu instid0(VALU_DEP_1) | instskip(SKIP_1) | instid1(VALU_DEP_2)
	v_max_i16 v7, v18, v3
	v_and_b32_e32 v3, 0xffff, v5
	v_and_b32_e32 v7, 0xffff, v7
.LBB79_2137:                            ; =>This Inner Loop Header: Depth=1
	s_delay_alu instid0(VALU_DEP_1) | instskip(NEXT) | instid1(VALU_DEP_2)
	v_mov_b32_e32 v5, v7
	v_bfe_i32 v11, v3, 0, 16
	s_delay_alu instid0(VALU_DEP_2) | instskip(NEXT) | instid1(VALU_DEP_2)
	v_bfe_i32 v7, v5, 0, 16
	v_cvt_f32_i32_e32 v15, v11
	s_delay_alu instid0(VALU_DEP_2) | instskip(SKIP_1) | instid1(VALU_DEP_2)
	v_cvt_f32_i32_e32 v9, v7
	v_xor_b32_e32 v7, v11, v7
	v_rcp_iflag_f32_e32 v13, v9
	v_nop
	s_delay_alu instid0(TRANS32_DEP_1) | instskip(NEXT) | instid1(VALU_DEP_1)
	v_mul_f32_e32 v11, v15, v13
	v_trunc_f32_e32 v11, v11
	s_delay_alu instid0(VALU_DEP_1) | instskip(SKIP_1) | instid1(VALU_DEP_2)
	v_dual_fma_f32 v13, -v11, v9, v15 :: v_dual_ashrrev_i32 v7, 30, v7
	v_cvt_i32_f32_e32 v11, v11
	v_cmp_ge_f32_e64 vcc_lo, |v13|, |v9|
	s_delay_alu instid0(VALU_DEP_3) | instskip(NEXT) | instid1(VALU_DEP_1)
	v_or_b32_e32 v7, 1, v7
	v_cndmask_b32_e32 v7, 0, v7, vcc_lo
	s_delay_alu instid0(VALU_DEP_1) | instskip(NEXT) | instid1(VALU_DEP_1)
	v_add_nc_u32_e32 v7, v11, v7
	v_mul_lo_u32 v7, v7, v5
	s_delay_alu instid0(VALU_DEP_1) | instskip(NEXT) | instid1(VALU_DEP_1)
	v_sub_nc_u32_e32 v7, v3, v7
	v_and_b32_e32 v3, 0xffff, v7
	v_bfe_i32 v7, v7, 0, 16
	s_delay_alu instid0(VALU_DEP_2) | instskip(SKIP_2) | instid1(SALU_CYCLE_1)
	v_cmp_eq_u32_e32 vcc_lo, 0, v3
	v_mov_b32_e32 v3, v5
	s_or_b32 s14, vcc_lo, s14
	s_and_not1_b32 exec_lo, exec_lo, s14
	s_cbranch_execnz .LBB79_2137
; %bb.2138:
	s_or_b32 exec_lo, exec_lo, s14
.LBB79_2139:
	s_delay_alu instid0(SALU_CYCLE_1)
	s_or_b32 exec_lo, exec_lo, s13
	v_mov_b32_e32 v3, 0
	s_mov_b32 s13, exec_lo
	v_cmpx_ne_u16_e32 0, v5
	s_cbranch_execz .LBB79_2141
; %bb.2140:
	v_bfe_i32 v3, v5, 0, 16
	v_bfe_i32 v7, v18, 0, 16
	s_delay_alu instid0(VALU_DEP_2) | instskip(NEXT) | instid1(VALU_DEP_2)
	v_cvt_f32_i32_e32 v5, v3
	v_cvt_f32_i32_e32 v11, v7
	v_xor_b32_e32 v3, v7, v3
	s_delay_alu instid0(VALU_DEP_3) | instskip(SKIP_1) | instid1(TRANS32_DEP_1)
	v_rcp_iflag_f32_e32 v9, v5
	v_nop
	v_dual_ashrrev_i32 v3, 30, v3 :: v_dual_mul_f32 v9, v11, v9
	s_delay_alu instid0(VALU_DEP_1) | instskip(NEXT) | instid1(VALU_DEP_2)
	v_or_b32_e32 v3, 1, v3
	v_trunc_f32_e32 v7, v9
	s_delay_alu instid0(VALU_DEP_1) | instskip(SKIP_1) | instid1(VALU_DEP_2)
	v_fma_f32 v9, -v7, v5, v11
	v_cvt_i32_f32_e32 v7, v7
	v_cmp_ge_f32_e64 vcc_lo, |v9|, |v5|
	v_bfe_i32 v5, v20, 0, 16
	v_cndmask_b32_e32 v3, 0, v3, vcc_lo
	s_delay_alu instid0(VALU_DEP_1) | instskip(NEXT) | instid1(VALU_DEP_1)
	v_add_nc_u32_e32 v3, v7, v3
	v_bfe_i32 v3, v3, 0, 16
	s_delay_alu instid0(VALU_DEP_1) | instskip(NEXT) | instid1(VALU_DEP_1)
	v_mul_i32_i24_e32 v3, v3, v5
	v_sub_nc_u32_e32 v5, 0, v3
	s_delay_alu instid0(VALU_DEP_1)
	v_max_i32_e32 v3, v3, v5
.LBB79_2141:
	s_or_b32 exec_lo, exec_lo, s13
	v_mov_b32_e32 v15, 0
	s_cmp_lt_i32 s11, 11
	s_delay_alu instid0(VALU_DEP_1)
	v_add_nc_u64_e32 v[16:17], s[6:7], v[14:15]
	s_cbranch_scc1 .LBB79_2148
; %bb.2142:
	s_cmp_gt_i32 s11, 25
	s_mov_b32 s14, 0
	s_cbranch_scc0 .LBB79_2149
; %bb.2143:
	s_cmp_gt_i32 s11, 28
	s_cbranch_scc0 .LBB79_2150
; %bb.2144:
	s_cmp_gt_i32 s11, 43
	s_cbranch_scc0 .LBB79_2151
; %bb.2145:
	s_cmp_gt_i32 s11, 45
	s_cbranch_scc0 .LBB79_2153
; %bb.2146:
	s_cmp_eq_u32 s11, 46
	s_mov_b32 s16, 0
	s_cbranch_scc0 .LBB79_2154
; %bb.2147:
	global_load_b32 v5, v[16:17], off
	s_mov_b32 s13, 0
	s_mov_b32 s15, -1
	s_wait_loadcnt 0x0
	v_lshlrev_b32_e32 v5, 16, v5
	s_delay_alu instid0(VALU_DEP_1)
	v_cvt_i32_f32_e32 v14, v5
	s_branch .LBB79_2156
.LBB79_2148:
	s_mov_b32 s13, -1
	s_mov_b32 s15, 0
                                        ; implicit-def: $vgpr14
	s_branch .LBB79_2218
.LBB79_2149:
	s_mov_b32 s16, -1
	s_mov_b32 s15, 0
	s_mov_b32 s13, 0
                                        ; implicit-def: $vgpr14
	s_branch .LBB79_2183
.LBB79_2150:
	s_mov_b32 s16, -1
	s_mov_b32 s15, 0
	s_mov_b32 s13, 0
                                        ; implicit-def: $vgpr14
	s_branch .LBB79_2166
.LBB79_2151:
	s_mov_b32 s16, -1
	s_mov_b32 s15, 0
	s_mov_b32 s13, 0
                                        ; implicit-def: $vgpr14
	s_branch .LBB79_2161
.LBB79_2152:
	s_or_b32 s10, s10, exec_lo
	s_trap 2
	s_cbranch_execz .LBB79_2083
	s_branch .LBB79_2084
.LBB79_2153:
	s_mov_b32 s16, -1
	s_mov_b32 s15, 0
	s_mov_b32 s13, 0
	s_branch .LBB79_2155
.LBB79_2154:
	s_mov_b32 s13, -1
	s_mov_b32 s15, 0
.LBB79_2155:
                                        ; implicit-def: $vgpr14
.LBB79_2156:
	s_and_b32 vcc_lo, exec_lo, s16
	s_cbranch_vccz .LBB79_2160
; %bb.2157:
	s_cmp_eq_u32 s11, 44
	s_cbranch_scc0 .LBB79_2159
; %bb.2158:
	global_load_u8 v5, v[16:17], off
	s_mov_b32 s13, 0
	s_mov_b32 s15, -1
	s_wait_loadcnt 0x0
	v_lshlrev_b32_e32 v7, 23, v5
	v_cmp_ne_u32_e32 vcc_lo, 0, v5
	s_delay_alu instid0(VALU_DEP_2) | instskip(NEXT) | instid1(VALU_DEP_1)
	v_cvt_i32_f32_e32 v7, v7
	v_cndmask_b32_e32 v14, 0, v7, vcc_lo
	s_branch .LBB79_2160
.LBB79_2159:
	s_mov_b32 s13, -1
                                        ; implicit-def: $vgpr14
.LBB79_2160:
	s_mov_b32 s16, 0
.LBB79_2161:
	s_delay_alu instid0(SALU_CYCLE_1)
	s_and_b32 vcc_lo, exec_lo, s16
	s_cbranch_vccz .LBB79_2165
; %bb.2162:
	s_cmp_eq_u32 s11, 29
	s_cbranch_scc0 .LBB79_2164
; %bb.2163:
	global_load_b64 v[14:15], v[16:17], off
	s_mov_b32 s13, 0
	s_mov_b32 s15, -1
	s_branch .LBB79_2165
.LBB79_2164:
	s_mov_b32 s13, -1
                                        ; implicit-def: $vgpr14
.LBB79_2165:
	s_mov_b32 s16, 0
.LBB79_2166:
	s_delay_alu instid0(SALU_CYCLE_1)
	s_and_b32 vcc_lo, exec_lo, s16
	s_cbranch_vccz .LBB79_2182
; %bb.2167:
	s_cmp_lt_i32 s11, 27
	s_cbranch_scc1 .LBB79_2170
; %bb.2168:
	s_cmp_gt_i32 s11, 27
	s_cbranch_scc0 .LBB79_2171
; %bb.2169:
	s_wait_loadcnt 0x0
	global_load_b32 v14, v[16:17], off
	s_mov_b32 s15, 0
	s_branch .LBB79_2172
.LBB79_2170:
	s_mov_b32 s15, -1
                                        ; implicit-def: $vgpr14
	s_branch .LBB79_2175
.LBB79_2171:
	s_mov_b32 s15, -1
                                        ; implicit-def: $vgpr14
.LBB79_2172:
	s_delay_alu instid0(SALU_CYCLE_1)
	s_and_not1_b32 vcc_lo, exec_lo, s15
	s_cbranch_vccnz .LBB79_2174
; %bb.2173:
	s_wait_loadcnt 0x0
	global_load_u16 v14, v[16:17], off
.LBB79_2174:
	s_mov_b32 s15, 0
.LBB79_2175:
	s_delay_alu instid0(SALU_CYCLE_1)
	s_and_not1_b32 vcc_lo, exec_lo, s15
	s_cbranch_vccnz .LBB79_2181
; %bb.2176:
	global_load_u8 v5, v[16:17], off
	s_mov_b32 s16, 0
	s_mov_b32 s15, exec_lo
	s_wait_loadcnt 0x0
	v_cmpx_lt_i16_e32 0x7f, v5
	s_xor_b32 s15, exec_lo, s15
	s_cbranch_execz .LBB79_2193
; %bb.2177:
	v_cmp_ne_u16_e32 vcc_lo, 0x80, v5
	s_and_b32 s16, vcc_lo, exec_lo
	s_and_not1_saveexec_b32 s15, s15
	s_cbranch_execnz .LBB79_2194
.LBB79_2178:
	s_or_b32 exec_lo, exec_lo, s15
	v_mov_b32_e32 v14, 0
	s_and_saveexec_b32 s15, s16
	s_cbranch_execz .LBB79_2180
.LBB79_2179:
	v_and_b32_e32 v7, 0xffff, v5
	s_delay_alu instid0(VALU_DEP_1) | instskip(SKIP_1) | instid1(VALU_DEP_2)
	v_dual_lshlrev_b32 v5, 24, v5 :: v_dual_bitop2_b32 v9, 7, v7 bitop3:0x40
	v_bfe_u32 v14, v7, 3, 4
	v_and_b32_e32 v5, 0x80000000, v5
	s_delay_alu instid0(VALU_DEP_3) | instskip(NEXT) | instid1(VALU_DEP_3)
	v_clz_i32_u32_e32 v11, v9
	v_cmp_eq_u32_e32 vcc_lo, 0, v14
	s_delay_alu instid0(VALU_DEP_2) | instskip(NEXT) | instid1(VALU_DEP_1)
	v_min_u32_e32 v11, 32, v11
	v_subrev_nc_u32_e32 v13, 28, v11
	v_sub_nc_u32_e32 v11, 29, v11
	s_delay_alu instid0(VALU_DEP_2) | instskip(NEXT) | instid1(VALU_DEP_2)
	v_lshlrev_b32_e32 v7, v13, v7
	v_cndmask_b32_e32 v11, v14, v11, vcc_lo
	s_delay_alu instid0(VALU_DEP_2) | instskip(NEXT) | instid1(VALU_DEP_1)
	v_and_b32_e32 v7, 7, v7
	v_cndmask_b32_e32 v7, v9, v7, vcc_lo
	s_delay_alu instid0(VALU_DEP_3) | instskip(NEXT) | instid1(VALU_DEP_2)
	v_lshl_add_u32 v9, v11, 23, 0x3b800000
	v_lshlrev_b32_e32 v7, 20, v7
	s_delay_alu instid0(VALU_DEP_1) | instskip(NEXT) | instid1(VALU_DEP_1)
	v_or3_b32 v5, v5, v9, v7
	v_cvt_i32_f32_e32 v14, v5
.LBB79_2180:
	s_or_b32 exec_lo, exec_lo, s15
.LBB79_2181:
	s_mov_b32 s15, -1
.LBB79_2182:
	s_mov_b32 s16, 0
.LBB79_2183:
	s_delay_alu instid0(SALU_CYCLE_1)
	s_and_b32 vcc_lo, exec_lo, s16
	s_cbranch_vccz .LBB79_2214
; %bb.2184:
	s_cmp_gt_i32 s11, 22
	s_cbranch_scc0 .LBB79_2192
; %bb.2185:
	s_cmp_lt_i32 s11, 24
	s_cbranch_scc1 .LBB79_2195
; %bb.2186:
	s_cmp_gt_i32 s11, 24
	s_cbranch_scc0 .LBB79_2196
; %bb.2187:
	global_load_u8 v5, v[16:17], off
	s_mov_b32 s15, 0
	s_mov_b32 s14, exec_lo
	s_wait_loadcnt 0x0
	v_cmpx_lt_i16_e32 0x7f, v5
	s_xor_b32 s14, exec_lo, s14
	s_cbranch_execz .LBB79_2208
; %bb.2188:
	v_cmp_ne_u16_e32 vcc_lo, 0x80, v5
	s_and_b32 s15, vcc_lo, exec_lo
	s_and_not1_saveexec_b32 s14, s14
	s_cbranch_execnz .LBB79_2209
.LBB79_2189:
	s_or_b32 exec_lo, exec_lo, s14
	v_mov_b32_e32 v14, 0
	s_and_saveexec_b32 s14, s15
	s_cbranch_execz .LBB79_2191
.LBB79_2190:
	v_and_b32_e32 v7, 0xffff, v5
	s_delay_alu instid0(VALU_DEP_1) | instskip(SKIP_1) | instid1(VALU_DEP_2)
	v_dual_lshlrev_b32 v5, 24, v5 :: v_dual_bitop2_b32 v9, 3, v7 bitop3:0x40
	v_bfe_u32 v14, v7, 2, 5
	v_and_b32_e32 v5, 0x80000000, v5
	s_delay_alu instid0(VALU_DEP_3) | instskip(NEXT) | instid1(VALU_DEP_3)
	v_clz_i32_u32_e32 v11, v9
	v_cmp_eq_u32_e32 vcc_lo, 0, v14
	s_delay_alu instid0(VALU_DEP_2) | instskip(NEXT) | instid1(VALU_DEP_1)
	v_min_u32_e32 v11, 32, v11
	v_subrev_nc_u32_e32 v13, 29, v11
	v_sub_nc_u32_e32 v11, 30, v11
	s_delay_alu instid0(VALU_DEP_2) | instskip(NEXT) | instid1(VALU_DEP_2)
	v_lshlrev_b32_e32 v7, v13, v7
	v_cndmask_b32_e32 v11, v14, v11, vcc_lo
	s_delay_alu instid0(VALU_DEP_2) | instskip(NEXT) | instid1(VALU_DEP_1)
	v_and_b32_e32 v7, 3, v7
	v_cndmask_b32_e32 v7, v9, v7, vcc_lo
	s_delay_alu instid0(VALU_DEP_3) | instskip(NEXT) | instid1(VALU_DEP_2)
	v_lshl_add_u32 v9, v11, 23, 0x37800000
	v_lshlrev_b32_e32 v7, 21, v7
	s_delay_alu instid0(VALU_DEP_1) | instskip(NEXT) | instid1(VALU_DEP_1)
	v_or3_b32 v5, v5, v9, v7
	v_cvt_i32_f32_e32 v14, v5
.LBB79_2191:
	s_or_b32 exec_lo, exec_lo, s14
	s_mov_b32 s14, 0
	s_branch .LBB79_2197
.LBB79_2192:
	s_mov_b32 s14, -1
                                        ; implicit-def: $vgpr14
	s_branch .LBB79_2203
.LBB79_2193:
	s_and_not1_saveexec_b32 s15, s15
	s_cbranch_execz .LBB79_2178
.LBB79_2194:
	v_cmp_ne_u16_e32 vcc_lo, 0, v5
	s_and_not1_b32 s16, s16, exec_lo
	s_and_b32 s17, vcc_lo, exec_lo
	s_delay_alu instid0(SALU_CYCLE_1)
	s_or_b32 s16, s16, s17
	s_or_b32 exec_lo, exec_lo, s15
	v_mov_b32_e32 v14, 0
	s_and_saveexec_b32 s15, s16
	s_cbranch_execnz .LBB79_2179
	s_branch .LBB79_2180
.LBB79_2195:
	s_mov_b32 s14, -1
                                        ; implicit-def: $vgpr14
	s_branch .LBB79_2200
.LBB79_2196:
	s_mov_b32 s14, -1
                                        ; implicit-def: $vgpr14
.LBB79_2197:
	s_delay_alu instid0(SALU_CYCLE_1)
	s_and_b32 vcc_lo, exec_lo, s14
	s_cbranch_vccz .LBB79_2199
; %bb.2198:
	global_load_u8 v5, v[16:17], off
	s_wait_loadcnt 0x0
	v_lshlrev_b32_e32 v5, 24, v5
	s_delay_alu instid0(VALU_DEP_1) | instskip(NEXT) | instid1(VALU_DEP_1)
	v_and_b32_e32 v7, 0x7f000000, v5
	v_clz_i32_u32_e32 v9, v7
	v_add_nc_u32_e32 v13, 0x1000000, v7
	v_cmp_ne_u32_e32 vcc_lo, 0, v7
	s_delay_alu instid0(VALU_DEP_3) | instskip(NEXT) | instid1(VALU_DEP_1)
	v_min_u32_e32 v9, 32, v9
	v_sub_nc_u32_e64 v9, v9, 4 clamp
	s_delay_alu instid0(VALU_DEP_1) | instskip(NEXT) | instid1(VALU_DEP_1)
	v_dual_lshlrev_b32 v11, v9, v7 :: v_dual_lshlrev_b32 v9, 23, v9
	v_lshrrev_b32_e32 v11, 4, v11
	s_delay_alu instid0(VALU_DEP_1) | instskip(SKIP_1) | instid1(VALU_DEP_2)
	v_sub_nc_u32_e32 v9, v11, v9
	v_ashrrev_i32_e32 v11, 8, v13
	v_add_nc_u32_e32 v9, 0x3c000000, v9
	s_delay_alu instid0(VALU_DEP_1) | instskip(NEXT) | instid1(VALU_DEP_1)
	v_and_or_b32 v9, 0x7f800000, v11, v9
	v_cndmask_b32_e32 v7, 0, v9, vcc_lo
	s_delay_alu instid0(VALU_DEP_1) | instskip(NEXT) | instid1(VALU_DEP_1)
	v_and_or_b32 v5, 0x80000000, v5, v7
	v_cvt_i32_f32_e32 v14, v5
.LBB79_2199:
	s_mov_b32 s14, 0
.LBB79_2200:
	s_delay_alu instid0(SALU_CYCLE_1)
	s_and_not1_b32 vcc_lo, exec_lo, s14
	s_cbranch_vccnz .LBB79_2202
; %bb.2201:
	global_load_u8 v5, v[16:17], off
	s_wait_loadcnt 0x0
	v_lshlrev_b32_e32 v7, 25, v5
	v_lshlrev_b16 v5, 8, v5
	s_delay_alu instid0(VALU_DEP_1) | instskip(SKIP_1) | instid1(VALU_DEP_2)
	v_and_or_b32 v11, 0x7f00, v5, 0.5
	v_bfe_i32 v5, v5, 0, 16
	v_add_f32_e32 v11, -0.5, v11
	v_lshrrev_b32_e32 v9, 4, v7
	v_cmp_gt_u32_e32 vcc_lo, 0x8000000, v7
	s_delay_alu instid0(VALU_DEP_2) | instskip(NEXT) | instid1(VALU_DEP_1)
	v_or_b32_e32 v9, 0x70000000, v9
	v_mul_f32_e32 v9, 0x7800000, v9
	s_delay_alu instid0(VALU_DEP_1) | instskip(NEXT) | instid1(VALU_DEP_1)
	v_cndmask_b32_e32 v7, v9, v11, vcc_lo
	v_and_or_b32 v5, 0x80000000, v5, v7
	s_delay_alu instid0(VALU_DEP_1)
	v_cvt_i32_f32_e32 v14, v5
.LBB79_2202:
	s_mov_b32 s14, 0
	s_mov_b32 s15, -1
.LBB79_2203:
	s_and_not1_b32 vcc_lo, exec_lo, s14
	s_mov_b32 s14, 0
	s_cbranch_vccnz .LBB79_2214
; %bb.2204:
	s_cmp_gt_i32 s11, 14
	s_cbranch_scc0 .LBB79_2207
; %bb.2205:
	s_cmp_eq_u32 s11, 15
	s_cbranch_scc0 .LBB79_2210
; %bb.2206:
	global_load_u16 v5, v[16:17], off
	s_mov_b32 s13, 0
	s_mov_b32 s15, -1
	s_wait_loadcnt 0x0
	v_lshlrev_b32_e32 v5, 16, v5
	s_delay_alu instid0(VALU_DEP_1)
	v_cvt_i32_f32_e32 v14, v5
	s_branch .LBB79_2212
.LBB79_2207:
	s_mov_b32 s14, -1
	s_branch .LBB79_2211
.LBB79_2208:
	s_and_not1_saveexec_b32 s14, s14
	s_cbranch_execz .LBB79_2189
.LBB79_2209:
	v_cmp_ne_u16_e32 vcc_lo, 0, v5
	s_and_not1_b32 s15, s15, exec_lo
	s_and_b32 s16, vcc_lo, exec_lo
	s_delay_alu instid0(SALU_CYCLE_1)
	s_or_b32 s15, s15, s16
	s_or_b32 exec_lo, exec_lo, s14
	v_mov_b32_e32 v14, 0
	s_and_saveexec_b32 s14, s15
	s_cbranch_execnz .LBB79_2190
	s_branch .LBB79_2191
.LBB79_2210:
	s_mov_b32 s13, -1
.LBB79_2211:
                                        ; implicit-def: $vgpr14
.LBB79_2212:
	s_and_b32 vcc_lo, exec_lo, s14
	s_mov_b32 s14, 0
	s_cbranch_vccz .LBB79_2214
; %bb.2213:
	s_cmp_lg_u32 s11, 11
	s_mov_b32 s14, -1
	s_cselect_b32 s13, -1, 0
.LBB79_2214:
	s_delay_alu instid0(SALU_CYCLE_1)
	s_and_b32 vcc_lo, exec_lo, s13
	s_cbranch_vccnz .LBB79_2279
; %bb.2215:
	s_and_not1_b32 vcc_lo, exec_lo, s14
	s_cbranch_vccnz .LBB79_2217
.LBB79_2216:
	global_load_u8 v5, v[16:17], off
	s_mov_b32 s15, -1
	s_wait_loadcnt 0x0
	v_cmp_ne_u16_e32 vcc_lo, 0, v5
	v_cndmask_b32_e64 v14, 0, 1, vcc_lo
.LBB79_2217:
	s_mov_b32 s13, 0
.LBB79_2218:
	s_delay_alu instid0(SALU_CYCLE_1)
	s_and_b32 vcc_lo, exec_lo, s13
	s_cbranch_vccz .LBB79_2267
; %bb.2219:
	s_cmp_lt_i32 s11, 5
	s_cbranch_scc1 .LBB79_2224
; %bb.2220:
	s_cmp_lt_i32 s11, 8
	s_cbranch_scc1 .LBB79_2225
	;; [unrolled: 3-line block ×3, first 2 shown]
; %bb.2222:
	s_cmp_gt_i32 s11, 9
	s_cbranch_scc0 .LBB79_2227
; %bb.2223:
	s_wait_loadcnt 0x0
	global_load_b64 v[14:15], v[16:17], off
	s_mov_b32 s13, 0
	s_wait_loadcnt 0x0
	v_cvt_i32_f64_e32 v14, v[14:15]
	s_branch .LBB79_2228
.LBB79_2224:
	s_mov_b32 s13, -1
                                        ; implicit-def: $vgpr14
	s_branch .LBB79_2246
.LBB79_2225:
	s_mov_b32 s13, -1
                                        ; implicit-def: $vgpr14
	s_branch .LBB79_2234
.LBB79_2226:
	s_mov_b32 s13, -1
                                        ; implicit-def: $vgpr14
	s_branch .LBB79_2231
.LBB79_2227:
	s_mov_b32 s13, -1
                                        ; implicit-def: $vgpr14
.LBB79_2228:
	s_delay_alu instid0(SALU_CYCLE_1)
	s_and_not1_b32 vcc_lo, exec_lo, s13
	s_cbranch_vccnz .LBB79_2230
; %bb.2229:
	global_load_b32 v5, v[16:17], off
	s_wait_loadcnt 0x0
	v_cvt_i32_f32_e32 v14, v5
.LBB79_2230:
	s_mov_b32 s13, 0
.LBB79_2231:
	s_delay_alu instid0(SALU_CYCLE_1)
	s_and_not1_b32 vcc_lo, exec_lo, s13
	s_cbranch_vccnz .LBB79_2233
; %bb.2232:
	global_load_b32 v5, v[16:17], off
	s_wait_loadcnt 0x0
	v_cvt_i16_f16_e32 v14, v5
.LBB79_2233:
	s_mov_b32 s13, 0
.LBB79_2234:
	s_delay_alu instid0(SALU_CYCLE_1)
	s_and_not1_b32 vcc_lo, exec_lo, s13
	s_cbranch_vccnz .LBB79_2245
; %bb.2235:
	s_cmp_lt_i32 s11, 6
	s_cbranch_scc1 .LBB79_2238
; %bb.2236:
	s_cmp_gt_i32 s11, 6
	s_cbranch_scc0 .LBB79_2239
; %bb.2237:
	s_wait_loadcnt 0x0
	global_load_b64 v[14:15], v[16:17], off
	s_mov_b32 s13, 0
	s_wait_loadcnt 0x0
	v_cvt_i32_f64_e32 v14, v[14:15]
	s_branch .LBB79_2240
.LBB79_2238:
	s_mov_b32 s13, -1
                                        ; implicit-def: $vgpr14
	s_branch .LBB79_2243
.LBB79_2239:
	s_mov_b32 s13, -1
                                        ; implicit-def: $vgpr14
.LBB79_2240:
	s_delay_alu instid0(SALU_CYCLE_1)
	s_and_not1_b32 vcc_lo, exec_lo, s13
	s_cbranch_vccnz .LBB79_2242
; %bb.2241:
	global_load_b32 v5, v[16:17], off
	s_wait_loadcnt 0x0
	v_cvt_i32_f32_e32 v14, v5
.LBB79_2242:
	s_mov_b32 s13, 0
.LBB79_2243:
	s_delay_alu instid0(SALU_CYCLE_1)
	s_and_not1_b32 vcc_lo, exec_lo, s13
	s_cbranch_vccnz .LBB79_2245
; %bb.2244:
	global_load_u16 v5, v[16:17], off
	s_wait_loadcnt 0x0
	v_cvt_i16_f16_e32 v14, v5
.LBB79_2245:
	s_mov_b32 s13, 0
.LBB79_2246:
	s_delay_alu instid0(SALU_CYCLE_1)
	s_and_not1_b32 vcc_lo, exec_lo, s13
	s_cbranch_vccnz .LBB79_2266
; %bb.2247:
	s_cmp_lt_i32 s11, 2
	s_cbranch_scc1 .LBB79_2251
; %bb.2248:
	s_cmp_lt_i32 s11, 3
	s_cbranch_scc1 .LBB79_2252
; %bb.2249:
	s_cmp_gt_i32 s11, 3
	s_cbranch_scc0 .LBB79_2253
; %bb.2250:
	s_wait_loadcnt 0x0
	global_load_b64 v[14:15], v[16:17], off
	s_mov_b32 s13, 0
	s_branch .LBB79_2254
.LBB79_2251:
	s_mov_b32 s13, -1
                                        ; implicit-def: $vgpr14
	s_branch .LBB79_2260
.LBB79_2252:
	s_mov_b32 s13, -1
                                        ; implicit-def: $vgpr14
	s_branch .LBB79_2257
.LBB79_2253:
	s_mov_b32 s13, -1
                                        ; implicit-def: $vgpr14
.LBB79_2254:
	s_delay_alu instid0(SALU_CYCLE_1)
	s_and_not1_b32 vcc_lo, exec_lo, s13
	s_cbranch_vccnz .LBB79_2256
; %bb.2255:
	s_wait_loadcnt 0x0
	global_load_b32 v14, v[16:17], off
.LBB79_2256:
	s_mov_b32 s13, 0
.LBB79_2257:
	s_delay_alu instid0(SALU_CYCLE_1)
	s_and_not1_b32 vcc_lo, exec_lo, s13
	s_cbranch_vccnz .LBB79_2259
; %bb.2258:
	s_wait_loadcnt 0x0
	global_load_u16 v14, v[16:17], off
.LBB79_2259:
	s_mov_b32 s13, 0
.LBB79_2260:
	s_delay_alu instid0(SALU_CYCLE_1)
	s_and_not1_b32 vcc_lo, exec_lo, s13
	s_cbranch_vccnz .LBB79_2266
; %bb.2261:
	s_cmp_gt_i32 s11, 0
	s_mov_b32 s13, 0
	s_cbranch_scc0 .LBB79_2263
; %bb.2262:
	s_wait_loadcnt 0x0
	global_load_i8 v14, v[16:17], off
	s_branch .LBB79_2264
.LBB79_2263:
	s_mov_b32 s13, -1
                                        ; implicit-def: $vgpr14
.LBB79_2264:
	s_delay_alu instid0(SALU_CYCLE_1)
	s_and_not1_b32 vcc_lo, exec_lo, s13
	s_cbranch_vccnz .LBB79_2266
; %bb.2265:
	s_wait_loadcnt 0x0
	global_load_u8 v14, v[16:17], off
.LBB79_2266:
	s_mov_b32 s15, -1
.LBB79_2267:
	s_delay_alu instid0(SALU_CYCLE_1)
	s_and_not1_b32 vcc_lo, exec_lo, s15
	s_cbranch_vccnz .LBB79_2741
; %bb.2268:
	v_mov_b32_e32 v13, 0
	s_cmp_lt_i32 s12, 11
	s_delay_alu instid0(VALU_DEP_1)
	v_add_nc_u64_e32 v[12:13], s[0:1], v[12:13]
	s_cbranch_scc1 .LBB79_2275
; %bb.2269:
	s_cmp_gt_i32 s12, 25
	s_mov_b32 s14, 0
	s_cbranch_scc0 .LBB79_2276
; %bb.2270:
	s_cmp_gt_i32 s12, 28
	s_cbranch_scc0 .LBB79_2277
; %bb.2271:
	s_cmp_gt_i32 s12, 43
	;; [unrolled: 3-line block ×3, first 2 shown]
	s_cbranch_scc0 .LBB79_2280
; %bb.2273:
	s_cmp_eq_u32 s12, 46
	s_mov_b32 s16, 0
	s_cbranch_scc0 .LBB79_2283
; %bb.2274:
	global_load_b32 v5, v[12:13], off
	s_mov_b32 s13, 0
	s_mov_b32 s15, -1
	s_wait_loadcnt 0x0
	v_lshlrev_b32_e32 v5, 16, v5
	s_wait_xcnt 0x1
	s_delay_alu instid0(VALU_DEP_1)
	v_cvt_i32_f32_e32 v16, v5
	s_branch .LBB79_2285
.LBB79_2275:
	s_mov_b32 s13, -1
	s_mov_b32 s15, 0
                                        ; implicit-def: $vgpr16
	s_branch .LBB79_2347
.LBB79_2276:
	s_mov_b32 s16, -1
	s_mov_b32 s15, 0
	s_mov_b32 s13, 0
                                        ; implicit-def: $vgpr16
	s_branch .LBB79_2312
.LBB79_2277:
	s_mov_b32 s16, -1
	s_mov_b32 s15, 0
	s_mov_b32 s13, 0
                                        ; implicit-def: $vgpr16
	s_branch .LBB79_2295
.LBB79_2278:
	s_mov_b32 s16, -1
	s_mov_b32 s15, 0
	s_mov_b32 s13, 0
                                        ; implicit-def: $vgpr16
	s_branch .LBB79_2290
.LBB79_2279:
	s_or_b32 s10, s10, exec_lo
	s_trap 2
	s_cbranch_execz .LBB79_2216
	s_branch .LBB79_2217
.LBB79_2280:
	s_mov_b32 s16, -1
	s_mov_b32 s15, 0
	s_mov_b32 s13, 0
	s_branch .LBB79_2284
.LBB79_2281:
	s_and_not1_saveexec_b32 s51, s51
	s_cbranch_execz .LBB79_1115
.LBB79_2282:
	v_add_f32_e64 v5, 0x42800000, |v4|
	s_and_not1_b32 s50, s50, exec_lo
	s_delay_alu instid0(VALU_DEP_1) | instskip(NEXT) | instid1(VALU_DEP_1)
	v_and_b32_e32 v5, 0xff, v5
	v_cmp_ne_u32_e32 vcc_lo, 0, v5
	s_and_b32 s52, vcc_lo, exec_lo
	s_delay_alu instid0(SALU_CYCLE_1)
	s_or_b32 s50, s50, s52
	s_or_b32 exec_lo, exec_lo, s51
	v_mov_b32_e32 v6, 0
	s_and_saveexec_b32 s51, s50
	s_cbranch_execnz .LBB79_1116
	s_branch .LBB79_1117
.LBB79_2283:
	s_mov_b32 s13, -1
	s_mov_b32 s15, 0
.LBB79_2284:
                                        ; implicit-def: $vgpr16
.LBB79_2285:
	s_and_b32 vcc_lo, exec_lo, s16
	s_cbranch_vccz .LBB79_2289
; %bb.2286:
	s_cmp_eq_u32 s12, 44
	s_cbranch_scc0 .LBB79_2288
; %bb.2287:
	global_load_u8 v5, v[12:13], off
	s_mov_b32 s13, 0
	s_mov_b32 s15, -1
	s_wait_loadcnt 0x0
	v_lshlrev_b32_e32 v7, 23, v5
	v_cmp_ne_u32_e32 vcc_lo, 0, v5
	s_delay_alu instid0(VALU_DEP_2) | instskip(SKIP_1) | instid1(VALU_DEP_1)
	v_cvt_i32_f32_e32 v7, v7
	s_wait_xcnt 0x1
	v_cndmask_b32_e32 v16, 0, v7, vcc_lo
	s_branch .LBB79_2289
.LBB79_2288:
	s_mov_b32 s13, -1
                                        ; implicit-def: $vgpr16
.LBB79_2289:
	s_mov_b32 s16, 0
.LBB79_2290:
	s_delay_alu instid0(SALU_CYCLE_1)
	s_and_b32 vcc_lo, exec_lo, s16
	s_cbranch_vccz .LBB79_2294
; %bb.2291:
	s_cmp_eq_u32 s12, 29
	s_cbranch_scc0 .LBB79_2293
; %bb.2292:
	global_load_b64 v[16:17], v[12:13], off
	s_mov_b32 s13, 0
	s_mov_b32 s15, -1
	s_branch .LBB79_2294
.LBB79_2293:
	s_mov_b32 s13, -1
                                        ; implicit-def: $vgpr16
.LBB79_2294:
	s_mov_b32 s16, 0
.LBB79_2295:
	s_delay_alu instid0(SALU_CYCLE_1)
	s_and_b32 vcc_lo, exec_lo, s16
	s_cbranch_vccz .LBB79_2311
; %bb.2296:
	s_cmp_lt_i32 s12, 27
	s_cbranch_scc1 .LBB79_2299
; %bb.2297:
	s_cmp_gt_i32 s12, 27
	s_cbranch_scc0 .LBB79_2300
; %bb.2298:
	s_wait_loadcnt 0x0
	global_load_b32 v16, v[12:13], off
	s_mov_b32 s15, 0
	s_branch .LBB79_2301
.LBB79_2299:
	s_mov_b32 s15, -1
                                        ; implicit-def: $vgpr16
	s_branch .LBB79_2304
.LBB79_2300:
	s_mov_b32 s15, -1
                                        ; implicit-def: $vgpr16
.LBB79_2301:
	s_delay_alu instid0(SALU_CYCLE_1)
	s_and_not1_b32 vcc_lo, exec_lo, s15
	s_cbranch_vccnz .LBB79_2303
; %bb.2302:
	s_wait_loadcnt 0x0
	global_load_u16 v16, v[12:13], off
.LBB79_2303:
	s_mov_b32 s15, 0
.LBB79_2304:
	s_delay_alu instid0(SALU_CYCLE_1)
	s_and_not1_b32 vcc_lo, exec_lo, s15
	s_cbranch_vccnz .LBB79_2310
; %bb.2305:
	global_load_u8 v5, v[12:13], off
	s_mov_b32 s16, 0
	s_mov_b32 s15, exec_lo
	s_wait_loadcnt 0x0
	v_cmpx_lt_i16_e32 0x7f, v5
	s_xor_b32 s15, exec_lo, s15
	s_cbranch_execz .LBB79_2322
; %bb.2306:
	v_cmp_ne_u16_e32 vcc_lo, 0x80, v5
	s_and_b32 s16, vcc_lo, exec_lo
	s_and_not1_saveexec_b32 s15, s15
	s_cbranch_execnz .LBB79_2323
.LBB79_2307:
	s_or_b32 exec_lo, exec_lo, s15
	v_mov_b32_e32 v16, 0
	s_and_saveexec_b32 s15, s16
	s_cbranch_execz .LBB79_2309
.LBB79_2308:
	v_and_b32_e32 v7, 0xffff, v5
	s_delay_alu instid0(VALU_DEP_1) | instskip(SKIP_1) | instid1(VALU_DEP_2)
	v_dual_lshlrev_b32 v5, 24, v5 :: v_dual_bitop2_b32 v9, 7, v7 bitop3:0x40
	v_bfe_u32 v16, v7, 3, 4
	v_and_b32_e32 v5, 0x80000000, v5
	s_delay_alu instid0(VALU_DEP_3) | instskip(NEXT) | instid1(VALU_DEP_3)
	v_clz_i32_u32_e32 v11, v9
	v_cmp_eq_u32_e32 vcc_lo, 0, v16
	s_delay_alu instid0(VALU_DEP_2) | instskip(NEXT) | instid1(VALU_DEP_1)
	v_min_u32_e32 v11, 32, v11
	v_subrev_nc_u32_e32 v15, 28, v11
	v_sub_nc_u32_e32 v11, 29, v11
	s_delay_alu instid0(VALU_DEP_2) | instskip(NEXT) | instid1(VALU_DEP_2)
	v_lshlrev_b32_e32 v7, v15, v7
	v_cndmask_b32_e32 v11, v16, v11, vcc_lo
	s_delay_alu instid0(VALU_DEP_2) | instskip(NEXT) | instid1(VALU_DEP_1)
	v_and_b32_e32 v7, 7, v7
	v_cndmask_b32_e32 v7, v9, v7, vcc_lo
	s_delay_alu instid0(VALU_DEP_3) | instskip(NEXT) | instid1(VALU_DEP_2)
	v_lshl_add_u32 v9, v11, 23, 0x3b800000
	v_lshlrev_b32_e32 v7, 20, v7
	s_delay_alu instid0(VALU_DEP_1) | instskip(NEXT) | instid1(VALU_DEP_1)
	v_or3_b32 v5, v5, v9, v7
	v_cvt_i32_f32_e32 v16, v5
.LBB79_2309:
	s_or_b32 exec_lo, exec_lo, s15
.LBB79_2310:
	s_mov_b32 s15, -1
.LBB79_2311:
	s_mov_b32 s16, 0
.LBB79_2312:
	s_delay_alu instid0(SALU_CYCLE_1)
	s_and_b32 vcc_lo, exec_lo, s16
	s_cbranch_vccz .LBB79_2343
; %bb.2313:
	s_cmp_gt_i32 s12, 22
	s_cbranch_scc0 .LBB79_2321
; %bb.2314:
	s_cmp_lt_i32 s12, 24
	s_cbranch_scc1 .LBB79_2324
; %bb.2315:
	s_cmp_gt_i32 s12, 24
	s_cbranch_scc0 .LBB79_2325
; %bb.2316:
	global_load_u8 v5, v[12:13], off
	s_mov_b32 s15, 0
	s_mov_b32 s14, exec_lo
	s_wait_loadcnt 0x0
	v_cmpx_lt_i16_e32 0x7f, v5
	s_xor_b32 s14, exec_lo, s14
	s_cbranch_execz .LBB79_2337
; %bb.2317:
	v_cmp_ne_u16_e32 vcc_lo, 0x80, v5
	s_and_b32 s15, vcc_lo, exec_lo
	s_and_not1_saveexec_b32 s14, s14
	s_cbranch_execnz .LBB79_2338
.LBB79_2318:
	s_or_b32 exec_lo, exec_lo, s14
	v_mov_b32_e32 v16, 0
	s_and_saveexec_b32 s14, s15
	s_cbranch_execz .LBB79_2320
.LBB79_2319:
	v_and_b32_e32 v7, 0xffff, v5
	s_delay_alu instid0(VALU_DEP_1) | instskip(SKIP_1) | instid1(VALU_DEP_2)
	v_dual_lshlrev_b32 v5, 24, v5 :: v_dual_bitop2_b32 v9, 3, v7 bitop3:0x40
	v_bfe_u32 v16, v7, 2, 5
	v_and_b32_e32 v5, 0x80000000, v5
	s_delay_alu instid0(VALU_DEP_3) | instskip(NEXT) | instid1(VALU_DEP_3)
	v_clz_i32_u32_e32 v11, v9
	v_cmp_eq_u32_e32 vcc_lo, 0, v16
	s_delay_alu instid0(VALU_DEP_2) | instskip(NEXT) | instid1(VALU_DEP_1)
	v_min_u32_e32 v11, 32, v11
	v_subrev_nc_u32_e32 v15, 29, v11
	v_sub_nc_u32_e32 v11, 30, v11
	s_delay_alu instid0(VALU_DEP_2) | instskip(NEXT) | instid1(VALU_DEP_2)
	v_lshlrev_b32_e32 v7, v15, v7
	v_cndmask_b32_e32 v11, v16, v11, vcc_lo
	s_delay_alu instid0(VALU_DEP_2) | instskip(NEXT) | instid1(VALU_DEP_1)
	v_and_b32_e32 v7, 3, v7
	v_cndmask_b32_e32 v7, v9, v7, vcc_lo
	s_delay_alu instid0(VALU_DEP_3) | instskip(NEXT) | instid1(VALU_DEP_2)
	v_lshl_add_u32 v9, v11, 23, 0x37800000
	v_lshlrev_b32_e32 v7, 21, v7
	s_delay_alu instid0(VALU_DEP_1) | instskip(NEXT) | instid1(VALU_DEP_1)
	v_or3_b32 v5, v5, v9, v7
	v_cvt_i32_f32_e32 v16, v5
.LBB79_2320:
	s_or_b32 exec_lo, exec_lo, s14
	s_mov_b32 s14, 0
	s_branch .LBB79_2326
.LBB79_2321:
	s_mov_b32 s14, -1
                                        ; implicit-def: $vgpr16
	s_branch .LBB79_2332
.LBB79_2322:
	s_and_not1_saveexec_b32 s15, s15
	s_cbranch_execz .LBB79_2307
.LBB79_2323:
	v_cmp_ne_u16_e32 vcc_lo, 0, v5
	s_and_not1_b32 s16, s16, exec_lo
	s_and_b32 s17, vcc_lo, exec_lo
	s_delay_alu instid0(SALU_CYCLE_1)
	s_or_b32 s16, s16, s17
	s_or_b32 exec_lo, exec_lo, s15
	v_mov_b32_e32 v16, 0
	s_and_saveexec_b32 s15, s16
	s_cbranch_execnz .LBB79_2308
	s_branch .LBB79_2309
.LBB79_2324:
	s_mov_b32 s14, -1
                                        ; implicit-def: $vgpr16
	s_branch .LBB79_2329
.LBB79_2325:
	s_mov_b32 s14, -1
                                        ; implicit-def: $vgpr16
.LBB79_2326:
	s_delay_alu instid0(SALU_CYCLE_1)
	s_and_b32 vcc_lo, exec_lo, s14
	s_cbranch_vccz .LBB79_2328
; %bb.2327:
	global_load_u8 v5, v[12:13], off
	s_wait_loadcnt 0x0
	v_lshlrev_b32_e32 v5, 24, v5
	s_delay_alu instid0(VALU_DEP_1) | instskip(NEXT) | instid1(VALU_DEP_1)
	v_and_b32_e32 v7, 0x7f000000, v5
	v_clz_i32_u32_e32 v9, v7
	v_add_nc_u32_e32 v15, 0x1000000, v7
	v_cmp_ne_u32_e32 vcc_lo, 0, v7
	s_delay_alu instid0(VALU_DEP_3) | instskip(NEXT) | instid1(VALU_DEP_1)
	v_min_u32_e32 v9, 32, v9
	v_sub_nc_u32_e64 v9, v9, 4 clamp
	s_delay_alu instid0(VALU_DEP_1) | instskip(NEXT) | instid1(VALU_DEP_1)
	v_dual_lshlrev_b32 v11, v9, v7 :: v_dual_lshlrev_b32 v9, 23, v9
	v_lshrrev_b32_e32 v11, 4, v11
	s_delay_alu instid0(VALU_DEP_1) | instskip(NEXT) | instid1(VALU_DEP_1)
	v_dual_sub_nc_u32 v9, v11, v9 :: v_dual_ashrrev_i32 v11, 8, v15
	v_add_nc_u32_e32 v9, 0x3c000000, v9
	s_delay_alu instid0(VALU_DEP_1) | instskip(NEXT) | instid1(VALU_DEP_1)
	v_and_or_b32 v9, 0x7f800000, v11, v9
	v_cndmask_b32_e32 v7, 0, v9, vcc_lo
	s_delay_alu instid0(VALU_DEP_1) | instskip(SKIP_1) | instid1(VALU_DEP_1)
	v_and_or_b32 v5, 0x80000000, v5, v7
	s_wait_xcnt 0x1
	v_cvt_i32_f32_e32 v16, v5
.LBB79_2328:
	s_mov_b32 s14, 0
.LBB79_2329:
	s_delay_alu instid0(SALU_CYCLE_1)
	s_and_not1_b32 vcc_lo, exec_lo, s14
	s_cbranch_vccnz .LBB79_2331
; %bb.2330:
	global_load_u8 v5, v[12:13], off
	s_wait_loadcnt 0x0
	v_lshlrev_b32_e32 v7, 25, v5
	v_lshlrev_b16 v5, 8, v5
	s_delay_alu instid0(VALU_DEP_1) | instskip(SKIP_1) | instid1(VALU_DEP_2)
	v_and_or_b32 v11, 0x7f00, v5, 0.5
	v_bfe_i32 v5, v5, 0, 16
	v_add_f32_e32 v11, -0.5, v11
	v_lshrrev_b32_e32 v9, 4, v7
	v_cmp_gt_u32_e32 vcc_lo, 0x8000000, v7
	s_delay_alu instid0(VALU_DEP_2) | instskip(NEXT) | instid1(VALU_DEP_1)
	v_or_b32_e32 v9, 0x70000000, v9
	v_mul_f32_e32 v9, 0x7800000, v9
	s_delay_alu instid0(VALU_DEP_1) | instskip(NEXT) | instid1(VALU_DEP_1)
	v_cndmask_b32_e32 v7, v9, v11, vcc_lo
	v_and_or_b32 v5, 0x80000000, v5, v7
	s_wait_xcnt 0x1
	s_delay_alu instid0(VALU_DEP_1)
	v_cvt_i32_f32_e32 v16, v5
.LBB79_2331:
	s_mov_b32 s14, 0
	s_mov_b32 s15, -1
.LBB79_2332:
	s_and_not1_b32 vcc_lo, exec_lo, s14
	s_mov_b32 s14, 0
	s_cbranch_vccnz .LBB79_2343
; %bb.2333:
	s_cmp_gt_i32 s12, 14
	s_cbranch_scc0 .LBB79_2336
; %bb.2334:
	s_cmp_eq_u32 s12, 15
	s_cbranch_scc0 .LBB79_2339
; %bb.2335:
	global_load_u16 v5, v[12:13], off
	s_mov_b32 s13, 0
	s_mov_b32 s15, -1
	s_wait_loadcnt 0x0
	v_lshlrev_b32_e32 v5, 16, v5
	s_wait_xcnt 0x1
	s_delay_alu instid0(VALU_DEP_1)
	v_cvt_i32_f32_e32 v16, v5
	s_branch .LBB79_2341
.LBB79_2336:
	s_mov_b32 s14, -1
	s_branch .LBB79_2340
.LBB79_2337:
	s_and_not1_saveexec_b32 s14, s14
	s_cbranch_execz .LBB79_2318
.LBB79_2338:
	v_cmp_ne_u16_e32 vcc_lo, 0, v5
	s_and_not1_b32 s15, s15, exec_lo
	s_and_b32 s16, vcc_lo, exec_lo
	s_delay_alu instid0(SALU_CYCLE_1)
	s_or_b32 s15, s15, s16
	s_or_b32 exec_lo, exec_lo, s14
	v_mov_b32_e32 v16, 0
	s_and_saveexec_b32 s14, s15
	s_cbranch_execnz .LBB79_2319
	s_branch .LBB79_2320
.LBB79_2339:
	s_mov_b32 s13, -1
.LBB79_2340:
                                        ; implicit-def: $vgpr16
.LBB79_2341:
	s_and_b32 vcc_lo, exec_lo, s14
	s_mov_b32 s14, 0
	s_cbranch_vccz .LBB79_2343
; %bb.2342:
	s_cmp_lg_u32 s12, 11
	s_mov_b32 s14, -1
	s_cselect_b32 s13, -1, 0
.LBB79_2343:
	s_delay_alu instid0(SALU_CYCLE_1)
	s_and_b32 vcc_lo, exec_lo, s13
	s_cbranch_vccnz .LBB79_2414
; %bb.2344:
	s_and_not1_b32 vcc_lo, exec_lo, s14
	s_cbranch_vccnz .LBB79_2346
.LBB79_2345:
	global_load_u8 v5, v[12:13], off
	s_mov_b32 s15, -1
	s_wait_loadcnt 0x0
	v_cmp_ne_u16_e32 vcc_lo, 0, v5
	s_wait_xcnt 0x1
	v_cndmask_b32_e64 v16, 0, 1, vcc_lo
.LBB79_2346:
	s_mov_b32 s13, 0
.LBB79_2347:
	s_delay_alu instid0(SALU_CYCLE_1)
	s_and_b32 vcc_lo, exec_lo, s13
	s_cbranch_vccz .LBB79_2396
; %bb.2348:
	s_cmp_lt_i32 s12, 5
	s_cbranch_scc1 .LBB79_2353
; %bb.2349:
	s_cmp_lt_i32 s12, 8
	s_cbranch_scc1 .LBB79_2354
	;; [unrolled: 3-line block ×3, first 2 shown]
; %bb.2351:
	s_cmp_gt_i32 s12, 9
	s_cbranch_scc0 .LBB79_2356
; %bb.2352:
	s_wait_loadcnt 0x0
	global_load_b64 v[16:17], v[12:13], off
	s_mov_b32 s13, 0
	s_wait_loadcnt 0x0
	v_cvt_i32_f64_e32 v16, v[16:17]
	s_branch .LBB79_2357
.LBB79_2353:
	s_mov_b32 s13, -1
                                        ; implicit-def: $vgpr16
	s_branch .LBB79_2375
.LBB79_2354:
	s_mov_b32 s13, -1
                                        ; implicit-def: $vgpr16
	s_branch .LBB79_2363
.LBB79_2355:
	s_mov_b32 s13, -1
                                        ; implicit-def: $vgpr16
	s_branch .LBB79_2360
.LBB79_2356:
	s_mov_b32 s13, -1
                                        ; implicit-def: $vgpr16
.LBB79_2357:
	s_delay_alu instid0(SALU_CYCLE_1)
	s_and_not1_b32 vcc_lo, exec_lo, s13
	s_cbranch_vccnz .LBB79_2359
; %bb.2358:
	global_load_b32 v5, v[12:13], off
	s_wait_loadcnt 0x0
	s_wait_xcnt 0x1
	v_cvt_i32_f32_e32 v16, v5
.LBB79_2359:
	s_mov_b32 s13, 0
.LBB79_2360:
	s_delay_alu instid0(SALU_CYCLE_1)
	s_and_not1_b32 vcc_lo, exec_lo, s13
	s_cbranch_vccnz .LBB79_2362
; %bb.2361:
	global_load_b32 v5, v[12:13], off
	s_wait_loadcnt 0x0
	s_wait_xcnt 0x1
	v_cvt_i16_f16_e32 v16, v5
.LBB79_2362:
	s_mov_b32 s13, 0
.LBB79_2363:
	s_delay_alu instid0(SALU_CYCLE_1)
	s_and_not1_b32 vcc_lo, exec_lo, s13
	s_cbranch_vccnz .LBB79_2374
; %bb.2364:
	s_cmp_lt_i32 s12, 6
	s_cbranch_scc1 .LBB79_2367
; %bb.2365:
	s_cmp_gt_i32 s12, 6
	s_cbranch_scc0 .LBB79_2368
; %bb.2366:
	s_wait_loadcnt 0x0
	global_load_b64 v[16:17], v[12:13], off
	s_mov_b32 s13, 0
	s_wait_loadcnt 0x0
	v_cvt_i32_f64_e32 v16, v[16:17]
	s_branch .LBB79_2369
.LBB79_2367:
	s_mov_b32 s13, -1
                                        ; implicit-def: $vgpr16
	s_branch .LBB79_2372
.LBB79_2368:
	s_mov_b32 s13, -1
                                        ; implicit-def: $vgpr16
.LBB79_2369:
	s_delay_alu instid0(SALU_CYCLE_1)
	s_and_not1_b32 vcc_lo, exec_lo, s13
	s_cbranch_vccnz .LBB79_2371
; %bb.2370:
	global_load_b32 v5, v[12:13], off
	s_wait_loadcnt 0x0
	s_wait_xcnt 0x1
	v_cvt_i32_f32_e32 v16, v5
.LBB79_2371:
	s_mov_b32 s13, 0
.LBB79_2372:
	s_delay_alu instid0(SALU_CYCLE_1)
	s_and_not1_b32 vcc_lo, exec_lo, s13
	s_cbranch_vccnz .LBB79_2374
; %bb.2373:
	global_load_u16 v5, v[12:13], off
	s_wait_loadcnt 0x0
	s_wait_xcnt 0x1
	v_cvt_i16_f16_e32 v16, v5
.LBB79_2374:
	s_mov_b32 s13, 0
.LBB79_2375:
	s_delay_alu instid0(SALU_CYCLE_1)
	s_and_not1_b32 vcc_lo, exec_lo, s13
	s_cbranch_vccnz .LBB79_2395
; %bb.2376:
	s_cmp_lt_i32 s12, 2
	s_cbranch_scc1 .LBB79_2380
; %bb.2377:
	s_cmp_lt_i32 s12, 3
	s_cbranch_scc1 .LBB79_2381
; %bb.2378:
	s_cmp_gt_i32 s12, 3
	s_cbranch_scc0 .LBB79_2382
; %bb.2379:
	s_wait_loadcnt 0x0
	global_load_b64 v[16:17], v[12:13], off
	s_mov_b32 s13, 0
	s_branch .LBB79_2383
.LBB79_2380:
	s_mov_b32 s13, -1
                                        ; implicit-def: $vgpr16
	s_branch .LBB79_2389
.LBB79_2381:
	s_mov_b32 s13, -1
                                        ; implicit-def: $vgpr16
	s_branch .LBB79_2386
.LBB79_2382:
	s_mov_b32 s13, -1
                                        ; implicit-def: $vgpr16
.LBB79_2383:
	s_delay_alu instid0(SALU_CYCLE_1)
	s_and_not1_b32 vcc_lo, exec_lo, s13
	s_cbranch_vccnz .LBB79_2385
; %bb.2384:
	s_wait_loadcnt 0x0
	global_load_b32 v16, v[12:13], off
.LBB79_2385:
	s_mov_b32 s13, 0
.LBB79_2386:
	s_delay_alu instid0(SALU_CYCLE_1)
	s_and_not1_b32 vcc_lo, exec_lo, s13
	s_cbranch_vccnz .LBB79_2388
; %bb.2387:
	s_wait_loadcnt 0x0
	global_load_u16 v16, v[12:13], off
.LBB79_2388:
	s_mov_b32 s13, 0
.LBB79_2389:
	s_delay_alu instid0(SALU_CYCLE_1)
	s_and_not1_b32 vcc_lo, exec_lo, s13
	s_cbranch_vccnz .LBB79_2395
; %bb.2390:
	s_cmp_gt_i32 s12, 0
	s_mov_b32 s13, 0
	s_cbranch_scc0 .LBB79_2392
; %bb.2391:
	s_wait_loadcnt 0x0
	global_load_i8 v16, v[12:13], off
	s_branch .LBB79_2393
.LBB79_2392:
	s_mov_b32 s13, -1
                                        ; implicit-def: $vgpr16
.LBB79_2393:
	s_delay_alu instid0(SALU_CYCLE_1)
	s_and_not1_b32 vcc_lo, exec_lo, s13
	s_cbranch_vccnz .LBB79_2395
; %bb.2394:
	s_wait_loadcnt 0x0
	global_load_u8 v16, v[12:13], off
.LBB79_2395:
	s_mov_b32 s15, -1
.LBB79_2396:
	s_delay_alu instid0(SALU_CYCLE_1)
	s_and_not1_b32 vcc_lo, exec_lo, s15
	s_cbranch_vccnz .LBB79_2741
; %bb.2397:
	s_wait_loadcnt 0x0
	s_delay_alu instid0(VALU_DEP_1) | instskip(SKIP_2) | instid1(VALU_DEP_1)
	v_sub_nc_u16 v5, 0, v16
	s_mov_b32 s14, 0
	s_mov_b32 s13, exec_lo
	v_max_i16 v5, v16, v5
	s_wait_xcnt 0x0
	v_cmpx_ne_u16_e32 0, v14
	s_cbranch_execz .LBB79_2401
; %bb.2398:
	v_sub_nc_u16 v7, 0, v14
	s_delay_alu instid0(VALU_DEP_1) | instskip(SKIP_1) | instid1(VALU_DEP_2)
	v_max_i16 v9, v14, v7
	v_and_b32_e32 v7, 0xffff, v5
	v_and_b32_e32 v9, 0xffff, v9
.LBB79_2399:                            ; =>This Inner Loop Header: Depth=1
	s_delay_alu instid0(VALU_DEP_1) | instskip(NEXT) | instid1(VALU_DEP_2)
	v_bfe_i32 v12, v7, 0, 16
	v_mov_b32_e32 v5, v9
	s_delay_alu instid0(VALU_DEP_2) | instskip(NEXT) | instid1(VALU_DEP_2)
	v_cvt_f32_i32_e32 v15, v12
	v_bfe_i32 v9, v5, 0, 16
	s_delay_alu instid0(VALU_DEP_1) | instskip(SKIP_1) | instid1(VALU_DEP_2)
	v_cvt_f32_i32_e32 v11, v9
	v_xor_b32_e32 v9, v12, v9
	v_rcp_iflag_f32_e32 v13, v11
	v_nop
	s_delay_alu instid0(TRANS32_DEP_1) | instskip(NEXT) | instid1(VALU_DEP_1)
	v_mul_f32_e32 v12, v15, v13
	v_trunc_f32_e32 v12, v12
	s_delay_alu instid0(VALU_DEP_1) | instskip(NEXT) | instid1(VALU_DEP_1)
	v_dual_ashrrev_i32 v9, 30, v9 :: v_dual_fma_f32 v13, -v12, v11, v15
	v_or_b32_e32 v9, 1, v9
	v_cvt_i32_f32_e32 v12, v12
	s_delay_alu instid0(VALU_DEP_3) | instskip(NEXT) | instid1(VALU_DEP_3)
	v_cmp_ge_f32_e64 vcc_lo, |v13|, |v11|
	v_cndmask_b32_e32 v9, 0, v9, vcc_lo
	s_delay_alu instid0(VALU_DEP_1) | instskip(NEXT) | instid1(VALU_DEP_1)
	v_add_nc_u32_e32 v9, v12, v9
	v_mul_lo_u32 v9, v9, v5
	s_delay_alu instid0(VALU_DEP_1) | instskip(NEXT) | instid1(VALU_DEP_1)
	v_sub_nc_u32_e32 v9, v7, v9
	v_and_b32_e32 v7, 0xffff, v9
	v_bfe_i32 v9, v9, 0, 16
	s_delay_alu instid0(VALU_DEP_2) | instskip(SKIP_2) | instid1(SALU_CYCLE_1)
	v_cmp_eq_u32_e32 vcc_lo, 0, v7
	v_mov_b32_e32 v7, v5
	s_or_b32 s14, vcc_lo, s14
	s_and_not1_b32 exec_lo, exec_lo, s14
	s_cbranch_execnz .LBB79_2399
; %bb.2400:
	s_or_b32 exec_lo, exec_lo, s14
.LBB79_2401:
	s_delay_alu instid0(SALU_CYCLE_1)
	s_or_b32 exec_lo, exec_lo, s13
	v_mov_b32_e32 v15, 0
	s_mov_b32 s13, exec_lo
	v_cmpx_ne_u16_e32 0, v5
	s_cbranch_execz .LBB79_2403
; %bb.2402:
	v_bfe_i32 v5, v5, 0, 16
	v_bfe_i32 v9, v14, 0, 16
	s_delay_alu instid0(VALU_DEP_2) | instskip(NEXT) | instid1(VALU_DEP_2)
	v_cvt_f32_i32_e32 v7, v5
	v_cvt_f32_i32_e32 v12, v9
	v_xor_b32_e32 v5, v9, v5
	s_delay_alu instid0(VALU_DEP_3) | instskip(SKIP_1) | instid1(TRANS32_DEP_1)
	v_rcp_iflag_f32_e32 v11, v7
	v_nop
	v_mul_f32_e32 v11, v12, v11
	s_delay_alu instid0(VALU_DEP_1) | instskip(NEXT) | instid1(VALU_DEP_1)
	v_trunc_f32_e32 v9, v11
	v_dual_ashrrev_i32 v5, 30, v5 :: v_dual_fma_f32 v11, -v9, v7, v12
	s_delay_alu instid0(VALU_DEP_1) | instskip(SKIP_1) | instid1(VALU_DEP_3)
	v_or_b32_e32 v5, 1, v5
	v_cvt_i32_f32_e32 v9, v9
	v_cmp_ge_f32_e64 vcc_lo, |v11|, |v7|
	v_bfe_i32 v7, v16, 0, 16
	s_delay_alu instid0(VALU_DEP_4) | instskip(NEXT) | instid1(VALU_DEP_1)
	v_cndmask_b32_e32 v5, 0, v5, vcc_lo
	v_add_nc_u32_e32 v5, v9, v5
	s_delay_alu instid0(VALU_DEP_1) | instskip(NEXT) | instid1(VALU_DEP_1)
	v_bfe_i32 v5, v5, 0, 16
	v_mul_i32_i24_e32 v5, v5, v7
	s_delay_alu instid0(VALU_DEP_1) | instskip(NEXT) | instid1(VALU_DEP_1)
	v_sub_nc_u32_e32 v7, 0, v5
	v_max_i32_e32 v15, v5, v7
.LBB79_2403:
	s_or_b32 exec_lo, exec_lo, s13
	v_mov_b32_e32 v11, 0
	s_cmp_lt_i32 s11, 11
	s_delay_alu instid0(VALU_DEP_1)
	v_add_nc_u64_e32 v[12:13], s[6:7], v[10:11]
	s_cbranch_scc1 .LBB79_2410
; %bb.2404:
	s_cmp_gt_i32 s11, 25
	s_mov_b32 s7, 0
	s_cbranch_scc0 .LBB79_2411
; %bb.2405:
	s_cmp_gt_i32 s11, 28
	s_cbranch_scc0 .LBB79_2412
; %bb.2406:
	s_cmp_gt_i32 s11, 43
	;; [unrolled: 3-line block ×3, first 2 shown]
	s_cbranch_scc0 .LBB79_2415
; %bb.2408:
	s_cmp_eq_u32 s11, 46
	s_mov_b32 s14, 0
	s_cbranch_scc0 .LBB79_2416
; %bb.2409:
	global_load_b32 v5, v[12:13], off
	s_mov_b32 s6, 0
	s_mov_b32 s13, -1
	s_wait_loadcnt 0x0
	v_lshlrev_b32_e32 v5, 16, v5
	s_delay_alu instid0(VALU_DEP_1)
	v_cvt_i32_f32_e32 v10, v5
	s_branch .LBB79_2418
.LBB79_2410:
	s_mov_b32 s6, -1
	s_mov_b32 s13, 0
                                        ; implicit-def: $vgpr10
	s_branch .LBB79_2480
.LBB79_2411:
	s_mov_b32 s14, -1
	s_mov_b32 s13, 0
	s_mov_b32 s6, 0
                                        ; implicit-def: $vgpr10
	s_branch .LBB79_2445
.LBB79_2412:
	s_mov_b32 s14, -1
	s_mov_b32 s13, 0
	s_mov_b32 s6, 0
                                        ; implicit-def: $vgpr10
	s_branch .LBB79_2428
.LBB79_2413:
	s_mov_b32 s14, -1
	s_mov_b32 s13, 0
	s_mov_b32 s6, 0
                                        ; implicit-def: $vgpr10
	s_branch .LBB79_2423
.LBB79_2414:
	s_or_b32 s10, s10, exec_lo
	s_trap 2
	s_cbranch_execz .LBB79_2345
	s_branch .LBB79_2346
.LBB79_2415:
	s_mov_b32 s14, -1
	s_mov_b32 s13, 0
	s_mov_b32 s6, 0
	s_branch .LBB79_2417
.LBB79_2416:
	s_mov_b32 s6, -1
	s_mov_b32 s13, 0
.LBB79_2417:
                                        ; implicit-def: $vgpr10
.LBB79_2418:
	s_and_b32 vcc_lo, exec_lo, s14
	s_cbranch_vccz .LBB79_2422
; %bb.2419:
	s_cmp_eq_u32 s11, 44
	s_cbranch_scc0 .LBB79_2421
; %bb.2420:
	global_load_u8 v5, v[12:13], off
	s_mov_b32 s6, 0
	s_mov_b32 s13, -1
	s_wait_loadcnt 0x0
	v_lshlrev_b32_e32 v7, 23, v5
	v_cmp_ne_u32_e32 vcc_lo, 0, v5
	s_delay_alu instid0(VALU_DEP_2) | instskip(NEXT) | instid1(VALU_DEP_1)
	v_cvt_i32_f32_e32 v7, v7
	v_cndmask_b32_e32 v10, 0, v7, vcc_lo
	s_branch .LBB79_2422
.LBB79_2421:
	s_mov_b32 s6, -1
                                        ; implicit-def: $vgpr10
.LBB79_2422:
	s_mov_b32 s14, 0
.LBB79_2423:
	s_delay_alu instid0(SALU_CYCLE_1)
	s_and_b32 vcc_lo, exec_lo, s14
	s_cbranch_vccz .LBB79_2427
; %bb.2424:
	s_cmp_eq_u32 s11, 29
	s_cbranch_scc0 .LBB79_2426
; %bb.2425:
	global_load_b64 v[10:11], v[12:13], off
	s_mov_b32 s6, 0
	s_mov_b32 s13, -1
	s_branch .LBB79_2427
.LBB79_2426:
	s_mov_b32 s6, -1
                                        ; implicit-def: $vgpr10
.LBB79_2427:
	s_mov_b32 s14, 0
.LBB79_2428:
	s_delay_alu instid0(SALU_CYCLE_1)
	s_and_b32 vcc_lo, exec_lo, s14
	s_cbranch_vccz .LBB79_2444
; %bb.2429:
	s_cmp_lt_i32 s11, 27
	s_cbranch_scc1 .LBB79_2432
; %bb.2430:
	s_cmp_gt_i32 s11, 27
	s_cbranch_scc0 .LBB79_2433
; %bb.2431:
	s_wait_loadcnt 0x0
	global_load_b32 v10, v[12:13], off
	s_mov_b32 s13, 0
	s_branch .LBB79_2434
.LBB79_2432:
	s_mov_b32 s13, -1
                                        ; implicit-def: $vgpr10
	s_branch .LBB79_2437
.LBB79_2433:
	s_mov_b32 s13, -1
                                        ; implicit-def: $vgpr10
.LBB79_2434:
	s_delay_alu instid0(SALU_CYCLE_1)
	s_and_not1_b32 vcc_lo, exec_lo, s13
	s_cbranch_vccnz .LBB79_2436
; %bb.2435:
	s_wait_loadcnt 0x0
	global_load_u16 v10, v[12:13], off
.LBB79_2436:
	s_mov_b32 s13, 0
.LBB79_2437:
	s_delay_alu instid0(SALU_CYCLE_1)
	s_and_not1_b32 vcc_lo, exec_lo, s13
	s_cbranch_vccnz .LBB79_2443
; %bb.2438:
	global_load_u8 v5, v[12:13], off
	s_mov_b32 s14, 0
	s_mov_b32 s13, exec_lo
	s_wait_loadcnt 0x0
	v_cmpx_lt_i16_e32 0x7f, v5
	s_xor_b32 s13, exec_lo, s13
	s_cbranch_execz .LBB79_2455
; %bb.2439:
	v_cmp_ne_u16_e32 vcc_lo, 0x80, v5
	s_and_b32 s14, vcc_lo, exec_lo
	s_and_not1_saveexec_b32 s13, s13
	s_cbranch_execnz .LBB79_2456
.LBB79_2440:
	s_or_b32 exec_lo, exec_lo, s13
	v_mov_b32_e32 v10, 0
	s_and_saveexec_b32 s13, s14
	s_cbranch_execz .LBB79_2442
.LBB79_2441:
	v_and_b32_e32 v7, 0xffff, v5
	s_delay_alu instid0(VALU_DEP_1) | instskip(SKIP_1) | instid1(VALU_DEP_2)
	v_and_b32_e32 v9, 7, v7
	v_bfe_u32 v14, v7, 3, 4
	v_clz_i32_u32_e32 v10, v9
	s_delay_alu instid0(VALU_DEP_2) | instskip(NEXT) | instid1(VALU_DEP_2)
	v_cmp_eq_u32_e32 vcc_lo, 0, v14
	v_min_u32_e32 v10, 32, v10
	s_delay_alu instid0(VALU_DEP_1) | instskip(NEXT) | instid1(VALU_DEP_1)
	v_subrev_nc_u32_e32 v11, 28, v10
	v_dual_lshlrev_b32 v7, v11, v7 :: v_dual_sub_nc_u32 v10, 29, v10
	s_delay_alu instid0(VALU_DEP_1) | instskip(NEXT) | instid1(VALU_DEP_1)
	v_dual_lshlrev_b32 v5, 24, v5 :: v_dual_bitop2_b32 v7, 7, v7 bitop3:0x40
	v_dual_cndmask_b32 v10, v14, v10 :: v_dual_cndmask_b32 v7, v9, v7
	s_delay_alu instid0(VALU_DEP_2) | instskip(NEXT) | instid1(VALU_DEP_2)
	v_and_b32_e32 v5, 0x80000000, v5
	v_lshl_add_u32 v9, v10, 23, 0x3b800000
	s_delay_alu instid0(VALU_DEP_3) | instskip(NEXT) | instid1(VALU_DEP_1)
	v_lshlrev_b32_e32 v7, 20, v7
	v_or3_b32 v5, v5, v9, v7
	s_delay_alu instid0(VALU_DEP_1)
	v_cvt_i32_f32_e32 v10, v5
.LBB79_2442:
	s_or_b32 exec_lo, exec_lo, s13
.LBB79_2443:
	s_mov_b32 s13, -1
.LBB79_2444:
	s_mov_b32 s14, 0
.LBB79_2445:
	s_delay_alu instid0(SALU_CYCLE_1)
	s_and_b32 vcc_lo, exec_lo, s14
	s_cbranch_vccz .LBB79_2476
; %bb.2446:
	s_cmp_gt_i32 s11, 22
	s_cbranch_scc0 .LBB79_2454
; %bb.2447:
	s_cmp_lt_i32 s11, 24
	s_cbranch_scc1 .LBB79_2457
; %bb.2448:
	s_cmp_gt_i32 s11, 24
	s_cbranch_scc0 .LBB79_2458
; %bb.2449:
	global_load_u8 v5, v[12:13], off
	s_mov_b32 s13, 0
	s_mov_b32 s7, exec_lo
	s_wait_loadcnt 0x0
	v_cmpx_lt_i16_e32 0x7f, v5
	s_xor_b32 s7, exec_lo, s7
	s_cbranch_execz .LBB79_2470
; %bb.2450:
	v_cmp_ne_u16_e32 vcc_lo, 0x80, v5
	s_and_b32 s13, vcc_lo, exec_lo
	s_and_not1_saveexec_b32 s7, s7
	s_cbranch_execnz .LBB79_2471
.LBB79_2451:
	s_or_b32 exec_lo, exec_lo, s7
	v_mov_b32_e32 v10, 0
	s_and_saveexec_b32 s7, s13
	s_cbranch_execz .LBB79_2453
.LBB79_2452:
	v_and_b32_e32 v7, 0xffff, v5
	s_delay_alu instid0(VALU_DEP_1) | instskip(SKIP_1) | instid1(VALU_DEP_2)
	v_and_b32_e32 v9, 3, v7
	v_bfe_u32 v14, v7, 2, 5
	v_clz_i32_u32_e32 v10, v9
	s_delay_alu instid0(VALU_DEP_2) | instskip(NEXT) | instid1(VALU_DEP_2)
	v_cmp_eq_u32_e32 vcc_lo, 0, v14
	v_min_u32_e32 v10, 32, v10
	s_delay_alu instid0(VALU_DEP_1) | instskip(NEXT) | instid1(VALU_DEP_1)
	v_subrev_nc_u32_e32 v11, 29, v10
	v_dual_lshlrev_b32 v7, v11, v7 :: v_dual_sub_nc_u32 v10, 30, v10
	s_delay_alu instid0(VALU_DEP_1) | instskip(NEXT) | instid1(VALU_DEP_1)
	v_dual_lshlrev_b32 v5, 24, v5 :: v_dual_bitop2_b32 v7, 3, v7 bitop3:0x40
	v_dual_cndmask_b32 v10, v14, v10 :: v_dual_cndmask_b32 v7, v9, v7
	s_delay_alu instid0(VALU_DEP_2) | instskip(NEXT) | instid1(VALU_DEP_2)
	v_and_b32_e32 v5, 0x80000000, v5
	v_lshl_add_u32 v9, v10, 23, 0x37800000
	s_delay_alu instid0(VALU_DEP_3) | instskip(NEXT) | instid1(VALU_DEP_1)
	v_lshlrev_b32_e32 v7, 21, v7
	v_or3_b32 v5, v5, v9, v7
	s_delay_alu instid0(VALU_DEP_1)
	v_cvt_i32_f32_e32 v10, v5
.LBB79_2453:
	s_or_b32 exec_lo, exec_lo, s7
	s_mov_b32 s7, 0
	s_branch .LBB79_2459
.LBB79_2454:
	s_mov_b32 s7, -1
                                        ; implicit-def: $vgpr10
	s_branch .LBB79_2465
.LBB79_2455:
	s_and_not1_saveexec_b32 s13, s13
	s_cbranch_execz .LBB79_2440
.LBB79_2456:
	v_cmp_ne_u16_e32 vcc_lo, 0, v5
	s_and_not1_b32 s14, s14, exec_lo
	s_and_b32 s15, vcc_lo, exec_lo
	s_delay_alu instid0(SALU_CYCLE_1)
	s_or_b32 s14, s14, s15
	s_or_b32 exec_lo, exec_lo, s13
	v_mov_b32_e32 v10, 0
	s_and_saveexec_b32 s13, s14
	s_cbranch_execnz .LBB79_2441
	s_branch .LBB79_2442
.LBB79_2457:
	s_mov_b32 s7, -1
                                        ; implicit-def: $vgpr10
	s_branch .LBB79_2462
.LBB79_2458:
	s_mov_b32 s7, -1
                                        ; implicit-def: $vgpr10
.LBB79_2459:
	s_delay_alu instid0(SALU_CYCLE_1)
	s_and_b32 vcc_lo, exec_lo, s7
	s_cbranch_vccz .LBB79_2461
; %bb.2460:
	global_load_u8 v5, v[12:13], off
	s_wait_loadcnt 0x0
	v_lshlrev_b32_e32 v5, 24, v5
	s_delay_alu instid0(VALU_DEP_1) | instskip(NEXT) | instid1(VALU_DEP_1)
	v_and_b32_e32 v7, 0x7f000000, v5
	v_clz_i32_u32_e32 v9, v7
	v_add_nc_u32_e32 v11, 0x1000000, v7
	v_cmp_ne_u32_e32 vcc_lo, 0, v7
	s_delay_alu instid0(VALU_DEP_3) | instskip(NEXT) | instid1(VALU_DEP_1)
	v_min_u32_e32 v9, 32, v9
	v_sub_nc_u32_e64 v9, v9, 4 clamp
	s_delay_alu instid0(VALU_DEP_1) | instskip(NEXT) | instid1(VALU_DEP_1)
	v_dual_lshlrev_b32 v10, v9, v7 :: v_dual_lshlrev_b32 v9, 23, v9
	v_lshrrev_b32_e32 v10, 4, v10
	s_delay_alu instid0(VALU_DEP_1) | instskip(NEXT) | instid1(VALU_DEP_1)
	v_dual_sub_nc_u32 v9, v10, v9 :: v_dual_ashrrev_i32 v10, 8, v11
	v_add_nc_u32_e32 v9, 0x3c000000, v9
	s_delay_alu instid0(VALU_DEP_1) | instskip(NEXT) | instid1(VALU_DEP_1)
	v_and_or_b32 v9, 0x7f800000, v10, v9
	v_cndmask_b32_e32 v7, 0, v9, vcc_lo
	s_delay_alu instid0(VALU_DEP_1) | instskip(NEXT) | instid1(VALU_DEP_1)
	v_and_or_b32 v5, 0x80000000, v5, v7
	v_cvt_i32_f32_e32 v10, v5
.LBB79_2461:
	s_mov_b32 s7, 0
.LBB79_2462:
	s_delay_alu instid0(SALU_CYCLE_1)
	s_and_not1_b32 vcc_lo, exec_lo, s7
	s_cbranch_vccnz .LBB79_2464
; %bb.2463:
	global_load_u8 v5, v[12:13], off
	s_wait_loadcnt 0x0
	v_lshlrev_b32_e32 v7, 25, v5
	v_lshlrev_b16 v5, 8, v5
	s_delay_alu instid0(VALU_DEP_1) | instskip(SKIP_1) | instid1(VALU_DEP_2)
	v_and_or_b32 v10, 0x7f00, v5, 0.5
	v_bfe_i32 v5, v5, 0, 16
	v_dual_add_f32 v10, -0.5, v10 :: v_dual_lshrrev_b32 v9, 4, v7
	v_cmp_gt_u32_e32 vcc_lo, 0x8000000, v7
	s_delay_alu instid0(VALU_DEP_2) | instskip(NEXT) | instid1(VALU_DEP_1)
	v_or_b32_e32 v9, 0x70000000, v9
	v_mul_f32_e32 v9, 0x7800000, v9
	s_delay_alu instid0(VALU_DEP_1) | instskip(NEXT) | instid1(VALU_DEP_1)
	v_cndmask_b32_e32 v7, v9, v10, vcc_lo
	v_and_or_b32 v5, 0x80000000, v5, v7
	s_delay_alu instid0(VALU_DEP_1)
	v_cvt_i32_f32_e32 v10, v5
.LBB79_2464:
	s_mov_b32 s7, 0
	s_mov_b32 s13, -1
.LBB79_2465:
	s_and_not1_b32 vcc_lo, exec_lo, s7
	s_mov_b32 s7, 0
	s_cbranch_vccnz .LBB79_2476
; %bb.2466:
	s_cmp_gt_i32 s11, 14
	s_cbranch_scc0 .LBB79_2469
; %bb.2467:
	s_cmp_eq_u32 s11, 15
	s_cbranch_scc0 .LBB79_2472
; %bb.2468:
	global_load_u16 v5, v[12:13], off
	s_mov_b32 s6, 0
	s_mov_b32 s13, -1
	s_wait_loadcnt 0x0
	v_lshlrev_b32_e32 v5, 16, v5
	s_delay_alu instid0(VALU_DEP_1)
	v_cvt_i32_f32_e32 v10, v5
	s_branch .LBB79_2474
.LBB79_2469:
	s_mov_b32 s7, -1
	s_branch .LBB79_2473
.LBB79_2470:
	s_and_not1_saveexec_b32 s7, s7
	s_cbranch_execz .LBB79_2451
.LBB79_2471:
	v_cmp_ne_u16_e32 vcc_lo, 0, v5
	s_and_not1_b32 s13, s13, exec_lo
	s_and_b32 s14, vcc_lo, exec_lo
	s_delay_alu instid0(SALU_CYCLE_1)
	s_or_b32 s13, s13, s14
	s_or_b32 exec_lo, exec_lo, s7
	v_mov_b32_e32 v10, 0
	s_and_saveexec_b32 s7, s13
	s_cbranch_execnz .LBB79_2452
	s_branch .LBB79_2453
.LBB79_2472:
	s_mov_b32 s6, -1
.LBB79_2473:
                                        ; implicit-def: $vgpr10
.LBB79_2474:
	s_and_b32 vcc_lo, exec_lo, s7
	s_mov_b32 s7, 0
	s_cbranch_vccz .LBB79_2476
; %bb.2475:
	s_cmp_lg_u32 s11, 11
	s_mov_b32 s7, -1
	s_cselect_b32 s6, -1, 0
.LBB79_2476:
	s_delay_alu instid0(SALU_CYCLE_1)
	s_and_b32 vcc_lo, exec_lo, s6
	s_cbranch_vccnz .LBB79_2541
; %bb.2477:
	s_and_not1_b32 vcc_lo, exec_lo, s7
	s_cbranch_vccnz .LBB79_2479
.LBB79_2478:
	global_load_u8 v5, v[12:13], off
	s_mov_b32 s13, -1
	s_wait_loadcnt 0x0
	v_cmp_ne_u16_e32 vcc_lo, 0, v5
	v_cndmask_b32_e64 v10, 0, 1, vcc_lo
.LBB79_2479:
	s_mov_b32 s6, 0
.LBB79_2480:
	s_delay_alu instid0(SALU_CYCLE_1)
	s_and_b32 vcc_lo, exec_lo, s6
	s_cbranch_vccz .LBB79_2529
; %bb.2481:
	s_cmp_lt_i32 s11, 5
	s_cbranch_scc1 .LBB79_2486
; %bb.2482:
	s_cmp_lt_i32 s11, 8
	s_cbranch_scc1 .LBB79_2487
	;; [unrolled: 3-line block ×3, first 2 shown]
; %bb.2484:
	s_cmp_gt_i32 s11, 9
	s_cbranch_scc0 .LBB79_2489
; %bb.2485:
	s_wait_loadcnt 0x0
	global_load_b64 v[10:11], v[12:13], off
	s_mov_b32 s6, 0
	s_wait_loadcnt 0x0
	v_cvt_i32_f64_e32 v10, v[10:11]
	s_branch .LBB79_2490
.LBB79_2486:
	s_mov_b32 s6, -1
                                        ; implicit-def: $vgpr10
	s_branch .LBB79_2508
.LBB79_2487:
	s_mov_b32 s6, -1
                                        ; implicit-def: $vgpr10
	s_branch .LBB79_2496
.LBB79_2488:
	s_mov_b32 s6, -1
                                        ; implicit-def: $vgpr10
	s_branch .LBB79_2493
.LBB79_2489:
	s_mov_b32 s6, -1
                                        ; implicit-def: $vgpr10
.LBB79_2490:
	s_delay_alu instid0(SALU_CYCLE_1)
	s_and_not1_b32 vcc_lo, exec_lo, s6
	s_cbranch_vccnz .LBB79_2492
; %bb.2491:
	global_load_b32 v5, v[12:13], off
	s_wait_loadcnt 0x0
	v_cvt_i32_f32_e32 v10, v5
.LBB79_2492:
	s_mov_b32 s6, 0
.LBB79_2493:
	s_delay_alu instid0(SALU_CYCLE_1)
	s_and_not1_b32 vcc_lo, exec_lo, s6
	s_cbranch_vccnz .LBB79_2495
; %bb.2494:
	global_load_b32 v5, v[12:13], off
	s_wait_loadcnt 0x0
	v_cvt_i16_f16_e32 v10, v5
.LBB79_2495:
	s_mov_b32 s6, 0
.LBB79_2496:
	s_delay_alu instid0(SALU_CYCLE_1)
	s_and_not1_b32 vcc_lo, exec_lo, s6
	s_cbranch_vccnz .LBB79_2507
; %bb.2497:
	s_cmp_lt_i32 s11, 6
	s_cbranch_scc1 .LBB79_2500
; %bb.2498:
	s_cmp_gt_i32 s11, 6
	s_cbranch_scc0 .LBB79_2501
; %bb.2499:
	s_wait_loadcnt 0x0
	global_load_b64 v[10:11], v[12:13], off
	s_mov_b32 s6, 0
	s_wait_loadcnt 0x0
	v_cvt_i32_f64_e32 v10, v[10:11]
	s_branch .LBB79_2502
.LBB79_2500:
	s_mov_b32 s6, -1
                                        ; implicit-def: $vgpr10
	s_branch .LBB79_2505
.LBB79_2501:
	s_mov_b32 s6, -1
                                        ; implicit-def: $vgpr10
.LBB79_2502:
	s_delay_alu instid0(SALU_CYCLE_1)
	s_and_not1_b32 vcc_lo, exec_lo, s6
	s_cbranch_vccnz .LBB79_2504
; %bb.2503:
	global_load_b32 v5, v[12:13], off
	s_wait_loadcnt 0x0
	v_cvt_i32_f32_e32 v10, v5
.LBB79_2504:
	s_mov_b32 s6, 0
.LBB79_2505:
	s_delay_alu instid0(SALU_CYCLE_1)
	s_and_not1_b32 vcc_lo, exec_lo, s6
	s_cbranch_vccnz .LBB79_2507
; %bb.2506:
	global_load_u16 v5, v[12:13], off
	s_wait_loadcnt 0x0
	v_cvt_i16_f16_e32 v10, v5
.LBB79_2507:
	s_mov_b32 s6, 0
.LBB79_2508:
	s_delay_alu instid0(SALU_CYCLE_1)
	s_and_not1_b32 vcc_lo, exec_lo, s6
	s_cbranch_vccnz .LBB79_2528
; %bb.2509:
	s_cmp_lt_i32 s11, 2
	s_cbranch_scc1 .LBB79_2513
; %bb.2510:
	s_cmp_lt_i32 s11, 3
	s_cbranch_scc1 .LBB79_2514
; %bb.2511:
	s_cmp_gt_i32 s11, 3
	s_cbranch_scc0 .LBB79_2515
; %bb.2512:
	s_wait_loadcnt 0x0
	global_load_b64 v[10:11], v[12:13], off
	s_mov_b32 s6, 0
	s_branch .LBB79_2516
.LBB79_2513:
	s_mov_b32 s6, -1
                                        ; implicit-def: $vgpr10
	s_branch .LBB79_2522
.LBB79_2514:
	s_mov_b32 s6, -1
                                        ; implicit-def: $vgpr10
	s_branch .LBB79_2519
.LBB79_2515:
	s_mov_b32 s6, -1
                                        ; implicit-def: $vgpr10
.LBB79_2516:
	s_delay_alu instid0(SALU_CYCLE_1)
	s_and_not1_b32 vcc_lo, exec_lo, s6
	s_cbranch_vccnz .LBB79_2518
; %bb.2517:
	s_wait_loadcnt 0x0
	global_load_b32 v10, v[12:13], off
.LBB79_2518:
	s_mov_b32 s6, 0
.LBB79_2519:
	s_delay_alu instid0(SALU_CYCLE_1)
	s_and_not1_b32 vcc_lo, exec_lo, s6
	s_cbranch_vccnz .LBB79_2521
; %bb.2520:
	s_wait_loadcnt 0x0
	global_load_u16 v10, v[12:13], off
.LBB79_2521:
	s_mov_b32 s6, 0
.LBB79_2522:
	s_delay_alu instid0(SALU_CYCLE_1)
	s_and_not1_b32 vcc_lo, exec_lo, s6
	s_cbranch_vccnz .LBB79_2528
; %bb.2523:
	s_cmp_gt_i32 s11, 0
	s_mov_b32 s6, 0
	s_cbranch_scc0 .LBB79_2525
; %bb.2524:
	s_wait_loadcnt 0x0
	global_load_i8 v10, v[12:13], off
	s_branch .LBB79_2526
.LBB79_2525:
	s_mov_b32 s6, -1
                                        ; implicit-def: $vgpr10
.LBB79_2526:
	s_delay_alu instid0(SALU_CYCLE_1)
	s_and_not1_b32 vcc_lo, exec_lo, s6
	s_cbranch_vccnz .LBB79_2528
; %bb.2527:
	s_wait_loadcnt 0x0
	global_load_u8 v10, v[12:13], off
.LBB79_2528:
	s_mov_b32 s13, -1
.LBB79_2529:
	s_delay_alu instid0(SALU_CYCLE_1)
	s_and_not1_b32 vcc_lo, exec_lo, s13
	s_cbranch_vccnz .LBB79_2741
; %bb.2530:
	v_mov_b32_e32 v9, 0
	s_cmp_lt_i32 s12, 11
	s_delay_alu instid0(VALU_DEP_1)
	v_add_nc_u64_e32 v[8:9], s[0:1], v[8:9]
	s_cbranch_scc1 .LBB79_2537
; %bb.2531:
	s_cmp_gt_i32 s12, 25
	s_mov_b32 s1, 0
	s_cbranch_scc0 .LBB79_2538
; %bb.2532:
	s_cmp_gt_i32 s12, 28
	s_cbranch_scc0 .LBB79_2539
; %bb.2533:
	s_cmp_gt_i32 s12, 43
	;; [unrolled: 3-line block ×3, first 2 shown]
	s_cbranch_scc0 .LBB79_2542
; %bb.2535:
	s_cmp_eq_u32 s12, 46
	s_mov_b32 s7, 0
	s_cbranch_scc0 .LBB79_2543
; %bb.2536:
	global_load_b32 v5, v[8:9], off
	s_mov_b32 s0, 0
	s_mov_b32 s6, -1
	s_wait_loadcnt 0x0
	v_lshlrev_b32_e32 v5, 16, v5
	s_wait_xcnt 0x1
	s_delay_alu instid0(VALU_DEP_1)
	v_cvt_i32_f32_e32 v12, v5
	s_branch .LBB79_2545
.LBB79_2537:
	s_mov_b32 s0, -1
	s_mov_b32 s6, 0
                                        ; implicit-def: $vgpr12
	s_branch .LBB79_2607
.LBB79_2538:
	s_mov_b32 s7, -1
	s_mov_b32 s6, 0
	s_mov_b32 s0, 0
                                        ; implicit-def: $vgpr12
	s_branch .LBB79_2572
.LBB79_2539:
	s_mov_b32 s7, -1
	s_mov_b32 s6, 0
	s_mov_b32 s0, 0
                                        ; implicit-def: $vgpr12
	s_branch .LBB79_2555
.LBB79_2540:
	s_mov_b32 s7, -1
	s_mov_b32 s6, 0
	s_mov_b32 s0, 0
                                        ; implicit-def: $vgpr12
	s_branch .LBB79_2550
.LBB79_2541:
	s_or_b32 s10, s10, exec_lo
	s_trap 2
	s_cbranch_execz .LBB79_2478
	s_branch .LBB79_2479
.LBB79_2542:
	s_mov_b32 s7, -1
	s_mov_b32 s6, 0
	s_mov_b32 s0, 0
	s_branch .LBB79_2544
.LBB79_2543:
	s_mov_b32 s0, -1
	s_mov_b32 s6, 0
.LBB79_2544:
                                        ; implicit-def: $vgpr12
.LBB79_2545:
	s_and_b32 vcc_lo, exec_lo, s7
	s_cbranch_vccz .LBB79_2549
; %bb.2546:
	s_cmp_eq_u32 s12, 44
	s_cbranch_scc0 .LBB79_2548
; %bb.2547:
	global_load_u8 v5, v[8:9], off
	s_mov_b32 s0, 0
	s_mov_b32 s6, -1
	s_wait_loadcnt 0x0
	v_lshlrev_b32_e32 v7, 23, v5
	v_cmp_ne_u32_e32 vcc_lo, 0, v5
	s_delay_alu instid0(VALU_DEP_2) | instskip(SKIP_1) | instid1(VALU_DEP_1)
	v_cvt_i32_f32_e32 v7, v7
	s_wait_xcnt 0x1
	v_cndmask_b32_e32 v12, 0, v7, vcc_lo
	s_branch .LBB79_2549
.LBB79_2548:
	s_mov_b32 s0, -1
                                        ; implicit-def: $vgpr12
.LBB79_2549:
	s_mov_b32 s7, 0
.LBB79_2550:
	s_delay_alu instid0(SALU_CYCLE_1)
	s_and_b32 vcc_lo, exec_lo, s7
	s_cbranch_vccz .LBB79_2554
; %bb.2551:
	s_cmp_eq_u32 s12, 29
	s_cbranch_scc0 .LBB79_2553
; %bb.2552:
	global_load_b64 v[12:13], v[8:9], off
	s_mov_b32 s0, 0
	s_mov_b32 s6, -1
	s_branch .LBB79_2554
.LBB79_2553:
	s_mov_b32 s0, -1
                                        ; implicit-def: $vgpr12
.LBB79_2554:
	s_mov_b32 s7, 0
.LBB79_2555:
	s_delay_alu instid0(SALU_CYCLE_1)
	s_and_b32 vcc_lo, exec_lo, s7
	s_cbranch_vccz .LBB79_2571
; %bb.2556:
	s_cmp_lt_i32 s12, 27
	s_cbranch_scc1 .LBB79_2559
; %bb.2557:
	s_cmp_gt_i32 s12, 27
	s_cbranch_scc0 .LBB79_2560
; %bb.2558:
	s_wait_loadcnt 0x0
	global_load_b32 v12, v[8:9], off
	s_mov_b32 s6, 0
	s_branch .LBB79_2561
.LBB79_2559:
	s_mov_b32 s6, -1
                                        ; implicit-def: $vgpr12
	s_branch .LBB79_2564
.LBB79_2560:
	s_mov_b32 s6, -1
                                        ; implicit-def: $vgpr12
.LBB79_2561:
	s_delay_alu instid0(SALU_CYCLE_1)
	s_and_not1_b32 vcc_lo, exec_lo, s6
	s_cbranch_vccnz .LBB79_2563
; %bb.2562:
	s_wait_loadcnt 0x0
	global_load_u16 v12, v[8:9], off
.LBB79_2563:
	s_mov_b32 s6, 0
.LBB79_2564:
	s_delay_alu instid0(SALU_CYCLE_1)
	s_and_not1_b32 vcc_lo, exec_lo, s6
	s_cbranch_vccnz .LBB79_2570
; %bb.2565:
	global_load_u8 v5, v[8:9], off
	s_mov_b32 s7, 0
	s_mov_b32 s6, exec_lo
	s_wait_loadcnt 0x0
	v_cmpx_lt_i16_e32 0x7f, v5
	s_xor_b32 s6, exec_lo, s6
	s_cbranch_execz .LBB79_2582
; %bb.2566:
	v_cmp_ne_u16_e32 vcc_lo, 0x80, v5
	s_and_b32 s7, vcc_lo, exec_lo
	s_and_not1_saveexec_b32 s6, s6
	s_cbranch_execnz .LBB79_2583
.LBB79_2567:
	s_or_b32 exec_lo, exec_lo, s6
	v_mov_b32_e32 v12, 0
	s_and_saveexec_b32 s6, s7
	s_cbranch_execz .LBB79_2569
.LBB79_2568:
	v_and_b32_e32 v7, 0xffff, v5
	s_delay_alu instid0(VALU_DEP_1) | instskip(SKIP_1) | instid1(VALU_DEP_2)
	v_and_b32_e32 v11, 7, v7
	v_bfe_u32 v14, v7, 3, 4
	v_clz_i32_u32_e32 v12, v11
	s_delay_alu instid0(VALU_DEP_2) | instskip(NEXT) | instid1(VALU_DEP_2)
	v_cmp_eq_u32_e32 vcc_lo, 0, v14
	v_min_u32_e32 v12, 32, v12
	s_delay_alu instid0(VALU_DEP_1) | instskip(NEXT) | instid1(VALU_DEP_1)
	v_subrev_nc_u32_e32 v13, 28, v12
	v_dual_lshlrev_b32 v7, v13, v7 :: v_dual_sub_nc_u32 v12, 29, v12
	s_delay_alu instid0(VALU_DEP_1) | instskip(NEXT) | instid1(VALU_DEP_1)
	v_dual_lshlrev_b32 v5, 24, v5 :: v_dual_bitop2_b32 v7, 7, v7 bitop3:0x40
	v_dual_cndmask_b32 v12, v14, v12 :: v_dual_cndmask_b32 v7, v11, v7
	s_delay_alu instid0(VALU_DEP_2) | instskip(NEXT) | instid1(VALU_DEP_2)
	v_and_b32_e32 v5, 0x80000000, v5
	v_lshl_add_u32 v11, v12, 23, 0x3b800000
	s_delay_alu instid0(VALU_DEP_3) | instskip(NEXT) | instid1(VALU_DEP_1)
	v_lshlrev_b32_e32 v7, 20, v7
	v_or3_b32 v5, v5, v11, v7
	s_delay_alu instid0(VALU_DEP_1)
	v_cvt_i32_f32_e32 v12, v5
.LBB79_2569:
	s_or_b32 exec_lo, exec_lo, s6
.LBB79_2570:
	s_mov_b32 s6, -1
.LBB79_2571:
	s_mov_b32 s7, 0
.LBB79_2572:
	s_delay_alu instid0(SALU_CYCLE_1)
	s_and_b32 vcc_lo, exec_lo, s7
	s_cbranch_vccz .LBB79_2603
; %bb.2573:
	s_cmp_gt_i32 s12, 22
	s_cbranch_scc0 .LBB79_2581
; %bb.2574:
	s_cmp_lt_i32 s12, 24
	s_cbranch_scc1 .LBB79_2584
; %bb.2575:
	s_cmp_gt_i32 s12, 24
	s_cbranch_scc0 .LBB79_2585
; %bb.2576:
	global_load_u8 v5, v[8:9], off
	s_mov_b32 s6, 0
	s_mov_b32 s1, exec_lo
	s_wait_loadcnt 0x0
	v_cmpx_lt_i16_e32 0x7f, v5
	s_xor_b32 s1, exec_lo, s1
	s_cbranch_execz .LBB79_2597
; %bb.2577:
	v_cmp_ne_u16_e32 vcc_lo, 0x80, v5
	s_and_b32 s6, vcc_lo, exec_lo
	s_and_not1_saveexec_b32 s1, s1
	s_cbranch_execnz .LBB79_2598
.LBB79_2578:
	s_or_b32 exec_lo, exec_lo, s1
	v_mov_b32_e32 v12, 0
	s_and_saveexec_b32 s1, s6
	s_cbranch_execz .LBB79_2580
.LBB79_2579:
	v_and_b32_e32 v7, 0xffff, v5
	s_delay_alu instid0(VALU_DEP_1) | instskip(SKIP_1) | instid1(VALU_DEP_2)
	v_and_b32_e32 v11, 3, v7
	v_bfe_u32 v14, v7, 2, 5
	v_clz_i32_u32_e32 v12, v11
	s_delay_alu instid0(VALU_DEP_2) | instskip(NEXT) | instid1(VALU_DEP_2)
	v_cmp_eq_u32_e32 vcc_lo, 0, v14
	v_min_u32_e32 v12, 32, v12
	s_delay_alu instid0(VALU_DEP_1) | instskip(NEXT) | instid1(VALU_DEP_1)
	v_subrev_nc_u32_e32 v13, 29, v12
	v_dual_lshlrev_b32 v7, v13, v7 :: v_dual_sub_nc_u32 v12, 30, v12
	s_delay_alu instid0(VALU_DEP_1) | instskip(NEXT) | instid1(VALU_DEP_1)
	v_dual_lshlrev_b32 v5, 24, v5 :: v_dual_bitop2_b32 v7, 3, v7 bitop3:0x40
	v_dual_cndmask_b32 v12, v14, v12 :: v_dual_cndmask_b32 v7, v11, v7
	s_delay_alu instid0(VALU_DEP_2) | instskip(NEXT) | instid1(VALU_DEP_2)
	v_and_b32_e32 v5, 0x80000000, v5
	v_lshl_add_u32 v11, v12, 23, 0x37800000
	s_delay_alu instid0(VALU_DEP_3) | instskip(NEXT) | instid1(VALU_DEP_1)
	v_lshlrev_b32_e32 v7, 21, v7
	v_or3_b32 v5, v5, v11, v7
	s_delay_alu instid0(VALU_DEP_1)
	v_cvt_i32_f32_e32 v12, v5
.LBB79_2580:
	s_or_b32 exec_lo, exec_lo, s1
	s_mov_b32 s1, 0
	s_branch .LBB79_2586
.LBB79_2581:
	s_mov_b32 s1, -1
                                        ; implicit-def: $vgpr12
	s_branch .LBB79_2592
.LBB79_2582:
	s_and_not1_saveexec_b32 s6, s6
	s_cbranch_execz .LBB79_2567
.LBB79_2583:
	v_cmp_ne_u16_e32 vcc_lo, 0, v5
	s_and_not1_b32 s7, s7, exec_lo
	s_and_b32 s11, vcc_lo, exec_lo
	s_delay_alu instid0(SALU_CYCLE_1)
	s_or_b32 s7, s7, s11
	s_or_b32 exec_lo, exec_lo, s6
	v_mov_b32_e32 v12, 0
	s_and_saveexec_b32 s6, s7
	s_cbranch_execnz .LBB79_2568
	s_branch .LBB79_2569
.LBB79_2584:
	s_mov_b32 s1, -1
                                        ; implicit-def: $vgpr12
	s_branch .LBB79_2589
.LBB79_2585:
	s_mov_b32 s1, -1
                                        ; implicit-def: $vgpr12
.LBB79_2586:
	s_delay_alu instid0(SALU_CYCLE_1)
	s_and_b32 vcc_lo, exec_lo, s1
	s_cbranch_vccz .LBB79_2588
; %bb.2587:
	global_load_u8 v5, v[8:9], off
	s_wait_loadcnt 0x0
	v_lshlrev_b32_e32 v5, 24, v5
	s_delay_alu instid0(VALU_DEP_1) | instskip(NEXT) | instid1(VALU_DEP_1)
	v_and_b32_e32 v7, 0x7f000000, v5
	v_clz_i32_u32_e32 v11, v7
	s_wait_xcnt 0x1
	v_add_nc_u32_e32 v13, 0x1000000, v7
	v_cmp_ne_u32_e32 vcc_lo, 0, v7
	s_delay_alu instid0(VALU_DEP_3) | instskip(NEXT) | instid1(VALU_DEP_1)
	v_min_u32_e32 v11, 32, v11
	v_sub_nc_u32_e64 v11, v11, 4 clamp
	s_delay_alu instid0(VALU_DEP_1) | instskip(NEXT) | instid1(VALU_DEP_1)
	v_lshlrev_b32_e32 v12, v11, v7
	v_dual_lshlrev_b32 v11, 23, v11 :: v_dual_lshrrev_b32 v12, 4, v12
	s_delay_alu instid0(VALU_DEP_1) | instskip(NEXT) | instid1(VALU_DEP_1)
	v_dual_sub_nc_u32 v11, v12, v11 :: v_dual_ashrrev_i32 v12, 8, v13
	v_add_nc_u32_e32 v11, 0x3c000000, v11
	s_delay_alu instid0(VALU_DEP_1) | instskip(NEXT) | instid1(VALU_DEP_1)
	v_and_or_b32 v11, 0x7f800000, v12, v11
	v_cndmask_b32_e32 v7, 0, v11, vcc_lo
	s_delay_alu instid0(VALU_DEP_1) | instskip(NEXT) | instid1(VALU_DEP_1)
	v_and_or_b32 v5, 0x80000000, v5, v7
	v_cvt_i32_f32_e32 v12, v5
.LBB79_2588:
	s_mov_b32 s1, 0
.LBB79_2589:
	s_delay_alu instid0(SALU_CYCLE_1)
	s_and_not1_b32 vcc_lo, exec_lo, s1
	s_cbranch_vccnz .LBB79_2591
; %bb.2590:
	global_load_u8 v5, v[8:9], off
	s_wait_loadcnt 0x0
	v_lshlrev_b32_e32 v7, 25, v5
	v_lshlrev_b16 v5, 8, v5
	s_wait_xcnt 0x1
	s_delay_alu instid0(VALU_DEP_1) | instskip(SKIP_1) | instid1(VALU_DEP_2)
	v_and_or_b32 v12, 0x7f00, v5, 0.5
	v_bfe_i32 v5, v5, 0, 16
	v_dual_add_f32 v12, -0.5, v12 :: v_dual_lshrrev_b32 v11, 4, v7
	v_cmp_gt_u32_e32 vcc_lo, 0x8000000, v7
	s_delay_alu instid0(VALU_DEP_2) | instskip(NEXT) | instid1(VALU_DEP_1)
	v_or_b32_e32 v11, 0x70000000, v11
	v_mul_f32_e32 v11, 0x7800000, v11
	s_delay_alu instid0(VALU_DEP_1) | instskip(NEXT) | instid1(VALU_DEP_1)
	v_cndmask_b32_e32 v7, v11, v12, vcc_lo
	v_and_or_b32 v5, 0x80000000, v5, v7
	s_delay_alu instid0(VALU_DEP_1)
	v_cvt_i32_f32_e32 v12, v5
.LBB79_2591:
	s_mov_b32 s1, 0
	s_mov_b32 s6, -1
.LBB79_2592:
	s_and_not1_b32 vcc_lo, exec_lo, s1
	s_mov_b32 s1, 0
	s_cbranch_vccnz .LBB79_2603
; %bb.2593:
	s_cmp_gt_i32 s12, 14
	s_cbranch_scc0 .LBB79_2596
; %bb.2594:
	s_cmp_eq_u32 s12, 15
	s_cbranch_scc0 .LBB79_2599
; %bb.2595:
	global_load_u16 v5, v[8:9], off
	s_mov_b32 s0, 0
	s_mov_b32 s6, -1
	s_wait_loadcnt 0x0
	v_lshlrev_b32_e32 v5, 16, v5
	s_wait_xcnt 0x1
	s_delay_alu instid0(VALU_DEP_1)
	v_cvt_i32_f32_e32 v12, v5
	s_branch .LBB79_2601
.LBB79_2596:
	s_mov_b32 s1, -1
	s_branch .LBB79_2600
.LBB79_2597:
	s_and_not1_saveexec_b32 s1, s1
	s_cbranch_execz .LBB79_2578
.LBB79_2598:
	v_cmp_ne_u16_e32 vcc_lo, 0, v5
	s_and_not1_b32 s6, s6, exec_lo
	s_and_b32 s7, vcc_lo, exec_lo
	s_delay_alu instid0(SALU_CYCLE_1)
	s_or_b32 s6, s6, s7
	s_or_b32 exec_lo, exec_lo, s1
	v_mov_b32_e32 v12, 0
	s_and_saveexec_b32 s1, s6
	s_cbranch_execnz .LBB79_2579
	s_branch .LBB79_2580
.LBB79_2599:
	s_mov_b32 s0, -1
.LBB79_2600:
                                        ; implicit-def: $vgpr12
.LBB79_2601:
	s_and_b32 vcc_lo, exec_lo, s1
	s_mov_b32 s1, 0
	s_cbranch_vccz .LBB79_2603
; %bb.2602:
	s_cmp_lg_u32 s12, 11
	s_mov_b32 s1, -1
	s_cselect_b32 s0, -1, 0
.LBB79_2603:
	s_delay_alu instid0(SALU_CYCLE_1)
	s_and_b32 vcc_lo, exec_lo, s0
	s_cbranch_vccnz .LBB79_3143
; %bb.2604:
	s_and_not1_b32 vcc_lo, exec_lo, s1
	s_cbranch_vccnz .LBB79_2606
.LBB79_2605:
	global_load_u8 v5, v[8:9], off
	s_mov_b32 s6, -1
	s_wait_loadcnt 0x0
	v_cmp_ne_u16_e32 vcc_lo, 0, v5
	s_wait_xcnt 0x1
	v_cndmask_b32_e64 v12, 0, 1, vcc_lo
.LBB79_2606:
	s_mov_b32 s0, 0
.LBB79_2607:
	s_delay_alu instid0(SALU_CYCLE_1)
	s_and_b32 vcc_lo, exec_lo, s0
	s_cbranch_vccz .LBB79_2656
; %bb.2608:
	s_cmp_lt_i32 s12, 5
	s_cbranch_scc1 .LBB79_2613
; %bb.2609:
	s_cmp_lt_i32 s12, 8
	s_cbranch_scc1 .LBB79_2614
	;; [unrolled: 3-line block ×3, first 2 shown]
; %bb.2611:
	s_cmp_gt_i32 s12, 9
	s_cbranch_scc0 .LBB79_2616
; %bb.2612:
	s_wait_loadcnt 0x0
	global_load_b64 v[12:13], v[8:9], off
	s_mov_b32 s0, 0
	s_wait_loadcnt 0x0
	v_cvt_i32_f64_e32 v12, v[12:13]
	s_branch .LBB79_2617
.LBB79_2613:
	s_mov_b32 s0, -1
                                        ; implicit-def: $vgpr12
	s_branch .LBB79_2635
.LBB79_2614:
	s_mov_b32 s0, -1
                                        ; implicit-def: $vgpr12
	s_branch .LBB79_2623
.LBB79_2615:
	s_mov_b32 s0, -1
                                        ; implicit-def: $vgpr12
	s_branch .LBB79_2620
.LBB79_2616:
	s_mov_b32 s0, -1
                                        ; implicit-def: $vgpr12
.LBB79_2617:
	s_delay_alu instid0(SALU_CYCLE_1)
	s_and_not1_b32 vcc_lo, exec_lo, s0
	s_cbranch_vccnz .LBB79_2619
; %bb.2618:
	global_load_b32 v5, v[8:9], off
	s_wait_loadcnt 0x0
	s_wait_xcnt 0x1
	v_cvt_i32_f32_e32 v12, v5
.LBB79_2619:
	s_mov_b32 s0, 0
.LBB79_2620:
	s_delay_alu instid0(SALU_CYCLE_1)
	s_and_not1_b32 vcc_lo, exec_lo, s0
	s_cbranch_vccnz .LBB79_2622
; %bb.2621:
	global_load_b32 v5, v[8:9], off
	s_wait_loadcnt 0x0
	s_wait_xcnt 0x1
	v_cvt_i16_f16_e32 v12, v5
.LBB79_2622:
	s_mov_b32 s0, 0
.LBB79_2623:
	s_delay_alu instid0(SALU_CYCLE_1)
	s_and_not1_b32 vcc_lo, exec_lo, s0
	s_cbranch_vccnz .LBB79_2634
; %bb.2624:
	s_cmp_lt_i32 s12, 6
	s_cbranch_scc1 .LBB79_2627
; %bb.2625:
	s_cmp_gt_i32 s12, 6
	s_cbranch_scc0 .LBB79_2628
; %bb.2626:
	s_wait_loadcnt 0x0
	global_load_b64 v[12:13], v[8:9], off
	s_mov_b32 s0, 0
	s_wait_loadcnt 0x0
	v_cvt_i32_f64_e32 v12, v[12:13]
	s_branch .LBB79_2629
.LBB79_2627:
	s_mov_b32 s0, -1
                                        ; implicit-def: $vgpr12
	s_branch .LBB79_2632
.LBB79_2628:
	s_mov_b32 s0, -1
                                        ; implicit-def: $vgpr12
.LBB79_2629:
	s_delay_alu instid0(SALU_CYCLE_1)
	s_and_not1_b32 vcc_lo, exec_lo, s0
	s_cbranch_vccnz .LBB79_2631
; %bb.2630:
	global_load_b32 v5, v[8:9], off
	s_wait_loadcnt 0x0
	s_wait_xcnt 0x1
	v_cvt_i32_f32_e32 v12, v5
.LBB79_2631:
	s_mov_b32 s0, 0
.LBB79_2632:
	s_delay_alu instid0(SALU_CYCLE_1)
	s_and_not1_b32 vcc_lo, exec_lo, s0
	s_cbranch_vccnz .LBB79_2634
; %bb.2633:
	global_load_u16 v5, v[8:9], off
	s_wait_loadcnt 0x0
	s_wait_xcnt 0x1
	v_cvt_i16_f16_e32 v12, v5
.LBB79_2634:
	s_mov_b32 s0, 0
.LBB79_2635:
	s_delay_alu instid0(SALU_CYCLE_1)
	s_and_not1_b32 vcc_lo, exec_lo, s0
	s_cbranch_vccnz .LBB79_2655
; %bb.2636:
	s_cmp_lt_i32 s12, 2
	s_cbranch_scc1 .LBB79_2640
; %bb.2637:
	s_cmp_lt_i32 s12, 3
	s_cbranch_scc1 .LBB79_2641
; %bb.2638:
	s_cmp_gt_i32 s12, 3
	s_cbranch_scc0 .LBB79_2642
; %bb.2639:
	s_wait_loadcnt 0x0
	global_load_b64 v[12:13], v[8:9], off
	s_mov_b32 s0, 0
	s_branch .LBB79_2643
.LBB79_2640:
	s_mov_b32 s0, -1
                                        ; implicit-def: $vgpr12
	s_branch .LBB79_2649
.LBB79_2641:
	s_mov_b32 s0, -1
                                        ; implicit-def: $vgpr12
	s_branch .LBB79_2646
.LBB79_2642:
	s_mov_b32 s0, -1
                                        ; implicit-def: $vgpr12
.LBB79_2643:
	s_delay_alu instid0(SALU_CYCLE_1)
	s_and_not1_b32 vcc_lo, exec_lo, s0
	s_cbranch_vccnz .LBB79_2645
; %bb.2644:
	s_wait_loadcnt 0x0
	global_load_b32 v12, v[8:9], off
.LBB79_2645:
	s_mov_b32 s0, 0
.LBB79_2646:
	s_delay_alu instid0(SALU_CYCLE_1)
	s_and_not1_b32 vcc_lo, exec_lo, s0
	s_cbranch_vccnz .LBB79_2648
; %bb.2647:
	s_wait_loadcnt 0x0
	global_load_u16 v12, v[8:9], off
.LBB79_2648:
	s_mov_b32 s0, 0
.LBB79_2649:
	s_delay_alu instid0(SALU_CYCLE_1)
	s_and_not1_b32 vcc_lo, exec_lo, s0
	s_cbranch_vccnz .LBB79_2655
; %bb.2650:
	s_cmp_gt_i32 s12, 0
	s_mov_b32 s0, 0
	s_cbranch_scc0 .LBB79_2652
; %bb.2651:
	s_wait_loadcnt 0x0
	global_load_i8 v12, v[8:9], off
	s_branch .LBB79_2653
.LBB79_2652:
	s_mov_b32 s0, -1
                                        ; implicit-def: $vgpr12
.LBB79_2653:
	s_delay_alu instid0(SALU_CYCLE_1)
	s_and_not1_b32 vcc_lo, exec_lo, s0
	s_cbranch_vccnz .LBB79_2655
; %bb.2654:
	s_wait_loadcnt 0x0
	global_load_u8 v12, v[8:9], off
.LBB79_2655:
	s_mov_b32 s6, -1
.LBB79_2656:
	s_delay_alu instid0(SALU_CYCLE_1)
	s_and_not1_b32 vcc_lo, exec_lo, s6
	s_cbranch_vccnz .LBB79_2741
; %bb.2657:
	s_wait_loadcnt 0x0
	s_delay_alu instid0(VALU_DEP_1) | instskip(SKIP_2) | instid1(VALU_DEP_1)
	v_sub_nc_u16 v5, 0, v12
	s_mov_b32 s1, 0
	s_mov_b32 s0, exec_lo
	v_max_i16 v5, v12, v5
	s_wait_xcnt 0x0
	v_cmpx_ne_u16_e32 0, v10
	s_cbranch_execz .LBB79_2661
; %bb.2658:
	v_sub_nc_u16 v7, 0, v10
	s_delay_alu instid0(VALU_DEP_1) | instskip(SKIP_1) | instid1(VALU_DEP_2)
	v_max_i16 v8, v10, v7
	v_and_b32_e32 v7, 0xffff, v5
	v_and_b32_e32 v8, 0xffff, v8
.LBB79_2659:                            ; =>This Inner Loop Header: Depth=1
	s_delay_alu instid0(VALU_DEP_1) | instskip(NEXT) | instid1(VALU_DEP_2)
	v_bfe_i32 v11, v7, 0, 16
	v_mov_b32_e32 v5, v8
	s_delay_alu instid0(VALU_DEP_2) | instskip(NEXT) | instid1(VALU_DEP_2)
	v_cvt_f32_i32_e32 v14, v11
	v_bfe_i32 v8, v5, 0, 16
	s_delay_alu instid0(VALU_DEP_1) | instskip(SKIP_1) | instid1(VALU_DEP_2)
	v_cvt_f32_i32_e32 v9, v8
	v_xor_b32_e32 v8, v11, v8
	v_rcp_iflag_f32_e32 v13, v9
	v_nop
	s_delay_alu instid0(TRANS32_DEP_1) | instskip(NEXT) | instid1(VALU_DEP_1)
	v_dual_mul_f32 v11, v14, v13 :: v_dual_ashrrev_i32 v8, 30, v8
	v_trunc_f32_e32 v11, v11
	s_delay_alu instid0(VALU_DEP_1) | instskip(SKIP_1) | instid1(VALU_DEP_2)
	v_dual_fma_f32 v13, -v11, v9, v14 :: v_dual_bitop2_b32 v8, 1, v8 bitop3:0x54
	v_cvt_i32_f32_e32 v11, v11
	v_cmp_ge_f32_e64 vcc_lo, |v13|, |v9|
	s_delay_alu instid0(VALU_DEP_3) | instskip(NEXT) | instid1(VALU_DEP_1)
	v_cndmask_b32_e32 v8, 0, v8, vcc_lo
	v_add_nc_u32_e32 v8, v11, v8
	s_delay_alu instid0(VALU_DEP_1) | instskip(NEXT) | instid1(VALU_DEP_1)
	v_mul_lo_u32 v8, v8, v5
	v_sub_nc_u32_e32 v8, v7, v8
	s_delay_alu instid0(VALU_DEP_1) | instskip(SKIP_1) | instid1(VALU_DEP_2)
	v_and_b32_e32 v7, 0xffff, v8
	v_bfe_i32 v8, v8, 0, 16
	v_cmp_eq_u32_e32 vcc_lo, 0, v7
	v_mov_b32_e32 v7, v5
	s_or_b32 s1, vcc_lo, s1
	s_delay_alu instid0(SALU_CYCLE_1)
	s_and_not1_b32 exec_lo, exec_lo, s1
	s_cbranch_execnz .LBB79_2659
; %bb.2660:
	s_or_b32 exec_lo, exec_lo, s1
.LBB79_2661:
	s_delay_alu instid0(SALU_CYCLE_1)
	s_or_b32 exec_lo, exec_lo, s0
	v_mov_b32_e32 v11, 0
	s_mov_b32 s0, exec_lo
	v_cmpx_ne_u16_e32 0, v5
	s_cbranch_execz .LBB79_2663
; %bb.2662:
	v_bfe_i32 v5, v5, 0, 16
	v_bfe_i32 v8, v10, 0, 16
	s_delay_alu instid0(VALU_DEP_2) | instskip(NEXT) | instid1(VALU_DEP_2)
	v_cvt_f32_i32_e32 v7, v5
	v_cvt_f32_i32_e32 v10, v8
	v_xor_b32_e32 v5, v8, v5
	s_delay_alu instid0(VALU_DEP_3) | instskip(SKIP_1) | instid1(TRANS32_DEP_1)
	v_rcp_iflag_f32_e32 v9, v7
	v_nop
	v_mul_f32_e32 v9, v10, v9
	s_delay_alu instid0(VALU_DEP_1) | instskip(NEXT) | instid1(VALU_DEP_1)
	v_trunc_f32_e32 v8, v9
	v_dual_fma_f32 v9, -v8, v7, v10 :: v_dual_ashrrev_i32 v5, 30, v5
	v_cvt_i32_f32_e32 v8, v8
	s_delay_alu instid0(VALU_DEP_2) | instskip(NEXT) | instid1(VALU_DEP_3)
	v_cmp_ge_f32_e64 vcc_lo, |v9|, |v7|
	v_or_b32_e32 v5, 1, v5
	v_bfe_i32 v7, v12, 0, 16
	s_delay_alu instid0(VALU_DEP_2) | instskip(NEXT) | instid1(VALU_DEP_1)
	v_cndmask_b32_e32 v5, 0, v5, vcc_lo
	v_add_nc_u32_e32 v5, v8, v5
	s_delay_alu instid0(VALU_DEP_1) | instskip(NEXT) | instid1(VALU_DEP_1)
	v_bfe_i32 v5, v5, 0, 16
	v_mul_i32_i24_e32 v5, v5, v7
	s_delay_alu instid0(VALU_DEP_1) | instskip(NEXT) | instid1(VALU_DEP_1)
	v_sub_nc_u32_e32 v7, 0, v5
	v_max_i32_e32 v11, v5, v7
.LBB79_2663:
	s_or_b32 exec_lo, exec_lo, s0
	v_mov_b32_e32 v7, 0
	global_load_u8 v5, v7, s[2:3] offset:417
	s_wait_xcnt 0x0
	v_add_nc_u64_e32 v[6:7], s[4:5], v[6:7]
	s_wait_loadcnt 0x0
	v_and_b32_e32 v8, 0xffff, v5
	v_readfirstlane_b32 s1, v5
	s_delay_alu instid0(VALU_DEP_2)
	v_cmp_gt_i32_e32 vcc_lo, 11, v8
	s_cbranch_vccnz .LBB79_2786
; %bb.2664:
	s_and_b32 s2, 0xffff, s1
	s_mov_b32 s7, -1
	s_mov_b32 s3, 0
	s_cmp_gt_i32 s2, 25
	s_mov_b32 s6, 0
	s_mov_b32 s0, 0
	s_cbranch_scc0 .LBB79_2697
; %bb.2665:
	s_cmp_gt_i32 s2, 28
	s_cbranch_scc0 .LBB79_2680
; %bb.2666:
	s_cmp_gt_i32 s2, 43
	;; [unrolled: 3-line block ×3, first 2 shown]
	s_cbranch_scc0 .LBB79_2670
; %bb.2668:
	s_mov_b32 s0, -1
	s_mov_b32 s7, 0
	s_cmp_eq_u32 s2, 46
	s_cbranch_scc0 .LBB79_2670
; %bb.2669:
	v_bfe_i32 v5, v1, 0, 16
	s_mov_b32 s0, 0
	s_mov_b32 s6, -1
	s_delay_alu instid0(VALU_DEP_1) | instskip(NEXT) | instid1(VALU_DEP_1)
	v_cvt_f32_i32_e32 v5, v5
	v_bfe_u32 v8, v5, 16, 1
	s_delay_alu instid0(VALU_DEP_1) | instskip(NEXT) | instid1(VALU_DEP_1)
	v_add3_u32 v5, v5, v8, 0x7fff
	v_lshrrev_b32_e32 v5, 16, v5
	global_store_b32 v[6:7], v5, off
.LBB79_2670:
	s_and_b32 vcc_lo, exec_lo, s7
	s_cbranch_vccz .LBB79_2675
; %bb.2671:
	s_cmp_eq_u32 s2, 44
	s_mov_b32 s0, -1
	s_cbranch_scc0 .LBB79_2675
; %bb.2672:
	s_wait_xcnt 0x0
	v_bfe_i32 v5, v1, 0, 16
	v_mov_b32_e32 v8, 0xff
	s_mov_b32 s6, exec_lo
	s_delay_alu instid0(VALU_DEP_2) | instskip(NEXT) | instid1(VALU_DEP_1)
	v_cvt_f32_i32_e32 v5, v5
	v_bfe_u32 v9, v5, 23, 8
	s_delay_alu instid0(VALU_DEP_1)
	v_cmpx_ne_u32_e32 0xff, v9
	s_cbranch_execz .LBB79_2674
; %bb.2673:
	v_and_b32_e32 v8, 0x400000, v5
	v_and_or_b32 v9, 0x3fffff, v5, v9
	v_lshrrev_b32_e32 v5, 23, v5
	s_delay_alu instid0(VALU_DEP_3) | instskip(NEXT) | instid1(VALU_DEP_3)
	v_cmp_ne_u32_e32 vcc_lo, 0, v8
	v_cmp_ne_u32_e64 s0, 0, v9
	s_and_b32 s0, vcc_lo, s0
	s_delay_alu instid0(SALU_CYCLE_1) | instskip(NEXT) | instid1(VALU_DEP_1)
	v_cndmask_b32_e64 v8, 0, 1, s0
	v_add_nc_u32_e32 v8, v5, v8
.LBB79_2674:
	s_or_b32 exec_lo, exec_lo, s6
	s_mov_b32 s0, 0
	s_mov_b32 s6, -1
	global_store_b8 v[6:7], v8, off
.LBB79_2675:
	s_mov_b32 s7, 0
.LBB79_2676:
	s_delay_alu instid0(SALU_CYCLE_1)
	s_and_b32 vcc_lo, exec_lo, s7
	s_cbranch_vccz .LBB79_2679
; %bb.2677:
	s_cmp_eq_u32 s2, 29
	s_mov_b32 s0, -1
	s_cbranch_scc0 .LBB79_2679
; %bb.2678:
	s_wait_xcnt 0x0
	v_bfe_i32 v8, v1, 0, 16
	s_mov_b32 s0, 0
	s_mov_b32 s6, -1
	s_delay_alu instid0(VALU_DEP_1)
	v_ashrrev_i32_e32 v9, 31, v8
	global_store_b64 v[6:7], v[8:9], off
.LBB79_2679:
	s_mov_b32 s7, 0
.LBB79_2680:
	s_delay_alu instid0(SALU_CYCLE_1)
	s_and_b32 vcc_lo, exec_lo, s7
	s_cbranch_vccz .LBB79_2696
; %bb.2681:
	s_cmp_lt_i32 s2, 27
	s_mov_b32 s6, -1
	s_cbranch_scc1 .LBB79_2687
; %bb.2682:
	s_cmp_gt_i32 s2, 27
	s_cbranch_scc0 .LBB79_2684
; %bb.2683:
	s_wait_xcnt 0x0
	v_bfe_i32 v5, v1, 0, 16
	s_mov_b32 s6, 0
	global_store_b32 v[6:7], v5, off
.LBB79_2684:
	s_and_not1_b32 vcc_lo, exec_lo, s6
	s_cbranch_vccnz .LBB79_2686
; %bb.2685:
	global_store_b16 v[6:7], v1, off
.LBB79_2686:
	s_mov_b32 s6, 0
.LBB79_2687:
	s_delay_alu instid0(SALU_CYCLE_1)
	s_and_not1_b32 vcc_lo, exec_lo, s6
	s_cbranch_vccnz .LBB79_2695
; %bb.2688:
	s_wait_xcnt 0x0
	v_bfe_i32 v5, v1, 0, 16
	v_mov_b32_e32 v9, 0x80
	s_mov_b32 s6, exec_lo
	s_delay_alu instid0(VALU_DEP_2) | instskip(NEXT) | instid1(VALU_DEP_1)
	v_cvt_f32_i32_e32 v5, v5
	v_and_b32_e32 v8, 0x7fffffff, v5
	s_delay_alu instid0(VALU_DEP_1)
	v_cmpx_gt_u32_e32 0x43800000, v8
	s_cbranch_execz .LBB79_2694
; %bb.2689:
	v_cmp_lt_u32_e32 vcc_lo, 0x3bffffff, v8
	s_mov_b32 s7, 0
                                        ; implicit-def: $vgpr8
	s_and_saveexec_b32 s11, vcc_lo
	s_delay_alu instid0(SALU_CYCLE_1)
	s_xor_b32 s11, exec_lo, s11
	s_cbranch_execz .LBB79_3144
; %bb.2690:
	v_bfe_u32 v8, v5, 20, 1
	s_mov_b32 s7, exec_lo
	s_delay_alu instid0(VALU_DEP_1) | instskip(NEXT) | instid1(VALU_DEP_1)
	v_add3_u32 v8, v5, v8, 0x487ffff
	v_lshrrev_b32_e32 v8, 20, v8
	s_and_not1_saveexec_b32 s11, s11
	s_cbranch_execnz .LBB79_3145
.LBB79_2691:
	s_or_b32 exec_lo, exec_lo, s11
	v_mov_b32_e32 v9, 0
	s_and_saveexec_b32 s11, s7
.LBB79_2692:
	v_lshrrev_b32_e32 v5, 24, v5
	s_delay_alu instid0(VALU_DEP_1)
	v_and_or_b32 v9, 0x80, v5, v8
.LBB79_2693:
	s_or_b32 exec_lo, exec_lo, s11
.LBB79_2694:
	s_delay_alu instid0(SALU_CYCLE_1)
	s_or_b32 exec_lo, exec_lo, s6
	global_store_b8 v[6:7], v9, off
.LBB79_2695:
	s_mov_b32 s6, -1
.LBB79_2696:
	s_mov_b32 s7, 0
.LBB79_2697:
	s_delay_alu instid0(SALU_CYCLE_1)
	s_and_b32 vcc_lo, exec_lo, s7
	s_cbranch_vccz .LBB79_2737
; %bb.2698:
	s_cmp_gt_i32 s2, 22
	s_mov_b32 s3, -1
	s_cbranch_scc0 .LBB79_2730
; %bb.2699:
	s_cmp_lt_i32 s2, 24
	s_cbranch_scc1 .LBB79_2719
; %bb.2700:
	s_cmp_gt_i32 s2, 24
	s_cbranch_scc0 .LBB79_2708
; %bb.2701:
	s_wait_xcnt 0x0
	v_bfe_i32 v5, v1, 0, 16
	v_mov_b32_e32 v9, 0x80
	s_mov_b32 s3, exec_lo
	s_delay_alu instid0(VALU_DEP_2) | instskip(NEXT) | instid1(VALU_DEP_1)
	v_cvt_f32_i32_e32 v5, v5
	v_and_b32_e32 v8, 0x7fffffff, v5
	s_delay_alu instid0(VALU_DEP_1)
	v_cmpx_gt_u32_e32 0x47800000, v8
	s_cbranch_execz .LBB79_2707
; %bb.2702:
	v_cmp_lt_u32_e32 vcc_lo, 0x37ffffff, v8
	s_mov_b32 s6, 0
                                        ; implicit-def: $vgpr8
	s_and_saveexec_b32 s7, vcc_lo
	s_delay_alu instid0(SALU_CYCLE_1)
	s_xor_b32 s7, exec_lo, s7
	s_cbranch_execz .LBB79_3147
; %bb.2703:
	v_bfe_u32 v8, v5, 21, 1
	s_mov_b32 s6, exec_lo
	s_delay_alu instid0(VALU_DEP_1) | instskip(NEXT) | instid1(VALU_DEP_1)
	v_add3_u32 v8, v5, v8, 0x88fffff
	v_lshrrev_b32_e32 v8, 21, v8
	s_and_not1_saveexec_b32 s7, s7
	s_cbranch_execnz .LBB79_3148
.LBB79_2704:
	s_or_b32 exec_lo, exec_lo, s7
	v_mov_b32_e32 v9, 0
	s_and_saveexec_b32 s7, s6
.LBB79_2705:
	v_lshrrev_b32_e32 v5, 24, v5
	s_delay_alu instid0(VALU_DEP_1)
	v_and_or_b32 v9, 0x80, v5, v8
.LBB79_2706:
	s_or_b32 exec_lo, exec_lo, s7
.LBB79_2707:
	s_delay_alu instid0(SALU_CYCLE_1)
	s_or_b32 exec_lo, exec_lo, s3
	s_mov_b32 s3, 0
	global_store_b8 v[6:7], v9, off
.LBB79_2708:
	s_and_b32 vcc_lo, exec_lo, s3
	s_cbranch_vccz .LBB79_2718
; %bb.2709:
	s_wait_xcnt 0x0
	v_bfe_i32 v5, v1, 0, 16
	s_mov_b32 s3, exec_lo
                                        ; implicit-def: $vgpr8
	s_delay_alu instid0(VALU_DEP_1) | instskip(NEXT) | instid1(VALU_DEP_1)
	v_cvt_f32_i32_e32 v5, v5
	v_and_b32_e32 v9, 0x7fffffff, v5
	s_delay_alu instid0(VALU_DEP_1)
	v_cmpx_gt_u32_e32 0x43f00000, v9
	s_xor_b32 s3, exec_lo, s3
	s_cbranch_execz .LBB79_2715
; %bb.2710:
	s_mov_b32 s6, exec_lo
                                        ; implicit-def: $vgpr8
	v_cmpx_lt_u32_e32 0x3c7fffff, v9
	s_xor_b32 s6, exec_lo, s6
; %bb.2711:
	v_bfe_u32 v8, v5, 20, 1
	s_delay_alu instid0(VALU_DEP_1) | instskip(NEXT) | instid1(VALU_DEP_1)
	v_add3_u32 v8, v5, v8, 0x407ffff
	v_and_b32_e32 v9, 0xff00000, v8
	v_lshrrev_b32_e32 v8, 20, v8
	s_delay_alu instid0(VALU_DEP_2) | instskip(NEXT) | instid1(VALU_DEP_2)
	v_cmp_ne_u32_e32 vcc_lo, 0x7f00000, v9
	v_cndmask_b32_e32 v8, 0x7e, v8, vcc_lo
; %bb.2712:
	s_and_not1_saveexec_b32 s6, s6
; %bb.2713:
	v_add_f32_e64 v8, 0x46800000, |v5|
; %bb.2714:
	s_or_b32 exec_lo, exec_lo, s6
                                        ; implicit-def: $vgpr9
.LBB79_2715:
	s_and_not1_saveexec_b32 s3, s3
; %bb.2716:
	v_mov_b32_e32 v8, 0x7f
	v_cmp_lt_u32_e32 vcc_lo, 0x7f800000, v9
	s_delay_alu instid0(VALU_DEP_2)
	v_cndmask_b32_e32 v8, 0x7e, v8, vcc_lo
; %bb.2717:
	s_or_b32 exec_lo, exec_lo, s3
	v_lshrrev_b32_e32 v5, 24, v5
	s_delay_alu instid0(VALU_DEP_1)
	v_and_or_b32 v5, 0x80, v5, v8
	global_store_b8 v[6:7], v5, off
.LBB79_2718:
	s_mov_b32 s3, 0
.LBB79_2719:
	s_delay_alu instid0(SALU_CYCLE_1)
	s_and_not1_b32 vcc_lo, exec_lo, s3
	s_cbranch_vccnz .LBB79_2729
; %bb.2720:
	s_wait_xcnt 0x0
	v_bfe_i32 v5, v1, 0, 16
	s_mov_b32 s3, exec_lo
                                        ; implicit-def: $vgpr8
	s_delay_alu instid0(VALU_DEP_1) | instskip(NEXT) | instid1(VALU_DEP_1)
	v_cvt_f32_i32_e32 v5, v5
	v_and_b32_e32 v9, 0x7fffffff, v5
	s_delay_alu instid0(VALU_DEP_1)
	v_cmpx_gt_u32_e32 0x47800000, v9
	s_xor_b32 s3, exec_lo, s3
	s_cbranch_execz .LBB79_2726
; %bb.2721:
	s_mov_b32 s6, exec_lo
                                        ; implicit-def: $vgpr8
	v_cmpx_lt_u32_e32 0x387fffff, v9
	s_xor_b32 s6, exec_lo, s6
; %bb.2722:
	v_bfe_u32 v8, v5, 21, 1
	s_delay_alu instid0(VALU_DEP_1) | instskip(NEXT) | instid1(VALU_DEP_1)
	v_add3_u32 v8, v5, v8, 0x80fffff
	v_lshrrev_b32_e32 v8, 21, v8
; %bb.2723:
	s_and_not1_saveexec_b32 s6, s6
; %bb.2724:
	v_add_f32_e64 v8, 0x43000000, |v5|
; %bb.2725:
	s_or_b32 exec_lo, exec_lo, s6
                                        ; implicit-def: $vgpr9
.LBB79_2726:
	s_and_not1_saveexec_b32 s3, s3
; %bb.2727:
	v_mov_b32_e32 v8, 0x7f
	v_cmp_lt_u32_e32 vcc_lo, 0x7f800000, v9
	s_delay_alu instid0(VALU_DEP_2)
	v_cndmask_b32_e32 v8, 0x7c, v8, vcc_lo
; %bb.2728:
	s_or_b32 exec_lo, exec_lo, s3
	v_lshrrev_b32_e32 v5, 24, v5
	s_delay_alu instid0(VALU_DEP_1)
	v_and_or_b32 v5, 0x80, v5, v8
	global_store_b8 v[6:7], v5, off
.LBB79_2729:
	s_mov_b32 s3, 0
	s_mov_b32 s6, -1
.LBB79_2730:
	s_and_not1_b32 vcc_lo, exec_lo, s3
	s_mov_b32 s3, 0
	s_cbranch_vccnz .LBB79_2737
; %bb.2731:
	s_cmp_gt_i32 s2, 14
	s_mov_b32 s3, -1
	s_cbranch_scc0 .LBB79_2735
; %bb.2732:
	s_cmp_eq_u32 s2, 15
	s_mov_b32 s0, -1
	s_cbranch_scc0 .LBB79_2734
; %bb.2733:
	s_wait_xcnt 0x0
	v_bfe_i32 v5, v1, 0, 16
	s_mov_b32 s0, 0
	s_mov_b32 s6, -1
	s_delay_alu instid0(VALU_DEP_1) | instskip(NEXT) | instid1(VALU_DEP_1)
	v_cvt_f32_i32_e32 v5, v5
	v_bfe_u32 v8, v5, 16, 1
	s_delay_alu instid0(VALU_DEP_1)
	v_add3_u32 v5, v5, v8, 0x7fff
	global_store_d16_hi_b16 v[6:7], v5, off
.LBB79_2734:
	s_mov_b32 s3, 0
.LBB79_2735:
	s_delay_alu instid0(SALU_CYCLE_1)
	s_and_b32 vcc_lo, exec_lo, s3
	s_mov_b32 s3, 0
	s_cbranch_vccz .LBB79_2737
; %bb.2736:
	s_cmp_lg_u32 s2, 11
	s_mov_b32 s3, -1
	s_cselect_b32 s0, -1, 0
.LBB79_2737:
	s_delay_alu instid0(SALU_CYCLE_1)
	s_and_b32 vcc_lo, exec_lo, s0
	s_cbranch_vccnz .LBB79_3146
; %bb.2738:
	s_and_not1_b32 vcc_lo, exec_lo, s3
	s_cbranch_vccnz .LBB79_2740
.LBB79_2739:
	v_cmp_ne_u16_e32 vcc_lo, 0, v1
	s_mov_b32 s6, -1
	s_wait_xcnt 0x0
	v_cndmask_b32_e64 v5, 0, 1, vcc_lo
	global_store_b8 v[6:7], v5, off
.LBB79_2740:
	s_mov_b32 s0, 0
	s_branch .LBB79_2787
.LBB79_2741:
	s_mov_b32 s0, 0
	s_wait_xcnt 0x0
	s_mov_b32 s3, 0
                                        ; implicit-def: $vgpr2_vgpr3
                                        ; implicit-def: $sgpr1
                                        ; implicit-def: $vgpr11
.LBB79_2742:
	s_and_not1_b32 s2, s8, exec_lo
	s_and_b32 s4, s10, exec_lo
	s_and_b32 s0, s0, exec_lo
	;; [unrolled: 1-line block ×3, first 2 shown]
	s_or_b32 s8, s2, s4
.LBB79_2743:
	s_wait_xcnt 0x0
	s_or_b32 exec_lo, exec_lo, s9
	s_and_saveexec_b32 s2, s8
	s_cbranch_execz .LBB79_2746
; %bb.2744:
	; divergent unreachable
	s_or_b32 exec_lo, exec_lo, s2
	s_and_saveexec_b32 s2, s28
	s_delay_alu instid0(SALU_CYCLE_1)
	s_xor_b32 s2, exec_lo, s2
	s_cbranch_execnz .LBB79_2747
.LBB79_2745:
	s_or_b32 exec_lo, exec_lo, s2
	s_and_saveexec_b32 s2, s0
	s_cbranch_execnz .LBB79_2748
	s_branch .LBB79_2785
.LBB79_2746:
	s_or_b32 exec_lo, exec_lo, s2
	s_and_saveexec_b32 s2, s28
	s_delay_alu instid0(SALU_CYCLE_1)
	s_xor_b32 s2, exec_lo, s2
	s_cbranch_execz .LBB79_2745
.LBB79_2747:
	s_wait_loadcnt 0x0
	v_cmp_ne_u16_e32 vcc_lo, 0, v11
	v_cndmask_b32_e64 v0, 0, 1, vcc_lo
	global_store_b8 v[2:3], v0, off
	s_wait_xcnt 0x0
	s_or_b32 exec_lo, exec_lo, s2
	s_and_saveexec_b32 s2, s0
	s_cbranch_execz .LBB79_2785
.LBB79_2748:
	s_sext_i32_i16 s2, s1
	s_mov_b32 s0, -1
	s_cmp_lt_i32 s2, 5
	s_cbranch_scc1 .LBB79_2769
; %bb.2749:
	s_cmp_lt_i32 s2, 8
	s_cbranch_scc1 .LBB79_2759
; %bb.2750:
	;; [unrolled: 3-line block ×3, first 2 shown]
	s_cmp_gt_i32 s2, 9
	s_cbranch_scc0 .LBB79_2753
; %bb.2752:
	s_wait_loadcnt 0x0
	v_bfe_i32 v0, v11, 0, 16
	v_mov_b32_e32 v6, 0
	s_mov_b32 s0, 0
	s_delay_alu instid0(VALU_DEP_2) | instskip(NEXT) | instid1(VALU_DEP_2)
	v_cvt_f64_i32_e32 v[4:5], v0
	v_mov_b32_e32 v7, v6
	global_store_b128 v[2:3], v[4:7], off
.LBB79_2753:
	s_and_not1_b32 vcc_lo, exec_lo, s0
	s_cbranch_vccnz .LBB79_2755
; %bb.2754:
	s_wait_loadcnt 0x0
	v_bfe_i32 v0, v11, 0, 16
	v_mov_b32_e32 v1, 0
	s_delay_alu instid0(VALU_DEP_2)
	v_cvt_f32_i32_e32 v0, v0
	global_store_b64 v[2:3], v[0:1], off
.LBB79_2755:
	s_mov_b32 s0, 0
.LBB79_2756:
	s_delay_alu instid0(SALU_CYCLE_1)
	s_and_not1_b32 vcc_lo, exec_lo, s0
	s_cbranch_vccnz .LBB79_2758
; %bb.2757:
	s_wait_loadcnt 0x0
	v_cvt_f16_i16_e32 v0, v11
	s_delay_alu instid0(VALU_DEP_1)
	v_and_b32_e32 v0, 0xffff, v0
	global_store_b32 v[2:3], v0, off
.LBB79_2758:
	s_mov_b32 s0, 0
.LBB79_2759:
	s_delay_alu instid0(SALU_CYCLE_1)
	s_and_not1_b32 vcc_lo, exec_lo, s0
	s_cbranch_vccnz .LBB79_2768
; %bb.2760:
	s_sext_i32_i16 s2, s1
	s_mov_b32 s0, -1
	s_cmp_lt_i32 s2, 6
	s_cbranch_scc1 .LBB79_2766
; %bb.2761:
	s_cmp_gt_i32 s2, 6
	s_cbranch_scc0 .LBB79_2763
; %bb.2762:
	s_wait_loadcnt 0x0
	v_bfe_i32 v0, v11, 0, 16
	s_mov_b32 s0, 0
	s_delay_alu instid0(VALU_DEP_1)
	v_cvt_f64_i32_e32 v[0:1], v0
	global_store_b64 v[2:3], v[0:1], off
.LBB79_2763:
	s_and_not1_b32 vcc_lo, exec_lo, s0
	s_cbranch_vccnz .LBB79_2765
; %bb.2764:
	s_wait_loadcnt 0x0
	v_bfe_i32 v0, v11, 0, 16
	s_delay_alu instid0(VALU_DEP_1)
	v_cvt_f32_i32_e32 v0, v0
	global_store_b32 v[2:3], v0, off
.LBB79_2765:
	s_mov_b32 s0, 0
.LBB79_2766:
	s_delay_alu instid0(SALU_CYCLE_1)
	s_and_not1_b32 vcc_lo, exec_lo, s0
	s_cbranch_vccnz .LBB79_2768
; %bb.2767:
	s_wait_loadcnt 0x0
	v_cvt_f16_i16_e32 v0, v11
	global_store_b16 v[2:3], v0, off
.LBB79_2768:
	s_mov_b32 s0, 0
.LBB79_2769:
	s_delay_alu instid0(SALU_CYCLE_1)
	s_and_not1_b32 vcc_lo, exec_lo, s0
	s_cbranch_vccnz .LBB79_2785
; %bb.2770:
	s_sext_i32_i16 s2, s1
	s_mov_b32 s0, -1
	s_cmp_lt_i32 s2, 2
	s_cbranch_scc1 .LBB79_2780
; %bb.2771:
	s_cmp_lt_i32 s2, 3
	s_cbranch_scc1 .LBB79_2777
; %bb.2772:
	s_wait_loadcnt 0x0
	v_bfe_i32 v0, v11, 0, 16
	s_cmp_gt_i32 s2, 3
	s_cbranch_scc0 .LBB79_2774
; %bb.2773:
	s_delay_alu instid0(VALU_DEP_1)
	v_ashrrev_i32_e32 v1, 31, v0
	s_mov_b32 s0, 0
	global_store_b64 v[2:3], v[0:1], off
.LBB79_2774:
	s_and_not1_b32 vcc_lo, exec_lo, s0
	s_cbranch_vccnz .LBB79_2776
; %bb.2775:
	global_store_b32 v[2:3], v0, off
.LBB79_2776:
	s_mov_b32 s0, 0
.LBB79_2777:
	s_delay_alu instid0(SALU_CYCLE_1)
	s_and_not1_b32 vcc_lo, exec_lo, s0
	s_cbranch_vccnz .LBB79_2779
; %bb.2778:
	s_wait_loadcnt 0x0
	global_store_b16 v[2:3], v11, off
.LBB79_2779:
	s_mov_b32 s0, 0
.LBB79_2780:
	s_delay_alu instid0(SALU_CYCLE_1)
	s_and_not1_b32 vcc_lo, exec_lo, s0
	s_cbranch_vccnz .LBB79_2785
; %bb.2781:
	s_sext_i32_i16 s0, s1
	s_delay_alu instid0(SALU_CYCLE_1)
	s_cmp_gt_i32 s0, 0
	s_mov_b32 s0, -1
	s_cbranch_scc0 .LBB79_2783
; %bb.2782:
	s_mov_b32 s0, 0
	s_wait_loadcnt 0x0
	global_store_b8 v[2:3], v11, off
.LBB79_2783:
	s_and_not1_b32 vcc_lo, exec_lo, s0
	s_cbranch_vccnz .LBB79_2785
; %bb.2784:
	s_wait_loadcnt 0x0
	global_store_b8 v[2:3], v11, off
	s_endpgm
.LBB79_2785:
	s_endpgm
.LBB79_2786:
	s_mov_b32 s0, -1
	s_mov_b32 s6, 0
.LBB79_2787:
	s_and_b32 vcc_lo, exec_lo, s0
	s_cbranch_vccz .LBB79_2826
; %bb.2788:
	s_and_b32 s0, 0xffff, s1
	s_mov_b32 s2, -1
	s_cmp_lt_i32 s0, 5
	s_cbranch_scc1 .LBB79_2809
; %bb.2789:
	s_cmp_lt_i32 s0, 8
	s_cbranch_scc1 .LBB79_2799
; %bb.2790:
	;; [unrolled: 3-line block ×3, first 2 shown]
	s_cmp_gt_i32 s0, 9
	s_cbranch_scc0 .LBB79_2793
; %bb.2792:
	s_wait_xcnt 0x0
	v_bfe_i32 v5, v1, 0, 16
	v_mov_b32_e32 v18, 0
	s_mov_b32 s2, 0
	s_delay_alu instid0(VALU_DEP_2) | instskip(NEXT) | instid1(VALU_DEP_2)
	v_cvt_f64_i32_e32 v[16:17], v5
	v_mov_b32_e32 v19, v18
	global_store_b128 v[6:7], v[16:19], off
.LBB79_2793:
	s_and_not1_b32 vcc_lo, exec_lo, s2
	s_cbranch_vccnz .LBB79_2795
; %bb.2794:
	s_wait_xcnt 0x0
	v_bfe_i32 v5, v1, 0, 16
	v_mov_b32_e32 v9, 0
	s_delay_alu instid0(VALU_DEP_2)
	v_cvt_f32_i32_e32 v8, v5
	global_store_b64 v[6:7], v[8:9], off
.LBB79_2795:
	s_mov_b32 s2, 0
.LBB79_2796:
	s_delay_alu instid0(SALU_CYCLE_1)
	s_and_not1_b32 vcc_lo, exec_lo, s2
	s_cbranch_vccnz .LBB79_2798
; %bb.2797:
	s_wait_xcnt 0x0
	v_cvt_f16_i16_e32 v5, v1
	s_delay_alu instid0(VALU_DEP_1)
	v_and_b32_e32 v5, 0xffff, v5
	global_store_b32 v[6:7], v5, off
.LBB79_2798:
	s_mov_b32 s2, 0
.LBB79_2799:
	s_delay_alu instid0(SALU_CYCLE_1)
	s_and_not1_b32 vcc_lo, exec_lo, s2
	s_cbranch_vccnz .LBB79_2808
; %bb.2800:
	s_cmp_lt_i32 s0, 6
	s_mov_b32 s2, -1
	s_cbranch_scc1 .LBB79_2806
; %bb.2801:
	s_cmp_gt_i32 s0, 6
	s_cbranch_scc0 .LBB79_2803
; %bb.2802:
	s_wait_xcnt 0x0
	v_bfe_i32 v5, v1, 0, 16
	s_mov_b32 s2, 0
	s_delay_alu instid0(VALU_DEP_1)
	v_cvt_f64_i32_e32 v[8:9], v5
	global_store_b64 v[6:7], v[8:9], off
.LBB79_2803:
	s_and_not1_b32 vcc_lo, exec_lo, s2
	s_cbranch_vccnz .LBB79_2805
; %bb.2804:
	s_wait_xcnt 0x0
	v_bfe_i32 v5, v1, 0, 16
	s_delay_alu instid0(VALU_DEP_1)
	v_cvt_f32_i32_e32 v5, v5
	global_store_b32 v[6:7], v5, off
.LBB79_2805:
	s_mov_b32 s2, 0
.LBB79_2806:
	s_delay_alu instid0(SALU_CYCLE_1)
	s_and_not1_b32 vcc_lo, exec_lo, s2
	s_cbranch_vccnz .LBB79_2808
; %bb.2807:
	s_wait_xcnt 0x0
	v_cvt_f16_i16_e32 v5, v1
	global_store_b16 v[6:7], v5, off
.LBB79_2808:
	s_mov_b32 s2, 0
.LBB79_2809:
	s_delay_alu instid0(SALU_CYCLE_1)
	s_and_not1_b32 vcc_lo, exec_lo, s2
	s_cbranch_vccnz .LBB79_2825
; %bb.2810:
	s_cmp_lt_i32 s0, 2
	s_mov_b32 s2, -1
	s_cbranch_scc1 .LBB79_2820
; %bb.2811:
	s_cmp_lt_i32 s0, 3
	s_cbranch_scc1 .LBB79_2817
; %bb.2812:
	s_wait_xcnt 0x0
	v_bfe_i32 v8, v1, 0, 16
	s_cmp_gt_i32 s0, 3
	s_cbranch_scc0 .LBB79_2814
; %bb.2813:
	s_delay_alu instid0(VALU_DEP_1)
	v_ashrrev_i32_e32 v9, 31, v8
	s_mov_b32 s2, 0
	global_store_b64 v[6:7], v[8:9], off
.LBB79_2814:
	s_and_not1_b32 vcc_lo, exec_lo, s2
	s_cbranch_vccnz .LBB79_2816
; %bb.2815:
	global_store_b32 v[6:7], v8, off
.LBB79_2816:
	s_mov_b32 s2, 0
.LBB79_2817:
	s_delay_alu instid0(SALU_CYCLE_1)
	s_and_not1_b32 vcc_lo, exec_lo, s2
	s_cbranch_vccnz .LBB79_2819
; %bb.2818:
	global_store_b16 v[6:7], v1, off
.LBB79_2819:
	s_mov_b32 s2, 0
.LBB79_2820:
	s_delay_alu instid0(SALU_CYCLE_1)
	s_and_not1_b32 vcc_lo, exec_lo, s2
	s_cbranch_vccnz .LBB79_2825
; %bb.2821:
	s_cmp_gt_i32 s0, 0
	s_mov_b32 s0, -1
	s_cbranch_scc0 .LBB79_2823
; %bb.2822:
	s_mov_b32 s0, 0
	global_store_b8 v[6:7], v1, off
.LBB79_2823:
	s_and_not1_b32 vcc_lo, exec_lo, s0
	s_cbranch_vccnz .LBB79_2825
; %bb.2824:
	global_store_b8 v[6:7], v1, off
.LBB79_2825:
	s_mov_b32 s6, -1
.LBB79_2826:
	s_delay_alu instid0(SALU_CYCLE_1)
	s_and_not1_b32 vcc_lo, exec_lo, s6
	s_cbranch_vccnz .LBB79_3141
; %bb.2827:
	s_wait_xcnt 0x0
	v_mov_b32_e32 v5, 0
	s_and_b32 s2, 0xffff, s1
	s_delay_alu instid0(SALU_CYCLE_1) | instskip(NEXT) | instid1(VALU_DEP_1)
	s_cmp_lt_i32 s2, 11
	v_add_nc_u64_e32 v[4:5], s[4:5], v[4:5]
	s_cbranch_scc1 .LBB79_2905
; %bb.2828:
	s_mov_b32 s7, -1
	s_mov_b32 s3, 0
	s_cmp_gt_i32 s2, 25
	s_mov_b32 s6, 0
	s_mov_b32 s0, 0
	s_cbranch_scc0 .LBB79_2861
; %bb.2829:
	s_cmp_gt_i32 s2, 28
	s_cbranch_scc0 .LBB79_2844
; %bb.2830:
	s_cmp_gt_i32 s2, 43
	;; [unrolled: 3-line block ×3, first 2 shown]
	s_cbranch_scc0 .LBB79_2834
; %bb.2832:
	s_mov_b32 s0, -1
	s_mov_b32 s7, 0
	s_cmp_eq_u32 s2, 46
	s_cbranch_scc0 .LBB79_2834
; %bb.2833:
	v_bfe_i32 v1, v3, 0, 16
	s_mov_b32 s0, 0
	s_mov_b32 s6, -1
	s_delay_alu instid0(VALU_DEP_1) | instskip(NEXT) | instid1(VALU_DEP_1)
	v_cvt_f32_i32_e32 v1, v1
	v_bfe_u32 v6, v1, 16, 1
	s_delay_alu instid0(VALU_DEP_1) | instskip(NEXT) | instid1(VALU_DEP_1)
	v_add3_u32 v1, v1, v6, 0x7fff
	v_lshrrev_b32_e32 v1, 16, v1
	global_store_b32 v[4:5], v1, off
.LBB79_2834:
	s_and_b32 vcc_lo, exec_lo, s7
	s_cbranch_vccz .LBB79_2839
; %bb.2835:
	s_cmp_eq_u32 s2, 44
	s_mov_b32 s0, -1
	s_cbranch_scc0 .LBB79_2839
; %bb.2836:
	s_wait_xcnt 0x0
	v_bfe_i32 v1, v3, 0, 16
	v_mov_b32_e32 v6, 0xff
	s_mov_b32 s6, exec_lo
	s_delay_alu instid0(VALU_DEP_2) | instskip(NEXT) | instid1(VALU_DEP_1)
	v_cvt_f32_i32_e32 v1, v1
	v_bfe_u32 v7, v1, 23, 8
	s_delay_alu instid0(VALU_DEP_1)
	v_cmpx_ne_u32_e32 0xff, v7
	s_cbranch_execz .LBB79_2838
; %bb.2837:
	v_and_b32_e32 v6, 0x400000, v1
	v_and_or_b32 v7, 0x3fffff, v1, v7
	v_lshrrev_b32_e32 v1, 23, v1
	s_delay_alu instid0(VALU_DEP_3) | instskip(NEXT) | instid1(VALU_DEP_3)
	v_cmp_ne_u32_e32 vcc_lo, 0, v6
	v_cmp_ne_u32_e64 s0, 0, v7
	s_and_b32 s0, vcc_lo, s0
	s_delay_alu instid0(SALU_CYCLE_1) | instskip(NEXT) | instid1(VALU_DEP_1)
	v_cndmask_b32_e64 v6, 0, 1, s0
	v_add_nc_u32_e32 v6, v1, v6
.LBB79_2838:
	s_or_b32 exec_lo, exec_lo, s6
	s_mov_b32 s0, 0
	s_mov_b32 s6, -1
	global_store_b8 v[4:5], v6, off
.LBB79_2839:
	s_mov_b32 s7, 0
.LBB79_2840:
	s_delay_alu instid0(SALU_CYCLE_1)
	s_and_b32 vcc_lo, exec_lo, s7
	s_cbranch_vccz .LBB79_2843
; %bb.2841:
	s_cmp_eq_u32 s2, 29
	s_mov_b32 s0, -1
	s_cbranch_scc0 .LBB79_2843
; %bb.2842:
	s_wait_xcnt 0x0
	v_bfe_i32 v6, v3, 0, 16
	s_mov_b32 s0, 0
	s_mov_b32 s6, -1
	s_delay_alu instid0(VALU_DEP_1)
	v_ashrrev_i32_e32 v7, 31, v6
	global_store_b64 v[4:5], v[6:7], off
.LBB79_2843:
	s_mov_b32 s7, 0
.LBB79_2844:
	s_delay_alu instid0(SALU_CYCLE_1)
	s_and_b32 vcc_lo, exec_lo, s7
	s_cbranch_vccz .LBB79_2860
; %bb.2845:
	s_cmp_lt_i32 s2, 27
	s_mov_b32 s6, -1
	s_cbranch_scc1 .LBB79_2851
; %bb.2846:
	s_cmp_gt_i32 s2, 27
	s_cbranch_scc0 .LBB79_2848
; %bb.2847:
	s_wait_xcnt 0x0
	v_bfe_i32 v1, v3, 0, 16
	s_mov_b32 s6, 0
	global_store_b32 v[4:5], v1, off
.LBB79_2848:
	s_and_not1_b32 vcc_lo, exec_lo, s6
	s_cbranch_vccnz .LBB79_2850
; %bb.2849:
	global_store_b16 v[4:5], v3, off
.LBB79_2850:
	s_mov_b32 s6, 0
.LBB79_2851:
	s_delay_alu instid0(SALU_CYCLE_1)
	s_and_not1_b32 vcc_lo, exec_lo, s6
	s_cbranch_vccnz .LBB79_2859
; %bb.2852:
	s_wait_xcnt 0x0
	v_bfe_i32 v1, v3, 0, 16
	v_mov_b32_e32 v7, 0x80
	s_mov_b32 s6, exec_lo
	s_delay_alu instid0(VALU_DEP_2) | instskip(NEXT) | instid1(VALU_DEP_1)
	v_cvt_f32_i32_e32 v1, v1
	v_and_b32_e32 v6, 0x7fffffff, v1
	s_delay_alu instid0(VALU_DEP_1)
	v_cmpx_gt_u32_e32 0x43800000, v6
	s_cbranch_execz .LBB79_2858
; %bb.2853:
	v_cmp_lt_u32_e32 vcc_lo, 0x3bffffff, v6
	s_mov_b32 s7, 0
                                        ; implicit-def: $vgpr6
	s_and_saveexec_b32 s11, vcc_lo
	s_delay_alu instid0(SALU_CYCLE_1)
	s_xor_b32 s11, exec_lo, s11
	s_cbranch_execz .LBB79_3149
; %bb.2854:
	v_bfe_u32 v6, v1, 20, 1
	s_mov_b32 s7, exec_lo
	s_delay_alu instid0(VALU_DEP_1) | instskip(NEXT) | instid1(VALU_DEP_1)
	v_add3_u32 v6, v1, v6, 0x487ffff
	v_lshrrev_b32_e32 v6, 20, v6
	s_and_not1_saveexec_b32 s11, s11
	s_cbranch_execnz .LBB79_3150
.LBB79_2855:
	s_or_b32 exec_lo, exec_lo, s11
	v_mov_b32_e32 v7, 0
	s_and_saveexec_b32 s11, s7
.LBB79_2856:
	v_lshrrev_b32_e32 v1, 24, v1
	s_delay_alu instid0(VALU_DEP_1)
	v_and_or_b32 v7, 0x80, v1, v6
.LBB79_2857:
	s_or_b32 exec_lo, exec_lo, s11
.LBB79_2858:
	s_delay_alu instid0(SALU_CYCLE_1)
	s_or_b32 exec_lo, exec_lo, s6
	global_store_b8 v[4:5], v7, off
.LBB79_2859:
	s_mov_b32 s6, -1
.LBB79_2860:
	s_mov_b32 s7, 0
.LBB79_2861:
	s_delay_alu instid0(SALU_CYCLE_1)
	s_and_b32 vcc_lo, exec_lo, s7
	s_cbranch_vccz .LBB79_2901
; %bb.2862:
	s_cmp_gt_i32 s2, 22
	s_mov_b32 s3, -1
	s_cbranch_scc0 .LBB79_2894
; %bb.2863:
	s_cmp_lt_i32 s2, 24
	s_cbranch_scc1 .LBB79_2883
; %bb.2864:
	s_cmp_gt_i32 s2, 24
	s_cbranch_scc0 .LBB79_2872
; %bb.2865:
	s_wait_xcnt 0x0
	v_bfe_i32 v1, v3, 0, 16
	v_mov_b32_e32 v7, 0x80
	s_mov_b32 s3, exec_lo
	s_delay_alu instid0(VALU_DEP_2) | instskip(NEXT) | instid1(VALU_DEP_1)
	v_cvt_f32_i32_e32 v1, v1
	v_and_b32_e32 v6, 0x7fffffff, v1
	s_delay_alu instid0(VALU_DEP_1)
	v_cmpx_gt_u32_e32 0x47800000, v6
	s_cbranch_execz .LBB79_2871
; %bb.2866:
	v_cmp_lt_u32_e32 vcc_lo, 0x37ffffff, v6
	s_mov_b32 s6, 0
                                        ; implicit-def: $vgpr6
	s_and_saveexec_b32 s7, vcc_lo
	s_delay_alu instid0(SALU_CYCLE_1)
	s_xor_b32 s7, exec_lo, s7
	s_cbranch_execz .LBB79_3152
; %bb.2867:
	v_bfe_u32 v6, v1, 21, 1
	s_mov_b32 s6, exec_lo
	s_delay_alu instid0(VALU_DEP_1) | instskip(NEXT) | instid1(VALU_DEP_1)
	v_add3_u32 v6, v1, v6, 0x88fffff
	v_lshrrev_b32_e32 v6, 21, v6
	s_and_not1_saveexec_b32 s7, s7
	s_cbranch_execnz .LBB79_3153
.LBB79_2868:
	s_or_b32 exec_lo, exec_lo, s7
	v_mov_b32_e32 v7, 0
	s_and_saveexec_b32 s7, s6
.LBB79_2869:
	v_lshrrev_b32_e32 v1, 24, v1
	s_delay_alu instid0(VALU_DEP_1)
	v_and_or_b32 v7, 0x80, v1, v6
.LBB79_2870:
	s_or_b32 exec_lo, exec_lo, s7
.LBB79_2871:
	s_delay_alu instid0(SALU_CYCLE_1)
	s_or_b32 exec_lo, exec_lo, s3
	s_mov_b32 s3, 0
	global_store_b8 v[4:5], v7, off
.LBB79_2872:
	s_and_b32 vcc_lo, exec_lo, s3
	s_cbranch_vccz .LBB79_2882
; %bb.2873:
	s_wait_xcnt 0x0
	v_bfe_i32 v1, v3, 0, 16
	s_mov_b32 s3, exec_lo
                                        ; implicit-def: $vgpr6
	s_delay_alu instid0(VALU_DEP_1) | instskip(NEXT) | instid1(VALU_DEP_1)
	v_cvt_f32_i32_e32 v1, v1
	v_and_b32_e32 v7, 0x7fffffff, v1
	s_delay_alu instid0(VALU_DEP_1)
	v_cmpx_gt_u32_e32 0x43f00000, v7
	s_xor_b32 s3, exec_lo, s3
	s_cbranch_execz .LBB79_2879
; %bb.2874:
	s_mov_b32 s6, exec_lo
                                        ; implicit-def: $vgpr6
	v_cmpx_lt_u32_e32 0x3c7fffff, v7
	s_xor_b32 s6, exec_lo, s6
; %bb.2875:
	v_bfe_u32 v6, v1, 20, 1
	s_delay_alu instid0(VALU_DEP_1) | instskip(NEXT) | instid1(VALU_DEP_1)
	v_add3_u32 v6, v1, v6, 0x407ffff
	v_and_b32_e32 v7, 0xff00000, v6
	v_lshrrev_b32_e32 v6, 20, v6
	s_delay_alu instid0(VALU_DEP_2) | instskip(NEXT) | instid1(VALU_DEP_2)
	v_cmp_ne_u32_e32 vcc_lo, 0x7f00000, v7
	v_cndmask_b32_e32 v6, 0x7e, v6, vcc_lo
; %bb.2876:
	s_and_not1_saveexec_b32 s6, s6
; %bb.2877:
	v_add_f32_e64 v6, 0x46800000, |v1|
; %bb.2878:
	s_or_b32 exec_lo, exec_lo, s6
                                        ; implicit-def: $vgpr7
.LBB79_2879:
	s_and_not1_saveexec_b32 s3, s3
; %bb.2880:
	v_mov_b32_e32 v6, 0x7f
	v_cmp_lt_u32_e32 vcc_lo, 0x7f800000, v7
	s_delay_alu instid0(VALU_DEP_2)
	v_cndmask_b32_e32 v6, 0x7e, v6, vcc_lo
; %bb.2881:
	s_or_b32 exec_lo, exec_lo, s3
	v_lshrrev_b32_e32 v1, 24, v1
	s_delay_alu instid0(VALU_DEP_1)
	v_and_or_b32 v1, 0x80, v1, v6
	global_store_b8 v[4:5], v1, off
.LBB79_2882:
	s_mov_b32 s3, 0
.LBB79_2883:
	s_delay_alu instid0(SALU_CYCLE_1)
	s_and_not1_b32 vcc_lo, exec_lo, s3
	s_cbranch_vccnz .LBB79_2893
; %bb.2884:
	s_wait_xcnt 0x0
	v_bfe_i32 v1, v3, 0, 16
	s_mov_b32 s3, exec_lo
                                        ; implicit-def: $vgpr6
	s_delay_alu instid0(VALU_DEP_1) | instskip(NEXT) | instid1(VALU_DEP_1)
	v_cvt_f32_i32_e32 v1, v1
	v_and_b32_e32 v7, 0x7fffffff, v1
	s_delay_alu instid0(VALU_DEP_1)
	v_cmpx_gt_u32_e32 0x47800000, v7
	s_xor_b32 s3, exec_lo, s3
	s_cbranch_execz .LBB79_2890
; %bb.2885:
	s_mov_b32 s6, exec_lo
                                        ; implicit-def: $vgpr6
	v_cmpx_lt_u32_e32 0x387fffff, v7
	s_xor_b32 s6, exec_lo, s6
; %bb.2886:
	v_bfe_u32 v6, v1, 21, 1
	s_delay_alu instid0(VALU_DEP_1) | instskip(NEXT) | instid1(VALU_DEP_1)
	v_add3_u32 v6, v1, v6, 0x80fffff
	v_lshrrev_b32_e32 v6, 21, v6
; %bb.2887:
	s_and_not1_saveexec_b32 s6, s6
; %bb.2888:
	v_add_f32_e64 v6, 0x43000000, |v1|
; %bb.2889:
	s_or_b32 exec_lo, exec_lo, s6
                                        ; implicit-def: $vgpr7
.LBB79_2890:
	s_and_not1_saveexec_b32 s3, s3
; %bb.2891:
	v_mov_b32_e32 v6, 0x7f
	v_cmp_lt_u32_e32 vcc_lo, 0x7f800000, v7
	s_delay_alu instid0(VALU_DEP_2)
	v_cndmask_b32_e32 v6, 0x7c, v6, vcc_lo
; %bb.2892:
	s_or_b32 exec_lo, exec_lo, s3
	v_lshrrev_b32_e32 v1, 24, v1
	s_delay_alu instid0(VALU_DEP_1)
	v_and_or_b32 v1, 0x80, v1, v6
	global_store_b8 v[4:5], v1, off
.LBB79_2893:
	s_mov_b32 s3, 0
	s_mov_b32 s6, -1
.LBB79_2894:
	s_and_not1_b32 vcc_lo, exec_lo, s3
	s_mov_b32 s3, 0
	s_cbranch_vccnz .LBB79_2901
; %bb.2895:
	s_cmp_gt_i32 s2, 14
	s_mov_b32 s3, -1
	s_cbranch_scc0 .LBB79_2899
; %bb.2896:
	s_cmp_eq_u32 s2, 15
	s_mov_b32 s0, -1
	s_cbranch_scc0 .LBB79_2898
; %bb.2897:
	s_wait_xcnt 0x0
	v_bfe_i32 v1, v3, 0, 16
	s_mov_b32 s0, 0
	s_mov_b32 s6, -1
	s_delay_alu instid0(VALU_DEP_1) | instskip(NEXT) | instid1(VALU_DEP_1)
	v_cvt_f32_i32_e32 v1, v1
	v_bfe_u32 v6, v1, 16, 1
	s_delay_alu instid0(VALU_DEP_1)
	v_add3_u32 v1, v1, v6, 0x7fff
	global_store_d16_hi_b16 v[4:5], v1, off
.LBB79_2898:
	s_mov_b32 s3, 0
.LBB79_2899:
	s_delay_alu instid0(SALU_CYCLE_1)
	s_and_b32 vcc_lo, exec_lo, s3
	s_mov_b32 s3, 0
	s_cbranch_vccz .LBB79_2901
; %bb.2900:
	s_cmp_lg_u32 s2, 11
	s_mov_b32 s3, -1
	s_cselect_b32 s0, -1, 0
.LBB79_2901:
	s_delay_alu instid0(SALU_CYCLE_1)
	s_and_b32 vcc_lo, exec_lo, s0
	s_cbranch_vccnz .LBB79_3151
; %bb.2902:
	s_and_not1_b32 vcc_lo, exec_lo, s3
	s_cbranch_vccnz .LBB79_2904
.LBB79_2903:
	v_cmp_ne_u16_e32 vcc_lo, 0, v3
	s_mov_b32 s6, -1
	s_wait_xcnt 0x0
	v_cndmask_b32_e64 v1, 0, 1, vcc_lo
	global_store_b8 v[4:5], v1, off
.LBB79_2904:
	s_mov_b32 s0, 0
	s_branch .LBB79_2906
.LBB79_2905:
	s_mov_b32 s0, -1
	s_mov_b32 s6, 0
.LBB79_2906:
	s_and_b32 vcc_lo, exec_lo, s0
	s_cbranch_vccz .LBB79_2945
; %bb.2907:
	s_cmp_lt_i32 s2, 5
	s_mov_b32 s0, -1
	s_cbranch_scc1 .LBB79_2928
; %bb.2908:
	s_cmp_lt_i32 s2, 8
	s_cbranch_scc1 .LBB79_2918
; %bb.2909:
	s_cmp_lt_i32 s2, 9
	s_cbranch_scc1 .LBB79_2915
; %bb.2910:
	s_cmp_gt_i32 s2, 9
	s_cbranch_scc0 .LBB79_2912
; %bb.2911:
	s_wait_xcnt 0x0
	v_bfe_i32 v1, v3, 0, 16
	v_mov_b32_e32 v8, 0
	s_mov_b32 s0, 0
	s_delay_alu instid0(VALU_DEP_2) | instskip(NEXT) | instid1(VALU_DEP_2)
	v_cvt_f64_i32_e32 v[6:7], v1
	v_mov_b32_e32 v9, v8
	global_store_b128 v[4:5], v[6:9], off
.LBB79_2912:
	s_and_not1_b32 vcc_lo, exec_lo, s0
	s_cbranch_vccnz .LBB79_2914
; %bb.2913:
	s_wait_xcnt 0x0
	v_bfe_i32 v1, v3, 0, 16
	v_mov_b32_e32 v7, 0
	s_delay_alu instid0(VALU_DEP_2)
	v_cvt_f32_i32_e32 v6, v1
	global_store_b64 v[4:5], v[6:7], off
.LBB79_2914:
	s_mov_b32 s0, 0
.LBB79_2915:
	s_delay_alu instid0(SALU_CYCLE_1)
	s_and_not1_b32 vcc_lo, exec_lo, s0
	s_cbranch_vccnz .LBB79_2917
; %bb.2916:
	s_wait_xcnt 0x0
	v_cvt_f16_i16_e32 v1, v3
	s_delay_alu instid0(VALU_DEP_1)
	v_and_b32_e32 v1, 0xffff, v1
	global_store_b32 v[4:5], v1, off
.LBB79_2917:
	s_mov_b32 s0, 0
.LBB79_2918:
	s_delay_alu instid0(SALU_CYCLE_1)
	s_and_not1_b32 vcc_lo, exec_lo, s0
	s_cbranch_vccnz .LBB79_2927
; %bb.2919:
	s_cmp_lt_i32 s2, 6
	s_mov_b32 s0, -1
	s_cbranch_scc1 .LBB79_2925
; %bb.2920:
	s_cmp_gt_i32 s2, 6
	s_cbranch_scc0 .LBB79_2922
; %bb.2921:
	s_wait_xcnt 0x0
	v_bfe_i32 v1, v3, 0, 16
	s_mov_b32 s0, 0
	s_delay_alu instid0(VALU_DEP_1)
	v_cvt_f64_i32_e32 v[6:7], v1
	global_store_b64 v[4:5], v[6:7], off
.LBB79_2922:
	s_and_not1_b32 vcc_lo, exec_lo, s0
	s_cbranch_vccnz .LBB79_2924
; %bb.2923:
	s_wait_xcnt 0x0
	v_bfe_i32 v1, v3, 0, 16
	s_delay_alu instid0(VALU_DEP_1)
	v_cvt_f32_i32_e32 v1, v1
	global_store_b32 v[4:5], v1, off
.LBB79_2924:
	s_mov_b32 s0, 0
.LBB79_2925:
	s_delay_alu instid0(SALU_CYCLE_1)
	s_and_not1_b32 vcc_lo, exec_lo, s0
	s_cbranch_vccnz .LBB79_2927
; %bb.2926:
	s_wait_xcnt 0x0
	v_cvt_f16_i16_e32 v1, v3
	global_store_b16 v[4:5], v1, off
.LBB79_2927:
	s_mov_b32 s0, 0
.LBB79_2928:
	s_delay_alu instid0(SALU_CYCLE_1)
	s_and_not1_b32 vcc_lo, exec_lo, s0
	s_cbranch_vccnz .LBB79_2944
; %bb.2929:
	s_cmp_lt_i32 s2, 2
	s_mov_b32 s0, -1
	s_cbranch_scc1 .LBB79_2939
; %bb.2930:
	s_cmp_lt_i32 s2, 3
	s_cbranch_scc1 .LBB79_2936
; %bb.2931:
	s_cmp_gt_i32 s2, 3
	s_cbranch_scc0 .LBB79_2933
; %bb.2932:
	s_wait_xcnt 0x0
	v_bfe_i32 v6, v3, 0, 16
	s_mov_b32 s0, 0
	s_delay_alu instid0(VALU_DEP_1)
	v_ashrrev_i32_e32 v7, 31, v6
	global_store_b64 v[4:5], v[6:7], off
.LBB79_2933:
	s_and_not1_b32 vcc_lo, exec_lo, s0
	s_cbranch_vccnz .LBB79_2935
; %bb.2934:
	s_wait_xcnt 0x0
	v_bfe_i32 v1, v3, 0, 16
	global_store_b32 v[4:5], v1, off
.LBB79_2935:
	s_mov_b32 s0, 0
.LBB79_2936:
	s_delay_alu instid0(SALU_CYCLE_1)
	s_and_not1_b32 vcc_lo, exec_lo, s0
	s_cbranch_vccnz .LBB79_2938
; %bb.2937:
	global_store_b16 v[4:5], v3, off
.LBB79_2938:
	s_mov_b32 s0, 0
.LBB79_2939:
	s_delay_alu instid0(SALU_CYCLE_1)
	s_and_not1_b32 vcc_lo, exec_lo, s0
	s_cbranch_vccnz .LBB79_2944
; %bb.2940:
	s_cmp_gt_i32 s2, 0
	s_mov_b32 s0, -1
	s_cbranch_scc0 .LBB79_2942
; %bb.2941:
	s_mov_b32 s0, 0
	global_store_b8 v[4:5], v3, off
.LBB79_2942:
	s_and_not1_b32 vcc_lo, exec_lo, s0
	s_cbranch_vccnz .LBB79_2944
; %bb.2943:
	global_store_b8 v[4:5], v3, off
.LBB79_2944:
	s_mov_b32 s6, -1
.LBB79_2945:
	s_delay_alu instid0(SALU_CYCLE_1)
	s_and_not1_b32 vcc_lo, exec_lo, s6
	s_cbranch_vccnz .LBB79_3141
; %bb.2946:
	s_wait_xcnt 0x0
	v_mov_b32_e32 v3, 0
	s_cmp_lt_i32 s2, 11
	s_delay_alu instid0(VALU_DEP_1)
	v_add_nc_u64_e32 v[2:3], s[4:5], v[2:3]
	s_cbranch_scc1 .LBB79_3024
; %bb.2947:
	s_mov_b32 s7, -1
	s_mov_b32 s3, 0
	s_cmp_gt_i32 s2, 25
	s_mov_b32 s6, 0
	s_mov_b32 s0, 0
	s_cbranch_scc0 .LBB79_2980
; %bb.2948:
	s_cmp_gt_i32 s2, 28
	s_cbranch_scc0 .LBB79_2963
; %bb.2949:
	s_cmp_gt_i32 s2, 43
	;; [unrolled: 3-line block ×3, first 2 shown]
	s_cbranch_scc0 .LBB79_2953
; %bb.2951:
	s_mov_b32 s0, -1
	s_mov_b32 s7, 0
	s_cmp_eq_u32 s2, 46
	s_cbranch_scc0 .LBB79_2953
; %bb.2952:
	v_bfe_i32 v1, v15, 0, 16
	s_mov_b32 s0, 0
	s_mov_b32 s6, -1
	s_delay_alu instid0(VALU_DEP_1) | instskip(NEXT) | instid1(VALU_DEP_1)
	v_cvt_f32_i32_e32 v1, v1
	v_bfe_u32 v4, v1, 16, 1
	s_delay_alu instid0(VALU_DEP_1) | instskip(NEXT) | instid1(VALU_DEP_1)
	v_add3_u32 v1, v1, v4, 0x7fff
	v_lshrrev_b32_e32 v1, 16, v1
	global_store_b32 v[2:3], v1, off
.LBB79_2953:
	s_and_b32 vcc_lo, exec_lo, s7
	s_cbranch_vccz .LBB79_2958
; %bb.2954:
	s_cmp_eq_u32 s2, 44
	s_mov_b32 s0, -1
	s_cbranch_scc0 .LBB79_2958
; %bb.2955:
	s_wait_xcnt 0x0
	v_bfe_i32 v1, v15, 0, 16
	v_mov_b32_e32 v4, 0xff
	s_mov_b32 s6, exec_lo
	s_delay_alu instid0(VALU_DEP_2) | instskip(NEXT) | instid1(VALU_DEP_1)
	v_cvt_f32_i32_e32 v1, v1
	v_bfe_u32 v5, v1, 23, 8
	s_delay_alu instid0(VALU_DEP_1)
	v_cmpx_ne_u32_e32 0xff, v5
	s_cbranch_execz .LBB79_2957
; %bb.2956:
	v_and_b32_e32 v4, 0x400000, v1
	v_and_or_b32 v5, 0x3fffff, v1, v5
	v_lshrrev_b32_e32 v1, 23, v1
	s_delay_alu instid0(VALU_DEP_3) | instskip(NEXT) | instid1(VALU_DEP_3)
	v_cmp_ne_u32_e32 vcc_lo, 0, v4
	v_cmp_ne_u32_e64 s0, 0, v5
	s_and_b32 s0, vcc_lo, s0
	s_delay_alu instid0(SALU_CYCLE_1) | instskip(NEXT) | instid1(VALU_DEP_1)
	v_cndmask_b32_e64 v4, 0, 1, s0
	v_add_nc_u32_e32 v4, v1, v4
.LBB79_2957:
	s_or_b32 exec_lo, exec_lo, s6
	s_mov_b32 s0, 0
	s_mov_b32 s6, -1
	global_store_b8 v[2:3], v4, off
.LBB79_2958:
	s_mov_b32 s7, 0
.LBB79_2959:
	s_delay_alu instid0(SALU_CYCLE_1)
	s_and_b32 vcc_lo, exec_lo, s7
	s_cbranch_vccz .LBB79_2962
; %bb.2960:
	s_cmp_eq_u32 s2, 29
	s_mov_b32 s0, -1
	s_cbranch_scc0 .LBB79_2962
; %bb.2961:
	s_wait_xcnt 0x0
	v_bfe_i32 v4, v15, 0, 16
	s_mov_b32 s0, 0
	s_mov_b32 s6, -1
	s_delay_alu instid0(VALU_DEP_1)
	v_ashrrev_i32_e32 v5, 31, v4
	global_store_b64 v[2:3], v[4:5], off
.LBB79_2962:
	s_mov_b32 s7, 0
.LBB79_2963:
	s_delay_alu instid0(SALU_CYCLE_1)
	s_and_b32 vcc_lo, exec_lo, s7
	s_cbranch_vccz .LBB79_2979
; %bb.2964:
	s_cmp_lt_i32 s2, 27
	s_mov_b32 s6, -1
	s_cbranch_scc1 .LBB79_2970
; %bb.2965:
	s_cmp_gt_i32 s2, 27
	s_cbranch_scc0 .LBB79_2967
; %bb.2966:
	s_wait_xcnt 0x0
	v_bfe_i32 v1, v15, 0, 16
	s_mov_b32 s6, 0
	global_store_b32 v[2:3], v1, off
.LBB79_2967:
	s_and_not1_b32 vcc_lo, exec_lo, s6
	s_cbranch_vccnz .LBB79_2969
; %bb.2968:
	global_store_b16 v[2:3], v15, off
.LBB79_2969:
	s_mov_b32 s6, 0
.LBB79_2970:
	s_delay_alu instid0(SALU_CYCLE_1)
	s_and_not1_b32 vcc_lo, exec_lo, s6
	s_cbranch_vccnz .LBB79_2978
; %bb.2971:
	s_wait_xcnt 0x0
	v_bfe_i32 v1, v15, 0, 16
	v_mov_b32_e32 v5, 0x80
	s_mov_b32 s6, exec_lo
	s_delay_alu instid0(VALU_DEP_2) | instskip(NEXT) | instid1(VALU_DEP_1)
	v_cvt_f32_i32_e32 v1, v1
	v_and_b32_e32 v4, 0x7fffffff, v1
	s_delay_alu instid0(VALU_DEP_1)
	v_cmpx_gt_u32_e32 0x43800000, v4
	s_cbranch_execz .LBB79_2977
; %bb.2972:
	v_cmp_lt_u32_e32 vcc_lo, 0x3bffffff, v4
	s_mov_b32 s7, 0
                                        ; implicit-def: $vgpr4
	s_and_saveexec_b32 s11, vcc_lo
	s_delay_alu instid0(SALU_CYCLE_1)
	s_xor_b32 s11, exec_lo, s11
	s_cbranch_execz .LBB79_3154
; %bb.2973:
	v_bfe_u32 v4, v1, 20, 1
	s_mov_b32 s7, exec_lo
	s_delay_alu instid0(VALU_DEP_1) | instskip(NEXT) | instid1(VALU_DEP_1)
	v_add3_u32 v4, v1, v4, 0x487ffff
	v_lshrrev_b32_e32 v4, 20, v4
	s_and_not1_saveexec_b32 s11, s11
	s_cbranch_execnz .LBB79_3155
.LBB79_2974:
	s_or_b32 exec_lo, exec_lo, s11
	v_mov_b32_e32 v5, 0
	s_and_saveexec_b32 s11, s7
.LBB79_2975:
	v_lshrrev_b32_e32 v1, 24, v1
	s_delay_alu instid0(VALU_DEP_1)
	v_and_or_b32 v5, 0x80, v1, v4
.LBB79_2976:
	s_or_b32 exec_lo, exec_lo, s11
.LBB79_2977:
	s_delay_alu instid0(SALU_CYCLE_1)
	s_or_b32 exec_lo, exec_lo, s6
	global_store_b8 v[2:3], v5, off
.LBB79_2978:
	s_mov_b32 s6, -1
.LBB79_2979:
	s_mov_b32 s7, 0
.LBB79_2980:
	s_delay_alu instid0(SALU_CYCLE_1)
	s_and_b32 vcc_lo, exec_lo, s7
	s_cbranch_vccz .LBB79_3020
; %bb.2981:
	s_cmp_gt_i32 s2, 22
	s_mov_b32 s3, -1
	s_cbranch_scc0 .LBB79_3013
; %bb.2982:
	s_cmp_lt_i32 s2, 24
	s_cbranch_scc1 .LBB79_3002
; %bb.2983:
	s_cmp_gt_i32 s2, 24
	s_cbranch_scc0 .LBB79_2991
; %bb.2984:
	s_wait_xcnt 0x0
	v_bfe_i32 v1, v15, 0, 16
	v_mov_b32_e32 v5, 0x80
	s_mov_b32 s3, exec_lo
	s_delay_alu instid0(VALU_DEP_2) | instskip(NEXT) | instid1(VALU_DEP_1)
	v_cvt_f32_i32_e32 v1, v1
	v_and_b32_e32 v4, 0x7fffffff, v1
	s_delay_alu instid0(VALU_DEP_1)
	v_cmpx_gt_u32_e32 0x47800000, v4
	s_cbranch_execz .LBB79_2990
; %bb.2985:
	v_cmp_lt_u32_e32 vcc_lo, 0x37ffffff, v4
	s_mov_b32 s6, 0
                                        ; implicit-def: $vgpr4
	s_and_saveexec_b32 s7, vcc_lo
	s_delay_alu instid0(SALU_CYCLE_1)
	s_xor_b32 s7, exec_lo, s7
	s_cbranch_execz .LBB79_3157
; %bb.2986:
	v_bfe_u32 v4, v1, 21, 1
	s_mov_b32 s6, exec_lo
	s_delay_alu instid0(VALU_DEP_1) | instskip(NEXT) | instid1(VALU_DEP_1)
	v_add3_u32 v4, v1, v4, 0x88fffff
	v_lshrrev_b32_e32 v4, 21, v4
	s_and_not1_saveexec_b32 s7, s7
	s_cbranch_execnz .LBB79_3158
.LBB79_2987:
	s_or_b32 exec_lo, exec_lo, s7
	v_mov_b32_e32 v5, 0
	s_and_saveexec_b32 s7, s6
.LBB79_2988:
	v_lshrrev_b32_e32 v1, 24, v1
	s_delay_alu instid0(VALU_DEP_1)
	v_and_or_b32 v5, 0x80, v1, v4
.LBB79_2989:
	s_or_b32 exec_lo, exec_lo, s7
.LBB79_2990:
	s_delay_alu instid0(SALU_CYCLE_1)
	s_or_b32 exec_lo, exec_lo, s3
	s_mov_b32 s3, 0
	global_store_b8 v[2:3], v5, off
.LBB79_2991:
	s_and_b32 vcc_lo, exec_lo, s3
	s_cbranch_vccz .LBB79_3001
; %bb.2992:
	s_wait_xcnt 0x0
	v_bfe_i32 v1, v15, 0, 16
	s_mov_b32 s3, exec_lo
                                        ; implicit-def: $vgpr4
	s_delay_alu instid0(VALU_DEP_1) | instskip(NEXT) | instid1(VALU_DEP_1)
	v_cvt_f32_i32_e32 v1, v1
	v_and_b32_e32 v5, 0x7fffffff, v1
	s_delay_alu instid0(VALU_DEP_1)
	v_cmpx_gt_u32_e32 0x43f00000, v5
	s_xor_b32 s3, exec_lo, s3
	s_cbranch_execz .LBB79_2998
; %bb.2993:
	s_mov_b32 s6, exec_lo
                                        ; implicit-def: $vgpr4
	v_cmpx_lt_u32_e32 0x3c7fffff, v5
	s_xor_b32 s6, exec_lo, s6
; %bb.2994:
	v_bfe_u32 v4, v1, 20, 1
	s_delay_alu instid0(VALU_DEP_1) | instskip(NEXT) | instid1(VALU_DEP_1)
	v_add3_u32 v4, v1, v4, 0x407ffff
	v_and_b32_e32 v5, 0xff00000, v4
	v_lshrrev_b32_e32 v4, 20, v4
	s_delay_alu instid0(VALU_DEP_2) | instskip(NEXT) | instid1(VALU_DEP_2)
	v_cmp_ne_u32_e32 vcc_lo, 0x7f00000, v5
	v_cndmask_b32_e32 v4, 0x7e, v4, vcc_lo
; %bb.2995:
	s_and_not1_saveexec_b32 s6, s6
; %bb.2996:
	v_add_f32_e64 v4, 0x46800000, |v1|
; %bb.2997:
	s_or_b32 exec_lo, exec_lo, s6
                                        ; implicit-def: $vgpr5
.LBB79_2998:
	s_and_not1_saveexec_b32 s3, s3
; %bb.2999:
	v_mov_b32_e32 v4, 0x7f
	v_cmp_lt_u32_e32 vcc_lo, 0x7f800000, v5
	s_delay_alu instid0(VALU_DEP_2)
	v_cndmask_b32_e32 v4, 0x7e, v4, vcc_lo
; %bb.3000:
	s_or_b32 exec_lo, exec_lo, s3
	v_lshrrev_b32_e32 v1, 24, v1
	s_delay_alu instid0(VALU_DEP_1)
	v_and_or_b32 v1, 0x80, v1, v4
	global_store_b8 v[2:3], v1, off
.LBB79_3001:
	s_mov_b32 s3, 0
.LBB79_3002:
	s_delay_alu instid0(SALU_CYCLE_1)
	s_and_not1_b32 vcc_lo, exec_lo, s3
	s_cbranch_vccnz .LBB79_3012
; %bb.3003:
	s_wait_xcnt 0x0
	v_bfe_i32 v1, v15, 0, 16
	s_mov_b32 s3, exec_lo
                                        ; implicit-def: $vgpr4
	s_delay_alu instid0(VALU_DEP_1) | instskip(NEXT) | instid1(VALU_DEP_1)
	v_cvt_f32_i32_e32 v1, v1
	v_and_b32_e32 v5, 0x7fffffff, v1
	s_delay_alu instid0(VALU_DEP_1)
	v_cmpx_gt_u32_e32 0x47800000, v5
	s_xor_b32 s3, exec_lo, s3
	s_cbranch_execz .LBB79_3009
; %bb.3004:
	s_mov_b32 s6, exec_lo
                                        ; implicit-def: $vgpr4
	v_cmpx_lt_u32_e32 0x387fffff, v5
	s_xor_b32 s6, exec_lo, s6
; %bb.3005:
	v_bfe_u32 v4, v1, 21, 1
	s_delay_alu instid0(VALU_DEP_1) | instskip(NEXT) | instid1(VALU_DEP_1)
	v_add3_u32 v4, v1, v4, 0x80fffff
	v_lshrrev_b32_e32 v4, 21, v4
; %bb.3006:
	s_and_not1_saveexec_b32 s6, s6
; %bb.3007:
	v_add_f32_e64 v4, 0x43000000, |v1|
; %bb.3008:
	s_or_b32 exec_lo, exec_lo, s6
                                        ; implicit-def: $vgpr5
.LBB79_3009:
	s_and_not1_saveexec_b32 s3, s3
; %bb.3010:
	v_mov_b32_e32 v4, 0x7f
	v_cmp_lt_u32_e32 vcc_lo, 0x7f800000, v5
	s_delay_alu instid0(VALU_DEP_2)
	v_cndmask_b32_e32 v4, 0x7c, v4, vcc_lo
; %bb.3011:
	s_or_b32 exec_lo, exec_lo, s3
	v_lshrrev_b32_e32 v1, 24, v1
	s_delay_alu instid0(VALU_DEP_1)
	v_and_or_b32 v1, 0x80, v1, v4
	global_store_b8 v[2:3], v1, off
.LBB79_3012:
	s_mov_b32 s3, 0
	s_mov_b32 s6, -1
.LBB79_3013:
	s_and_not1_b32 vcc_lo, exec_lo, s3
	s_mov_b32 s3, 0
	s_cbranch_vccnz .LBB79_3020
; %bb.3014:
	s_cmp_gt_i32 s2, 14
	s_mov_b32 s3, -1
	s_cbranch_scc0 .LBB79_3018
; %bb.3015:
	s_cmp_eq_u32 s2, 15
	s_mov_b32 s0, -1
	s_cbranch_scc0 .LBB79_3017
; %bb.3016:
	s_wait_xcnt 0x0
	v_bfe_i32 v1, v15, 0, 16
	s_mov_b32 s0, 0
	s_mov_b32 s6, -1
	s_delay_alu instid0(VALU_DEP_1) | instskip(NEXT) | instid1(VALU_DEP_1)
	v_cvt_f32_i32_e32 v1, v1
	v_bfe_u32 v4, v1, 16, 1
	s_delay_alu instid0(VALU_DEP_1)
	v_add3_u32 v1, v1, v4, 0x7fff
	global_store_d16_hi_b16 v[2:3], v1, off
.LBB79_3017:
	s_mov_b32 s3, 0
.LBB79_3018:
	s_delay_alu instid0(SALU_CYCLE_1)
	s_and_b32 vcc_lo, exec_lo, s3
	s_mov_b32 s3, 0
	s_cbranch_vccz .LBB79_3020
; %bb.3019:
	s_cmp_lg_u32 s2, 11
	s_mov_b32 s3, -1
	s_cselect_b32 s0, -1, 0
.LBB79_3020:
	s_delay_alu instid0(SALU_CYCLE_1)
	s_and_b32 vcc_lo, exec_lo, s0
	s_cbranch_vccnz .LBB79_3156
; %bb.3021:
	s_and_not1_b32 vcc_lo, exec_lo, s3
	s_cbranch_vccnz .LBB79_3023
.LBB79_3022:
	v_cmp_ne_u16_e32 vcc_lo, 0, v15
	s_mov_b32 s6, -1
	s_wait_xcnt 0x0
	v_cndmask_b32_e64 v1, 0, 1, vcc_lo
	global_store_b8 v[2:3], v1, off
.LBB79_3023:
	s_mov_b32 s0, 0
	s_branch .LBB79_3025
.LBB79_3024:
	s_mov_b32 s0, -1
	s_mov_b32 s6, 0
.LBB79_3025:
	s_and_b32 vcc_lo, exec_lo, s0
	s_cbranch_vccz .LBB79_3064
; %bb.3026:
	s_cmp_lt_i32 s2, 5
	s_mov_b32 s0, -1
	s_cbranch_scc1 .LBB79_3047
; %bb.3027:
	s_cmp_lt_i32 s2, 8
	s_cbranch_scc1 .LBB79_3037
; %bb.3028:
	s_cmp_lt_i32 s2, 9
	s_cbranch_scc1 .LBB79_3034
; %bb.3029:
	s_cmp_gt_i32 s2, 9
	s_cbranch_scc0 .LBB79_3031
; %bb.3030:
	s_wait_xcnt 0x0
	v_bfe_i32 v1, v15, 0, 16
	v_mov_b32_e32 v6, 0
	s_mov_b32 s0, 0
	s_delay_alu instid0(VALU_DEP_2) | instskip(NEXT) | instid1(VALU_DEP_2)
	v_cvt_f64_i32_e32 v[4:5], v1
	v_mov_b32_e32 v7, v6
	global_store_b128 v[2:3], v[4:7], off
.LBB79_3031:
	s_and_not1_b32 vcc_lo, exec_lo, s0
	s_cbranch_vccnz .LBB79_3033
; %bb.3032:
	s_wait_xcnt 0x0
	v_bfe_i32 v1, v15, 0, 16
	v_mov_b32_e32 v5, 0
	s_delay_alu instid0(VALU_DEP_2)
	v_cvt_f32_i32_e32 v4, v1
	global_store_b64 v[2:3], v[4:5], off
.LBB79_3033:
	s_mov_b32 s0, 0
.LBB79_3034:
	s_delay_alu instid0(SALU_CYCLE_1)
	s_and_not1_b32 vcc_lo, exec_lo, s0
	s_cbranch_vccnz .LBB79_3036
; %bb.3035:
	s_wait_xcnt 0x0
	v_cvt_f16_i16_e32 v1, v15
	s_delay_alu instid0(VALU_DEP_1)
	v_and_b32_e32 v1, 0xffff, v1
	global_store_b32 v[2:3], v1, off
.LBB79_3036:
	s_mov_b32 s0, 0
.LBB79_3037:
	s_delay_alu instid0(SALU_CYCLE_1)
	s_and_not1_b32 vcc_lo, exec_lo, s0
	s_cbranch_vccnz .LBB79_3046
; %bb.3038:
	s_cmp_lt_i32 s2, 6
	s_mov_b32 s0, -1
	s_cbranch_scc1 .LBB79_3044
; %bb.3039:
	s_cmp_gt_i32 s2, 6
	s_cbranch_scc0 .LBB79_3041
; %bb.3040:
	s_wait_xcnt 0x0
	v_bfe_i32 v1, v15, 0, 16
	s_mov_b32 s0, 0
	s_delay_alu instid0(VALU_DEP_1)
	v_cvt_f64_i32_e32 v[4:5], v1
	global_store_b64 v[2:3], v[4:5], off
.LBB79_3041:
	s_and_not1_b32 vcc_lo, exec_lo, s0
	s_cbranch_vccnz .LBB79_3043
; %bb.3042:
	s_wait_xcnt 0x0
	v_bfe_i32 v1, v15, 0, 16
	s_delay_alu instid0(VALU_DEP_1)
	v_cvt_f32_i32_e32 v1, v1
	global_store_b32 v[2:3], v1, off
.LBB79_3043:
	s_mov_b32 s0, 0
.LBB79_3044:
	s_delay_alu instid0(SALU_CYCLE_1)
	s_and_not1_b32 vcc_lo, exec_lo, s0
	s_cbranch_vccnz .LBB79_3046
; %bb.3045:
	s_wait_xcnt 0x0
	v_cvt_f16_i16_e32 v1, v15
	global_store_b16 v[2:3], v1, off
.LBB79_3046:
	s_mov_b32 s0, 0
.LBB79_3047:
	s_delay_alu instid0(SALU_CYCLE_1)
	s_and_not1_b32 vcc_lo, exec_lo, s0
	s_cbranch_vccnz .LBB79_3063
; %bb.3048:
	s_cmp_lt_i32 s2, 2
	s_mov_b32 s0, -1
	s_cbranch_scc1 .LBB79_3058
; %bb.3049:
	s_cmp_lt_i32 s2, 3
	s_cbranch_scc1 .LBB79_3055
; %bb.3050:
	s_cmp_gt_i32 s2, 3
	s_cbranch_scc0 .LBB79_3052
; %bb.3051:
	s_wait_xcnt 0x0
	v_bfe_i32 v4, v15, 0, 16
	s_mov_b32 s0, 0
	s_delay_alu instid0(VALU_DEP_1)
	v_ashrrev_i32_e32 v5, 31, v4
	global_store_b64 v[2:3], v[4:5], off
.LBB79_3052:
	s_and_not1_b32 vcc_lo, exec_lo, s0
	s_cbranch_vccnz .LBB79_3054
; %bb.3053:
	s_wait_xcnt 0x0
	v_bfe_i32 v1, v15, 0, 16
	global_store_b32 v[2:3], v1, off
.LBB79_3054:
	s_mov_b32 s0, 0
.LBB79_3055:
	s_delay_alu instid0(SALU_CYCLE_1)
	s_and_not1_b32 vcc_lo, exec_lo, s0
	s_cbranch_vccnz .LBB79_3057
; %bb.3056:
	global_store_b16 v[2:3], v15, off
.LBB79_3057:
	s_mov_b32 s0, 0
.LBB79_3058:
	s_delay_alu instid0(SALU_CYCLE_1)
	s_and_not1_b32 vcc_lo, exec_lo, s0
	s_cbranch_vccnz .LBB79_3063
; %bb.3059:
	s_cmp_gt_i32 s2, 0
	s_mov_b32 s0, -1
	s_cbranch_scc0 .LBB79_3061
; %bb.3060:
	s_mov_b32 s0, 0
	global_store_b8 v[2:3], v15, off
.LBB79_3061:
	s_and_not1_b32 vcc_lo, exec_lo, s0
	s_cbranch_vccnz .LBB79_3063
; %bb.3062:
	global_store_b8 v[2:3], v15, off
.LBB79_3063:
	s_mov_b32 s6, -1
.LBB79_3064:
	s_delay_alu instid0(SALU_CYCLE_1)
	s_and_not1_b32 vcc_lo, exec_lo, s6
	s_cbranch_vccnz .LBB79_3141
; %bb.3065:
	s_wait_xcnt 0x0
	v_mov_b32_e32 v1, 0
	s_cmp_lt_i32 s2, 11
	s_delay_alu instid0(VALU_DEP_1)
	v_add_nc_u64_e32 v[2:3], s[4:5], v[0:1]
	s_cbranch_scc1 .LBB79_3142
; %bb.3066:
	s_mov_b32 s4, -1
	s_mov_b32 s3, 0
	s_cmp_gt_i32 s2, 25
	s_mov_b32 s0, 0
	s_cbranch_scc0 .LBB79_3099
; %bb.3067:
	s_cmp_gt_i32 s2, 28
	s_cbranch_scc0 .LBB79_3083
; %bb.3068:
	s_cmp_gt_i32 s2, 43
	;; [unrolled: 3-line block ×3, first 2 shown]
	s_cbranch_scc0 .LBB79_3073
; %bb.3070:
	s_cmp_eq_u32 s2, 46
	s_mov_b32 s0, -1
	s_cbranch_scc0 .LBB79_3072
; %bb.3071:
	v_bfe_i32 v0, v11, 0, 16
	s_mov_b32 s0, 0
	s_delay_alu instid0(VALU_DEP_1) | instskip(NEXT) | instid1(VALU_DEP_1)
	v_cvt_f32_i32_e32 v0, v0
	v_bfe_u32 v1, v0, 16, 1
	s_delay_alu instid0(VALU_DEP_1) | instskip(NEXT) | instid1(VALU_DEP_1)
	v_add3_u32 v0, v0, v1, 0x7fff
	v_lshrrev_b32_e32 v0, 16, v0
	global_store_b32 v[2:3], v0, off
.LBB79_3072:
	s_mov_b32 s4, 0
.LBB79_3073:
	s_delay_alu instid0(SALU_CYCLE_1)
	s_and_b32 vcc_lo, exec_lo, s4
	s_cbranch_vccz .LBB79_3078
; %bb.3074:
	s_cmp_eq_u32 s2, 44
	s_mov_b32 s0, -1
	s_cbranch_scc0 .LBB79_3078
; %bb.3075:
	s_wait_xcnt 0x0
	v_bfe_i32 v0, v11, 0, 16
	v_mov_b32_e32 v1, 0xff
	s_mov_b32 s4, exec_lo
	s_delay_alu instid0(VALU_DEP_2) | instskip(NEXT) | instid1(VALU_DEP_1)
	v_cvt_f32_i32_e32 v0, v0
	v_bfe_u32 v4, v0, 23, 8
	s_delay_alu instid0(VALU_DEP_1)
	v_cmpx_ne_u32_e32 0xff, v4
	s_cbranch_execz .LBB79_3077
; %bb.3076:
	v_and_b32_e32 v1, 0x400000, v0
	v_and_or_b32 v4, 0x3fffff, v0, v4
	v_lshrrev_b32_e32 v0, 23, v0
	s_delay_alu instid0(VALU_DEP_3) | instskip(NEXT) | instid1(VALU_DEP_3)
	v_cmp_ne_u32_e32 vcc_lo, 0, v1
	v_cmp_ne_u32_e64 s0, 0, v4
	s_and_b32 s0, vcc_lo, s0
	s_delay_alu instid0(SALU_CYCLE_1) | instskip(NEXT) | instid1(VALU_DEP_1)
	v_cndmask_b32_e64 v1, 0, 1, s0
	v_add_nc_u32_e32 v1, v0, v1
.LBB79_3077:
	s_or_b32 exec_lo, exec_lo, s4
	s_mov_b32 s0, 0
	global_store_b8 v[2:3], v1, off
.LBB79_3078:
	s_mov_b32 s4, 0
.LBB79_3079:
	s_delay_alu instid0(SALU_CYCLE_1)
	s_and_b32 vcc_lo, exec_lo, s4
	s_cbranch_vccz .LBB79_3082
; %bb.3080:
	s_cmp_eq_u32 s2, 29
	s_mov_b32 s0, -1
	s_cbranch_scc0 .LBB79_3082
; %bb.3081:
	s_wait_xcnt 0x0
	v_bfe_i32 v0, v11, 0, 16
	s_mov_b32 s0, 0
	s_delay_alu instid0(VALU_DEP_1)
	v_ashrrev_i32_e32 v1, 31, v0
	global_store_b64 v[2:3], v[0:1], off
.LBB79_3082:
	s_mov_b32 s4, 0
.LBB79_3083:
	s_delay_alu instid0(SALU_CYCLE_1)
	s_and_b32 vcc_lo, exec_lo, s4
	s_cbranch_vccz .LBB79_3098
; %bb.3084:
	s_cmp_lt_i32 s2, 27
	s_mov_b32 s4, -1
	s_cbranch_scc1 .LBB79_3090
; %bb.3085:
	s_cmp_gt_i32 s2, 27
	s_cbranch_scc0 .LBB79_3087
; %bb.3086:
	s_wait_xcnt 0x0
	v_bfe_i32 v0, v11, 0, 16
	s_mov_b32 s4, 0
	global_store_b32 v[2:3], v0, off
.LBB79_3087:
	s_and_not1_b32 vcc_lo, exec_lo, s4
	s_cbranch_vccnz .LBB79_3089
; %bb.3088:
	global_store_b16 v[2:3], v11, off
.LBB79_3089:
	s_mov_b32 s4, 0
.LBB79_3090:
	s_delay_alu instid0(SALU_CYCLE_1)
	s_and_not1_b32 vcc_lo, exec_lo, s4
	s_cbranch_vccnz .LBB79_3098
; %bb.3091:
	s_wait_xcnt 0x0
	v_bfe_i32 v0, v11, 0, 16
	v_mov_b32_e32 v4, 0x80
	s_mov_b32 s4, exec_lo
	s_delay_alu instid0(VALU_DEP_2) | instskip(NEXT) | instid1(VALU_DEP_1)
	v_cvt_f32_i32_e32 v0, v0
	v_and_b32_e32 v1, 0x7fffffff, v0
	s_delay_alu instid0(VALU_DEP_1)
	v_cmpx_gt_u32_e32 0x43800000, v1
	s_cbranch_execz .LBB79_3097
; %bb.3092:
	v_cmp_lt_u32_e32 vcc_lo, 0x3bffffff, v1
	s_mov_b32 s5, 0
                                        ; implicit-def: $vgpr1
	s_and_saveexec_b32 s6, vcc_lo
	s_delay_alu instid0(SALU_CYCLE_1)
	s_xor_b32 s6, exec_lo, s6
	s_cbranch_execz .LBB79_3159
; %bb.3093:
	v_bfe_u32 v1, v0, 20, 1
	s_mov_b32 s5, exec_lo
	s_delay_alu instid0(VALU_DEP_1) | instskip(NEXT) | instid1(VALU_DEP_1)
	v_add3_u32 v1, v0, v1, 0x487ffff
	v_lshrrev_b32_e32 v1, 20, v1
	s_and_not1_saveexec_b32 s6, s6
	s_cbranch_execnz .LBB79_3160
.LBB79_3094:
	s_or_b32 exec_lo, exec_lo, s6
	v_mov_b32_e32 v4, 0
	s_and_saveexec_b32 s6, s5
.LBB79_3095:
	v_lshrrev_b32_e32 v0, 24, v0
	s_delay_alu instid0(VALU_DEP_1)
	v_and_or_b32 v4, 0x80, v0, v1
.LBB79_3096:
	s_or_b32 exec_lo, exec_lo, s6
.LBB79_3097:
	s_delay_alu instid0(SALU_CYCLE_1)
	s_or_b32 exec_lo, exec_lo, s4
	global_store_b8 v[2:3], v4, off
.LBB79_3098:
	s_mov_b32 s4, 0
.LBB79_3099:
	s_delay_alu instid0(SALU_CYCLE_1)
	s_and_b32 vcc_lo, exec_lo, s4
	s_cbranch_vccz .LBB79_3139
; %bb.3100:
	s_cmp_gt_i32 s2, 22
	s_mov_b32 s3, -1
	s_cbranch_scc0 .LBB79_3132
; %bb.3101:
	s_cmp_lt_i32 s2, 24
	s_cbranch_scc1 .LBB79_3121
; %bb.3102:
	s_cmp_gt_i32 s2, 24
	s_cbranch_scc0 .LBB79_3110
; %bb.3103:
	s_wait_xcnt 0x0
	v_bfe_i32 v0, v11, 0, 16
	v_mov_b32_e32 v4, 0x80
	s_mov_b32 s3, exec_lo
	s_delay_alu instid0(VALU_DEP_2) | instskip(NEXT) | instid1(VALU_DEP_1)
	v_cvt_f32_i32_e32 v0, v0
	v_and_b32_e32 v1, 0x7fffffff, v0
	s_delay_alu instid0(VALU_DEP_1)
	v_cmpx_gt_u32_e32 0x47800000, v1
	s_cbranch_execz .LBB79_3109
; %bb.3104:
	v_cmp_lt_u32_e32 vcc_lo, 0x37ffffff, v1
	s_mov_b32 s4, 0
                                        ; implicit-def: $vgpr1
	s_and_saveexec_b32 s5, vcc_lo
	s_delay_alu instid0(SALU_CYCLE_1)
	s_xor_b32 s5, exec_lo, s5
	s_cbranch_execz .LBB79_3162
; %bb.3105:
	v_bfe_u32 v1, v0, 21, 1
	s_mov_b32 s4, exec_lo
	s_delay_alu instid0(VALU_DEP_1) | instskip(NEXT) | instid1(VALU_DEP_1)
	v_add3_u32 v1, v0, v1, 0x88fffff
	v_lshrrev_b32_e32 v1, 21, v1
	s_and_not1_saveexec_b32 s5, s5
	s_cbranch_execnz .LBB79_3163
.LBB79_3106:
	s_or_b32 exec_lo, exec_lo, s5
	v_mov_b32_e32 v4, 0
	s_and_saveexec_b32 s5, s4
.LBB79_3107:
	v_lshrrev_b32_e32 v0, 24, v0
	s_delay_alu instid0(VALU_DEP_1)
	v_and_or_b32 v4, 0x80, v0, v1
.LBB79_3108:
	s_or_b32 exec_lo, exec_lo, s5
.LBB79_3109:
	s_delay_alu instid0(SALU_CYCLE_1)
	s_or_b32 exec_lo, exec_lo, s3
	s_mov_b32 s3, 0
	global_store_b8 v[2:3], v4, off
.LBB79_3110:
	s_and_b32 vcc_lo, exec_lo, s3
	s_cbranch_vccz .LBB79_3120
; %bb.3111:
	s_wait_xcnt 0x0
	v_bfe_i32 v0, v11, 0, 16
	s_mov_b32 s3, exec_lo
                                        ; implicit-def: $vgpr1
	s_delay_alu instid0(VALU_DEP_1) | instskip(NEXT) | instid1(VALU_DEP_1)
	v_cvt_f32_i32_e32 v0, v0
	v_and_b32_e32 v4, 0x7fffffff, v0
	s_delay_alu instid0(VALU_DEP_1)
	v_cmpx_gt_u32_e32 0x43f00000, v4
	s_xor_b32 s3, exec_lo, s3
	s_cbranch_execz .LBB79_3117
; %bb.3112:
	s_mov_b32 s4, exec_lo
                                        ; implicit-def: $vgpr1
	v_cmpx_lt_u32_e32 0x3c7fffff, v4
	s_xor_b32 s4, exec_lo, s4
; %bb.3113:
	v_bfe_u32 v1, v0, 20, 1
	s_delay_alu instid0(VALU_DEP_1) | instskip(NEXT) | instid1(VALU_DEP_1)
	v_add3_u32 v1, v0, v1, 0x407ffff
	v_and_b32_e32 v4, 0xff00000, v1
	v_lshrrev_b32_e32 v1, 20, v1
	s_delay_alu instid0(VALU_DEP_2) | instskip(NEXT) | instid1(VALU_DEP_2)
	v_cmp_ne_u32_e32 vcc_lo, 0x7f00000, v4
	v_cndmask_b32_e32 v1, 0x7e, v1, vcc_lo
; %bb.3114:
	s_and_not1_saveexec_b32 s4, s4
; %bb.3115:
	v_add_f32_e64 v1, 0x46800000, |v0|
; %bb.3116:
	s_or_b32 exec_lo, exec_lo, s4
                                        ; implicit-def: $vgpr4
.LBB79_3117:
	s_and_not1_saveexec_b32 s3, s3
; %bb.3118:
	v_mov_b32_e32 v1, 0x7f
	v_cmp_lt_u32_e32 vcc_lo, 0x7f800000, v4
	s_delay_alu instid0(VALU_DEP_2)
	v_cndmask_b32_e32 v1, 0x7e, v1, vcc_lo
; %bb.3119:
	s_or_b32 exec_lo, exec_lo, s3
	v_lshrrev_b32_e32 v0, 24, v0
	s_delay_alu instid0(VALU_DEP_1)
	v_and_or_b32 v0, 0x80, v0, v1
	global_store_b8 v[2:3], v0, off
.LBB79_3120:
	s_mov_b32 s3, 0
.LBB79_3121:
	s_delay_alu instid0(SALU_CYCLE_1)
	s_and_not1_b32 vcc_lo, exec_lo, s3
	s_cbranch_vccnz .LBB79_3131
; %bb.3122:
	s_wait_xcnt 0x0
	v_bfe_i32 v0, v11, 0, 16
	s_mov_b32 s3, exec_lo
                                        ; implicit-def: $vgpr1
	s_delay_alu instid0(VALU_DEP_1) | instskip(NEXT) | instid1(VALU_DEP_1)
	v_cvt_f32_i32_e32 v0, v0
	v_and_b32_e32 v4, 0x7fffffff, v0
	s_delay_alu instid0(VALU_DEP_1)
	v_cmpx_gt_u32_e32 0x47800000, v4
	s_xor_b32 s3, exec_lo, s3
	s_cbranch_execz .LBB79_3128
; %bb.3123:
	s_mov_b32 s4, exec_lo
                                        ; implicit-def: $vgpr1
	v_cmpx_lt_u32_e32 0x387fffff, v4
	s_xor_b32 s4, exec_lo, s4
; %bb.3124:
	v_bfe_u32 v1, v0, 21, 1
	s_delay_alu instid0(VALU_DEP_1) | instskip(NEXT) | instid1(VALU_DEP_1)
	v_add3_u32 v1, v0, v1, 0x80fffff
	v_lshrrev_b32_e32 v1, 21, v1
; %bb.3125:
	s_and_not1_saveexec_b32 s4, s4
; %bb.3126:
	v_add_f32_e64 v1, 0x43000000, |v0|
; %bb.3127:
	s_or_b32 exec_lo, exec_lo, s4
                                        ; implicit-def: $vgpr4
.LBB79_3128:
	s_and_not1_saveexec_b32 s3, s3
; %bb.3129:
	v_mov_b32_e32 v1, 0x7f
	v_cmp_lt_u32_e32 vcc_lo, 0x7f800000, v4
	s_delay_alu instid0(VALU_DEP_2)
	v_cndmask_b32_e32 v1, 0x7c, v1, vcc_lo
; %bb.3130:
	s_or_b32 exec_lo, exec_lo, s3
	v_lshrrev_b32_e32 v0, 24, v0
	s_delay_alu instid0(VALU_DEP_1)
	v_and_or_b32 v0, 0x80, v0, v1
	global_store_b8 v[2:3], v0, off
.LBB79_3131:
	s_mov_b32 s3, 0
.LBB79_3132:
	s_delay_alu instid0(SALU_CYCLE_1)
	s_and_not1_b32 vcc_lo, exec_lo, s3
	s_mov_b32 s3, 0
	s_cbranch_vccnz .LBB79_3139
; %bb.3133:
	s_cmp_gt_i32 s2, 14
	s_mov_b32 s3, -1
	s_cbranch_scc0 .LBB79_3137
; %bb.3134:
	s_cmp_eq_u32 s2, 15
	s_mov_b32 s0, -1
	s_cbranch_scc0 .LBB79_3136
; %bb.3135:
	s_wait_xcnt 0x0
	v_bfe_i32 v0, v11, 0, 16
	s_mov_b32 s0, 0
	s_delay_alu instid0(VALU_DEP_1) | instskip(NEXT) | instid1(VALU_DEP_1)
	v_cvt_f32_i32_e32 v0, v0
	v_bfe_u32 v1, v0, 16, 1
	s_delay_alu instid0(VALU_DEP_1)
	v_add3_u32 v0, v0, v1, 0x7fff
	global_store_d16_hi_b16 v[2:3], v0, off
.LBB79_3136:
	s_mov_b32 s3, 0
.LBB79_3137:
	s_delay_alu instid0(SALU_CYCLE_1)
	s_and_b32 vcc_lo, exec_lo, s3
	s_mov_b32 s3, 0
	s_cbranch_vccz .LBB79_3139
; %bb.3138:
	s_cmp_lg_u32 s2, 11
	s_mov_b32 s3, -1
	s_cselect_b32 s0, -1, 0
.LBB79_3139:
	s_delay_alu instid0(SALU_CYCLE_1)
	s_and_b32 vcc_lo, exec_lo, s0
	s_cbranch_vccnz .LBB79_3161
.LBB79_3140:
	s_mov_b32 s0, 0
	s_branch .LBB79_2742
.LBB79_3141:
	s_mov_b32 s0, 0
	s_mov_b32 s3, 0
                                        ; implicit-def: $vgpr2_vgpr3
                                        ; implicit-def: $sgpr1
	s_branch .LBB79_2742
.LBB79_3142:
	s_mov_b32 s3, 0
	s_mov_b32 s0, -1
	s_branch .LBB79_2742
.LBB79_3143:
	s_or_b32 s10, s10, exec_lo
	s_trap 2
	s_cbranch_execz .LBB79_2605
	s_branch .LBB79_2606
.LBB79_3144:
	s_and_not1_saveexec_b32 s11, s11
	s_cbranch_execz .LBB79_2691
.LBB79_3145:
	v_add_f32_e64 v8, 0x46000000, |v5|
	s_and_not1_b32 s7, s7, exec_lo
	s_delay_alu instid0(VALU_DEP_1) | instskip(NEXT) | instid1(VALU_DEP_1)
	v_and_b32_e32 v8, 0xff, v8
	v_cmp_ne_u32_e32 vcc_lo, 0, v8
	s_and_b32 s12, vcc_lo, exec_lo
	s_delay_alu instid0(SALU_CYCLE_1)
	s_or_b32 s7, s7, s12
	s_or_b32 exec_lo, exec_lo, s11
	v_mov_b32_e32 v9, 0
	s_and_saveexec_b32 s11, s7
	s_cbranch_execnz .LBB79_2692
	s_branch .LBB79_2693
.LBB79_3146:
	s_or_b32 s10, s10, exec_lo
	s_trap 2
	s_cbranch_execz .LBB79_2739
	s_branch .LBB79_2740
.LBB79_3147:
	s_and_not1_saveexec_b32 s7, s7
	s_cbranch_execz .LBB79_2704
.LBB79_3148:
	v_add_f32_e64 v8, 0x42800000, |v5|
	s_and_not1_b32 s6, s6, exec_lo
	s_delay_alu instid0(VALU_DEP_1) | instskip(NEXT) | instid1(VALU_DEP_1)
	v_and_b32_e32 v8, 0xff, v8
	v_cmp_ne_u32_e32 vcc_lo, 0, v8
	s_and_b32 s11, vcc_lo, exec_lo
	s_delay_alu instid0(SALU_CYCLE_1)
	s_or_b32 s6, s6, s11
	s_or_b32 exec_lo, exec_lo, s7
	v_mov_b32_e32 v9, 0
	s_and_saveexec_b32 s7, s6
	s_cbranch_execnz .LBB79_2705
	s_branch .LBB79_2706
.LBB79_3149:
	s_and_not1_saveexec_b32 s11, s11
	s_cbranch_execz .LBB79_2855
.LBB79_3150:
	v_add_f32_e64 v6, 0x46000000, |v1|
	s_and_not1_b32 s7, s7, exec_lo
	s_delay_alu instid0(VALU_DEP_1) | instskip(NEXT) | instid1(VALU_DEP_1)
	v_and_b32_e32 v6, 0xff, v6
	v_cmp_ne_u32_e32 vcc_lo, 0, v6
	s_and_b32 s12, vcc_lo, exec_lo
	s_delay_alu instid0(SALU_CYCLE_1)
	s_or_b32 s7, s7, s12
	s_or_b32 exec_lo, exec_lo, s11
	v_mov_b32_e32 v7, 0
	s_and_saveexec_b32 s11, s7
	s_cbranch_execnz .LBB79_2856
	s_branch .LBB79_2857
.LBB79_3151:
	s_or_b32 s10, s10, exec_lo
	s_trap 2
	s_cbranch_execz .LBB79_2903
	s_branch .LBB79_2904
.LBB79_3152:
	s_and_not1_saveexec_b32 s7, s7
	s_cbranch_execz .LBB79_2868
.LBB79_3153:
	v_add_f32_e64 v6, 0x42800000, |v1|
	s_and_not1_b32 s6, s6, exec_lo
	s_delay_alu instid0(VALU_DEP_1) | instskip(NEXT) | instid1(VALU_DEP_1)
	v_and_b32_e32 v6, 0xff, v6
	v_cmp_ne_u32_e32 vcc_lo, 0, v6
	s_and_b32 s11, vcc_lo, exec_lo
	s_delay_alu instid0(SALU_CYCLE_1)
	s_or_b32 s6, s6, s11
	s_or_b32 exec_lo, exec_lo, s7
	v_mov_b32_e32 v7, 0
	s_and_saveexec_b32 s7, s6
	s_cbranch_execnz .LBB79_2869
	s_branch .LBB79_2870
.LBB79_3154:
	s_and_not1_saveexec_b32 s11, s11
	s_cbranch_execz .LBB79_2974
.LBB79_3155:
	v_add_f32_e64 v4, 0x46000000, |v1|
	s_and_not1_b32 s7, s7, exec_lo
	s_delay_alu instid0(VALU_DEP_1) | instskip(NEXT) | instid1(VALU_DEP_1)
	v_and_b32_e32 v4, 0xff, v4
	v_cmp_ne_u32_e32 vcc_lo, 0, v4
	s_and_b32 s12, vcc_lo, exec_lo
	s_delay_alu instid0(SALU_CYCLE_1)
	s_or_b32 s7, s7, s12
	s_or_b32 exec_lo, exec_lo, s11
	v_mov_b32_e32 v5, 0
	s_and_saveexec_b32 s11, s7
	s_cbranch_execnz .LBB79_2975
	s_branch .LBB79_2976
.LBB79_3156:
	s_or_b32 s10, s10, exec_lo
	s_trap 2
	s_cbranch_execz .LBB79_3022
	s_branch .LBB79_3023
.LBB79_3157:
	s_and_not1_saveexec_b32 s7, s7
	s_cbranch_execz .LBB79_2987
.LBB79_3158:
	v_add_f32_e64 v4, 0x42800000, |v1|
	s_and_not1_b32 s6, s6, exec_lo
	s_delay_alu instid0(VALU_DEP_1) | instskip(NEXT) | instid1(VALU_DEP_1)
	v_and_b32_e32 v4, 0xff, v4
	v_cmp_ne_u32_e32 vcc_lo, 0, v4
	s_and_b32 s11, vcc_lo, exec_lo
	s_delay_alu instid0(SALU_CYCLE_1)
	s_or_b32 s6, s6, s11
	s_or_b32 exec_lo, exec_lo, s7
	v_mov_b32_e32 v5, 0
	s_and_saveexec_b32 s7, s6
	s_cbranch_execnz .LBB79_2988
	s_branch .LBB79_2989
.LBB79_3159:
	s_and_not1_saveexec_b32 s6, s6
	s_cbranch_execz .LBB79_3094
.LBB79_3160:
	v_add_f32_e64 v1, 0x46000000, |v0|
	s_and_not1_b32 s5, s5, exec_lo
	s_delay_alu instid0(VALU_DEP_1) | instskip(NEXT) | instid1(VALU_DEP_1)
	v_and_b32_e32 v1, 0xff, v1
	v_cmp_ne_u32_e32 vcc_lo, 0, v1
	s_and_b32 s7, vcc_lo, exec_lo
	s_delay_alu instid0(SALU_CYCLE_1)
	s_or_b32 s5, s5, s7
	s_or_b32 exec_lo, exec_lo, s6
	v_mov_b32_e32 v4, 0
	s_and_saveexec_b32 s6, s5
	s_cbranch_execnz .LBB79_3095
	s_branch .LBB79_3096
.LBB79_3161:
	s_mov_b32 s3, 0
	s_or_b32 s10, s10, exec_lo
	s_trap 2
	s_branch .LBB79_3140
.LBB79_3162:
	s_and_not1_saveexec_b32 s5, s5
	s_cbranch_execz .LBB79_3106
.LBB79_3163:
	v_add_f32_e64 v1, 0x42800000, |v0|
	s_and_not1_b32 s4, s4, exec_lo
	s_delay_alu instid0(VALU_DEP_1) | instskip(NEXT) | instid1(VALU_DEP_1)
	v_and_b32_e32 v1, 0xff, v1
	v_cmp_ne_u32_e32 vcc_lo, 0, v1
	s_and_b32 s6, vcc_lo, exec_lo
	s_delay_alu instid0(SALU_CYCLE_1)
	s_or_b32 s4, s4, s6
	s_or_b32 exec_lo, exec_lo, s5
	v_mov_b32_e32 v4, 0
	s_and_saveexec_b32 s5, s4
	s_cbranch_execnz .LBB79_3107
	s_branch .LBB79_3108
	.section	.rodata,"a",@progbits
	.p2align	6, 0x0
	.amdhsa_kernel _ZN2at6native32elementwise_kernel_manual_unrollILi128ELi4EZNS0_15gpu_kernel_implIZZZNS0_15lcm_kernel_cudaERNS_18TensorIteratorBaseEENKUlvE_clEvENKUlvE3_clEvEUlssE_EEvS4_RKT_EUlibE0_EEviT1_
		.amdhsa_group_segment_fixed_size 0
		.amdhsa_private_segment_fixed_size 0
		.amdhsa_kernarg_size 432
		.amdhsa_user_sgpr_count 2
		.amdhsa_user_sgpr_dispatch_ptr 0
		.amdhsa_user_sgpr_queue_ptr 0
		.amdhsa_user_sgpr_kernarg_segment_ptr 1
		.amdhsa_user_sgpr_dispatch_id 0
		.amdhsa_user_sgpr_kernarg_preload_length 0
		.amdhsa_user_sgpr_kernarg_preload_offset 0
		.amdhsa_user_sgpr_private_segment_size 0
		.amdhsa_wavefront_size32 1
		.amdhsa_uses_dynamic_stack 0
		.amdhsa_enable_private_segment 0
		.amdhsa_system_sgpr_workgroup_id_x 1
		.amdhsa_system_sgpr_workgroup_id_y 0
		.amdhsa_system_sgpr_workgroup_id_z 0
		.amdhsa_system_sgpr_workgroup_info 0
		.amdhsa_system_vgpr_workitem_id 0
		.amdhsa_next_free_vgpr 26
		.amdhsa_next_free_sgpr 60
		.amdhsa_named_barrier_count 0
		.amdhsa_reserve_vcc 1
		.amdhsa_float_round_mode_32 0
		.amdhsa_float_round_mode_16_64 0
		.amdhsa_float_denorm_mode_32 3
		.amdhsa_float_denorm_mode_16_64 3
		.amdhsa_fp16_overflow 0
		.amdhsa_memory_ordered 1
		.amdhsa_forward_progress 1
		.amdhsa_inst_pref_size 255
		.amdhsa_round_robin_scheduling 0
		.amdhsa_exception_fp_ieee_invalid_op 0
		.amdhsa_exception_fp_denorm_src 0
		.amdhsa_exception_fp_ieee_div_zero 0
		.amdhsa_exception_fp_ieee_overflow 0
		.amdhsa_exception_fp_ieee_underflow 0
		.amdhsa_exception_fp_ieee_inexact 0
		.amdhsa_exception_int_div_zero 0
	.end_amdhsa_kernel
	.section	.text._ZN2at6native32elementwise_kernel_manual_unrollILi128ELi4EZNS0_15gpu_kernel_implIZZZNS0_15lcm_kernel_cudaERNS_18TensorIteratorBaseEENKUlvE_clEvENKUlvE3_clEvEUlssE_EEvS4_RKT_EUlibE0_EEviT1_,"axG",@progbits,_ZN2at6native32elementwise_kernel_manual_unrollILi128ELi4EZNS0_15gpu_kernel_implIZZZNS0_15lcm_kernel_cudaERNS_18TensorIteratorBaseEENKUlvE_clEvENKUlvE3_clEvEUlssE_EEvS4_RKT_EUlibE0_EEviT1_,comdat
.Lfunc_end79:
	.size	_ZN2at6native32elementwise_kernel_manual_unrollILi128ELi4EZNS0_15gpu_kernel_implIZZZNS0_15lcm_kernel_cudaERNS_18TensorIteratorBaseEENKUlvE_clEvENKUlvE3_clEvEUlssE_EEvS4_RKT_EUlibE0_EEviT1_, .Lfunc_end79-_ZN2at6native32elementwise_kernel_manual_unrollILi128ELi4EZNS0_15gpu_kernel_implIZZZNS0_15lcm_kernel_cudaERNS_18TensorIteratorBaseEENKUlvE_clEvENKUlvE3_clEvEUlssE_EEvS4_RKT_EUlibE0_EEviT1_
                                        ; -- End function
	.set _ZN2at6native32elementwise_kernel_manual_unrollILi128ELi4EZNS0_15gpu_kernel_implIZZZNS0_15lcm_kernel_cudaERNS_18TensorIteratorBaseEENKUlvE_clEvENKUlvE3_clEvEUlssE_EEvS4_RKT_EUlibE0_EEviT1_.num_vgpr, 26
	.set _ZN2at6native32elementwise_kernel_manual_unrollILi128ELi4EZNS0_15gpu_kernel_implIZZZNS0_15lcm_kernel_cudaERNS_18TensorIteratorBaseEENKUlvE_clEvENKUlvE3_clEvEUlssE_EEvS4_RKT_EUlibE0_EEviT1_.num_agpr, 0
	.set _ZN2at6native32elementwise_kernel_manual_unrollILi128ELi4EZNS0_15gpu_kernel_implIZZZNS0_15lcm_kernel_cudaERNS_18TensorIteratorBaseEENKUlvE_clEvENKUlvE3_clEvEUlssE_EEvS4_RKT_EUlibE0_EEviT1_.numbered_sgpr, 60
	.set _ZN2at6native32elementwise_kernel_manual_unrollILi128ELi4EZNS0_15gpu_kernel_implIZZZNS0_15lcm_kernel_cudaERNS_18TensorIteratorBaseEENKUlvE_clEvENKUlvE3_clEvEUlssE_EEvS4_RKT_EUlibE0_EEviT1_.num_named_barrier, 0
	.set _ZN2at6native32elementwise_kernel_manual_unrollILi128ELi4EZNS0_15gpu_kernel_implIZZZNS0_15lcm_kernel_cudaERNS_18TensorIteratorBaseEENKUlvE_clEvENKUlvE3_clEvEUlssE_EEvS4_RKT_EUlibE0_EEviT1_.private_seg_size, 0
	.set _ZN2at6native32elementwise_kernel_manual_unrollILi128ELi4EZNS0_15gpu_kernel_implIZZZNS0_15lcm_kernel_cudaERNS_18TensorIteratorBaseEENKUlvE_clEvENKUlvE3_clEvEUlssE_EEvS4_RKT_EUlibE0_EEviT1_.uses_vcc, 1
	.set _ZN2at6native32elementwise_kernel_manual_unrollILi128ELi4EZNS0_15gpu_kernel_implIZZZNS0_15lcm_kernel_cudaERNS_18TensorIteratorBaseEENKUlvE_clEvENKUlvE3_clEvEUlssE_EEvS4_RKT_EUlibE0_EEviT1_.uses_flat_scratch, 0
	.set _ZN2at6native32elementwise_kernel_manual_unrollILi128ELi4EZNS0_15gpu_kernel_implIZZZNS0_15lcm_kernel_cudaERNS_18TensorIteratorBaseEENKUlvE_clEvENKUlvE3_clEvEUlssE_EEvS4_RKT_EUlibE0_EEviT1_.has_dyn_sized_stack, 0
	.set _ZN2at6native32elementwise_kernel_manual_unrollILi128ELi4EZNS0_15gpu_kernel_implIZZZNS0_15lcm_kernel_cudaERNS_18TensorIteratorBaseEENKUlvE_clEvENKUlvE3_clEvEUlssE_EEvS4_RKT_EUlibE0_EEviT1_.has_recursion, 0
	.set _ZN2at6native32elementwise_kernel_manual_unrollILi128ELi4EZNS0_15gpu_kernel_implIZZZNS0_15lcm_kernel_cudaERNS_18TensorIteratorBaseEENKUlvE_clEvENKUlvE3_clEvEUlssE_EEvS4_RKT_EUlibE0_EEviT1_.has_indirect_call, 0
	.section	.AMDGPU.csdata,"",@progbits
; Kernel info:
; codeLenInByte = 60196
; TotalNumSgprs: 62
; NumVgprs: 26
; ScratchSize: 0
; MemoryBound: 1
; FloatMode: 240
; IeeeMode: 1
; LDSByteSize: 0 bytes/workgroup (compile time only)
; SGPRBlocks: 0
; VGPRBlocks: 1
; NumSGPRsForWavesPerEU: 62
; NumVGPRsForWavesPerEU: 26
; NamedBarCnt: 0
; Occupancy: 16
; WaveLimiterHint : 1
; COMPUTE_PGM_RSRC2:SCRATCH_EN: 0
; COMPUTE_PGM_RSRC2:USER_SGPR: 2
; COMPUTE_PGM_RSRC2:TRAP_HANDLER: 0
; COMPUTE_PGM_RSRC2:TGID_X_EN: 1
; COMPUTE_PGM_RSRC2:TGID_Y_EN: 0
; COMPUTE_PGM_RSRC2:TGID_Z_EN: 0
; COMPUTE_PGM_RSRC2:TIDIG_COMP_CNT: 0
	.section	.AMDGPU.gpr_maximums,"",@progbits
	.set amdgpu.max_num_vgpr, 0
	.set amdgpu.max_num_agpr, 0
	.set amdgpu.max_num_sgpr, 0
	.section	.AMDGPU.csdata,"",@progbits
	.type	__hip_cuid_28dbc1f6533781b4,@object ; @__hip_cuid_28dbc1f6533781b4
	.section	.bss,"aw",@nobits
	.globl	__hip_cuid_28dbc1f6533781b4
__hip_cuid_28dbc1f6533781b4:
	.byte	0                               ; 0x0
	.size	__hip_cuid_28dbc1f6533781b4, 1

	.ident	"AMD clang version 22.0.0git (https://github.com/RadeonOpenCompute/llvm-project roc-7.2.4 26084 f58b06dce1f9c15707c5f808fd002e18c2accf7e)"
	.section	".note.GNU-stack","",@progbits
	.addrsig
	.addrsig_sym __hip_cuid_28dbc1f6533781b4
	.amdgpu_metadata
---
amdhsa.kernels:
  - .args:
      - .offset:         0
        .size:           4
        .value_kind:     by_value
      - .offset:         4
        .size:           1
        .value_kind:     by_value
      - .offset:         8
        .size:           24
        .value_kind:     by_value
    .group_segment_fixed_size: 0
    .kernarg_segment_align: 8
    .kernarg_segment_size: 32
    .language:       OpenCL C
    .language_version:
      - 2
      - 0
    .max_flat_workgroup_size: 256
    .name:           _ZN2at6native29vectorized_elementwise_kernelILi16EZZZNS0_15gcd_kernel_cudaERNS_18TensorIteratorBaseEENKUlvE_clEvENKUlvE_clEvEUlhhE_St5arrayIPcLm3EEEEviT0_T1_
    .private_segment_fixed_size: 0
    .sgpr_count:     23
    .sgpr_spill_count: 0
    .symbol:         _ZN2at6native29vectorized_elementwise_kernelILi16EZZZNS0_15gcd_kernel_cudaERNS_18TensorIteratorBaseEENKUlvE_clEvENKUlvE_clEvEUlhhE_St5arrayIPcLm3EEEEviT0_T1_.kd
    .uniform_work_group_size: 1
    .uses_dynamic_stack: false
    .vgpr_count:     42
    .vgpr_spill_count: 0
    .wavefront_size: 32
  - .args:
      - .offset:         0
        .size:           4
        .value_kind:     by_value
      - .offset:         4
        .size:           1
        .value_kind:     by_value
      - .offset:         8
        .size:           24
        .value_kind:     by_value
    .group_segment_fixed_size: 0
    .kernarg_segment_align: 8
    .kernarg_segment_size: 32
    .language:       OpenCL C
    .language_version:
      - 2
      - 0
    .max_flat_workgroup_size: 256
    .name:           _ZN2at6native29vectorized_elementwise_kernelILi8EZZZNS0_15gcd_kernel_cudaERNS_18TensorIteratorBaseEENKUlvE_clEvENKUlvE_clEvEUlhhE_St5arrayIPcLm3EEEEviT0_T1_
    .private_segment_fixed_size: 0
    .sgpr_count:     23
    .sgpr_spill_count: 0
    .symbol:         _ZN2at6native29vectorized_elementwise_kernelILi8EZZZNS0_15gcd_kernel_cudaERNS_18TensorIteratorBaseEENKUlvE_clEvENKUlvE_clEvEUlhhE_St5arrayIPcLm3EEEEviT0_T1_.kd
    .uniform_work_group_size: 1
    .uses_dynamic_stack: false
    .vgpr_count:     42
    .vgpr_spill_count: 0
    .wavefront_size: 32
  - .args:
      - .offset:         0
        .size:           4
        .value_kind:     by_value
      - .offset:         4
        .size:           1
        .value_kind:     by_value
      - .offset:         8
        .size:           24
        .value_kind:     by_value
    .group_segment_fixed_size: 0
    .kernarg_segment_align: 8
    .kernarg_segment_size: 32
    .language:       OpenCL C
    .language_version:
      - 2
      - 0
    .max_flat_workgroup_size: 256
    .name:           _ZN2at6native29vectorized_elementwise_kernelILi4EZZZNS0_15gcd_kernel_cudaERNS_18TensorIteratorBaseEENKUlvE_clEvENKUlvE_clEvEUlhhE_St5arrayIPcLm3EEEEviT0_T1_
    .private_segment_fixed_size: 0
    .sgpr_count:     23
    .sgpr_spill_count: 0
    .symbol:         _ZN2at6native29vectorized_elementwise_kernelILi4EZZZNS0_15gcd_kernel_cudaERNS_18TensorIteratorBaseEENKUlvE_clEvENKUlvE_clEvEUlhhE_St5arrayIPcLm3EEEEviT0_T1_.kd
    .uniform_work_group_size: 1
    .uses_dynamic_stack: false
    .vgpr_count:     42
    .vgpr_spill_count: 0
    .wavefront_size: 32
  - .args:
      - .offset:         0
        .size:           4
        .value_kind:     by_value
      - .offset:         4
        .size:           1
        .value_kind:     by_value
      - .offset:         8
        .size:           24
        .value_kind:     by_value
    .group_segment_fixed_size: 0
    .kernarg_segment_align: 8
    .kernarg_segment_size: 32
    .language:       OpenCL C
    .language_version:
      - 2
      - 0
    .max_flat_workgroup_size: 256
    .name:           _ZN2at6native29vectorized_elementwise_kernelILi2EZZZNS0_15gcd_kernel_cudaERNS_18TensorIteratorBaseEENKUlvE_clEvENKUlvE_clEvEUlhhE_St5arrayIPcLm3EEEEviT0_T1_
    .private_segment_fixed_size: 0
    .sgpr_count:     23
    .sgpr_spill_count: 0
    .symbol:         _ZN2at6native29vectorized_elementwise_kernelILi2EZZZNS0_15gcd_kernel_cudaERNS_18TensorIteratorBaseEENKUlvE_clEvENKUlvE_clEvEUlhhE_St5arrayIPcLm3EEEEviT0_T1_.kd
    .uniform_work_group_size: 1
    .uses_dynamic_stack: false
    .vgpr_count:     42
    .vgpr_spill_count: 0
    .wavefront_size: 32
  - .args:
      - .offset:         0
        .size:           4
        .value_kind:     by_value
      - .offset:         4
        .size:           1
        .value_kind:     by_value
      - .offset:         8
        .size:           24
        .value_kind:     by_value
      - .offset:         32
        .size:           1
        .value_kind:     by_value
      - .offset:         33
        .size:           1
        .value_kind:     by_value
      - .offset:         34
        .size:           1
        .value_kind:     by_value
      - .offset:         35
        .size:           1
        .value_kind:     by_value
    .group_segment_fixed_size: 0
    .kernarg_segment_align: 8
    .kernarg_segment_size: 36
    .language:       OpenCL C
    .language_version:
      - 2
      - 0
    .max_flat_workgroup_size: 256
    .name:           _ZN2at6native27unrolled_elementwise_kernelIZZZNS0_15gcd_kernel_cudaERNS_18TensorIteratorBaseEENKUlvE_clEvENKUlvE_clEvEUlhhE_St5arrayIPcLm3EELi4E23TrivialOffsetCalculatorILi2EjESA_ILi1EjENS0_6memory15LoadWithoutCastENSD_16StoreWithoutCastEEEviT_T0_T2_T3_T4_T5_
    .private_segment_fixed_size: 0
    .sgpr_count:     15
    .sgpr_spill_count: 0
    .symbol:         _ZN2at6native27unrolled_elementwise_kernelIZZZNS0_15gcd_kernel_cudaERNS_18TensorIteratorBaseEENKUlvE_clEvENKUlvE_clEvEUlhhE_St5arrayIPcLm3EELi4E23TrivialOffsetCalculatorILi2EjESA_ILi1EjENS0_6memory15LoadWithoutCastENSD_16StoreWithoutCastEEEviT_T0_T2_T3_T4_T5_.kd
    .uniform_work_group_size: 1
    .uses_dynamic_stack: false
    .vgpr_count:     14
    .vgpr_spill_count: 0
    .wavefront_size: 32
  - .args:
      - .offset:         0
        .size:           4
        .value_kind:     by_value
      - .offset:         8
        .size:           424
        .value_kind:     by_value
    .group_segment_fixed_size: 0
    .kernarg_segment_align: 8
    .kernarg_segment_size: 432
    .language:       OpenCL C
    .language_version:
      - 2
      - 0
    .max_flat_workgroup_size: 128
    .name:           _ZN2at6native32elementwise_kernel_manual_unrollILi128ELi8EZNS0_22gpu_kernel_impl_nocastIZZZNS0_15gcd_kernel_cudaERNS_18TensorIteratorBaseEENKUlvE_clEvENKUlvE_clEvEUlhhE_EEvS4_RKT_EUlibE_EEviT1_
    .private_segment_fixed_size: 0
    .sgpr_count:     48
    .sgpr_spill_count: 0
    .symbol:         _ZN2at6native32elementwise_kernel_manual_unrollILi128ELi8EZNS0_22gpu_kernel_impl_nocastIZZZNS0_15gcd_kernel_cudaERNS_18TensorIteratorBaseEENKUlvE_clEvENKUlvE_clEvEUlhhE_EEvS4_RKT_EUlibE_EEviT1_.kd
    .uniform_work_group_size: 1
    .uses_dynamic_stack: false
    .vgpr_count:     29
    .vgpr_spill_count: 0
    .wavefront_size: 32
  - .args:
      - .offset:         0
        .size:           4
        .value_kind:     by_value
      - .offset:         8
        .size:           40
        .value_kind:     by_value
    .group_segment_fixed_size: 0
    .kernarg_segment_align: 8
    .kernarg_segment_size: 48
    .language:       OpenCL C
    .language_version:
      - 2
      - 0
    .max_flat_workgroup_size: 128
    .name:           _ZN2at6native32elementwise_kernel_manual_unrollILi128ELi4EZNS0_15gpu_kernel_implIZZZNS0_15gcd_kernel_cudaERNS_18TensorIteratorBaseEENKUlvE_clEvENKUlvE_clEvEUlhhE_EEvS4_RKT_EUlibE_EEviT1_
    .private_segment_fixed_size: 0
    .sgpr_count:     37
    .sgpr_spill_count: 0
    .symbol:         _ZN2at6native32elementwise_kernel_manual_unrollILi128ELi4EZNS0_15gpu_kernel_implIZZZNS0_15gcd_kernel_cudaERNS_18TensorIteratorBaseEENKUlvE_clEvENKUlvE_clEvEUlhhE_EEvS4_RKT_EUlibE_EEviT1_.kd
    .uniform_work_group_size: 1
    .uses_dynamic_stack: false
    .vgpr_count:     18
    .vgpr_spill_count: 0
    .wavefront_size: 32
  - .args:
      - .offset:         0
        .size:           4
        .value_kind:     by_value
      - .offset:         8
        .size:           424
        .value_kind:     by_value
    .group_segment_fixed_size: 0
    .kernarg_segment_align: 8
    .kernarg_segment_size: 432
    .language:       OpenCL C
    .language_version:
      - 2
      - 0
    .max_flat_workgroup_size: 128
    .name:           _ZN2at6native32elementwise_kernel_manual_unrollILi128ELi4EZNS0_15gpu_kernel_implIZZZNS0_15gcd_kernel_cudaERNS_18TensorIteratorBaseEENKUlvE_clEvENKUlvE_clEvEUlhhE_EEvS4_RKT_EUlibE0_EEviT1_
    .private_segment_fixed_size: 0
    .sgpr_count:     62
    .sgpr_spill_count: 0
    .symbol:         _ZN2at6native32elementwise_kernel_manual_unrollILi128ELi4EZNS0_15gpu_kernel_implIZZZNS0_15gcd_kernel_cudaERNS_18TensorIteratorBaseEENKUlvE_clEvENKUlvE_clEvEUlhhE_EEvS4_RKT_EUlibE0_EEviT1_.kd
    .uniform_work_group_size: 1
    .uses_dynamic_stack: false
    .vgpr_count:     28
    .vgpr_spill_count: 0
    .wavefront_size: 32
  - .args:
      - .offset:         0
        .size:           4
        .value_kind:     by_value
      - .offset:         4
        .size:           1
        .value_kind:     by_value
      - .offset:         8
        .size:           24
        .value_kind:     by_value
    .group_segment_fixed_size: 0
    .kernarg_segment_align: 8
    .kernarg_segment_size: 32
    .language:       OpenCL C
    .language_version:
      - 2
      - 0
    .max_flat_workgroup_size: 256
    .name:           _ZN2at6native29vectorized_elementwise_kernelILi16EZZZNS0_15gcd_kernel_cudaERNS_18TensorIteratorBaseEENKUlvE_clEvENKUlvE0_clEvEUlaaE_St5arrayIPcLm3EEEEviT0_T1_
    .private_segment_fixed_size: 0
    .sgpr_count:     23
    .sgpr_spill_count: 0
    .symbol:         _ZN2at6native29vectorized_elementwise_kernelILi16EZZZNS0_15gcd_kernel_cudaERNS_18TensorIteratorBaseEENKUlvE_clEvENKUlvE0_clEvEUlaaE_St5arrayIPcLm3EEEEviT0_T1_.kd
    .uniform_work_group_size: 1
    .uses_dynamic_stack: false
    .vgpr_count:     42
    .vgpr_spill_count: 0
    .wavefront_size: 32
  - .args:
      - .offset:         0
        .size:           4
        .value_kind:     by_value
      - .offset:         4
        .size:           1
        .value_kind:     by_value
      - .offset:         8
        .size:           24
        .value_kind:     by_value
    .group_segment_fixed_size: 0
    .kernarg_segment_align: 8
    .kernarg_segment_size: 32
    .language:       OpenCL C
    .language_version:
      - 2
      - 0
    .max_flat_workgroup_size: 256
    .name:           _ZN2at6native29vectorized_elementwise_kernelILi8EZZZNS0_15gcd_kernel_cudaERNS_18TensorIteratorBaseEENKUlvE_clEvENKUlvE0_clEvEUlaaE_St5arrayIPcLm3EEEEviT0_T1_
    .private_segment_fixed_size: 0
    .sgpr_count:     23
    .sgpr_spill_count: 0
    .symbol:         _ZN2at6native29vectorized_elementwise_kernelILi8EZZZNS0_15gcd_kernel_cudaERNS_18TensorIteratorBaseEENKUlvE_clEvENKUlvE0_clEvEUlaaE_St5arrayIPcLm3EEEEviT0_T1_.kd
    .uniform_work_group_size: 1
    .uses_dynamic_stack: false
    .vgpr_count:     42
    .vgpr_spill_count: 0
    .wavefront_size: 32
  - .args:
      - .offset:         0
        .size:           4
        .value_kind:     by_value
      - .offset:         4
        .size:           1
        .value_kind:     by_value
      - .offset:         8
        .size:           24
        .value_kind:     by_value
    .group_segment_fixed_size: 0
    .kernarg_segment_align: 8
    .kernarg_segment_size: 32
    .language:       OpenCL C
    .language_version:
      - 2
      - 0
    .max_flat_workgroup_size: 256
    .name:           _ZN2at6native29vectorized_elementwise_kernelILi4EZZZNS0_15gcd_kernel_cudaERNS_18TensorIteratorBaseEENKUlvE_clEvENKUlvE0_clEvEUlaaE_St5arrayIPcLm3EEEEviT0_T1_
    .private_segment_fixed_size: 0
    .sgpr_count:     23
    .sgpr_spill_count: 0
    .symbol:         _ZN2at6native29vectorized_elementwise_kernelILi4EZZZNS0_15gcd_kernel_cudaERNS_18TensorIteratorBaseEENKUlvE_clEvENKUlvE0_clEvEUlaaE_St5arrayIPcLm3EEEEviT0_T1_.kd
    .uniform_work_group_size: 1
    .uses_dynamic_stack: false
    .vgpr_count:     42
    .vgpr_spill_count: 0
    .wavefront_size: 32
  - .args:
      - .offset:         0
        .size:           4
        .value_kind:     by_value
      - .offset:         4
        .size:           1
        .value_kind:     by_value
      - .offset:         8
        .size:           24
        .value_kind:     by_value
    .group_segment_fixed_size: 0
    .kernarg_segment_align: 8
    .kernarg_segment_size: 32
    .language:       OpenCL C
    .language_version:
      - 2
      - 0
    .max_flat_workgroup_size: 256
    .name:           _ZN2at6native29vectorized_elementwise_kernelILi2EZZZNS0_15gcd_kernel_cudaERNS_18TensorIteratorBaseEENKUlvE_clEvENKUlvE0_clEvEUlaaE_St5arrayIPcLm3EEEEviT0_T1_
    .private_segment_fixed_size: 0
    .sgpr_count:     23
    .sgpr_spill_count: 0
    .symbol:         _ZN2at6native29vectorized_elementwise_kernelILi2EZZZNS0_15gcd_kernel_cudaERNS_18TensorIteratorBaseEENKUlvE_clEvENKUlvE0_clEvEUlaaE_St5arrayIPcLm3EEEEviT0_T1_.kd
    .uniform_work_group_size: 1
    .uses_dynamic_stack: false
    .vgpr_count:     42
    .vgpr_spill_count: 0
    .wavefront_size: 32
  - .args:
      - .offset:         0
        .size:           4
        .value_kind:     by_value
      - .offset:         4
        .size:           1
        .value_kind:     by_value
      - .offset:         8
        .size:           24
        .value_kind:     by_value
      - .offset:         32
        .size:           1
        .value_kind:     by_value
      - .offset:         33
        .size:           1
        .value_kind:     by_value
      - .offset:         34
        .size:           1
        .value_kind:     by_value
      - .offset:         35
        .size:           1
        .value_kind:     by_value
    .group_segment_fixed_size: 0
    .kernarg_segment_align: 8
    .kernarg_segment_size: 36
    .language:       OpenCL C
    .language_version:
      - 2
      - 0
    .max_flat_workgroup_size: 256
    .name:           _ZN2at6native27unrolled_elementwise_kernelIZZZNS0_15gcd_kernel_cudaERNS_18TensorIteratorBaseEENKUlvE_clEvENKUlvE0_clEvEUlaaE_St5arrayIPcLm3EELi4E23TrivialOffsetCalculatorILi2EjESA_ILi1EjENS0_6memory15LoadWithoutCastENSD_16StoreWithoutCastEEEviT_T0_T2_T3_T4_T5_
    .private_segment_fixed_size: 0
    .sgpr_count:     15
    .sgpr_spill_count: 0
    .symbol:         _ZN2at6native27unrolled_elementwise_kernelIZZZNS0_15gcd_kernel_cudaERNS_18TensorIteratorBaseEENKUlvE_clEvENKUlvE0_clEvEUlaaE_St5arrayIPcLm3EELi4E23TrivialOffsetCalculatorILi2EjESA_ILi1EjENS0_6memory15LoadWithoutCastENSD_16StoreWithoutCastEEEviT_T0_T2_T3_T4_T5_.kd
    .uniform_work_group_size: 1
    .uses_dynamic_stack: false
    .vgpr_count:     16
    .vgpr_spill_count: 0
    .wavefront_size: 32
  - .args:
      - .offset:         0
        .size:           4
        .value_kind:     by_value
      - .offset:         8
        .size:           424
        .value_kind:     by_value
    .group_segment_fixed_size: 0
    .kernarg_segment_align: 8
    .kernarg_segment_size: 432
    .language:       OpenCL C
    .language_version:
      - 2
      - 0
    .max_flat_workgroup_size: 128
    .name:           _ZN2at6native32elementwise_kernel_manual_unrollILi128ELi8EZNS0_22gpu_kernel_impl_nocastIZZZNS0_15gcd_kernel_cudaERNS_18TensorIteratorBaseEENKUlvE_clEvENKUlvE0_clEvEUlaaE_EEvS4_RKT_EUlibE_EEviT1_
    .private_segment_fixed_size: 0
    .sgpr_count:     48
    .sgpr_spill_count: 0
    .symbol:         _ZN2at6native32elementwise_kernel_manual_unrollILi128ELi8EZNS0_22gpu_kernel_impl_nocastIZZZNS0_15gcd_kernel_cudaERNS_18TensorIteratorBaseEENKUlvE_clEvENKUlvE0_clEvEUlaaE_EEvS4_RKT_EUlibE_EEviT1_.kd
    .uniform_work_group_size: 1
    .uses_dynamic_stack: false
    .vgpr_count:     29
    .vgpr_spill_count: 0
    .wavefront_size: 32
  - .args:
      - .offset:         0
        .size:           4
        .value_kind:     by_value
      - .offset:         8
        .size:           40
        .value_kind:     by_value
    .group_segment_fixed_size: 0
    .kernarg_segment_align: 8
    .kernarg_segment_size: 48
    .language:       OpenCL C
    .language_version:
      - 2
      - 0
    .max_flat_workgroup_size: 128
    .name:           _ZN2at6native32elementwise_kernel_manual_unrollILi128ELi4EZNS0_15gpu_kernel_implIZZZNS0_15gcd_kernel_cudaERNS_18TensorIteratorBaseEENKUlvE_clEvENKUlvE0_clEvEUlaaE_EEvS4_RKT_EUlibE_EEviT1_
    .private_segment_fixed_size: 0
    .sgpr_count:     37
    .sgpr_spill_count: 0
    .symbol:         _ZN2at6native32elementwise_kernel_manual_unrollILi128ELi4EZNS0_15gpu_kernel_implIZZZNS0_15gcd_kernel_cudaERNS_18TensorIteratorBaseEENKUlvE_clEvENKUlvE0_clEvEUlaaE_EEvS4_RKT_EUlibE_EEviT1_.kd
    .uniform_work_group_size: 1
    .uses_dynamic_stack: false
    .vgpr_count:     18
    .vgpr_spill_count: 0
    .wavefront_size: 32
  - .args:
      - .offset:         0
        .size:           4
        .value_kind:     by_value
      - .offset:         8
        .size:           424
        .value_kind:     by_value
    .group_segment_fixed_size: 0
    .kernarg_segment_align: 8
    .kernarg_segment_size: 432
    .language:       OpenCL C
    .language_version:
      - 2
      - 0
    .max_flat_workgroup_size: 128
    .name:           _ZN2at6native32elementwise_kernel_manual_unrollILi128ELi4EZNS0_15gpu_kernel_implIZZZNS0_15gcd_kernel_cudaERNS_18TensorIteratorBaseEENKUlvE_clEvENKUlvE0_clEvEUlaaE_EEvS4_RKT_EUlibE0_EEviT1_
    .private_segment_fixed_size: 0
    .sgpr_count:     62
    .sgpr_spill_count: 0
    .symbol:         _ZN2at6native32elementwise_kernel_manual_unrollILi128ELi4EZNS0_15gpu_kernel_implIZZZNS0_15gcd_kernel_cudaERNS_18TensorIteratorBaseEENKUlvE_clEvENKUlvE0_clEvEUlaaE_EEvS4_RKT_EUlibE0_EEviT1_.kd
    .uniform_work_group_size: 1
    .uses_dynamic_stack: false
    .vgpr_count:     26
    .vgpr_spill_count: 0
    .wavefront_size: 32
  - .args:
      - .offset:         0
        .size:           4
        .value_kind:     by_value
      - .offset:         4
        .size:           1
        .value_kind:     by_value
      - .offset:         8
        .size:           24
        .value_kind:     by_value
    .group_segment_fixed_size: 0
    .kernarg_segment_align: 8
    .kernarg_segment_size: 32
    .language:       OpenCL C
    .language_version:
      - 2
      - 0
    .max_flat_workgroup_size: 256
    .name:           _ZN2at6native29vectorized_elementwise_kernelILi16EZZZNS0_15gcd_kernel_cudaERNS_18TensorIteratorBaseEENKUlvE_clEvENKUlvE1_clEvEUliiE_St5arrayIPcLm3EEEEviT0_T1_
    .private_segment_fixed_size: 0
    .sgpr_count:     16
    .sgpr_spill_count: 0
    .symbol:         _ZN2at6native29vectorized_elementwise_kernelILi16EZZZNS0_15gcd_kernel_cudaERNS_18TensorIteratorBaseEENKUlvE_clEvENKUlvE1_clEvEUliiE_St5arrayIPcLm3EEEEviT0_T1_.kd
    .uniform_work_group_size: 1
    .uses_dynamic_stack: false
    .vgpr_count:     18
    .vgpr_spill_count: 0
    .wavefront_size: 32
  - .args:
      - .offset:         0
        .size:           4
        .value_kind:     by_value
      - .offset:         4
        .size:           1
        .value_kind:     by_value
      - .offset:         8
        .size:           24
        .value_kind:     by_value
    .group_segment_fixed_size: 0
    .kernarg_segment_align: 8
    .kernarg_segment_size: 32
    .language:       OpenCL C
    .language_version:
      - 2
      - 0
    .max_flat_workgroup_size: 256
    .name:           _ZN2at6native29vectorized_elementwise_kernelILi8EZZZNS0_15gcd_kernel_cudaERNS_18TensorIteratorBaseEENKUlvE_clEvENKUlvE1_clEvEUliiE_St5arrayIPcLm3EEEEviT0_T1_
    .private_segment_fixed_size: 0
    .sgpr_count:     16
    .sgpr_spill_count: 0
    .symbol:         _ZN2at6native29vectorized_elementwise_kernelILi8EZZZNS0_15gcd_kernel_cudaERNS_18TensorIteratorBaseEENKUlvE_clEvENKUlvE1_clEvEUliiE_St5arrayIPcLm3EEEEviT0_T1_.kd
    .uniform_work_group_size: 1
    .uses_dynamic_stack: false
    .vgpr_count:     18
    .vgpr_spill_count: 0
    .wavefront_size: 32
  - .args:
      - .offset:         0
        .size:           4
        .value_kind:     by_value
      - .offset:         4
        .size:           1
        .value_kind:     by_value
      - .offset:         8
        .size:           24
        .value_kind:     by_value
    .group_segment_fixed_size: 0
    .kernarg_segment_align: 8
    .kernarg_segment_size: 32
    .language:       OpenCL C
    .language_version:
      - 2
      - 0
    .max_flat_workgroup_size: 256
    .name:           _ZN2at6native29vectorized_elementwise_kernelILi4EZZZNS0_15gcd_kernel_cudaERNS_18TensorIteratorBaseEENKUlvE_clEvENKUlvE1_clEvEUliiE_St5arrayIPcLm3EEEEviT0_T1_
    .private_segment_fixed_size: 0
    .sgpr_count:     16
    .sgpr_spill_count: 0
    .symbol:         _ZN2at6native29vectorized_elementwise_kernelILi4EZZZNS0_15gcd_kernel_cudaERNS_18TensorIteratorBaseEENKUlvE_clEvENKUlvE1_clEvEUliiE_St5arrayIPcLm3EEEEviT0_T1_.kd
    .uniform_work_group_size: 1
    .uses_dynamic_stack: false
    .vgpr_count:     18
    .vgpr_spill_count: 0
    .wavefront_size: 32
  - .args:
      - .offset:         0
        .size:           4
        .value_kind:     by_value
      - .offset:         4
        .size:           1
        .value_kind:     by_value
      - .offset:         8
        .size:           24
        .value_kind:     by_value
    .group_segment_fixed_size: 0
    .kernarg_segment_align: 8
    .kernarg_segment_size: 32
    .language:       OpenCL C
    .language_version:
      - 2
      - 0
    .max_flat_workgroup_size: 256
    .name:           _ZN2at6native29vectorized_elementwise_kernelILi2EZZZNS0_15gcd_kernel_cudaERNS_18TensorIteratorBaseEENKUlvE_clEvENKUlvE1_clEvEUliiE_St5arrayIPcLm3EEEEviT0_T1_
    .private_segment_fixed_size: 0
    .sgpr_count:     18
    .sgpr_spill_count: 0
    .symbol:         _ZN2at6native29vectorized_elementwise_kernelILi2EZZZNS0_15gcd_kernel_cudaERNS_18TensorIteratorBaseEENKUlvE_clEvENKUlvE1_clEvEUliiE_St5arrayIPcLm3EEEEviT0_T1_.kd
    .uniform_work_group_size: 1
    .uses_dynamic_stack: false
    .vgpr_count:     18
    .vgpr_spill_count: 0
    .wavefront_size: 32
  - .args:
      - .offset:         0
        .size:           4
        .value_kind:     by_value
      - .offset:         4
        .size:           1
        .value_kind:     by_value
      - .offset:         8
        .size:           24
        .value_kind:     by_value
      - .offset:         32
        .size:           1
        .value_kind:     by_value
      - .offset:         33
        .size:           1
        .value_kind:     by_value
      - .offset:         34
        .size:           1
        .value_kind:     by_value
      - .offset:         35
        .size:           1
        .value_kind:     by_value
    .group_segment_fixed_size: 0
    .kernarg_segment_align: 8
    .kernarg_segment_size: 36
    .language:       OpenCL C
    .language_version:
      - 2
      - 0
    .max_flat_workgroup_size: 256
    .name:           _ZN2at6native27unrolled_elementwise_kernelIZZZNS0_15gcd_kernel_cudaERNS_18TensorIteratorBaseEENKUlvE_clEvENKUlvE1_clEvEUliiE_St5arrayIPcLm3EELi4E23TrivialOffsetCalculatorILi2EjESA_ILi1EjENS0_6memory15LoadWithoutCastENSD_16StoreWithoutCastEEEviT_T0_T2_T3_T4_T5_
    .private_segment_fixed_size: 0
    .sgpr_count:     15
    .sgpr_spill_count: 0
    .symbol:         _ZN2at6native27unrolled_elementwise_kernelIZZZNS0_15gcd_kernel_cudaERNS_18TensorIteratorBaseEENKUlvE_clEvENKUlvE1_clEvEUliiE_St5arrayIPcLm3EELi4E23TrivialOffsetCalculatorILi2EjESA_ILi1EjENS0_6memory15LoadWithoutCastENSD_16StoreWithoutCastEEEviT_T0_T2_T3_T4_T5_.kd
    .uniform_work_group_size: 1
    .uses_dynamic_stack: false
    .vgpr_count:     15
    .vgpr_spill_count: 0
    .wavefront_size: 32
  - .args:
      - .offset:         0
        .size:           4
        .value_kind:     by_value
      - .offset:         8
        .size:           424
        .value_kind:     by_value
    .group_segment_fixed_size: 0
    .kernarg_segment_align: 8
    .kernarg_segment_size: 432
    .language:       OpenCL C
    .language_version:
      - 2
      - 0
    .max_flat_workgroup_size: 128
    .name:           _ZN2at6native32elementwise_kernel_manual_unrollILi128ELi4EZNS0_22gpu_kernel_impl_nocastIZZZNS0_15gcd_kernel_cudaERNS_18TensorIteratorBaseEENKUlvE_clEvENKUlvE1_clEvEUliiE_EEvS4_RKT_EUlibE_EEviT1_
    .private_segment_fixed_size: 0
    .sgpr_count:     48
    .sgpr_spill_count: 0
    .symbol:         _ZN2at6native32elementwise_kernel_manual_unrollILi128ELi4EZNS0_22gpu_kernel_impl_nocastIZZZNS0_15gcd_kernel_cudaERNS_18TensorIteratorBaseEENKUlvE_clEvENKUlvE1_clEvEUliiE_EEvS4_RKT_EUlibE_EEviT1_.kd
    .uniform_work_group_size: 1
    .uses_dynamic_stack: false
    .vgpr_count:     17
    .vgpr_spill_count: 0
    .wavefront_size: 32
  - .args:
      - .offset:         0
        .size:           4
        .value_kind:     by_value
      - .offset:         8
        .size:           40
        .value_kind:     by_value
    .group_segment_fixed_size: 0
    .kernarg_segment_align: 8
    .kernarg_segment_size: 48
    .language:       OpenCL C
    .language_version:
      - 2
      - 0
    .max_flat_workgroup_size: 128
    .name:           _ZN2at6native32elementwise_kernel_manual_unrollILi128ELi4EZNS0_15gpu_kernel_implIZZZNS0_15gcd_kernel_cudaERNS_18TensorIteratorBaseEENKUlvE_clEvENKUlvE1_clEvEUliiE_EEvS4_RKT_EUlibE_EEviT1_
    .private_segment_fixed_size: 0
    .sgpr_count:     37
    .sgpr_spill_count: 0
    .symbol:         _ZN2at6native32elementwise_kernel_manual_unrollILi128ELi4EZNS0_15gpu_kernel_implIZZZNS0_15gcd_kernel_cudaERNS_18TensorIteratorBaseEENKUlvE_clEvENKUlvE1_clEvEUliiE_EEvS4_RKT_EUlibE_EEviT1_.kd
    .uniform_work_group_size: 1
    .uses_dynamic_stack: false
    .vgpr_count:     16
    .vgpr_spill_count: 0
    .wavefront_size: 32
  - .args:
      - .offset:         0
        .size:           4
        .value_kind:     by_value
      - .offset:         8
        .size:           424
        .value_kind:     by_value
    .group_segment_fixed_size: 0
    .kernarg_segment_align: 8
    .kernarg_segment_size: 432
    .language:       OpenCL C
    .language_version:
      - 2
      - 0
    .max_flat_workgroup_size: 128
    .name:           _ZN2at6native32elementwise_kernel_manual_unrollILi128ELi4EZNS0_15gpu_kernel_implIZZZNS0_15gcd_kernel_cudaERNS_18TensorIteratorBaseEENKUlvE_clEvENKUlvE1_clEvEUliiE_EEvS4_RKT_EUlibE0_EEviT1_
    .private_segment_fixed_size: 0
    .sgpr_count:     62
    .sgpr_spill_count: 0
    .symbol:         _ZN2at6native32elementwise_kernel_manual_unrollILi128ELi4EZNS0_15gpu_kernel_implIZZZNS0_15gcd_kernel_cudaERNS_18TensorIteratorBaseEENKUlvE_clEvENKUlvE1_clEvEUliiE_EEvS4_RKT_EUlibE0_EEviT1_.kd
    .uniform_work_group_size: 1
    .uses_dynamic_stack: false
    .vgpr_count:     26
    .vgpr_spill_count: 0
    .wavefront_size: 32
  - .args:
      - .offset:         0
        .size:           4
        .value_kind:     by_value
      - .offset:         4
        .size:           1
        .value_kind:     by_value
      - .offset:         8
        .size:           24
        .value_kind:     by_value
    .group_segment_fixed_size: 0
    .kernarg_segment_align: 8
    .kernarg_segment_size: 32
    .language:       OpenCL C
    .language_version:
      - 2
      - 0
    .max_flat_workgroup_size: 256
    .name:           _ZN2at6native29vectorized_elementwise_kernelILi16EZZZNS0_15gcd_kernel_cudaERNS_18TensorIteratorBaseEENKUlvE_clEvENKUlvE2_clEvEUlllE_St5arrayIPcLm3EEEEviT0_T1_
    .private_segment_fixed_size: 0
    .sgpr_count:     18
    .sgpr_spill_count: 0
    .symbol:         _ZN2at6native29vectorized_elementwise_kernelILi16EZZZNS0_15gcd_kernel_cudaERNS_18TensorIteratorBaseEENKUlvE_clEvENKUlvE2_clEvEUlllE_St5arrayIPcLm3EEEEviT0_T1_.kd
    .uniform_work_group_size: 1
    .uses_dynamic_stack: false
    .vgpr_count:     38
    .vgpr_spill_count: 0
    .wavefront_size: 32
  - .args:
      - .offset:         0
        .size:           4
        .value_kind:     by_value
      - .offset:         4
        .size:           1
        .value_kind:     by_value
      - .offset:         8
        .size:           24
        .value_kind:     by_value
    .group_segment_fixed_size: 0
    .kernarg_segment_align: 8
    .kernarg_segment_size: 32
    .language:       OpenCL C
    .language_version:
      - 2
      - 0
    .max_flat_workgroup_size: 256
    .name:           _ZN2at6native29vectorized_elementwise_kernelILi8EZZZNS0_15gcd_kernel_cudaERNS_18TensorIteratorBaseEENKUlvE_clEvENKUlvE2_clEvEUlllE_St5arrayIPcLm3EEEEviT0_T1_
    .private_segment_fixed_size: 0
    .sgpr_count:     18
    .sgpr_spill_count: 0
    .symbol:         _ZN2at6native29vectorized_elementwise_kernelILi8EZZZNS0_15gcd_kernel_cudaERNS_18TensorIteratorBaseEENKUlvE_clEvENKUlvE2_clEvEUlllE_St5arrayIPcLm3EEEEviT0_T1_.kd
    .uniform_work_group_size: 1
    .uses_dynamic_stack: false
    .vgpr_count:     38
    .vgpr_spill_count: 0
    .wavefront_size: 32
  - .args:
      - .offset:         0
        .size:           4
        .value_kind:     by_value
      - .offset:         4
        .size:           1
        .value_kind:     by_value
      - .offset:         8
        .size:           24
        .value_kind:     by_value
    .group_segment_fixed_size: 0
    .kernarg_segment_align: 8
    .kernarg_segment_size: 32
    .language:       OpenCL C
    .language_version:
      - 2
      - 0
    .max_flat_workgroup_size: 256
    .name:           _ZN2at6native29vectorized_elementwise_kernelILi4EZZZNS0_15gcd_kernel_cudaERNS_18TensorIteratorBaseEENKUlvE_clEvENKUlvE2_clEvEUlllE_St5arrayIPcLm3EEEEviT0_T1_
    .private_segment_fixed_size: 0
    .sgpr_count:     18
    .sgpr_spill_count: 0
    .symbol:         _ZN2at6native29vectorized_elementwise_kernelILi4EZZZNS0_15gcd_kernel_cudaERNS_18TensorIteratorBaseEENKUlvE_clEvENKUlvE2_clEvEUlllE_St5arrayIPcLm3EEEEviT0_T1_.kd
    .uniform_work_group_size: 1
    .uses_dynamic_stack: false
    .vgpr_count:     38
    .vgpr_spill_count: 0
    .wavefront_size: 32
  - .args:
      - .offset:         0
        .size:           4
        .value_kind:     by_value
      - .offset:         4
        .size:           1
        .value_kind:     by_value
      - .offset:         8
        .size:           24
        .value_kind:     by_value
    .group_segment_fixed_size: 0
    .kernarg_segment_align: 8
    .kernarg_segment_size: 32
    .language:       OpenCL C
    .language_version:
      - 2
      - 0
    .max_flat_workgroup_size: 256
    .name:           _ZN2at6native29vectorized_elementwise_kernelILi2EZZZNS0_15gcd_kernel_cudaERNS_18TensorIteratorBaseEENKUlvE_clEvENKUlvE2_clEvEUlllE_St5arrayIPcLm3EEEEviT0_T1_
    .private_segment_fixed_size: 0
    .sgpr_count:     18
    .sgpr_spill_count: 0
    .symbol:         _ZN2at6native29vectorized_elementwise_kernelILi2EZZZNS0_15gcd_kernel_cudaERNS_18TensorIteratorBaseEENKUlvE_clEvENKUlvE2_clEvEUlllE_St5arrayIPcLm3EEEEviT0_T1_.kd
    .uniform_work_group_size: 1
    .uses_dynamic_stack: false
    .vgpr_count:     38
    .vgpr_spill_count: 0
    .wavefront_size: 32
  - .args:
      - .offset:         0
        .size:           4
        .value_kind:     by_value
      - .offset:         4
        .size:           1
        .value_kind:     by_value
      - .offset:         8
        .size:           24
        .value_kind:     by_value
      - .offset:         32
        .size:           1
        .value_kind:     by_value
      - .offset:         33
        .size:           1
        .value_kind:     by_value
      - .offset:         34
        .size:           1
        .value_kind:     by_value
      - .offset:         35
        .size:           1
        .value_kind:     by_value
    .group_segment_fixed_size: 0
    .kernarg_segment_align: 8
    .kernarg_segment_size: 36
    .language:       OpenCL C
    .language_version:
      - 2
      - 0
    .max_flat_workgroup_size: 256
    .name:           _ZN2at6native27unrolled_elementwise_kernelIZZZNS0_15gcd_kernel_cudaERNS_18TensorIteratorBaseEENKUlvE_clEvENKUlvE2_clEvEUlllE_St5arrayIPcLm3EELi4E23TrivialOffsetCalculatorILi2EjESA_ILi1EjENS0_6memory15LoadWithoutCastENSD_16StoreWithoutCastEEEviT_T0_T2_T3_T4_T5_
    .private_segment_fixed_size: 0
    .sgpr_count:     13
    .sgpr_spill_count: 0
    .symbol:         _ZN2at6native27unrolled_elementwise_kernelIZZZNS0_15gcd_kernel_cudaERNS_18TensorIteratorBaseEENKUlvE_clEvENKUlvE2_clEvEUlllE_St5arrayIPcLm3EELi4E23TrivialOffsetCalculatorILi2EjESA_ILi1EjENS0_6memory15LoadWithoutCastENSD_16StoreWithoutCastEEEviT_T0_T2_T3_T4_T5_.kd
    .uniform_work_group_size: 1
    .uses_dynamic_stack: false
    .vgpr_count:     38
    .vgpr_spill_count: 0
    .wavefront_size: 32
  - .args:
      - .offset:         0
        .size:           4
        .value_kind:     by_value
      - .offset:         8
        .size:           424
        .value_kind:     by_value
    .group_segment_fixed_size: 0
    .kernarg_segment_align: 8
    .kernarg_segment_size: 432
    .language:       OpenCL C
    .language_version:
      - 2
      - 0
    .max_flat_workgroup_size: 128
    .name:           _ZN2at6native32elementwise_kernel_manual_unrollILi128ELi4EZNS0_22gpu_kernel_impl_nocastIZZZNS0_15gcd_kernel_cudaERNS_18TensorIteratorBaseEENKUlvE_clEvENKUlvE2_clEvEUlllE_EEvS4_RKT_EUlibE_EEviT1_
    .private_segment_fixed_size: 0
    .sgpr_count:     48
    .sgpr_spill_count: 0
    .symbol:         _ZN2at6native32elementwise_kernel_manual_unrollILi128ELi4EZNS0_22gpu_kernel_impl_nocastIZZZNS0_15gcd_kernel_cudaERNS_18TensorIteratorBaseEENKUlvE_clEvENKUlvE2_clEvEUlllE_EEvS4_RKT_EUlibE_EEviT1_.kd
    .uniform_work_group_size: 1
    .uses_dynamic_stack: false
    .vgpr_count:     32
    .vgpr_spill_count: 0
    .wavefront_size: 32
  - .args:
      - .offset:         0
        .size:           4
        .value_kind:     by_value
      - .offset:         8
        .size:           40
        .value_kind:     by_value
    .group_segment_fixed_size: 0
    .kernarg_segment_align: 8
    .kernarg_segment_size: 48
    .language:       OpenCL C
    .language_version:
      - 2
      - 0
    .max_flat_workgroup_size: 128
    .name:           _ZN2at6native32elementwise_kernel_manual_unrollILi128ELi4EZNS0_15gpu_kernel_implIZZZNS0_15gcd_kernel_cudaERNS_18TensorIteratorBaseEENKUlvE_clEvENKUlvE2_clEvEUlllE_EEvS4_RKT_EUlibE_EEviT1_
    .private_segment_fixed_size: 0
    .sgpr_count:     37
    .sgpr_spill_count: 0
    .symbol:         _ZN2at6native32elementwise_kernel_manual_unrollILi128ELi4EZNS0_15gpu_kernel_implIZZZNS0_15gcd_kernel_cudaERNS_18TensorIteratorBaseEENKUlvE_clEvENKUlvE2_clEvEUlllE_EEvS4_RKT_EUlibE_EEviT1_.kd
    .uniform_work_group_size: 1
    .uses_dynamic_stack: false
    .vgpr_count:     32
    .vgpr_spill_count: 0
    .wavefront_size: 32
  - .args:
      - .offset:         0
        .size:           4
        .value_kind:     by_value
      - .offset:         8
        .size:           424
        .value_kind:     by_value
    .group_segment_fixed_size: 0
    .kernarg_segment_align: 8
    .kernarg_segment_size: 432
    .language:       OpenCL C
    .language_version:
      - 2
      - 0
    .max_flat_workgroup_size: 128
    .name:           _ZN2at6native32elementwise_kernel_manual_unrollILi128ELi4EZNS0_15gpu_kernel_implIZZZNS0_15gcd_kernel_cudaERNS_18TensorIteratorBaseEENKUlvE_clEvENKUlvE2_clEvEUlllE_EEvS4_RKT_EUlibE0_EEviT1_
    .private_segment_fixed_size: 0
    .sgpr_count:     62
    .sgpr_spill_count: 0
    .symbol:         _ZN2at6native32elementwise_kernel_manual_unrollILi128ELi4EZNS0_15gpu_kernel_implIZZZNS0_15gcd_kernel_cudaERNS_18TensorIteratorBaseEENKUlvE_clEvENKUlvE2_clEvEUlllE_EEvS4_RKT_EUlibE0_EEviT1_.kd
    .uniform_work_group_size: 1
    .uses_dynamic_stack: false
    .vgpr_count:     42
    .vgpr_spill_count: 0
    .wavefront_size: 32
  - .args:
      - .offset:         0
        .size:           4
        .value_kind:     by_value
      - .offset:         4
        .size:           1
        .value_kind:     by_value
      - .offset:         8
        .size:           24
        .value_kind:     by_value
    .group_segment_fixed_size: 0
    .kernarg_segment_align: 8
    .kernarg_segment_size: 32
    .language:       OpenCL C
    .language_version:
      - 2
      - 0
    .max_flat_workgroup_size: 256
    .name:           _ZN2at6native29vectorized_elementwise_kernelILi16EZZZNS0_15gcd_kernel_cudaERNS_18TensorIteratorBaseEENKUlvE_clEvENKUlvE3_clEvEUlssE_St5arrayIPcLm3EEEEviT0_T1_
    .private_segment_fixed_size: 0
    .sgpr_count:     16
    .sgpr_spill_count: 0
    .symbol:         _ZN2at6native29vectorized_elementwise_kernelILi16EZZZNS0_15gcd_kernel_cudaERNS_18TensorIteratorBaseEENKUlvE_clEvENKUlvE3_clEvEUlssE_St5arrayIPcLm3EEEEviT0_T1_.kd
    .uniform_work_group_size: 1
    .uses_dynamic_stack: false
    .vgpr_count:     26
    .vgpr_spill_count: 0
    .wavefront_size: 32
  - .args:
      - .offset:         0
        .size:           4
        .value_kind:     by_value
      - .offset:         4
        .size:           1
        .value_kind:     by_value
      - .offset:         8
        .size:           24
        .value_kind:     by_value
    .group_segment_fixed_size: 0
    .kernarg_segment_align: 8
    .kernarg_segment_size: 32
    .language:       OpenCL C
    .language_version:
      - 2
      - 0
    .max_flat_workgroup_size: 256
    .name:           _ZN2at6native29vectorized_elementwise_kernelILi8EZZZNS0_15gcd_kernel_cudaERNS_18TensorIteratorBaseEENKUlvE_clEvENKUlvE3_clEvEUlssE_St5arrayIPcLm3EEEEviT0_T1_
    .private_segment_fixed_size: 0
    .sgpr_count:     16
    .sgpr_spill_count: 0
    .symbol:         _ZN2at6native29vectorized_elementwise_kernelILi8EZZZNS0_15gcd_kernel_cudaERNS_18TensorIteratorBaseEENKUlvE_clEvENKUlvE3_clEvEUlssE_St5arrayIPcLm3EEEEviT0_T1_.kd
    .uniform_work_group_size: 1
    .uses_dynamic_stack: false
    .vgpr_count:     26
    .vgpr_spill_count: 0
    .wavefront_size: 32
  - .args:
      - .offset:         0
        .size:           4
        .value_kind:     by_value
      - .offset:         4
        .size:           1
        .value_kind:     by_value
      - .offset:         8
        .size:           24
        .value_kind:     by_value
    .group_segment_fixed_size: 0
    .kernarg_segment_align: 8
    .kernarg_segment_size: 32
    .language:       OpenCL C
    .language_version:
      - 2
      - 0
    .max_flat_workgroup_size: 256
    .name:           _ZN2at6native29vectorized_elementwise_kernelILi4EZZZNS0_15gcd_kernel_cudaERNS_18TensorIteratorBaseEENKUlvE_clEvENKUlvE3_clEvEUlssE_St5arrayIPcLm3EEEEviT0_T1_
    .private_segment_fixed_size: 0
    .sgpr_count:     18
    .sgpr_spill_count: 0
    .symbol:         _ZN2at6native29vectorized_elementwise_kernelILi4EZZZNS0_15gcd_kernel_cudaERNS_18TensorIteratorBaseEENKUlvE_clEvENKUlvE3_clEvEUlssE_St5arrayIPcLm3EEEEviT0_T1_.kd
    .uniform_work_group_size: 1
    .uses_dynamic_stack: false
    .vgpr_count:     26
    .vgpr_spill_count: 0
    .wavefront_size: 32
  - .args:
      - .offset:         0
        .size:           4
        .value_kind:     by_value
      - .offset:         4
        .size:           1
        .value_kind:     by_value
      - .offset:         8
        .size:           24
        .value_kind:     by_value
    .group_segment_fixed_size: 0
    .kernarg_segment_align: 8
    .kernarg_segment_size: 32
    .language:       OpenCL C
    .language_version:
      - 2
      - 0
    .max_flat_workgroup_size: 256
    .name:           _ZN2at6native29vectorized_elementwise_kernelILi2EZZZNS0_15gcd_kernel_cudaERNS_18TensorIteratorBaseEENKUlvE_clEvENKUlvE3_clEvEUlssE_St5arrayIPcLm3EEEEviT0_T1_
    .private_segment_fixed_size: 0
    .sgpr_count:     18
    .sgpr_spill_count: 0
    .symbol:         _ZN2at6native29vectorized_elementwise_kernelILi2EZZZNS0_15gcd_kernel_cudaERNS_18TensorIteratorBaseEENKUlvE_clEvENKUlvE3_clEvEUlssE_St5arrayIPcLm3EEEEviT0_T1_.kd
    .uniform_work_group_size: 1
    .uses_dynamic_stack: false
    .vgpr_count:     26
    .vgpr_spill_count: 0
    .wavefront_size: 32
  - .args:
      - .offset:         0
        .size:           4
        .value_kind:     by_value
      - .offset:         4
        .size:           1
        .value_kind:     by_value
      - .offset:         8
        .size:           24
        .value_kind:     by_value
      - .offset:         32
        .size:           1
        .value_kind:     by_value
      - .offset:         33
        .size:           1
        .value_kind:     by_value
      - .offset:         34
        .size:           1
        .value_kind:     by_value
      - .offset:         35
        .size:           1
        .value_kind:     by_value
    .group_segment_fixed_size: 0
    .kernarg_segment_align: 8
    .kernarg_segment_size: 36
    .language:       OpenCL C
    .language_version:
      - 2
      - 0
    .max_flat_workgroup_size: 256
    .name:           _ZN2at6native27unrolled_elementwise_kernelIZZZNS0_15gcd_kernel_cudaERNS_18TensorIteratorBaseEENKUlvE_clEvENKUlvE3_clEvEUlssE_St5arrayIPcLm3EELi4E23TrivialOffsetCalculatorILi2EjESA_ILi1EjENS0_6memory15LoadWithoutCastENSD_16StoreWithoutCastEEEviT_T0_T2_T3_T4_T5_
    .private_segment_fixed_size: 0
    .sgpr_count:     13
    .sgpr_spill_count: 0
    .symbol:         _ZN2at6native27unrolled_elementwise_kernelIZZZNS0_15gcd_kernel_cudaERNS_18TensorIteratorBaseEENKUlvE_clEvENKUlvE3_clEvEUlssE_St5arrayIPcLm3EELi4E23TrivialOffsetCalculatorILi2EjESA_ILi1EjENS0_6memory15LoadWithoutCastENSD_16StoreWithoutCastEEEviT_T0_T2_T3_T4_T5_.kd
    .uniform_work_group_size: 1
    .uses_dynamic_stack: false
    .vgpr_count:     16
    .vgpr_spill_count: 0
    .wavefront_size: 32
  - .args:
      - .offset:         0
        .size:           4
        .value_kind:     by_value
      - .offset:         8
        .size:           424
        .value_kind:     by_value
    .group_segment_fixed_size: 0
    .kernarg_segment_align: 8
    .kernarg_segment_size: 432
    .language:       OpenCL C
    .language_version:
      - 2
      - 0
    .max_flat_workgroup_size: 128
    .name:           _ZN2at6native32elementwise_kernel_manual_unrollILi128ELi8EZNS0_22gpu_kernel_impl_nocastIZZZNS0_15gcd_kernel_cudaERNS_18TensorIteratorBaseEENKUlvE_clEvENKUlvE3_clEvEUlssE_EEvS4_RKT_EUlibE_EEviT1_
    .private_segment_fixed_size: 0
    .sgpr_count:     48
    .sgpr_spill_count: 0
    .symbol:         _ZN2at6native32elementwise_kernel_manual_unrollILi128ELi8EZNS0_22gpu_kernel_impl_nocastIZZZNS0_15gcd_kernel_cudaERNS_18TensorIteratorBaseEENKUlvE_clEvENKUlvE3_clEvEUlssE_EEvS4_RKT_EUlibE_EEviT1_.kd
    .uniform_work_group_size: 1
    .uses_dynamic_stack: false
    .vgpr_count:     29
    .vgpr_spill_count: 0
    .wavefront_size: 32
  - .args:
      - .offset:         0
        .size:           4
        .value_kind:     by_value
      - .offset:         8
        .size:           40
        .value_kind:     by_value
    .group_segment_fixed_size: 0
    .kernarg_segment_align: 8
    .kernarg_segment_size: 48
    .language:       OpenCL C
    .language_version:
      - 2
      - 0
    .max_flat_workgroup_size: 128
    .name:           _ZN2at6native32elementwise_kernel_manual_unrollILi128ELi4EZNS0_15gpu_kernel_implIZZZNS0_15gcd_kernel_cudaERNS_18TensorIteratorBaseEENKUlvE_clEvENKUlvE3_clEvEUlssE_EEvS4_RKT_EUlibE_EEviT1_
    .private_segment_fixed_size: 0
    .sgpr_count:     37
    .sgpr_spill_count: 0
    .symbol:         _ZN2at6native32elementwise_kernel_manual_unrollILi128ELi4EZNS0_15gpu_kernel_implIZZZNS0_15gcd_kernel_cudaERNS_18TensorIteratorBaseEENKUlvE_clEvENKUlvE3_clEvEUlssE_EEvS4_RKT_EUlibE_EEviT1_.kd
    .uniform_work_group_size: 1
    .uses_dynamic_stack: false
    .vgpr_count:     18
    .vgpr_spill_count: 0
    .wavefront_size: 32
  - .args:
      - .offset:         0
        .size:           4
        .value_kind:     by_value
      - .offset:         8
        .size:           424
        .value_kind:     by_value
    .group_segment_fixed_size: 0
    .kernarg_segment_align: 8
    .kernarg_segment_size: 432
    .language:       OpenCL C
    .language_version:
      - 2
      - 0
    .max_flat_workgroup_size: 128
    .name:           _ZN2at6native32elementwise_kernel_manual_unrollILi128ELi4EZNS0_15gpu_kernel_implIZZZNS0_15gcd_kernel_cudaERNS_18TensorIteratorBaseEENKUlvE_clEvENKUlvE3_clEvEUlssE_EEvS4_RKT_EUlibE0_EEviT1_
    .private_segment_fixed_size: 0
    .sgpr_count:     62
    .sgpr_spill_count: 0
    .symbol:         _ZN2at6native32elementwise_kernel_manual_unrollILi128ELi4EZNS0_15gpu_kernel_implIZZZNS0_15gcd_kernel_cudaERNS_18TensorIteratorBaseEENKUlvE_clEvENKUlvE3_clEvEUlssE_EEvS4_RKT_EUlibE0_EEviT1_.kd
    .uniform_work_group_size: 1
    .uses_dynamic_stack: false
    .vgpr_count:     26
    .vgpr_spill_count: 0
    .wavefront_size: 32
  - .args:
      - .offset:         0
        .size:           4
        .value_kind:     by_value
      - .offset:         4
        .size:           1
        .value_kind:     by_value
      - .offset:         8
        .size:           24
        .value_kind:     by_value
    .group_segment_fixed_size: 0
    .kernarg_segment_align: 8
    .kernarg_segment_size: 32
    .language:       OpenCL C
    .language_version:
      - 2
      - 0
    .max_flat_workgroup_size: 256
    .name:           _ZN2at6native29vectorized_elementwise_kernelILi16EZZZNS0_15lcm_kernel_cudaERNS_18TensorIteratorBaseEENKUlvE_clEvENKUlvE_clEvEUlhhE_St5arrayIPcLm3EEEEviT0_T1_
    .private_segment_fixed_size: 0
    .sgpr_count:     23
    .sgpr_spill_count: 0
    .symbol:         _ZN2at6native29vectorized_elementwise_kernelILi16EZZZNS0_15lcm_kernel_cudaERNS_18TensorIteratorBaseEENKUlvE_clEvENKUlvE_clEvEUlhhE_St5arrayIPcLm3EEEEviT0_T1_.kd
    .uniform_work_group_size: 1
    .uses_dynamic_stack: false
    .vgpr_count:     42
    .vgpr_spill_count: 0
    .wavefront_size: 32
  - .args:
      - .offset:         0
        .size:           4
        .value_kind:     by_value
      - .offset:         4
        .size:           1
        .value_kind:     by_value
      - .offset:         8
        .size:           24
        .value_kind:     by_value
    .group_segment_fixed_size: 0
    .kernarg_segment_align: 8
    .kernarg_segment_size: 32
    .language:       OpenCL C
    .language_version:
      - 2
      - 0
    .max_flat_workgroup_size: 256
    .name:           _ZN2at6native29vectorized_elementwise_kernelILi8EZZZNS0_15lcm_kernel_cudaERNS_18TensorIteratorBaseEENKUlvE_clEvENKUlvE_clEvEUlhhE_St5arrayIPcLm3EEEEviT0_T1_
    .private_segment_fixed_size: 0
    .sgpr_count:     23
    .sgpr_spill_count: 0
    .symbol:         _ZN2at6native29vectorized_elementwise_kernelILi8EZZZNS0_15lcm_kernel_cudaERNS_18TensorIteratorBaseEENKUlvE_clEvENKUlvE_clEvEUlhhE_St5arrayIPcLm3EEEEviT0_T1_.kd
    .uniform_work_group_size: 1
    .uses_dynamic_stack: false
    .vgpr_count:     42
    .vgpr_spill_count: 0
    .wavefront_size: 32
  - .args:
      - .offset:         0
        .size:           4
        .value_kind:     by_value
      - .offset:         4
        .size:           1
        .value_kind:     by_value
      - .offset:         8
        .size:           24
        .value_kind:     by_value
    .group_segment_fixed_size: 0
    .kernarg_segment_align: 8
    .kernarg_segment_size: 32
    .language:       OpenCL C
    .language_version:
      - 2
      - 0
    .max_flat_workgroup_size: 256
    .name:           _ZN2at6native29vectorized_elementwise_kernelILi4EZZZNS0_15lcm_kernel_cudaERNS_18TensorIteratorBaseEENKUlvE_clEvENKUlvE_clEvEUlhhE_St5arrayIPcLm3EEEEviT0_T1_
    .private_segment_fixed_size: 0
    .sgpr_count:     23
    .sgpr_spill_count: 0
    .symbol:         _ZN2at6native29vectorized_elementwise_kernelILi4EZZZNS0_15lcm_kernel_cudaERNS_18TensorIteratorBaseEENKUlvE_clEvENKUlvE_clEvEUlhhE_St5arrayIPcLm3EEEEviT0_T1_.kd
    .uniform_work_group_size: 1
    .uses_dynamic_stack: false
    .vgpr_count:     42
    .vgpr_spill_count: 0
    .wavefront_size: 32
  - .args:
      - .offset:         0
        .size:           4
        .value_kind:     by_value
      - .offset:         4
        .size:           1
        .value_kind:     by_value
      - .offset:         8
        .size:           24
        .value_kind:     by_value
    .group_segment_fixed_size: 0
    .kernarg_segment_align: 8
    .kernarg_segment_size: 32
    .language:       OpenCL C
    .language_version:
      - 2
      - 0
    .max_flat_workgroup_size: 256
    .name:           _ZN2at6native29vectorized_elementwise_kernelILi2EZZZNS0_15lcm_kernel_cudaERNS_18TensorIteratorBaseEENKUlvE_clEvENKUlvE_clEvEUlhhE_St5arrayIPcLm3EEEEviT0_T1_
    .private_segment_fixed_size: 0
    .sgpr_count:     23
    .sgpr_spill_count: 0
    .symbol:         _ZN2at6native29vectorized_elementwise_kernelILi2EZZZNS0_15lcm_kernel_cudaERNS_18TensorIteratorBaseEENKUlvE_clEvENKUlvE_clEvEUlhhE_St5arrayIPcLm3EEEEviT0_T1_.kd
    .uniform_work_group_size: 1
    .uses_dynamic_stack: false
    .vgpr_count:     42
    .vgpr_spill_count: 0
    .wavefront_size: 32
  - .args:
      - .offset:         0
        .size:           4
        .value_kind:     by_value
      - .offset:         4
        .size:           1
        .value_kind:     by_value
      - .offset:         8
        .size:           24
        .value_kind:     by_value
      - .offset:         32
        .size:           1
        .value_kind:     by_value
      - .offset:         33
        .size:           1
        .value_kind:     by_value
      - .offset:         34
        .size:           1
        .value_kind:     by_value
      - .offset:         35
        .size:           1
        .value_kind:     by_value
    .group_segment_fixed_size: 0
    .kernarg_segment_align: 8
    .kernarg_segment_size: 36
    .language:       OpenCL C
    .language_version:
      - 2
      - 0
    .max_flat_workgroup_size: 256
    .name:           _ZN2at6native27unrolled_elementwise_kernelIZZZNS0_15lcm_kernel_cudaERNS_18TensorIteratorBaseEENKUlvE_clEvENKUlvE_clEvEUlhhE_St5arrayIPcLm3EELi4E23TrivialOffsetCalculatorILi2EjESA_ILi1EjENS0_6memory15LoadWithoutCastENSD_16StoreWithoutCastEEEviT_T0_T2_T3_T4_T5_
    .private_segment_fixed_size: 0
    .sgpr_count:     15
    .sgpr_spill_count: 0
    .symbol:         _ZN2at6native27unrolled_elementwise_kernelIZZZNS0_15lcm_kernel_cudaERNS_18TensorIteratorBaseEENKUlvE_clEvENKUlvE_clEvEUlhhE_St5arrayIPcLm3EELi4E23TrivialOffsetCalculatorILi2EjESA_ILi1EjENS0_6memory15LoadWithoutCastENSD_16StoreWithoutCastEEEviT_T0_T2_T3_T4_T5_.kd
    .uniform_work_group_size: 1
    .uses_dynamic_stack: false
    .vgpr_count:     16
    .vgpr_spill_count: 0
    .wavefront_size: 32
  - .args:
      - .offset:         0
        .size:           4
        .value_kind:     by_value
      - .offset:         8
        .size:           424
        .value_kind:     by_value
    .group_segment_fixed_size: 0
    .kernarg_segment_align: 8
    .kernarg_segment_size: 432
    .language:       OpenCL C
    .language_version:
      - 2
      - 0
    .max_flat_workgroup_size: 128
    .name:           _ZN2at6native32elementwise_kernel_manual_unrollILi128ELi8EZNS0_22gpu_kernel_impl_nocastIZZZNS0_15lcm_kernel_cudaERNS_18TensorIteratorBaseEENKUlvE_clEvENKUlvE_clEvEUlhhE_EEvS4_RKT_EUlibE_EEviT1_
    .private_segment_fixed_size: 0
    .sgpr_count:     48
    .sgpr_spill_count: 0
    .symbol:         _ZN2at6native32elementwise_kernel_manual_unrollILi128ELi8EZNS0_22gpu_kernel_impl_nocastIZZZNS0_15lcm_kernel_cudaERNS_18TensorIteratorBaseEENKUlvE_clEvENKUlvE_clEvEUlhhE_EEvS4_RKT_EUlibE_EEviT1_.kd
    .uniform_work_group_size: 1
    .uses_dynamic_stack: false
    .vgpr_count:     29
    .vgpr_spill_count: 0
    .wavefront_size: 32
  - .args:
      - .offset:         0
        .size:           4
        .value_kind:     by_value
      - .offset:         8
        .size:           40
        .value_kind:     by_value
    .group_segment_fixed_size: 0
    .kernarg_segment_align: 8
    .kernarg_segment_size: 48
    .language:       OpenCL C
    .language_version:
      - 2
      - 0
    .max_flat_workgroup_size: 128
    .name:           _ZN2at6native32elementwise_kernel_manual_unrollILi128ELi4EZNS0_15gpu_kernel_implIZZZNS0_15lcm_kernel_cudaERNS_18TensorIteratorBaseEENKUlvE_clEvENKUlvE_clEvEUlhhE_EEvS4_RKT_EUlibE_EEviT1_
    .private_segment_fixed_size: 0
    .sgpr_count:     37
    .sgpr_spill_count: 0
    .symbol:         _ZN2at6native32elementwise_kernel_manual_unrollILi128ELi4EZNS0_15gpu_kernel_implIZZZNS0_15lcm_kernel_cudaERNS_18TensorIteratorBaseEENKUlvE_clEvENKUlvE_clEvEUlhhE_EEvS4_RKT_EUlibE_EEviT1_.kd
    .uniform_work_group_size: 1
    .uses_dynamic_stack: false
    .vgpr_count:     18
    .vgpr_spill_count: 0
    .wavefront_size: 32
  - .args:
      - .offset:         0
        .size:           4
        .value_kind:     by_value
      - .offset:         8
        .size:           424
        .value_kind:     by_value
    .group_segment_fixed_size: 0
    .kernarg_segment_align: 8
    .kernarg_segment_size: 432
    .language:       OpenCL C
    .language_version:
      - 2
      - 0
    .max_flat_workgroup_size: 128
    .name:           _ZN2at6native32elementwise_kernel_manual_unrollILi128ELi4EZNS0_15gpu_kernel_implIZZZNS0_15lcm_kernel_cudaERNS_18TensorIteratorBaseEENKUlvE_clEvENKUlvE_clEvEUlhhE_EEvS4_RKT_EUlibE0_EEviT1_
    .private_segment_fixed_size: 0
    .sgpr_count:     62
    .sgpr_spill_count: 0
    .symbol:         _ZN2at6native32elementwise_kernel_manual_unrollILi128ELi4EZNS0_15gpu_kernel_implIZZZNS0_15lcm_kernel_cudaERNS_18TensorIteratorBaseEENKUlvE_clEvENKUlvE_clEvEUlhhE_EEvS4_RKT_EUlibE0_EEviT1_.kd
    .uniform_work_group_size: 1
    .uses_dynamic_stack: false
    .vgpr_count:     28
    .vgpr_spill_count: 0
    .wavefront_size: 32
  - .args:
      - .offset:         0
        .size:           4
        .value_kind:     by_value
      - .offset:         4
        .size:           1
        .value_kind:     by_value
      - .offset:         8
        .size:           24
        .value_kind:     by_value
    .group_segment_fixed_size: 0
    .kernarg_segment_align: 8
    .kernarg_segment_size: 32
    .language:       OpenCL C
    .language_version:
      - 2
      - 0
    .max_flat_workgroup_size: 256
    .name:           _ZN2at6native29vectorized_elementwise_kernelILi16EZZZNS0_15lcm_kernel_cudaERNS_18TensorIteratorBaseEENKUlvE_clEvENKUlvE0_clEvEUlaaE_St5arrayIPcLm3EEEEviT0_T1_
    .private_segment_fixed_size: 0
    .sgpr_count:     23
    .sgpr_spill_count: 0
    .symbol:         _ZN2at6native29vectorized_elementwise_kernelILi16EZZZNS0_15lcm_kernel_cudaERNS_18TensorIteratorBaseEENKUlvE_clEvENKUlvE0_clEvEUlaaE_St5arrayIPcLm3EEEEviT0_T1_.kd
    .uniform_work_group_size: 1
    .uses_dynamic_stack: false
    .vgpr_count:     44
    .vgpr_spill_count: 0
    .wavefront_size: 32
  - .args:
      - .offset:         0
        .size:           4
        .value_kind:     by_value
      - .offset:         4
        .size:           1
        .value_kind:     by_value
      - .offset:         8
        .size:           24
        .value_kind:     by_value
    .group_segment_fixed_size: 0
    .kernarg_segment_align: 8
    .kernarg_segment_size: 32
    .language:       OpenCL C
    .language_version:
      - 2
      - 0
    .max_flat_workgroup_size: 256
    .name:           _ZN2at6native29vectorized_elementwise_kernelILi8EZZZNS0_15lcm_kernel_cudaERNS_18TensorIteratorBaseEENKUlvE_clEvENKUlvE0_clEvEUlaaE_St5arrayIPcLm3EEEEviT0_T1_
    .private_segment_fixed_size: 0
    .sgpr_count:     23
    .sgpr_spill_count: 0
    .symbol:         _ZN2at6native29vectorized_elementwise_kernelILi8EZZZNS0_15lcm_kernel_cudaERNS_18TensorIteratorBaseEENKUlvE_clEvENKUlvE0_clEvEUlaaE_St5arrayIPcLm3EEEEviT0_T1_.kd
    .uniform_work_group_size: 1
    .uses_dynamic_stack: false
    .vgpr_count:     44
    .vgpr_spill_count: 0
    .wavefront_size: 32
  - .args:
      - .offset:         0
        .size:           4
        .value_kind:     by_value
      - .offset:         4
        .size:           1
        .value_kind:     by_value
      - .offset:         8
        .size:           24
        .value_kind:     by_value
    .group_segment_fixed_size: 0
    .kernarg_segment_align: 8
    .kernarg_segment_size: 32
    .language:       OpenCL C
    .language_version:
      - 2
      - 0
    .max_flat_workgroup_size: 256
    .name:           _ZN2at6native29vectorized_elementwise_kernelILi4EZZZNS0_15lcm_kernel_cudaERNS_18TensorIteratorBaseEENKUlvE_clEvENKUlvE0_clEvEUlaaE_St5arrayIPcLm3EEEEviT0_T1_
    .private_segment_fixed_size: 0
    .sgpr_count:     23
    .sgpr_spill_count: 0
    .symbol:         _ZN2at6native29vectorized_elementwise_kernelILi4EZZZNS0_15lcm_kernel_cudaERNS_18TensorIteratorBaseEENKUlvE_clEvENKUlvE0_clEvEUlaaE_St5arrayIPcLm3EEEEviT0_T1_.kd
    .uniform_work_group_size: 1
    .uses_dynamic_stack: false
    .vgpr_count:     44
    .vgpr_spill_count: 0
    .wavefront_size: 32
  - .args:
      - .offset:         0
        .size:           4
        .value_kind:     by_value
      - .offset:         4
        .size:           1
        .value_kind:     by_value
      - .offset:         8
        .size:           24
        .value_kind:     by_value
    .group_segment_fixed_size: 0
    .kernarg_segment_align: 8
    .kernarg_segment_size: 32
    .language:       OpenCL C
    .language_version:
      - 2
      - 0
    .max_flat_workgroup_size: 256
    .name:           _ZN2at6native29vectorized_elementwise_kernelILi2EZZZNS0_15lcm_kernel_cudaERNS_18TensorIteratorBaseEENKUlvE_clEvENKUlvE0_clEvEUlaaE_St5arrayIPcLm3EEEEviT0_T1_
    .private_segment_fixed_size: 0
    .sgpr_count:     23
    .sgpr_spill_count: 0
    .symbol:         _ZN2at6native29vectorized_elementwise_kernelILi2EZZZNS0_15lcm_kernel_cudaERNS_18TensorIteratorBaseEENKUlvE_clEvENKUlvE0_clEvEUlaaE_St5arrayIPcLm3EEEEviT0_T1_.kd
    .uniform_work_group_size: 1
    .uses_dynamic_stack: false
    .vgpr_count:     44
    .vgpr_spill_count: 0
    .wavefront_size: 32
  - .args:
      - .offset:         0
        .size:           4
        .value_kind:     by_value
      - .offset:         4
        .size:           1
        .value_kind:     by_value
      - .offset:         8
        .size:           24
        .value_kind:     by_value
      - .offset:         32
        .size:           1
        .value_kind:     by_value
      - .offset:         33
        .size:           1
        .value_kind:     by_value
      - .offset:         34
        .size:           1
        .value_kind:     by_value
      - .offset:         35
        .size:           1
        .value_kind:     by_value
    .group_segment_fixed_size: 0
    .kernarg_segment_align: 8
    .kernarg_segment_size: 36
    .language:       OpenCL C
    .language_version:
      - 2
      - 0
    .max_flat_workgroup_size: 256
    .name:           _ZN2at6native27unrolled_elementwise_kernelIZZZNS0_15lcm_kernel_cudaERNS_18TensorIteratorBaseEENKUlvE_clEvENKUlvE0_clEvEUlaaE_St5arrayIPcLm3EELi4E23TrivialOffsetCalculatorILi2EjESA_ILi1EjENS0_6memory15LoadWithoutCastENSD_16StoreWithoutCastEEEviT_T0_T2_T3_T4_T5_
    .private_segment_fixed_size: 0
    .sgpr_count:     15
    .sgpr_spill_count: 0
    .symbol:         _ZN2at6native27unrolled_elementwise_kernelIZZZNS0_15lcm_kernel_cudaERNS_18TensorIteratorBaseEENKUlvE_clEvENKUlvE0_clEvEUlaaE_St5arrayIPcLm3EELi4E23TrivialOffsetCalculatorILi2EjESA_ILi1EjENS0_6memory15LoadWithoutCastENSD_16StoreWithoutCastEEEviT_T0_T2_T3_T4_T5_.kd
    .uniform_work_group_size: 1
    .uses_dynamic_stack: false
    .vgpr_count:     18
    .vgpr_spill_count: 0
    .wavefront_size: 32
  - .args:
      - .offset:         0
        .size:           4
        .value_kind:     by_value
      - .offset:         8
        .size:           424
        .value_kind:     by_value
    .group_segment_fixed_size: 0
    .kernarg_segment_align: 8
    .kernarg_segment_size: 432
    .language:       OpenCL C
    .language_version:
      - 2
      - 0
    .max_flat_workgroup_size: 128
    .name:           _ZN2at6native32elementwise_kernel_manual_unrollILi128ELi8EZNS0_22gpu_kernel_impl_nocastIZZZNS0_15lcm_kernel_cudaERNS_18TensorIteratorBaseEENKUlvE_clEvENKUlvE0_clEvEUlaaE_EEvS4_RKT_EUlibE_EEviT1_
    .private_segment_fixed_size: 0
    .sgpr_count:     48
    .sgpr_spill_count: 0
    .symbol:         _ZN2at6native32elementwise_kernel_manual_unrollILi128ELi8EZNS0_22gpu_kernel_impl_nocastIZZZNS0_15lcm_kernel_cudaERNS_18TensorIteratorBaseEENKUlvE_clEvENKUlvE0_clEvEUlaaE_EEvS4_RKT_EUlibE_EEviT1_.kd
    .uniform_work_group_size: 1
    .uses_dynamic_stack: false
    .vgpr_count:     31
    .vgpr_spill_count: 0
    .wavefront_size: 32
  - .args:
      - .offset:         0
        .size:           4
        .value_kind:     by_value
      - .offset:         8
        .size:           40
        .value_kind:     by_value
    .group_segment_fixed_size: 0
    .kernarg_segment_align: 8
    .kernarg_segment_size: 48
    .language:       OpenCL C
    .language_version:
      - 2
      - 0
    .max_flat_workgroup_size: 128
    .name:           _ZN2at6native32elementwise_kernel_manual_unrollILi128ELi4EZNS0_15gpu_kernel_implIZZZNS0_15lcm_kernel_cudaERNS_18TensorIteratorBaseEENKUlvE_clEvENKUlvE0_clEvEUlaaE_EEvS4_RKT_EUlibE_EEviT1_
    .private_segment_fixed_size: 0
    .sgpr_count:     37
    .sgpr_spill_count: 0
    .symbol:         _ZN2at6native32elementwise_kernel_manual_unrollILi128ELi4EZNS0_15gpu_kernel_implIZZZNS0_15lcm_kernel_cudaERNS_18TensorIteratorBaseEENKUlvE_clEvENKUlvE0_clEvEUlaaE_EEvS4_RKT_EUlibE_EEviT1_.kd
    .uniform_work_group_size: 1
    .uses_dynamic_stack: false
    .vgpr_count:     18
    .vgpr_spill_count: 0
    .wavefront_size: 32
  - .args:
      - .offset:         0
        .size:           4
        .value_kind:     by_value
      - .offset:         8
        .size:           424
        .value_kind:     by_value
    .group_segment_fixed_size: 0
    .kernarg_segment_align: 8
    .kernarg_segment_size: 432
    .language:       OpenCL C
    .language_version:
      - 2
      - 0
    .max_flat_workgroup_size: 128
    .name:           _ZN2at6native32elementwise_kernel_manual_unrollILi128ELi4EZNS0_15gpu_kernel_implIZZZNS0_15lcm_kernel_cudaERNS_18TensorIteratorBaseEENKUlvE_clEvENKUlvE0_clEvEUlaaE_EEvS4_RKT_EUlibE0_EEviT1_
    .private_segment_fixed_size: 0
    .sgpr_count:     62
    .sgpr_spill_count: 0
    .symbol:         _ZN2at6native32elementwise_kernel_manual_unrollILi128ELi4EZNS0_15gpu_kernel_implIZZZNS0_15lcm_kernel_cudaERNS_18TensorIteratorBaseEENKUlvE_clEvENKUlvE0_clEvEUlaaE_EEvS4_RKT_EUlibE0_EEviT1_.kd
    .uniform_work_group_size: 1
    .uses_dynamic_stack: false
    .vgpr_count:     26
    .vgpr_spill_count: 0
    .wavefront_size: 32
  - .args:
      - .offset:         0
        .size:           4
        .value_kind:     by_value
      - .offset:         4
        .size:           1
        .value_kind:     by_value
      - .offset:         8
        .size:           24
        .value_kind:     by_value
    .group_segment_fixed_size: 0
    .kernarg_segment_align: 8
    .kernarg_segment_size: 32
    .language:       OpenCL C
    .language_version:
      - 2
      - 0
    .max_flat_workgroup_size: 256
    .name:           _ZN2at6native29vectorized_elementwise_kernelILi16EZZZNS0_15lcm_kernel_cudaERNS_18TensorIteratorBaseEENKUlvE_clEvENKUlvE1_clEvEUliiE_St5arrayIPcLm3EEEEviT0_T1_
    .private_segment_fixed_size: 0
    .sgpr_count:     16
    .sgpr_spill_count: 0
    .symbol:         _ZN2at6native29vectorized_elementwise_kernelILi16EZZZNS0_15lcm_kernel_cudaERNS_18TensorIteratorBaseEENKUlvE_clEvENKUlvE1_clEvEUliiE_St5arrayIPcLm3EEEEviT0_T1_.kd
    .uniform_work_group_size: 1
    .uses_dynamic_stack: false
    .vgpr_count:     18
    .vgpr_spill_count: 0
    .wavefront_size: 32
  - .args:
      - .offset:         0
        .size:           4
        .value_kind:     by_value
      - .offset:         4
        .size:           1
        .value_kind:     by_value
      - .offset:         8
        .size:           24
        .value_kind:     by_value
    .group_segment_fixed_size: 0
    .kernarg_segment_align: 8
    .kernarg_segment_size: 32
    .language:       OpenCL C
    .language_version:
      - 2
      - 0
    .max_flat_workgroup_size: 256
    .name:           _ZN2at6native29vectorized_elementwise_kernelILi8EZZZNS0_15lcm_kernel_cudaERNS_18TensorIteratorBaseEENKUlvE_clEvENKUlvE1_clEvEUliiE_St5arrayIPcLm3EEEEviT0_T1_
    .private_segment_fixed_size: 0
    .sgpr_count:     16
    .sgpr_spill_count: 0
    .symbol:         _ZN2at6native29vectorized_elementwise_kernelILi8EZZZNS0_15lcm_kernel_cudaERNS_18TensorIteratorBaseEENKUlvE_clEvENKUlvE1_clEvEUliiE_St5arrayIPcLm3EEEEviT0_T1_.kd
    .uniform_work_group_size: 1
    .uses_dynamic_stack: false
    .vgpr_count:     18
    .vgpr_spill_count: 0
    .wavefront_size: 32
  - .args:
      - .offset:         0
        .size:           4
        .value_kind:     by_value
      - .offset:         4
        .size:           1
        .value_kind:     by_value
      - .offset:         8
        .size:           24
        .value_kind:     by_value
    .group_segment_fixed_size: 0
    .kernarg_segment_align: 8
    .kernarg_segment_size: 32
    .language:       OpenCL C
    .language_version:
      - 2
      - 0
    .max_flat_workgroup_size: 256
    .name:           _ZN2at6native29vectorized_elementwise_kernelILi4EZZZNS0_15lcm_kernel_cudaERNS_18TensorIteratorBaseEENKUlvE_clEvENKUlvE1_clEvEUliiE_St5arrayIPcLm3EEEEviT0_T1_
    .private_segment_fixed_size: 0
    .sgpr_count:     16
    .sgpr_spill_count: 0
    .symbol:         _ZN2at6native29vectorized_elementwise_kernelILi4EZZZNS0_15lcm_kernel_cudaERNS_18TensorIteratorBaseEENKUlvE_clEvENKUlvE1_clEvEUliiE_St5arrayIPcLm3EEEEviT0_T1_.kd
    .uniform_work_group_size: 1
    .uses_dynamic_stack: false
    .vgpr_count:     18
    .vgpr_spill_count: 0
    .wavefront_size: 32
  - .args:
      - .offset:         0
        .size:           4
        .value_kind:     by_value
      - .offset:         4
        .size:           1
        .value_kind:     by_value
      - .offset:         8
        .size:           24
        .value_kind:     by_value
    .group_segment_fixed_size: 0
    .kernarg_segment_align: 8
    .kernarg_segment_size: 32
    .language:       OpenCL C
    .language_version:
      - 2
      - 0
    .max_flat_workgroup_size: 256
    .name:           _ZN2at6native29vectorized_elementwise_kernelILi2EZZZNS0_15lcm_kernel_cudaERNS_18TensorIteratorBaseEENKUlvE_clEvENKUlvE1_clEvEUliiE_St5arrayIPcLm3EEEEviT0_T1_
    .private_segment_fixed_size: 0
    .sgpr_count:     18
    .sgpr_spill_count: 0
    .symbol:         _ZN2at6native29vectorized_elementwise_kernelILi2EZZZNS0_15lcm_kernel_cudaERNS_18TensorIteratorBaseEENKUlvE_clEvENKUlvE1_clEvEUliiE_St5arrayIPcLm3EEEEviT0_T1_.kd
    .uniform_work_group_size: 1
    .uses_dynamic_stack: false
    .vgpr_count:     18
    .vgpr_spill_count: 0
    .wavefront_size: 32
  - .args:
      - .offset:         0
        .size:           4
        .value_kind:     by_value
      - .offset:         4
        .size:           1
        .value_kind:     by_value
      - .offset:         8
        .size:           24
        .value_kind:     by_value
      - .offset:         32
        .size:           1
        .value_kind:     by_value
      - .offset:         33
        .size:           1
        .value_kind:     by_value
      - .offset:         34
        .size:           1
        .value_kind:     by_value
      - .offset:         35
        .size:           1
        .value_kind:     by_value
    .group_segment_fixed_size: 0
    .kernarg_segment_align: 8
    .kernarg_segment_size: 36
    .language:       OpenCL C
    .language_version:
      - 2
      - 0
    .max_flat_workgroup_size: 256
    .name:           _ZN2at6native27unrolled_elementwise_kernelIZZZNS0_15lcm_kernel_cudaERNS_18TensorIteratorBaseEENKUlvE_clEvENKUlvE1_clEvEUliiE_St5arrayIPcLm3EELi4E23TrivialOffsetCalculatorILi2EjESA_ILi1EjENS0_6memory15LoadWithoutCastENSD_16StoreWithoutCastEEEviT_T0_T2_T3_T4_T5_
    .private_segment_fixed_size: 0
    .sgpr_count:     15
    .sgpr_spill_count: 0
    .symbol:         _ZN2at6native27unrolled_elementwise_kernelIZZZNS0_15lcm_kernel_cudaERNS_18TensorIteratorBaseEENKUlvE_clEvENKUlvE1_clEvEUliiE_St5arrayIPcLm3EELi4E23TrivialOffsetCalculatorILi2EjESA_ILi1EjENS0_6memory15LoadWithoutCastENSD_16StoreWithoutCastEEEviT_T0_T2_T3_T4_T5_.kd
    .uniform_work_group_size: 1
    .uses_dynamic_stack: false
    .vgpr_count:     18
    .vgpr_spill_count: 0
    .wavefront_size: 32
  - .args:
      - .offset:         0
        .size:           4
        .value_kind:     by_value
      - .offset:         8
        .size:           424
        .value_kind:     by_value
    .group_segment_fixed_size: 0
    .kernarg_segment_align: 8
    .kernarg_segment_size: 432
    .language:       OpenCL C
    .language_version:
      - 2
      - 0
    .max_flat_workgroup_size: 128
    .name:           _ZN2at6native32elementwise_kernel_manual_unrollILi128ELi4EZNS0_22gpu_kernel_impl_nocastIZZZNS0_15lcm_kernel_cudaERNS_18TensorIteratorBaseEENKUlvE_clEvENKUlvE1_clEvEUliiE_EEvS4_RKT_EUlibE_EEviT1_
    .private_segment_fixed_size: 0
    .sgpr_count:     48
    .sgpr_spill_count: 0
    .symbol:         _ZN2at6native32elementwise_kernel_manual_unrollILi128ELi4EZNS0_22gpu_kernel_impl_nocastIZZZNS0_15lcm_kernel_cudaERNS_18TensorIteratorBaseEENKUlvE_clEvENKUlvE1_clEvEUliiE_EEvS4_RKT_EUlibE_EEviT1_.kd
    .uniform_work_group_size: 1
    .uses_dynamic_stack: false
    .vgpr_count:     18
    .vgpr_spill_count: 0
    .wavefront_size: 32
  - .args:
      - .offset:         0
        .size:           4
        .value_kind:     by_value
      - .offset:         8
        .size:           40
        .value_kind:     by_value
    .group_segment_fixed_size: 0
    .kernarg_segment_align: 8
    .kernarg_segment_size: 48
    .language:       OpenCL C
    .language_version:
      - 2
      - 0
    .max_flat_workgroup_size: 128
    .name:           _ZN2at6native32elementwise_kernel_manual_unrollILi128ELi4EZNS0_15gpu_kernel_implIZZZNS0_15lcm_kernel_cudaERNS_18TensorIteratorBaseEENKUlvE_clEvENKUlvE1_clEvEUliiE_EEvS4_RKT_EUlibE_EEviT1_
    .private_segment_fixed_size: 0
    .sgpr_count:     37
    .sgpr_spill_count: 0
    .symbol:         _ZN2at6native32elementwise_kernel_manual_unrollILi128ELi4EZNS0_15gpu_kernel_implIZZZNS0_15lcm_kernel_cudaERNS_18TensorIteratorBaseEENKUlvE_clEvENKUlvE1_clEvEUliiE_EEvS4_RKT_EUlibE_EEviT1_.kd
    .uniform_work_group_size: 1
    .uses_dynamic_stack: false
    .vgpr_count:     16
    .vgpr_spill_count: 0
    .wavefront_size: 32
  - .args:
      - .offset:         0
        .size:           4
        .value_kind:     by_value
      - .offset:         8
        .size:           424
        .value_kind:     by_value
    .group_segment_fixed_size: 0
    .kernarg_segment_align: 8
    .kernarg_segment_size: 432
    .language:       OpenCL C
    .language_version:
      - 2
      - 0
    .max_flat_workgroup_size: 128
    .name:           _ZN2at6native32elementwise_kernel_manual_unrollILi128ELi4EZNS0_15gpu_kernel_implIZZZNS0_15lcm_kernel_cudaERNS_18TensorIteratorBaseEENKUlvE_clEvENKUlvE1_clEvEUliiE_EEvS4_RKT_EUlibE0_EEviT1_
    .private_segment_fixed_size: 0
    .sgpr_count:     62
    .sgpr_spill_count: 0
    .symbol:         _ZN2at6native32elementwise_kernel_manual_unrollILi128ELi4EZNS0_15gpu_kernel_implIZZZNS0_15lcm_kernel_cudaERNS_18TensorIteratorBaseEENKUlvE_clEvENKUlvE1_clEvEUliiE_EEvS4_RKT_EUlibE0_EEviT1_.kd
    .uniform_work_group_size: 1
    .uses_dynamic_stack: false
    .vgpr_count:     26
    .vgpr_spill_count: 0
    .wavefront_size: 32
  - .args:
      - .offset:         0
        .size:           4
        .value_kind:     by_value
      - .offset:         4
        .size:           1
        .value_kind:     by_value
      - .offset:         8
        .size:           24
        .value_kind:     by_value
    .group_segment_fixed_size: 0
    .kernarg_segment_align: 8
    .kernarg_segment_size: 32
    .language:       OpenCL C
    .language_version:
      - 2
      - 0
    .max_flat_workgroup_size: 256
    .name:           _ZN2at6native29vectorized_elementwise_kernelILi16EZZZNS0_15lcm_kernel_cudaERNS_18TensorIteratorBaseEENKUlvE_clEvENKUlvE2_clEvEUlllE_St5arrayIPcLm3EEEEviT0_T1_
    .private_segment_fixed_size: 0
    .sgpr_count:     18
    .sgpr_spill_count: 0
    .symbol:         _ZN2at6native29vectorized_elementwise_kernelILi16EZZZNS0_15lcm_kernel_cudaERNS_18TensorIteratorBaseEENKUlvE_clEvENKUlvE2_clEvEUlllE_St5arrayIPcLm3EEEEviT0_T1_.kd
    .uniform_work_group_size: 1
    .uses_dynamic_stack: false
    .vgpr_count:     42
    .vgpr_spill_count: 0
    .wavefront_size: 32
  - .args:
      - .offset:         0
        .size:           4
        .value_kind:     by_value
      - .offset:         4
        .size:           1
        .value_kind:     by_value
      - .offset:         8
        .size:           24
        .value_kind:     by_value
    .group_segment_fixed_size: 0
    .kernarg_segment_align: 8
    .kernarg_segment_size: 32
    .language:       OpenCL C
    .language_version:
      - 2
      - 0
    .max_flat_workgroup_size: 256
    .name:           _ZN2at6native29vectorized_elementwise_kernelILi8EZZZNS0_15lcm_kernel_cudaERNS_18TensorIteratorBaseEENKUlvE_clEvENKUlvE2_clEvEUlllE_St5arrayIPcLm3EEEEviT0_T1_
    .private_segment_fixed_size: 0
    .sgpr_count:     18
    .sgpr_spill_count: 0
    .symbol:         _ZN2at6native29vectorized_elementwise_kernelILi8EZZZNS0_15lcm_kernel_cudaERNS_18TensorIteratorBaseEENKUlvE_clEvENKUlvE2_clEvEUlllE_St5arrayIPcLm3EEEEviT0_T1_.kd
    .uniform_work_group_size: 1
    .uses_dynamic_stack: false
    .vgpr_count:     42
    .vgpr_spill_count: 0
    .wavefront_size: 32
  - .args:
      - .offset:         0
        .size:           4
        .value_kind:     by_value
      - .offset:         4
        .size:           1
        .value_kind:     by_value
      - .offset:         8
        .size:           24
        .value_kind:     by_value
    .group_segment_fixed_size: 0
    .kernarg_segment_align: 8
    .kernarg_segment_size: 32
    .language:       OpenCL C
    .language_version:
      - 2
      - 0
    .max_flat_workgroup_size: 256
    .name:           _ZN2at6native29vectorized_elementwise_kernelILi4EZZZNS0_15lcm_kernel_cudaERNS_18TensorIteratorBaseEENKUlvE_clEvENKUlvE2_clEvEUlllE_St5arrayIPcLm3EEEEviT0_T1_
    .private_segment_fixed_size: 0
    .sgpr_count:     18
    .sgpr_spill_count: 0
    .symbol:         _ZN2at6native29vectorized_elementwise_kernelILi4EZZZNS0_15lcm_kernel_cudaERNS_18TensorIteratorBaseEENKUlvE_clEvENKUlvE2_clEvEUlllE_St5arrayIPcLm3EEEEviT0_T1_.kd
    .uniform_work_group_size: 1
    .uses_dynamic_stack: false
    .vgpr_count:     42
    .vgpr_spill_count: 0
    .wavefront_size: 32
  - .args:
      - .offset:         0
        .size:           4
        .value_kind:     by_value
      - .offset:         4
        .size:           1
        .value_kind:     by_value
      - .offset:         8
        .size:           24
        .value_kind:     by_value
    .group_segment_fixed_size: 0
    .kernarg_segment_align: 8
    .kernarg_segment_size: 32
    .language:       OpenCL C
    .language_version:
      - 2
      - 0
    .max_flat_workgroup_size: 256
    .name:           _ZN2at6native29vectorized_elementwise_kernelILi2EZZZNS0_15lcm_kernel_cudaERNS_18TensorIteratorBaseEENKUlvE_clEvENKUlvE2_clEvEUlllE_St5arrayIPcLm3EEEEviT0_T1_
    .private_segment_fixed_size: 0
    .sgpr_count:     18
    .sgpr_spill_count: 0
    .symbol:         _ZN2at6native29vectorized_elementwise_kernelILi2EZZZNS0_15lcm_kernel_cudaERNS_18TensorIteratorBaseEENKUlvE_clEvENKUlvE2_clEvEUlllE_St5arrayIPcLm3EEEEviT0_T1_.kd
    .uniform_work_group_size: 1
    .uses_dynamic_stack: false
    .vgpr_count:     42
    .vgpr_spill_count: 0
    .wavefront_size: 32
  - .args:
      - .offset:         0
        .size:           4
        .value_kind:     by_value
      - .offset:         4
        .size:           1
        .value_kind:     by_value
      - .offset:         8
        .size:           24
        .value_kind:     by_value
      - .offset:         32
        .size:           1
        .value_kind:     by_value
      - .offset:         33
        .size:           1
        .value_kind:     by_value
      - .offset:         34
        .size:           1
        .value_kind:     by_value
      - .offset:         35
        .size:           1
        .value_kind:     by_value
    .group_segment_fixed_size: 0
    .kernarg_segment_align: 8
    .kernarg_segment_size: 36
    .language:       OpenCL C
    .language_version:
      - 2
      - 0
    .max_flat_workgroup_size: 256
    .name:           _ZN2at6native27unrolled_elementwise_kernelIZZZNS0_15lcm_kernel_cudaERNS_18TensorIteratorBaseEENKUlvE_clEvENKUlvE2_clEvEUlllE_St5arrayIPcLm3EELi4E23TrivialOffsetCalculatorILi2EjESA_ILi1EjENS0_6memory15LoadWithoutCastENSD_16StoreWithoutCastEEEviT_T0_T2_T3_T4_T5_
    .private_segment_fixed_size: 0
    .sgpr_count:     13
    .sgpr_spill_count: 0
    .symbol:         _ZN2at6native27unrolled_elementwise_kernelIZZZNS0_15lcm_kernel_cudaERNS_18TensorIteratorBaseEENKUlvE_clEvENKUlvE2_clEvEUlllE_St5arrayIPcLm3EELi4E23TrivialOffsetCalculatorILi2EjESA_ILi1EjENS0_6memory15LoadWithoutCastENSD_16StoreWithoutCastEEEviT_T0_T2_T3_T4_T5_.kd
    .uniform_work_group_size: 1
    .uses_dynamic_stack: false
    .vgpr_count:     42
    .vgpr_spill_count: 0
    .wavefront_size: 32
  - .args:
      - .offset:         0
        .size:           4
        .value_kind:     by_value
      - .offset:         8
        .size:           424
        .value_kind:     by_value
    .group_segment_fixed_size: 0
    .kernarg_segment_align: 8
    .kernarg_segment_size: 432
    .language:       OpenCL C
    .language_version:
      - 2
      - 0
    .max_flat_workgroup_size: 128
    .name:           _ZN2at6native32elementwise_kernel_manual_unrollILi128ELi4EZNS0_22gpu_kernel_impl_nocastIZZZNS0_15lcm_kernel_cudaERNS_18TensorIteratorBaseEENKUlvE_clEvENKUlvE2_clEvEUlllE_EEvS4_RKT_EUlibE_EEviT1_
    .private_segment_fixed_size: 0
    .sgpr_count:     48
    .sgpr_spill_count: 0
    .symbol:         _ZN2at6native32elementwise_kernel_manual_unrollILi128ELi4EZNS0_22gpu_kernel_impl_nocastIZZZNS0_15lcm_kernel_cudaERNS_18TensorIteratorBaseEENKUlvE_clEvENKUlvE2_clEvEUlllE_EEvS4_RKT_EUlibE_EEviT1_.kd
    .uniform_work_group_size: 1
    .uses_dynamic_stack: false
    .vgpr_count:     36
    .vgpr_spill_count: 0
    .wavefront_size: 32
  - .args:
      - .offset:         0
        .size:           4
        .value_kind:     by_value
      - .offset:         8
        .size:           40
        .value_kind:     by_value
    .group_segment_fixed_size: 0
    .kernarg_segment_align: 8
    .kernarg_segment_size: 48
    .language:       OpenCL C
    .language_version:
      - 2
      - 0
    .max_flat_workgroup_size: 128
    .name:           _ZN2at6native32elementwise_kernel_manual_unrollILi128ELi4EZNS0_15gpu_kernel_implIZZZNS0_15lcm_kernel_cudaERNS_18TensorIteratorBaseEENKUlvE_clEvENKUlvE2_clEvEUlllE_EEvS4_RKT_EUlibE_EEviT1_
    .private_segment_fixed_size: 0
    .sgpr_count:     37
    .sgpr_spill_count: 0
    .symbol:         _ZN2at6native32elementwise_kernel_manual_unrollILi128ELi4EZNS0_15gpu_kernel_implIZZZNS0_15lcm_kernel_cudaERNS_18TensorIteratorBaseEENKUlvE_clEvENKUlvE2_clEvEUlllE_EEvS4_RKT_EUlibE_EEviT1_.kd
    .uniform_work_group_size: 1
    .uses_dynamic_stack: false
    .vgpr_count:     36
    .vgpr_spill_count: 0
    .wavefront_size: 32
  - .args:
      - .offset:         0
        .size:           4
        .value_kind:     by_value
      - .offset:         8
        .size:           424
        .value_kind:     by_value
    .group_segment_fixed_size: 0
    .kernarg_segment_align: 8
    .kernarg_segment_size: 432
    .language:       OpenCL C
    .language_version:
      - 2
      - 0
    .max_flat_workgroup_size: 128
    .name:           _ZN2at6native32elementwise_kernel_manual_unrollILi128ELi4EZNS0_15gpu_kernel_implIZZZNS0_15lcm_kernel_cudaERNS_18TensorIteratorBaseEENKUlvE_clEvENKUlvE2_clEvEUlllE_EEvS4_RKT_EUlibE0_EEviT1_
    .private_segment_fixed_size: 0
    .sgpr_count:     62
    .sgpr_spill_count: 0
    .symbol:         _ZN2at6native32elementwise_kernel_manual_unrollILi128ELi4EZNS0_15gpu_kernel_implIZZZNS0_15lcm_kernel_cudaERNS_18TensorIteratorBaseEENKUlvE_clEvENKUlvE2_clEvEUlllE_EEvS4_RKT_EUlibE0_EEviT1_.kd
    .uniform_work_group_size: 1
    .uses_dynamic_stack: false
    .vgpr_count:     46
    .vgpr_spill_count: 0
    .wavefront_size: 32
  - .args:
      - .offset:         0
        .size:           4
        .value_kind:     by_value
      - .offset:         4
        .size:           1
        .value_kind:     by_value
      - .offset:         8
        .size:           24
        .value_kind:     by_value
    .group_segment_fixed_size: 0
    .kernarg_segment_align: 8
    .kernarg_segment_size: 32
    .language:       OpenCL C
    .language_version:
      - 2
      - 0
    .max_flat_workgroup_size: 256
    .name:           _ZN2at6native29vectorized_elementwise_kernelILi16EZZZNS0_15lcm_kernel_cudaERNS_18TensorIteratorBaseEENKUlvE_clEvENKUlvE3_clEvEUlssE_St5arrayIPcLm3EEEEviT0_T1_
    .private_segment_fixed_size: 0
    .sgpr_count:     16
    .sgpr_spill_count: 0
    .symbol:         _ZN2at6native29vectorized_elementwise_kernelILi16EZZZNS0_15lcm_kernel_cudaERNS_18TensorIteratorBaseEENKUlvE_clEvENKUlvE3_clEvEUlssE_St5arrayIPcLm3EEEEviT0_T1_.kd
    .uniform_work_group_size: 1
    .uses_dynamic_stack: false
    .vgpr_count:     28
    .vgpr_spill_count: 0
    .wavefront_size: 32
  - .args:
      - .offset:         0
        .size:           4
        .value_kind:     by_value
      - .offset:         4
        .size:           1
        .value_kind:     by_value
      - .offset:         8
        .size:           24
        .value_kind:     by_value
    .group_segment_fixed_size: 0
    .kernarg_segment_align: 8
    .kernarg_segment_size: 32
    .language:       OpenCL C
    .language_version:
      - 2
      - 0
    .max_flat_workgroup_size: 256
    .name:           _ZN2at6native29vectorized_elementwise_kernelILi8EZZZNS0_15lcm_kernel_cudaERNS_18TensorIteratorBaseEENKUlvE_clEvENKUlvE3_clEvEUlssE_St5arrayIPcLm3EEEEviT0_T1_
    .private_segment_fixed_size: 0
    .sgpr_count:     16
    .sgpr_spill_count: 0
    .symbol:         _ZN2at6native29vectorized_elementwise_kernelILi8EZZZNS0_15lcm_kernel_cudaERNS_18TensorIteratorBaseEENKUlvE_clEvENKUlvE3_clEvEUlssE_St5arrayIPcLm3EEEEviT0_T1_.kd
    .uniform_work_group_size: 1
    .uses_dynamic_stack: false
    .vgpr_count:     28
    .vgpr_spill_count: 0
    .wavefront_size: 32
  - .args:
      - .offset:         0
        .size:           4
        .value_kind:     by_value
      - .offset:         4
        .size:           1
        .value_kind:     by_value
      - .offset:         8
        .size:           24
        .value_kind:     by_value
    .group_segment_fixed_size: 0
    .kernarg_segment_align: 8
    .kernarg_segment_size: 32
    .language:       OpenCL C
    .language_version:
      - 2
      - 0
    .max_flat_workgroup_size: 256
    .name:           _ZN2at6native29vectorized_elementwise_kernelILi4EZZZNS0_15lcm_kernel_cudaERNS_18TensorIteratorBaseEENKUlvE_clEvENKUlvE3_clEvEUlssE_St5arrayIPcLm3EEEEviT0_T1_
    .private_segment_fixed_size: 0
    .sgpr_count:     18
    .sgpr_spill_count: 0
    .symbol:         _ZN2at6native29vectorized_elementwise_kernelILi4EZZZNS0_15lcm_kernel_cudaERNS_18TensorIteratorBaseEENKUlvE_clEvENKUlvE3_clEvEUlssE_St5arrayIPcLm3EEEEviT0_T1_.kd
    .uniform_work_group_size: 1
    .uses_dynamic_stack: false
    .vgpr_count:     28
    .vgpr_spill_count: 0
    .wavefront_size: 32
  - .args:
      - .offset:         0
        .size:           4
        .value_kind:     by_value
      - .offset:         4
        .size:           1
        .value_kind:     by_value
      - .offset:         8
        .size:           24
        .value_kind:     by_value
    .group_segment_fixed_size: 0
    .kernarg_segment_align: 8
    .kernarg_segment_size: 32
    .language:       OpenCL C
    .language_version:
      - 2
      - 0
    .max_flat_workgroup_size: 256
    .name:           _ZN2at6native29vectorized_elementwise_kernelILi2EZZZNS0_15lcm_kernel_cudaERNS_18TensorIteratorBaseEENKUlvE_clEvENKUlvE3_clEvEUlssE_St5arrayIPcLm3EEEEviT0_T1_
    .private_segment_fixed_size: 0
    .sgpr_count:     18
    .sgpr_spill_count: 0
    .symbol:         _ZN2at6native29vectorized_elementwise_kernelILi2EZZZNS0_15lcm_kernel_cudaERNS_18TensorIteratorBaseEENKUlvE_clEvENKUlvE3_clEvEUlssE_St5arrayIPcLm3EEEEviT0_T1_.kd
    .uniform_work_group_size: 1
    .uses_dynamic_stack: false
    .vgpr_count:     28
    .vgpr_spill_count: 0
    .wavefront_size: 32
  - .args:
      - .offset:         0
        .size:           4
        .value_kind:     by_value
      - .offset:         4
        .size:           1
        .value_kind:     by_value
      - .offset:         8
        .size:           24
        .value_kind:     by_value
      - .offset:         32
        .size:           1
        .value_kind:     by_value
      - .offset:         33
        .size:           1
        .value_kind:     by_value
      - .offset:         34
        .size:           1
        .value_kind:     by_value
      - .offset:         35
        .size:           1
        .value_kind:     by_value
    .group_segment_fixed_size: 0
    .kernarg_segment_align: 8
    .kernarg_segment_size: 36
    .language:       OpenCL C
    .language_version:
      - 2
      - 0
    .max_flat_workgroup_size: 256
    .name:           _ZN2at6native27unrolled_elementwise_kernelIZZZNS0_15lcm_kernel_cudaERNS_18TensorIteratorBaseEENKUlvE_clEvENKUlvE3_clEvEUlssE_St5arrayIPcLm3EELi4E23TrivialOffsetCalculatorILi2EjESA_ILi1EjENS0_6memory15LoadWithoutCastENSD_16StoreWithoutCastEEEviT_T0_T2_T3_T4_T5_
    .private_segment_fixed_size: 0
    .sgpr_count:     13
    .sgpr_spill_count: 0
    .symbol:         _ZN2at6native27unrolled_elementwise_kernelIZZZNS0_15lcm_kernel_cudaERNS_18TensorIteratorBaseEENKUlvE_clEvENKUlvE3_clEvEUlssE_St5arrayIPcLm3EELi4E23TrivialOffsetCalculatorILi2EjESA_ILi1EjENS0_6memory15LoadWithoutCastENSD_16StoreWithoutCastEEEviT_T0_T2_T3_T4_T5_.kd
    .uniform_work_group_size: 1
    .uses_dynamic_stack: false
    .vgpr_count:     18
    .vgpr_spill_count: 0
    .wavefront_size: 32
  - .args:
      - .offset:         0
        .size:           4
        .value_kind:     by_value
      - .offset:         8
        .size:           424
        .value_kind:     by_value
    .group_segment_fixed_size: 0
    .kernarg_segment_align: 8
    .kernarg_segment_size: 432
    .language:       OpenCL C
    .language_version:
      - 2
      - 0
    .max_flat_workgroup_size: 128
    .name:           _ZN2at6native32elementwise_kernel_manual_unrollILi128ELi8EZNS0_22gpu_kernel_impl_nocastIZZZNS0_15lcm_kernel_cudaERNS_18TensorIteratorBaseEENKUlvE_clEvENKUlvE3_clEvEUlssE_EEvS4_RKT_EUlibE_EEviT1_
    .private_segment_fixed_size: 0
    .sgpr_count:     48
    .sgpr_spill_count: 0
    .symbol:         _ZN2at6native32elementwise_kernel_manual_unrollILi128ELi8EZNS0_22gpu_kernel_impl_nocastIZZZNS0_15lcm_kernel_cudaERNS_18TensorIteratorBaseEENKUlvE_clEvENKUlvE3_clEvEUlssE_EEvS4_RKT_EUlibE_EEviT1_.kd
    .uniform_work_group_size: 1
    .uses_dynamic_stack: false
    .vgpr_count:     31
    .vgpr_spill_count: 0
    .wavefront_size: 32
  - .args:
      - .offset:         0
        .size:           4
        .value_kind:     by_value
      - .offset:         8
        .size:           40
        .value_kind:     by_value
    .group_segment_fixed_size: 0
    .kernarg_segment_align: 8
    .kernarg_segment_size: 48
    .language:       OpenCL C
    .language_version:
      - 2
      - 0
    .max_flat_workgroup_size: 128
    .name:           _ZN2at6native32elementwise_kernel_manual_unrollILi128ELi4EZNS0_15gpu_kernel_implIZZZNS0_15lcm_kernel_cudaERNS_18TensorIteratorBaseEENKUlvE_clEvENKUlvE3_clEvEUlssE_EEvS4_RKT_EUlibE_EEviT1_
    .private_segment_fixed_size: 0
    .sgpr_count:     37
    .sgpr_spill_count: 0
    .symbol:         _ZN2at6native32elementwise_kernel_manual_unrollILi128ELi4EZNS0_15gpu_kernel_implIZZZNS0_15lcm_kernel_cudaERNS_18TensorIteratorBaseEENKUlvE_clEvENKUlvE3_clEvEUlssE_EEvS4_RKT_EUlibE_EEviT1_.kd
    .uniform_work_group_size: 1
    .uses_dynamic_stack: false
    .vgpr_count:     18
    .vgpr_spill_count: 0
    .wavefront_size: 32
  - .args:
      - .offset:         0
        .size:           4
        .value_kind:     by_value
      - .offset:         8
        .size:           424
        .value_kind:     by_value
    .group_segment_fixed_size: 0
    .kernarg_segment_align: 8
    .kernarg_segment_size: 432
    .language:       OpenCL C
    .language_version:
      - 2
      - 0
    .max_flat_workgroup_size: 128
    .name:           _ZN2at6native32elementwise_kernel_manual_unrollILi128ELi4EZNS0_15gpu_kernel_implIZZZNS0_15lcm_kernel_cudaERNS_18TensorIteratorBaseEENKUlvE_clEvENKUlvE3_clEvEUlssE_EEvS4_RKT_EUlibE0_EEviT1_
    .private_segment_fixed_size: 0
    .sgpr_count:     62
    .sgpr_spill_count: 0
    .symbol:         _ZN2at6native32elementwise_kernel_manual_unrollILi128ELi4EZNS0_15gpu_kernel_implIZZZNS0_15lcm_kernel_cudaERNS_18TensorIteratorBaseEENKUlvE_clEvENKUlvE3_clEvEUlssE_EEvS4_RKT_EUlibE0_EEviT1_.kd
    .uniform_work_group_size: 1
    .uses_dynamic_stack: false
    .vgpr_count:     26
    .vgpr_spill_count: 0
    .wavefront_size: 32
amdhsa.target:   amdgcn-amd-amdhsa--gfx1250
amdhsa.version:
  - 1
  - 2
...

	.end_amdgpu_metadata
